;; amdgpu-corpus repo=pytorch/pytorch kind=compiled arch=gfx942 opt=O3
	.text
	.amdgcn_target "amdgcn-amd-amdhsa--gfx942"
	.amdhsa_code_object_version 6
	.section	.text._ZN7rocprim17ROCPRIM_400000_NS6detail31init_lookback_scan_state_kernelINS1_19lookback_scan_stateIdLb0ELb1EEENS1_16block_id_wrapperIjLb0EEEEEvT_jT0_jPNS7_10value_typeE,"axG",@progbits,_ZN7rocprim17ROCPRIM_400000_NS6detail31init_lookback_scan_state_kernelINS1_19lookback_scan_stateIdLb0ELb1EEENS1_16block_id_wrapperIjLb0EEEEEvT_jT0_jPNS7_10value_typeE,comdat
	.protected	_ZN7rocprim17ROCPRIM_400000_NS6detail31init_lookback_scan_state_kernelINS1_19lookback_scan_stateIdLb0ELb1EEENS1_16block_id_wrapperIjLb0EEEEEvT_jT0_jPNS7_10value_typeE ; -- Begin function _ZN7rocprim17ROCPRIM_400000_NS6detail31init_lookback_scan_state_kernelINS1_19lookback_scan_stateIdLb0ELb1EEENS1_16block_id_wrapperIjLb0EEEEEvT_jT0_jPNS7_10value_typeE
	.globl	_ZN7rocprim17ROCPRIM_400000_NS6detail31init_lookback_scan_state_kernelINS1_19lookback_scan_stateIdLb0ELb1EEENS1_16block_id_wrapperIjLb0EEEEEvT_jT0_jPNS7_10value_typeE
	.p2align	8
	.type	_ZN7rocprim17ROCPRIM_400000_NS6detail31init_lookback_scan_state_kernelINS1_19lookback_scan_stateIdLb0ELb1EEENS1_16block_id_wrapperIjLb0EEEEEvT_jT0_jPNS7_10value_typeE,@function
_ZN7rocprim17ROCPRIM_400000_NS6detail31init_lookback_scan_state_kernelINS1_19lookback_scan_stateIdLb0ELb1EEENS1_16block_id_wrapperIjLb0EEEEEvT_jT0_jPNS7_10value_typeE: ; @_ZN7rocprim17ROCPRIM_400000_NS6detail31init_lookback_scan_state_kernelINS1_19lookback_scan_stateIdLb0ELb1EEENS1_16block_id_wrapperIjLb0EEEEEvT_jT0_jPNS7_10value_typeE
; %bb.0:
	s_load_dword s3, s[0:1], 0x2c
	s_load_dwordx2 s[6:7], s[0:1], 0x18
	s_load_dwordx2 s[4:5], s[0:1], 0x0
	s_load_dword s12, s[0:1], 0x8
	s_waitcnt lgkmcnt(0)
	s_and_b32 s3, s3, 0xffff
	s_mul_i32 s2, s2, s3
	s_cmp_eq_u64 s[6:7], 0
	v_add_u32_e32 v0, s2, v0
	s_cbranch_scc1 .LBB0_8
; %bb.1:
	s_load_dword s2, s[0:1], 0x10
	s_mov_b32 s3, 0
	s_waitcnt lgkmcnt(0)
	s_cmp_lt_u32 s2, s12
	s_cselect_b32 s0, s2, 0
	v_cmp_eq_u32_e32 vcc, s0, v0
	s_and_saveexec_b64 s[0:1], vcc
	s_cbranch_execz .LBB0_7
; %bb.2:
	s_add_i32 s2, s2, 64
	s_lshl_b64 s[2:3], s[2:3], 4
	s_add_u32 s10, s4, s2
	s_addc_u32 s11, s5, s3
	v_mov_b64_e32 v[2:3], s[10:11]
	;;#ASMSTART
	global_load_dwordx4 v[2:5], v[2:3] off sc1	
s_waitcnt vmcnt(0)
	;;#ASMEND
	v_mov_b32_e32 v7, 0
	v_and_b32_e32 v6, 0xff, v4
	s_mov_b64 s[8:9], 0
	v_cmp_eq_u64_e32 vcc, 0, v[6:7]
	s_and_saveexec_b64 s[2:3], vcc
	s_cbranch_execz .LBB0_6
; %bb.3:
	v_mov_b64_e32 v[8:9], s[10:11]
.LBB0_4:                                ; =>This Inner Loop Header: Depth=1
	;;#ASMSTART
	global_load_dwordx4 v[2:5], v[8:9] off sc1	
s_waitcnt vmcnt(0)
	;;#ASMEND
	s_nop 0
	v_and_b32_e32 v6, 0xff, v4
	v_cmp_ne_u64_e32 vcc, 0, v[6:7]
	s_or_b64 s[8:9], vcc, s[8:9]
	s_andn2_b64 exec, exec, s[8:9]
	s_cbranch_execnz .LBB0_4
; %bb.5:
	s_or_b64 exec, exec, s[8:9]
.LBB0_6:
	s_or_b64 exec, exec, s[2:3]
	v_mov_b32_e32 v1, 0
	global_store_dwordx2 v1, v[2:3], s[6:7]
.LBB0_7:
	s_or_b64 exec, exec, s[0:1]
.LBB0_8:
	v_cmp_gt_u32_e32 vcc, s12, v0
	s_and_saveexec_b64 s[0:1], vcc
	s_cbranch_execnz .LBB0_11
; %bb.9:
	s_or_b64 exec, exec, s[0:1]
	v_cmp_gt_u32_e32 vcc, 64, v0
	s_and_saveexec_b64 s[0:1], vcc
	s_cbranch_execnz .LBB0_12
.LBB0_10:
	s_endpgm
.LBB0_11:
	v_add_u32_e32 v2, 64, v0
	v_mov_b32_e32 v3, 0
	v_lshl_add_u64 v[6:7], v[2:3], 4, s[4:5]
	v_mov_b32_e32 v2, v3
	v_mov_b32_e32 v4, v3
	;; [unrolled: 1-line block ×3, first 2 shown]
	global_store_dwordx4 v[6:7], v[2:5], off
	s_or_b64 exec, exec, s[0:1]
	v_cmp_gt_u32_e32 vcc, 64, v0
	s_and_saveexec_b64 s[0:1], vcc
	s_cbranch_execz .LBB0_10
.LBB0_12:
	v_mov_b32_e32 v1, 0
	v_lshl_add_u64 v[4:5], v[0:1], 4, s[4:5]
	v_mov_b32_e32 v2, 0xff
	v_mov_b32_e32 v0, v1
	v_mov_b32_e32 v3, v1
	global_store_dwordx4 v[4:5], v[0:3], off
	s_endpgm
	.section	.rodata,"a",@progbits
	.p2align	6, 0x0
	.amdhsa_kernel _ZN7rocprim17ROCPRIM_400000_NS6detail31init_lookback_scan_state_kernelINS1_19lookback_scan_stateIdLb0ELb1EEENS1_16block_id_wrapperIjLb0EEEEEvT_jT0_jPNS7_10value_typeE
		.amdhsa_group_segment_fixed_size 0
		.amdhsa_private_segment_fixed_size 0
		.amdhsa_kernarg_size 288
		.amdhsa_user_sgpr_count 2
		.amdhsa_user_sgpr_dispatch_ptr 0
		.amdhsa_user_sgpr_queue_ptr 0
		.amdhsa_user_sgpr_kernarg_segment_ptr 1
		.amdhsa_user_sgpr_dispatch_id 0
		.amdhsa_user_sgpr_kernarg_preload_length 0
		.amdhsa_user_sgpr_kernarg_preload_offset 0
		.amdhsa_user_sgpr_private_segment_size 0
		.amdhsa_uses_dynamic_stack 0
		.amdhsa_enable_private_segment 0
		.amdhsa_system_sgpr_workgroup_id_x 1
		.amdhsa_system_sgpr_workgroup_id_y 0
		.amdhsa_system_sgpr_workgroup_id_z 0
		.amdhsa_system_sgpr_workgroup_info 0
		.amdhsa_system_vgpr_workitem_id 0
		.amdhsa_next_free_vgpr 10
		.amdhsa_next_free_sgpr 13
		.amdhsa_accum_offset 12
		.amdhsa_reserve_vcc 1
		.amdhsa_float_round_mode_32 0
		.amdhsa_float_round_mode_16_64 0
		.amdhsa_float_denorm_mode_32 3
		.amdhsa_float_denorm_mode_16_64 3
		.amdhsa_dx10_clamp 1
		.amdhsa_ieee_mode 1
		.amdhsa_fp16_overflow 0
		.amdhsa_tg_split 0
		.amdhsa_exception_fp_ieee_invalid_op 0
		.amdhsa_exception_fp_denorm_src 0
		.amdhsa_exception_fp_ieee_div_zero 0
		.amdhsa_exception_fp_ieee_overflow 0
		.amdhsa_exception_fp_ieee_underflow 0
		.amdhsa_exception_fp_ieee_inexact 0
		.amdhsa_exception_int_div_zero 0
	.end_amdhsa_kernel
	.section	.text._ZN7rocprim17ROCPRIM_400000_NS6detail31init_lookback_scan_state_kernelINS1_19lookback_scan_stateIdLb0ELb1EEENS1_16block_id_wrapperIjLb0EEEEEvT_jT0_jPNS7_10value_typeE,"axG",@progbits,_ZN7rocprim17ROCPRIM_400000_NS6detail31init_lookback_scan_state_kernelINS1_19lookback_scan_stateIdLb0ELb1EEENS1_16block_id_wrapperIjLb0EEEEEvT_jT0_jPNS7_10value_typeE,comdat
.Lfunc_end0:
	.size	_ZN7rocprim17ROCPRIM_400000_NS6detail31init_lookback_scan_state_kernelINS1_19lookback_scan_stateIdLb0ELb1EEENS1_16block_id_wrapperIjLb0EEEEEvT_jT0_jPNS7_10value_typeE, .Lfunc_end0-_ZN7rocprim17ROCPRIM_400000_NS6detail31init_lookback_scan_state_kernelINS1_19lookback_scan_stateIdLb0ELb1EEENS1_16block_id_wrapperIjLb0EEEEEvT_jT0_jPNS7_10value_typeE
                                        ; -- End function
	.section	.AMDGPU.csdata,"",@progbits
; Kernel info:
; codeLenInByte = 356
; NumSgprs: 19
; NumVgprs: 10
; NumAgprs: 0
; TotalNumVgprs: 10
; ScratchSize: 0
; MemoryBound: 0
; FloatMode: 240
; IeeeMode: 1
; LDSByteSize: 0 bytes/workgroup (compile time only)
; SGPRBlocks: 2
; VGPRBlocks: 1
; NumSGPRsForWavesPerEU: 19
; NumVGPRsForWavesPerEU: 10
; AccumOffset: 12
; Occupancy: 8
; WaveLimiterHint : 0
; COMPUTE_PGM_RSRC2:SCRATCH_EN: 0
; COMPUTE_PGM_RSRC2:USER_SGPR: 2
; COMPUTE_PGM_RSRC2:TRAP_HANDLER: 0
; COMPUTE_PGM_RSRC2:TGID_X_EN: 1
; COMPUTE_PGM_RSRC2:TGID_Y_EN: 0
; COMPUTE_PGM_RSRC2:TGID_Z_EN: 0
; COMPUTE_PGM_RSRC2:TIDIG_COMP_CNT: 0
; COMPUTE_PGM_RSRC3_GFX90A:ACCUM_OFFSET: 2
; COMPUTE_PGM_RSRC3_GFX90A:TG_SPLIT: 0
	.section	.text._ZN7rocprim17ROCPRIM_400000_NS6detail17trampoline_kernelINS0_14default_configENS1_20scan_config_selectorIdEEZZNS1_9scan_implILNS1_25lookback_scan_determinismE0ELb0ELb0ES3_PKdPddZZZN2at6native31launch_logcumsumexp_cuda_kernelERKNSB_10TensorBaseESF_lENKUlvE_clEvENKUlvE_clEvEUlddE_dEEDaPvRmT3_T4_T5_mT6_P12ihipStream_tbENKUlT_T0_E_clISt17integral_constantIbLb0EESW_EEDaSR_SS_EUlSR_E_NS1_11comp_targetILNS1_3genE0ELNS1_11target_archE4294967295ELNS1_3gpuE0ELNS1_3repE0EEENS1_30default_config_static_selectorELNS0_4arch9wavefront6targetE1EEEvT1_,"axG",@progbits,_ZN7rocprim17ROCPRIM_400000_NS6detail17trampoline_kernelINS0_14default_configENS1_20scan_config_selectorIdEEZZNS1_9scan_implILNS1_25lookback_scan_determinismE0ELb0ELb0ES3_PKdPddZZZN2at6native31launch_logcumsumexp_cuda_kernelERKNSB_10TensorBaseESF_lENKUlvE_clEvENKUlvE_clEvEUlddE_dEEDaPvRmT3_T4_T5_mT6_P12ihipStream_tbENKUlT_T0_E_clISt17integral_constantIbLb0EESW_EEDaSR_SS_EUlSR_E_NS1_11comp_targetILNS1_3genE0ELNS1_11target_archE4294967295ELNS1_3gpuE0ELNS1_3repE0EEENS1_30default_config_static_selectorELNS0_4arch9wavefront6targetE1EEEvT1_,comdat
	.globl	_ZN7rocprim17ROCPRIM_400000_NS6detail17trampoline_kernelINS0_14default_configENS1_20scan_config_selectorIdEEZZNS1_9scan_implILNS1_25lookback_scan_determinismE0ELb0ELb0ES3_PKdPddZZZN2at6native31launch_logcumsumexp_cuda_kernelERKNSB_10TensorBaseESF_lENKUlvE_clEvENKUlvE_clEvEUlddE_dEEDaPvRmT3_T4_T5_mT6_P12ihipStream_tbENKUlT_T0_E_clISt17integral_constantIbLb0EESW_EEDaSR_SS_EUlSR_E_NS1_11comp_targetILNS1_3genE0ELNS1_11target_archE4294967295ELNS1_3gpuE0ELNS1_3repE0EEENS1_30default_config_static_selectorELNS0_4arch9wavefront6targetE1EEEvT1_ ; -- Begin function _ZN7rocprim17ROCPRIM_400000_NS6detail17trampoline_kernelINS0_14default_configENS1_20scan_config_selectorIdEEZZNS1_9scan_implILNS1_25lookback_scan_determinismE0ELb0ELb0ES3_PKdPddZZZN2at6native31launch_logcumsumexp_cuda_kernelERKNSB_10TensorBaseESF_lENKUlvE_clEvENKUlvE_clEvEUlddE_dEEDaPvRmT3_T4_T5_mT6_P12ihipStream_tbENKUlT_T0_E_clISt17integral_constantIbLb0EESW_EEDaSR_SS_EUlSR_E_NS1_11comp_targetILNS1_3genE0ELNS1_11target_archE4294967295ELNS1_3gpuE0ELNS1_3repE0EEENS1_30default_config_static_selectorELNS0_4arch9wavefront6targetE1EEEvT1_
	.p2align	8
	.type	_ZN7rocprim17ROCPRIM_400000_NS6detail17trampoline_kernelINS0_14default_configENS1_20scan_config_selectorIdEEZZNS1_9scan_implILNS1_25lookback_scan_determinismE0ELb0ELb0ES3_PKdPddZZZN2at6native31launch_logcumsumexp_cuda_kernelERKNSB_10TensorBaseESF_lENKUlvE_clEvENKUlvE_clEvEUlddE_dEEDaPvRmT3_T4_T5_mT6_P12ihipStream_tbENKUlT_T0_E_clISt17integral_constantIbLb0EESW_EEDaSR_SS_EUlSR_E_NS1_11comp_targetILNS1_3genE0ELNS1_11target_archE4294967295ELNS1_3gpuE0ELNS1_3repE0EEENS1_30default_config_static_selectorELNS0_4arch9wavefront6targetE1EEEvT1_,@function
_ZN7rocprim17ROCPRIM_400000_NS6detail17trampoline_kernelINS0_14default_configENS1_20scan_config_selectorIdEEZZNS1_9scan_implILNS1_25lookback_scan_determinismE0ELb0ELb0ES3_PKdPddZZZN2at6native31launch_logcumsumexp_cuda_kernelERKNSB_10TensorBaseESF_lENKUlvE_clEvENKUlvE_clEvEUlddE_dEEDaPvRmT3_T4_T5_mT6_P12ihipStream_tbENKUlT_T0_E_clISt17integral_constantIbLb0EESW_EEDaSR_SS_EUlSR_E_NS1_11comp_targetILNS1_3genE0ELNS1_11target_archE4294967295ELNS1_3gpuE0ELNS1_3repE0EEENS1_30default_config_static_selectorELNS0_4arch9wavefront6targetE1EEEvT1_: ; @_ZN7rocprim17ROCPRIM_400000_NS6detail17trampoline_kernelINS0_14default_configENS1_20scan_config_selectorIdEEZZNS1_9scan_implILNS1_25lookback_scan_determinismE0ELb0ELb0ES3_PKdPddZZZN2at6native31launch_logcumsumexp_cuda_kernelERKNSB_10TensorBaseESF_lENKUlvE_clEvENKUlvE_clEvEUlddE_dEEDaPvRmT3_T4_T5_mT6_P12ihipStream_tbENKUlT_T0_E_clISt17integral_constantIbLb0EESW_EEDaSR_SS_EUlSR_E_NS1_11comp_targetILNS1_3genE0ELNS1_11target_archE4294967295ELNS1_3gpuE0ELNS1_3repE0EEENS1_30default_config_static_selectorELNS0_4arch9wavefront6targetE1EEEvT1_
; %bb.0:
	.section	.rodata,"a",@progbits
	.p2align	6, 0x0
	.amdhsa_kernel _ZN7rocprim17ROCPRIM_400000_NS6detail17trampoline_kernelINS0_14default_configENS1_20scan_config_selectorIdEEZZNS1_9scan_implILNS1_25lookback_scan_determinismE0ELb0ELb0ES3_PKdPddZZZN2at6native31launch_logcumsumexp_cuda_kernelERKNSB_10TensorBaseESF_lENKUlvE_clEvENKUlvE_clEvEUlddE_dEEDaPvRmT3_T4_T5_mT6_P12ihipStream_tbENKUlT_T0_E_clISt17integral_constantIbLb0EESW_EEDaSR_SS_EUlSR_E_NS1_11comp_targetILNS1_3genE0ELNS1_11target_archE4294967295ELNS1_3gpuE0ELNS1_3repE0EEENS1_30default_config_static_selectorELNS0_4arch9wavefront6targetE1EEEvT1_
		.amdhsa_group_segment_fixed_size 0
		.amdhsa_private_segment_fixed_size 0
		.amdhsa_kernarg_size 104
		.amdhsa_user_sgpr_count 2
		.amdhsa_user_sgpr_dispatch_ptr 0
		.amdhsa_user_sgpr_queue_ptr 0
		.amdhsa_user_sgpr_kernarg_segment_ptr 1
		.amdhsa_user_sgpr_dispatch_id 0
		.amdhsa_user_sgpr_kernarg_preload_length 0
		.amdhsa_user_sgpr_kernarg_preload_offset 0
		.amdhsa_user_sgpr_private_segment_size 0
		.amdhsa_uses_dynamic_stack 0
		.amdhsa_enable_private_segment 0
		.amdhsa_system_sgpr_workgroup_id_x 1
		.amdhsa_system_sgpr_workgroup_id_y 0
		.amdhsa_system_sgpr_workgroup_id_z 0
		.amdhsa_system_sgpr_workgroup_info 0
		.amdhsa_system_vgpr_workitem_id 0
		.amdhsa_next_free_vgpr 1
		.amdhsa_next_free_sgpr 0
		.amdhsa_accum_offset 4
		.amdhsa_reserve_vcc 0
		.amdhsa_float_round_mode_32 0
		.amdhsa_float_round_mode_16_64 0
		.amdhsa_float_denorm_mode_32 3
		.amdhsa_float_denorm_mode_16_64 3
		.amdhsa_dx10_clamp 1
		.amdhsa_ieee_mode 1
		.amdhsa_fp16_overflow 0
		.amdhsa_tg_split 0
		.amdhsa_exception_fp_ieee_invalid_op 0
		.amdhsa_exception_fp_denorm_src 0
		.amdhsa_exception_fp_ieee_div_zero 0
		.amdhsa_exception_fp_ieee_overflow 0
		.amdhsa_exception_fp_ieee_underflow 0
		.amdhsa_exception_fp_ieee_inexact 0
		.amdhsa_exception_int_div_zero 0
	.end_amdhsa_kernel
	.section	.text._ZN7rocprim17ROCPRIM_400000_NS6detail17trampoline_kernelINS0_14default_configENS1_20scan_config_selectorIdEEZZNS1_9scan_implILNS1_25lookback_scan_determinismE0ELb0ELb0ES3_PKdPddZZZN2at6native31launch_logcumsumexp_cuda_kernelERKNSB_10TensorBaseESF_lENKUlvE_clEvENKUlvE_clEvEUlddE_dEEDaPvRmT3_T4_T5_mT6_P12ihipStream_tbENKUlT_T0_E_clISt17integral_constantIbLb0EESW_EEDaSR_SS_EUlSR_E_NS1_11comp_targetILNS1_3genE0ELNS1_11target_archE4294967295ELNS1_3gpuE0ELNS1_3repE0EEENS1_30default_config_static_selectorELNS0_4arch9wavefront6targetE1EEEvT1_,"axG",@progbits,_ZN7rocprim17ROCPRIM_400000_NS6detail17trampoline_kernelINS0_14default_configENS1_20scan_config_selectorIdEEZZNS1_9scan_implILNS1_25lookback_scan_determinismE0ELb0ELb0ES3_PKdPddZZZN2at6native31launch_logcumsumexp_cuda_kernelERKNSB_10TensorBaseESF_lENKUlvE_clEvENKUlvE_clEvEUlddE_dEEDaPvRmT3_T4_T5_mT6_P12ihipStream_tbENKUlT_T0_E_clISt17integral_constantIbLb0EESW_EEDaSR_SS_EUlSR_E_NS1_11comp_targetILNS1_3genE0ELNS1_11target_archE4294967295ELNS1_3gpuE0ELNS1_3repE0EEENS1_30default_config_static_selectorELNS0_4arch9wavefront6targetE1EEEvT1_,comdat
.Lfunc_end1:
	.size	_ZN7rocprim17ROCPRIM_400000_NS6detail17trampoline_kernelINS0_14default_configENS1_20scan_config_selectorIdEEZZNS1_9scan_implILNS1_25lookback_scan_determinismE0ELb0ELb0ES3_PKdPddZZZN2at6native31launch_logcumsumexp_cuda_kernelERKNSB_10TensorBaseESF_lENKUlvE_clEvENKUlvE_clEvEUlddE_dEEDaPvRmT3_T4_T5_mT6_P12ihipStream_tbENKUlT_T0_E_clISt17integral_constantIbLb0EESW_EEDaSR_SS_EUlSR_E_NS1_11comp_targetILNS1_3genE0ELNS1_11target_archE4294967295ELNS1_3gpuE0ELNS1_3repE0EEENS1_30default_config_static_selectorELNS0_4arch9wavefront6targetE1EEEvT1_, .Lfunc_end1-_ZN7rocprim17ROCPRIM_400000_NS6detail17trampoline_kernelINS0_14default_configENS1_20scan_config_selectorIdEEZZNS1_9scan_implILNS1_25lookback_scan_determinismE0ELb0ELb0ES3_PKdPddZZZN2at6native31launch_logcumsumexp_cuda_kernelERKNSB_10TensorBaseESF_lENKUlvE_clEvENKUlvE_clEvEUlddE_dEEDaPvRmT3_T4_T5_mT6_P12ihipStream_tbENKUlT_T0_E_clISt17integral_constantIbLb0EESW_EEDaSR_SS_EUlSR_E_NS1_11comp_targetILNS1_3genE0ELNS1_11target_archE4294967295ELNS1_3gpuE0ELNS1_3repE0EEENS1_30default_config_static_selectorELNS0_4arch9wavefront6targetE1EEEvT1_
                                        ; -- End function
	.section	.AMDGPU.csdata,"",@progbits
; Kernel info:
; codeLenInByte = 0
; NumSgprs: 6
; NumVgprs: 0
; NumAgprs: 0
; TotalNumVgprs: 0
; ScratchSize: 0
; MemoryBound: 0
; FloatMode: 240
; IeeeMode: 1
; LDSByteSize: 0 bytes/workgroup (compile time only)
; SGPRBlocks: 0
; VGPRBlocks: 0
; NumSGPRsForWavesPerEU: 6
; NumVGPRsForWavesPerEU: 1
; AccumOffset: 4
; Occupancy: 8
; WaveLimiterHint : 0
; COMPUTE_PGM_RSRC2:SCRATCH_EN: 0
; COMPUTE_PGM_RSRC2:USER_SGPR: 2
; COMPUTE_PGM_RSRC2:TRAP_HANDLER: 0
; COMPUTE_PGM_RSRC2:TGID_X_EN: 1
; COMPUTE_PGM_RSRC2:TGID_Y_EN: 0
; COMPUTE_PGM_RSRC2:TGID_Z_EN: 0
; COMPUTE_PGM_RSRC2:TIDIG_COMP_CNT: 0
; COMPUTE_PGM_RSRC3_GFX90A:ACCUM_OFFSET: 0
; COMPUTE_PGM_RSRC3_GFX90A:TG_SPLIT: 0
	.text
	.p2align	2                               ; -- Begin function _ZZZN7rocprim17ROCPRIM_400000_NS6detail9scan_implILNS1_25lookback_scan_determinismE0ELb0ELb0ENS0_14default_configEPKdPddZZZN2at6native31launch_logcumsumexp_cuda_kernelERKNS8_10TensorBaseESC_lENKUlvE_clEvENKUlvE_clEvEUlddE_dEEDaPvRmT3_T4_T5_mT6_P12ihipStream_tbENKUlT_T0_E_clISt17integral_constantIbLb0EEST_EEDaSO_SP_ENKUlSO_E_clINS1_13target_configIS4_NS1_20scan_config_selectorIdEENS1_11comp_targetILNS1_3genE5ELNS1_11target_archE942ELNS1_3gpuE9ELNS1_3repE0EEELNS0_4arch9wavefront6targetE1EEEEEDaSO_
	.type	_ZZZN7rocprim17ROCPRIM_400000_NS6detail9scan_implILNS1_25lookback_scan_determinismE0ELb0ELb0ENS0_14default_configEPKdPddZZZN2at6native31launch_logcumsumexp_cuda_kernelERKNS8_10TensorBaseESC_lENKUlvE_clEvENKUlvE_clEvEUlddE_dEEDaPvRmT3_T4_T5_mT6_P12ihipStream_tbENKUlT_T0_E_clISt17integral_constantIbLb0EEST_EEDaSO_SP_ENKUlSO_E_clINS1_13target_configIS4_NS1_20scan_config_selectorIdEENS1_11comp_targetILNS1_3genE5ELNS1_11target_archE942ELNS1_3gpuE9ELNS1_3repE0EEELNS0_4arch9wavefront6targetE1EEEEEDaSO_,@function
_ZZZN7rocprim17ROCPRIM_400000_NS6detail9scan_implILNS1_25lookback_scan_determinismE0ELb0ELb0ENS0_14default_configEPKdPddZZZN2at6native31launch_logcumsumexp_cuda_kernelERKNS8_10TensorBaseESC_lENKUlvE_clEvENKUlvE_clEvEUlddE_dEEDaPvRmT3_T4_T5_mT6_P12ihipStream_tbENKUlT_T0_E_clISt17integral_constantIbLb0EEST_EEDaSO_SP_ENKUlSO_E_clINS1_13target_configIS4_NS1_20scan_config_selectorIdEENS1_11comp_targetILNS1_3genE5ELNS1_11target_archE942ELNS1_3gpuE9ELNS1_3repE0EEELNS0_4arch9wavefront6targetE1EEEEEDaSO_: ; @_ZZZN7rocprim17ROCPRIM_400000_NS6detail9scan_implILNS1_25lookback_scan_determinismE0ELb0ELb0ENS0_14default_configEPKdPddZZZN2at6native31launch_logcumsumexp_cuda_kernelERKNS8_10TensorBaseESC_lENKUlvE_clEvENKUlvE_clEvEUlddE_dEEDaPvRmT3_T4_T5_mT6_P12ihipStream_tbENKUlT_T0_E_clISt17integral_constantIbLb0EEST_EEDaSO_SP_ENKUlSO_E_clINS1_13target_configIS4_NS1_20scan_config_selectorIdEENS1_11comp_targetILNS1_3genE5ELNS1_11target_archE942ELNS1_3gpuE9ELNS1_3repE0EEELNS0_4arch9wavefront6targetE1EEEEEDaSO_
; %bb.0:
	s_waitcnt vmcnt(0) expcnt(0) lgkmcnt(0)
	s_or_saveexec_b64 s[0:1], -1
	scratch_store_dword off, v74, s32       ; 4-byte Folded Spill
	s_mov_b64 exec, s[0:1]
	v_writelane_b32 v74, s30, 0
	s_nop 1
	v_writelane_b32 v74, s31, 1
	flat_load_dwordx4 v[52:55], v[0:1]
	flat_load_dwordx3 v[116:118], v[0:1] offset:48
	flat_load_dwordx4 v[64:67], v[0:1] offset:16
	flat_load_dwordx4 v[36:39], v[0:1] offset:64
	;; [unrolled: 1-line block ×3, first 2 shown]
	s_movk_i32 s0, 0xf00
	s_mov_b32 s47, 0
	v_and_b32_e32 v70, 0x3ff, v31
	s_mul_i32 s46, s12, 0xf00
	s_waitcnt vmcnt(0) lgkmcnt(0)
	v_lshl_add_u64 v[0:1], v[54:55], 3, v[52:53]
	v_add_u32_e32 v2, -1, v118
	v_mul_lo_u32 v3, v2, s0
	v_sub_co_u32_e32 v118, vcc, v66, v3
	v_cmp_ne_u32_e64 s[0:1], s12, v2
	v_lshl_add_u64 v[0:1], s[46:47], 3, v[0:1]
	v_subbrev_co_u32_e32 v119, vcc, 0, v67, vcc
	v_lshlrev_b32_e32 v52, 3, v70
	s_and_saveexec_b64 s[2:3], s[0:1]
	s_xor_b64 s[2:3], exec, s[2:3]
	s_cbranch_execz .LBB2_2
; %bb.1:
	v_mov_b32_e32 v53, 0
	v_lshl_add_u64 v[0:1], v[0:1], 0, v[52:53]
	v_add_co_u32_e32 v2, vcc, 0x1000, v0
	s_nop 1
	v_addc_co_u32_e32 v3, vcc, 0, v1, vcc
	flat_load_dwordx2 v[4:5], v[0:1]
	flat_load_dwordx2 v[6:7], v[0:1] offset:2048
	flat_load_dwordx2 v[8:9], v[2:3]
	flat_load_dwordx2 v[10:11], v[2:3] offset:2048
	v_add_co_u32_e32 v2, vcc, 0x2000, v0
	s_nop 1
	v_addc_co_u32_e32 v3, vcc, 0, v1, vcc
	v_add_co_u32_e32 v12, vcc, 0x3000, v0
	s_nop 1
	v_addc_co_u32_e32 v13, vcc, 0, v1, vcc
	flat_load_dwordx2 v[14:15], v[2:3]
	flat_load_dwordx2 v[16:17], v[2:3] offset:2048
	flat_load_dwordx2 v[18:19], v[12:13]
	flat_load_dwordx2 v[20:21], v[12:13] offset:2048
	v_add_co_u32_e32 v2, vcc, 0x4000, v0
	s_nop 1
	v_addc_co_u32_e32 v3, vcc, 0, v1, vcc
	v_add_co_u32_e32 v12, vcc, 0x5000, v0
	s_nop 1
	v_addc_co_u32_e32 v13, vcc, 0, v1, vcc
	flat_load_dwordx2 v[22:23], v[2:3]
	flat_load_dwordx2 v[24:25], v[2:3] offset:2048
	flat_load_dwordx2 v[26:27], v[12:13]
	flat_load_dwordx2 v[28:29], v[12:13] offset:2048
	v_add_co_u32_e32 v2, vcc, 0x6000, v0
	s_nop 1
	v_addc_co_u32_e32 v3, vcc, 0, v1, vcc
	v_add_co_u32_e32 v0, vcc, 0x7000, v0
	s_nop 1
	v_addc_co_u32_e32 v1, vcc, 0, v1, vcc
	flat_load_dwordx2 v[12:13], v[2:3]
	flat_load_dwordx2 v[30:31], v[2:3] offset:2048
	flat_load_dwordx2 v[32:33], v[0:1]
                                        ; implicit-def: $vgpr0_vgpr1
	s_waitcnt vmcnt(0) lgkmcnt(0)
	ds_write2st64_b64 v52, v[4:5], v[6:7] offset1:4
	ds_write2st64_b64 v52, v[8:9], v[10:11] offset0:8 offset1:12
	ds_write2st64_b64 v52, v[14:15], v[16:17] offset0:16 offset1:20
	;; [unrolled: 1-line block ×6, first 2 shown]
	ds_write_b64 v52, v[32:33] offset:28672
	s_waitcnt lgkmcnt(0)
	s_barrier
.LBB2_2:
	s_andn2_saveexec_b64 s[2:3], s[2:3]
	s_cbranch_execz .LBB2_34
; %bb.3:
	flat_load_dwordx2 v[2:3], v[0:1]
	v_cmp_lt_u32_e32 vcc, v70, v118
	s_waitcnt vmcnt(0) lgkmcnt(0)
	v_mov_b32_e32 v4, v2
	v_mov_b32_e32 v5, v3
	;; [unrolled: 1-line block ×26, first 2 shown]
	v_mov_b64_e32 v[34:35], v[30:31]
	v_mov_b64_e32 v[32:33], v[28:29]
	;; [unrolled: 1-line block ×16, first 2 shown]
	s_and_saveexec_b64 s[4:5], vcc
	s_cbranch_execz .LBB2_5
; %bb.4:
	v_mov_b32_e32 v53, 0
	v_lshl_add_u64 v[4:5], v[0:1], 0, v[52:53]
	flat_load_dwordx2 v[66:67], v[4:5]
	v_mov_b32_e32 v4, v2
	v_mov_b32_e32 v5, v3
	;; [unrolled: 1-line block ×26, first 2 shown]
	v_mov_b64_e32 v[34:35], v[30:31]
	v_mov_b64_e32 v[32:33], v[28:29]
	;; [unrolled: 1-line block ×16, first 2 shown]
	s_waitcnt vmcnt(0) lgkmcnt(0)
	v_mov_b64_e32 v[2:3], v[66:67]
.LBB2_5:
	s_or_b64 exec, exec, s[4:5]
	v_add_u32_e32 v4, 0x100, v70
	v_cmp_lt_u32_e32 vcc, v4, v118
	s_and_saveexec_b64 s[4:5], vcc
	s_cbranch_execz .LBB2_7
; %bb.6:
	v_mov_b32_e32 v53, 0
	v_lshl_add_u64 v[4:5], v[0:1], 0, v[52:53]
	flat_load_dwordx2 v[6:7], v[4:5] offset:2048
.LBB2_7:
	s_or_b64 exec, exec, s[4:5]
	v_add_u32_e32 v4, 0x200, v70
	v_cmp_lt_u32_e32 vcc, v4, v118
	s_and_saveexec_b64 s[4:5], vcc
	s_cbranch_execz .LBB2_9
; %bb.8:
	v_lshlrev_b32_e32 v4, 3, v4
	v_mov_b32_e32 v5, 0
	v_lshl_add_u64 v[4:5], v[0:1], 0, v[4:5]
	flat_load_dwordx2 v[8:9], v[4:5]
.LBB2_9:
	s_or_b64 exec, exec, s[4:5]
	v_add_u32_e32 v4, 0x300, v70
	v_cmp_lt_u32_e32 vcc, v4, v118
	s_and_saveexec_b64 s[4:5], vcc
	s_cbranch_execz .LBB2_11
; %bb.10:
	v_lshlrev_b32_e32 v4, 3, v4
	v_mov_b32_e32 v5, 0
	v_lshl_add_u64 v[4:5], v[0:1], 0, v[4:5]
	flat_load_dwordx2 v[10:11], v[4:5]
.LBB2_11:
	s_or_b64 exec, exec, s[4:5]
	v_or_b32_e32 v4, 0x400, v70
	v_cmp_lt_u32_e32 vcc, v4, v118
	s_and_saveexec_b64 s[4:5], vcc
	s_cbranch_execz .LBB2_13
; %bb.12:
	v_lshlrev_b32_e32 v4, 3, v4
	v_mov_b32_e32 v5, 0
	v_lshl_add_u64 v[4:5], v[0:1], 0, v[4:5]
	flat_load_dwordx2 v[12:13], v[4:5]
.LBB2_13:
	s_or_b64 exec, exec, s[4:5]
	v_add_u32_e32 v4, 0x500, v70
	v_cmp_lt_u32_e32 vcc, v4, v118
	s_and_saveexec_b64 s[4:5], vcc
	s_cbranch_execz .LBB2_15
; %bb.14:
	v_lshlrev_b32_e32 v4, 3, v4
	v_mov_b32_e32 v5, 0
	v_lshl_add_u64 v[4:5], v[0:1], 0, v[4:5]
	flat_load_dwordx2 v[14:15], v[4:5]
.LBB2_15:
	s_or_b64 exec, exec, s[4:5]
	v_add_u32_e32 v4, 0x600, v70
	v_cmp_lt_u32_e32 vcc, v4, v118
	s_and_saveexec_b64 s[4:5], vcc
	s_cbranch_execz .LBB2_17
; %bb.16:
	v_lshlrev_b32_e32 v4, 3, v4
	v_mov_b32_e32 v5, 0
	v_lshl_add_u64 v[4:5], v[0:1], 0, v[4:5]
	flat_load_dwordx2 v[16:17], v[4:5]
.LBB2_17:
	s_or_b64 exec, exec, s[4:5]
	v_add_u32_e32 v4, 0x700, v70
	v_cmp_lt_u32_e32 vcc, v4, v118
	s_and_saveexec_b64 s[4:5], vcc
	s_cbranch_execz .LBB2_19
; %bb.18:
	v_lshlrev_b32_e32 v4, 3, v4
	v_mov_b32_e32 v5, 0
	v_lshl_add_u64 v[4:5], v[0:1], 0, v[4:5]
	flat_load_dwordx2 v[18:19], v[4:5]
.LBB2_19:
	s_or_b64 exec, exec, s[4:5]
	v_or_b32_e32 v4, 0x800, v70
	v_cmp_lt_u32_e32 vcc, v4, v118
	s_and_saveexec_b64 s[4:5], vcc
	s_cbranch_execz .LBB2_21
; %bb.20:
	v_lshlrev_b32_e32 v4, 3, v4
	v_mov_b32_e32 v5, 0
	v_lshl_add_u64 v[4:5], v[0:1], 0, v[4:5]
	flat_load_dwordx2 v[20:21], v[4:5]
.LBB2_21:
	s_or_b64 exec, exec, s[4:5]
	v_add_u32_e32 v4, 0x900, v70
	v_cmp_lt_u32_e32 vcc, v4, v118
	s_and_saveexec_b64 s[4:5], vcc
	s_cbranch_execz .LBB2_23
; %bb.22:
	v_lshlrev_b32_e32 v4, 3, v4
	v_mov_b32_e32 v5, 0
	v_lshl_add_u64 v[4:5], v[0:1], 0, v[4:5]
	flat_load_dwordx2 v[22:23], v[4:5]
.LBB2_23:
	;; [unrolled: 44-line block ×3, first 2 shown]
	s_or_b64 exec, exec, s[4:5]
	v_add_u32_e32 v4, 0xe00, v70
	v_cmp_lt_u32_e32 vcc, v4, v118
	s_and_saveexec_b64 s[4:5], vcc
	s_cbranch_execz .LBB2_33
; %bb.32:
	v_lshlrev_b32_e32 v4, 3, v4
	v_mov_b32_e32 v5, 0
	v_lshl_add_u64 v[0:1], v[0:1], 0, v[4:5]
	flat_load_dwordx2 v[32:33], v[0:1]
.LBB2_33:
	s_or_b64 exec, exec, s[4:5]
	s_waitcnt vmcnt(0) lgkmcnt(0)
	ds_write2st64_b64 v52, v[2:3], v[6:7] offset1:4
	ds_write2st64_b64 v52, v[8:9], v[10:11] offset0:8 offset1:12
	ds_write2st64_b64 v52, v[12:13], v[14:15] offset0:16 offset1:20
	;; [unrolled: 1-line block ×6, first 2 shown]
	ds_write_b64 v52, v[32:33] offset:28672
	s_waitcnt lgkmcnt(0)
	s_barrier
.LBB2_34:
	s_or_b64 exec, exec, s[2:3]
	v_mul_u32_u24_e32 v244, 15, v70
	v_lshlrev_b32_e32 v4, 3, v244
	ds_read2_b64 v[0:3], v4 offset1:1
	ds_read2_b64 v[112:115], v4 offset0:2 offset1:3
	ds_read2_b64 v[100:103], v4 offset0:4 offset1:5
	;; [unrolled: 1-line block ×6, first 2 shown]
	ds_read_b64 v[128:129], v4 offset:112
	s_cmp_lg_u32 s12, 0
	s_waitcnt lgkmcnt(7)
	v_cmp_u_f64_e64 s[2:3], v[2:3], v[2:3]
	v_max_f64 v[130:131], v[2:3], v[2:3]
	s_waitcnt lgkmcnt(0)
	s_barrier
	s_cbranch_scc0 .LBB2_134
; %bb.35:
	v_max_f64 v[132:133], v[0:1], v[0:1]
	v_min_f64 v[4:5], v[132:133], v[130:131]
	v_cmp_u_f64_e64 s[30:31], v[0:1], v[0:1]
	s_movk_i32 s13, 0x1f8
	v_mov_b64_e32 v[134:135], v[0:1]
	v_cndmask_b32_e64 v4, v4, v0, s[30:31]
	v_cndmask_b32_e64 v5, v5, v1, s[30:31]
	v_cndmask_b32_e64 v7, v5, v3, s[2:3]
	v_cndmask_b32_e64 v6, v4, v2, s[2:3]
	v_max_f64 v[4:5], v[132:133], v[130:131]
	v_cndmask_b32_e64 v4, v4, v0, s[30:31]
	v_cndmask_b32_e64 v5, v5, v1, s[30:31]
	;; [unrolled: 1-line block ×4, first 2 shown]
	v_cmp_neq_f64_e32 vcc, v[6:7], v[4:5]
	v_cmp_class_f64_e64 s[4:5], v[6:7], s13
	s_or_b64 s[4:5], vcc, s[4:5]
	s_and_saveexec_b64 s[6:7], s[4:5]
	s_cbranch_execz .LBB2_37
; %bb.36:
	s_mov_b32 s4, 0x652b82fe
	v_add_f64 v[6:7], v[6:7], -v[4:5]
	s_mov_b32 s5, 0x3ff71547
	v_mul_f64 v[8:9], v[6:7], s[4:5]
	v_rndne_f64_e32 v[8:9], v[8:9]
	s_mov_b32 s9, 0xbfe62e42
	s_mov_b32 s8, 0xfefa39ef
	v_fma_f64 v[10:11], s[8:9], v[8:9], v[6:7]
	s_mov_b32 s11, 0xbc7abc9e
	s_mov_b32 s10, 0x3b39803f
	;; [unrolled: 1-line block ×3, first 2 shown]
	v_fmac_f64_e32 v[10:11], s[10:11], v[8:9]
	v_mov_b32_e32 v12, 0xfca7ab0c
	v_mov_b32_e32 v13, 0x3e928af3
	s_mov_b32 s5, 0x3e5ade15
	v_fmac_f64_e32 v[12:13], s[4:5], v[10:11]
	v_mov_b32_e32 v14, 0x623fde64
	v_mov_b32_e32 v15, 0x3ec71dee
	v_fmac_f64_e32 v[14:15], v[10:11], v[12:13]
	v_mov_b32_e32 v12, 0x7c89e6b0
	v_mov_b32_e32 v13, 0x3efa0199
	;; [unrolled: 3-line block ×8, first 2 shown]
	s_mov_b32 s4, 0
	v_fmac_f64_e32 v[12:13], v[10:11], v[14:15]
	s_mov_b32 s5, 0x40900000
	v_fma_f64 v[12:13], v[10:11], v[12:13], 1.0
	v_cmp_nlt_f64_e32 vcc, s[4:5], v[6:7]
	s_mov_b32 s4, 0
	v_fma_f64 v[10:11], v[10:11], v[12:13], 1.0
	v_cvt_i32_f64_e32 v8, v[8:9]
	s_mov_b32 s5, 0xc090cc00
	v_ldexp_f64 v[8:9], v[10:11], v8
	v_mov_b32_e32 v10, 0x7ff00000
	v_cmp_ngt_f64_e64 s[4:5], s[4:5], v[6:7]
	v_cndmask_b32_e32 v9, v10, v9, vcc
	s_and_b64 vcc, s[4:5], vcc
	v_cndmask_b32_e64 v7, 0, v9, s[4:5]
	v_cndmask_b32_e32 v6, 0, v8, vcc
	v_add_f64 v[8:9], v[6:7], 1.0
	v_add_f64 v[10:11], v[8:9], -1.0
	v_add_f64 v[12:13], v[10:11], -v[8:9]
	v_add_f64 v[12:13], v[12:13], 1.0
	v_add_f64 v[10:11], v[6:7], -v[10:11]
	s_mov_b32 s4, 0x55555555
	v_add_f64 v[10:11], v[10:11], v[12:13]
	v_frexp_mant_f64_e32 v[12:13], v[8:9]
	s_mov_b32 s5, 0x3fe55555
	v_frexp_exp_i32_f64_e32 v14, v[8:9]
	v_cmp_gt_f64_e32 vcc, s[4:5], v[12:13]
	s_mov_b32 s4, 0xbf559e2b
	s_mov_b32 s5, 0x3fc3ab76
	v_subbrev_co_u32_e32 v28, vcc, 0, v14, vcc
	v_sub_u32_e32 v12, 0, v28
	v_ldexp_f64 v[8:9], v[8:9], v12
	v_ldexp_f64 v[10:11], v[10:11], v12
	v_add_f64 v[12:13], v[8:9], -1.0
	v_add_f64 v[18:19], v[8:9], 1.0
	v_add_f64 v[14:15], v[12:13], 1.0
	v_add_f64 v[20:21], v[18:19], -1.0
	v_add_f64 v[14:15], v[8:9], -v[14:15]
	v_add_f64 v[8:9], v[8:9], -v[20:21]
	v_add_f64 v[8:9], v[10:11], v[8:9]
	v_add_f64 v[14:15], v[10:11], v[14:15]
	;; [unrolled: 1-line block ×3, first 2 shown]
	v_rcp_f64_e32 v[20:21], v[10:11]
	v_add_f64 v[16:17], v[12:13], v[14:15]
	v_add_f64 v[12:13], v[16:17], -v[12:13]
	v_add_f64 v[12:13], v[14:15], -v[12:13]
	;; [unrolled: 1-line block ×4, first 2 shown]
	v_fma_f64 v[14:15], -v[10:11], v[20:21], 1.0
	v_fmac_f64_e32 v[20:21], v[14:15], v[20:21]
	v_fma_f64 v[14:15], -v[10:11], v[20:21], 1.0
	v_fmac_f64_e32 v[20:21], v[14:15], v[20:21]
	v_mul_f64 v[14:15], v[16:17], v[20:21]
	v_mul_f64 v[18:19], v[10:11], v[14:15]
	v_fma_f64 v[22:23], v[14:15], v[10:11], -v[18:19]
	v_fmac_f64_e32 v[22:23], v[14:15], v[8:9]
	v_add_f64 v[24:25], v[18:19], v[22:23]
	v_add_f64 v[26:27], v[16:17], -v[24:25]
	v_add_f64 v[16:17], v[16:17], -v[26:27]
	;; [unrolled: 1-line block ×4, first 2 shown]
	v_add_f64 v[12:13], v[12:13], v[16:17]
	v_add_f64 v[16:17], v[18:19], -v[22:23]
	v_add_f64 v[12:13], v[16:17], v[12:13]
	v_add_f64 v[16:17], v[26:27], v[12:13]
	v_add_f64 v[18:19], v[26:27], -v[16:17]
	v_add_f64 v[12:13], v[12:13], v[18:19]
	v_mul_f64 v[18:19], v[20:21], v[16:17]
	v_mul_f64 v[22:23], v[10:11], v[18:19]
	v_fma_f64 v[10:11], v[18:19], v[10:11], -v[22:23]
	v_fmac_f64_e32 v[10:11], v[18:19], v[8:9]
	v_add_f64 v[8:9], v[22:23], v[10:11]
	v_add_f64 v[24:25], v[16:17], -v[8:9]
	v_add_f64 v[16:17], v[16:17], -v[24:25]
	;; [unrolled: 1-line block ×4, first 2 shown]
	v_add_f64 v[8:9], v[12:13], v[8:9]
	v_add_f64 v[10:11], v[22:23], -v[10:11]
	v_add_f64 v[8:9], v[10:11], v[8:9]
	v_add_f64 v[10:11], v[14:15], v[18:19]
	;; [unrolled: 1-line block ×3, first 2 shown]
	v_add_f64 v[12:13], v[10:11], -v[14:15]
	v_mul_f64 v[8:9], v[20:21], v[8:9]
	v_add_f64 v[12:13], v[18:19], -v[12:13]
	v_add_f64 v[8:9], v[12:13], v[8:9]
	v_add_f64 v[12:13], v[10:11], v[8:9]
	v_add_f64 v[10:11], v[12:13], -v[10:11]
	v_add_f64 v[8:9], v[8:9], -v[10:11]
	v_mul_f64 v[10:11], v[12:13], v[12:13]
	v_mov_b32_e32 v14, 0x6b47b09a
	v_mov_b32_e32 v15, 0x3fc38538
	v_fmac_f64_e32 v[14:15], s[4:5], v[10:11]
	v_mov_b32_e32 v16, 0xd7f4df2e
	v_mov_b32_e32 v17, 0x3fc7474d
	v_fmac_f64_e32 v[16:17], v[10:11], v[14:15]
	;; [unrolled: 3-line block ×6, first 2 shown]
	v_cvt_f64_i32_e32 v[14:15], v28
	s_mov_b32 s9, 0x3fe62e42
	v_mul_f64 v[18:19], v[14:15], s[8:9]
	v_fma_f64 v[20:21], v[14:15], s[8:9], -v[18:19]
	s_mov_b32 s11, 0x3c7abc9e
	v_fmac_f64_e32 v[20:21], s[10:11], v[14:15]
	v_add_f64 v[14:15], v[18:19], v[20:21]
	v_add_f64 v[18:19], v[14:15], -v[18:19]
	v_mul_f64 v[10:11], v[12:13], v[10:11]
	v_add_f64 v[18:19], v[20:21], -v[18:19]
	v_ldexp_f64 v[20:21], v[12:13], 1
	v_mul_f64 v[10:11], v[10:11], v[16:17]
	v_add_f64 v[12:13], v[20:21], v[10:11]
	v_add_f64 v[16:17], v[12:13], -v[20:21]
	v_ldexp_f64 v[8:9], v[8:9], 1
	v_add_f64 v[10:11], v[10:11], -v[16:17]
	v_add_f64 v[8:9], v[8:9], v[10:11]
	v_add_f64 v[10:11], v[12:13], v[8:9]
	v_add_f64 v[12:13], v[10:11], -v[12:13]
	v_add_f64 v[8:9], v[8:9], -v[12:13]
	v_add_f64 v[12:13], v[14:15], v[10:11]
	v_add_f64 v[16:17], v[12:13], -v[14:15]
	v_add_f64 v[20:21], v[12:13], -v[16:17]
	;; [unrolled: 1-line block ×4, first 2 shown]
	v_add_f64 v[10:11], v[10:11], v[14:15]
	v_add_f64 v[14:15], v[18:19], v[8:9]
	v_add_f64 v[16:17], v[14:15], -v[18:19]
	v_add_f64 v[10:11], v[14:15], v[10:11]
	v_add_f64 v[20:21], v[14:15], -v[16:17]
	;; [unrolled: 2-line block ×3, first 2 shown]
	v_add_f64 v[8:9], v[8:9], -v[16:17]
	v_add_f64 v[12:13], v[14:15], -v[12:13]
	v_add_f64 v[8:9], v[8:9], v[18:19]
	v_add_f64 v[10:11], v[10:11], -v[12:13]
	s_mov_b32 s4, 0
	v_add_f64 v[8:9], v[8:9], v[10:11]
	s_mov_b32 s5, 0x7ff00000
	v_add_f64 v[8:9], v[14:15], v[8:9]
	v_cmp_eq_f64_e32 vcc, s[4:5], v[6:7]
	v_mov_b32_e32 v10, 0x7ff80000
	s_nop 0
	v_cndmask_b32_e32 v8, v8, v6, vcc
	v_cndmask_b32_e32 v9, v9, v7, vcc
	v_cmp_ngt_f64_e32 vcc, -1.0, v[6:7]
	s_nop 1
	v_cndmask_b32_e32 v9, v10, v9, vcc
	v_cmp_nge_f64_e32 vcc, -1.0, v[6:7]
	v_mov_b32_e32 v10, 0xfff00000
	s_nop 0
	v_cndmask_b32_e32 v8, 0, v8, vcc
	v_cmp_neq_f64_e32 vcc, -1.0, v[6:7]
	s_nop 1
	v_cndmask_b32_e32 v9, v10, v9, vcc
	v_add_f64 v[134:135], v[4:5], v[8:9]
.LBB2_37:
	s_or_b64 exec, exec, s[6:7]
	v_max_f64 v[10:11], v[112:113], v[112:113]
	v_max_f64 v[4:5], v[134:135], v[134:135]
	v_min_f64 v[6:7], v[4:5], v[10:11]
	v_cmp_u_f64_e32 vcc, v[134:135], v[134:135]
	v_max_f64 v[4:5], v[4:5], v[10:11]
	v_cmp_u_f64_e64 s[4:5], v[112:113], v[112:113]
	v_cndmask_b32_e32 v6, v6, v134, vcc
	v_cndmask_b32_e32 v7, v7, v135, vcc
	;; [unrolled: 1-line block ×4, first 2 shown]
	v_cndmask_b32_e64 v7, v7, v113, s[4:5]
	v_cndmask_b32_e64 v6, v6, v112, s[4:5]
	;; [unrolled: 1-line block ×4, first 2 shown]
	v_cmp_neq_f64_e32 vcc, v[6:7], v[4:5]
	v_cmp_class_f64_e64 s[6:7], v[6:7], s13
	s_or_b64 s[6:7], vcc, s[6:7]
	s_and_saveexec_b64 s[8:9], s[6:7]
	s_cbranch_execz .LBB2_39
; %bb.38:
	s_mov_b32 s6, 0x652b82fe
	v_add_f64 v[6:7], v[6:7], -v[4:5]
	s_mov_b32 s7, 0x3ff71547
	v_mul_f64 v[8:9], v[6:7], s[6:7]
	v_rndne_f64_e32 v[8:9], v[8:9]
	s_mov_b32 s11, 0xbfe62e42
	s_mov_b32 s10, 0xfefa39ef
	v_fma_f64 v[12:13], s[10:11], v[8:9], v[6:7]
	s_mov_b32 s15, 0xbc7abc9e
	s_mov_b32 s14, 0x3b39803f
	;; [unrolled: 1-line block ×3, first 2 shown]
	v_fmac_f64_e32 v[12:13], s[14:15], v[8:9]
	v_mov_b32_e32 v14, 0xfca7ab0c
	v_mov_b32_e32 v15, 0x3e928af3
	s_mov_b32 s7, 0x3e5ade15
	v_fmac_f64_e32 v[14:15], s[6:7], v[12:13]
	v_mov_b32_e32 v16, 0x623fde64
	v_mov_b32_e32 v17, 0x3ec71dee
	v_fmac_f64_e32 v[16:17], v[12:13], v[14:15]
	v_mov_b32_e32 v14, 0x7c89e6b0
	v_mov_b32_e32 v15, 0x3efa0199
	;; [unrolled: 3-line block ×8, first 2 shown]
	s_mov_b32 s6, 0
	v_fmac_f64_e32 v[14:15], v[12:13], v[16:17]
	s_mov_b32 s7, 0x40900000
	v_fma_f64 v[14:15], v[12:13], v[14:15], 1.0
	v_cmp_nlt_f64_e32 vcc, s[6:7], v[6:7]
	s_mov_b32 s6, 0
	v_fma_f64 v[12:13], v[12:13], v[14:15], 1.0
	v_cvt_i32_f64_e32 v8, v[8:9]
	s_mov_b32 s7, 0xc090cc00
	v_ldexp_f64 v[8:9], v[12:13], v8
	v_mov_b32_e32 v12, 0x7ff00000
	v_cmp_ngt_f64_e64 s[6:7], s[6:7], v[6:7]
	v_cndmask_b32_e32 v9, v12, v9, vcc
	s_and_b64 vcc, s[6:7], vcc
	v_cndmask_b32_e64 v7, 0, v9, s[6:7]
	v_cndmask_b32_e32 v6, 0, v8, vcc
	v_add_f64 v[8:9], v[6:7], 1.0
	v_add_f64 v[12:13], v[8:9], -1.0
	v_add_f64 v[14:15], v[12:13], -v[8:9]
	v_add_f64 v[14:15], v[14:15], 1.0
	v_add_f64 v[12:13], v[6:7], -v[12:13]
	s_mov_b32 s6, 0x55555555
	v_add_f64 v[12:13], v[12:13], v[14:15]
	v_frexp_mant_f64_e32 v[14:15], v[8:9]
	s_mov_b32 s7, 0x3fe55555
	v_frexp_exp_i32_f64_e32 v16, v[8:9]
	v_cmp_gt_f64_e32 vcc, s[6:7], v[14:15]
	s_mov_b32 s6, 0xbf559e2b
	s_mov_b32 s7, 0x3fc3ab76
	v_subbrev_co_u32_e32 v30, vcc, 0, v16, vcc
	v_sub_u32_e32 v14, 0, v30
	v_ldexp_f64 v[8:9], v[8:9], v14
	v_ldexp_f64 v[12:13], v[12:13], v14
	v_add_f64 v[14:15], v[8:9], -1.0
	v_add_f64 v[20:21], v[8:9], 1.0
	v_add_f64 v[16:17], v[14:15], 1.0
	v_add_f64 v[22:23], v[20:21], -1.0
	v_add_f64 v[16:17], v[8:9], -v[16:17]
	v_add_f64 v[8:9], v[8:9], -v[22:23]
	v_add_f64 v[8:9], v[12:13], v[8:9]
	v_add_f64 v[16:17], v[12:13], v[16:17]
	;; [unrolled: 1-line block ×3, first 2 shown]
	v_rcp_f64_e32 v[22:23], v[12:13]
	v_add_f64 v[18:19], v[14:15], v[16:17]
	v_add_f64 v[14:15], v[18:19], -v[14:15]
	v_add_f64 v[14:15], v[16:17], -v[14:15]
	;; [unrolled: 1-line block ×4, first 2 shown]
	v_fma_f64 v[16:17], -v[12:13], v[22:23], 1.0
	v_fmac_f64_e32 v[22:23], v[16:17], v[22:23]
	v_fma_f64 v[16:17], -v[12:13], v[22:23], 1.0
	v_fmac_f64_e32 v[22:23], v[16:17], v[22:23]
	v_mul_f64 v[16:17], v[18:19], v[22:23]
	v_mul_f64 v[20:21], v[12:13], v[16:17]
	v_fma_f64 v[24:25], v[16:17], v[12:13], -v[20:21]
	v_fmac_f64_e32 v[24:25], v[16:17], v[8:9]
	v_add_f64 v[26:27], v[20:21], v[24:25]
	v_add_f64 v[28:29], v[18:19], -v[26:27]
	v_add_f64 v[18:19], v[18:19], -v[28:29]
	;; [unrolled: 1-line block ×4, first 2 shown]
	v_add_f64 v[14:15], v[14:15], v[18:19]
	v_add_f64 v[18:19], v[20:21], -v[24:25]
	v_add_f64 v[14:15], v[18:19], v[14:15]
	v_add_f64 v[18:19], v[28:29], v[14:15]
	v_add_f64 v[20:21], v[28:29], -v[18:19]
	v_add_f64 v[14:15], v[14:15], v[20:21]
	v_mul_f64 v[20:21], v[22:23], v[18:19]
	v_mul_f64 v[24:25], v[12:13], v[20:21]
	v_fma_f64 v[12:13], v[20:21], v[12:13], -v[24:25]
	v_fmac_f64_e32 v[12:13], v[20:21], v[8:9]
	v_add_f64 v[8:9], v[24:25], v[12:13]
	v_add_f64 v[26:27], v[18:19], -v[8:9]
	v_add_f64 v[18:19], v[18:19], -v[26:27]
	;; [unrolled: 1-line block ×4, first 2 shown]
	v_add_f64 v[8:9], v[14:15], v[8:9]
	v_add_f64 v[12:13], v[24:25], -v[12:13]
	v_add_f64 v[8:9], v[12:13], v[8:9]
	v_add_f64 v[12:13], v[16:17], v[20:21]
	;; [unrolled: 1-line block ×3, first 2 shown]
	v_add_f64 v[14:15], v[12:13], -v[16:17]
	v_mul_f64 v[8:9], v[22:23], v[8:9]
	v_add_f64 v[14:15], v[20:21], -v[14:15]
	v_add_f64 v[8:9], v[14:15], v[8:9]
	v_add_f64 v[14:15], v[12:13], v[8:9]
	v_add_f64 v[12:13], v[14:15], -v[12:13]
	v_add_f64 v[8:9], v[8:9], -v[12:13]
	v_mul_f64 v[12:13], v[14:15], v[14:15]
	v_mov_b32_e32 v16, 0x6b47b09a
	v_mov_b32_e32 v17, 0x3fc38538
	v_fmac_f64_e32 v[16:17], s[6:7], v[12:13]
	v_mov_b32_e32 v18, 0xd7f4df2e
	v_mov_b32_e32 v19, 0x3fc7474d
	v_fmac_f64_e32 v[18:19], v[12:13], v[16:17]
	;; [unrolled: 3-line block ×6, first 2 shown]
	v_cvt_f64_i32_e32 v[16:17], v30
	s_mov_b32 s11, 0x3fe62e42
	v_mul_f64 v[20:21], v[16:17], s[10:11]
	v_fma_f64 v[22:23], v[16:17], s[10:11], -v[20:21]
	s_mov_b32 s15, 0x3c7abc9e
	v_fmac_f64_e32 v[22:23], s[14:15], v[16:17]
	v_add_f64 v[16:17], v[20:21], v[22:23]
	v_add_f64 v[20:21], v[16:17], -v[20:21]
	v_mul_f64 v[12:13], v[14:15], v[12:13]
	v_add_f64 v[20:21], v[22:23], -v[20:21]
	v_ldexp_f64 v[22:23], v[14:15], 1
	v_mul_f64 v[12:13], v[12:13], v[18:19]
	v_add_f64 v[14:15], v[22:23], v[12:13]
	v_add_f64 v[18:19], v[14:15], -v[22:23]
	v_ldexp_f64 v[8:9], v[8:9], 1
	v_add_f64 v[12:13], v[12:13], -v[18:19]
	v_add_f64 v[8:9], v[8:9], v[12:13]
	v_add_f64 v[12:13], v[14:15], v[8:9]
	v_add_f64 v[14:15], v[12:13], -v[14:15]
	v_add_f64 v[8:9], v[8:9], -v[14:15]
	v_add_f64 v[14:15], v[16:17], v[12:13]
	v_add_f64 v[18:19], v[14:15], -v[16:17]
	v_add_f64 v[22:23], v[14:15], -v[18:19]
	;; [unrolled: 1-line block ×4, first 2 shown]
	v_add_f64 v[12:13], v[12:13], v[16:17]
	v_add_f64 v[16:17], v[20:21], v[8:9]
	v_add_f64 v[18:19], v[16:17], -v[20:21]
	v_add_f64 v[12:13], v[16:17], v[12:13]
	v_add_f64 v[22:23], v[16:17], -v[18:19]
	;; [unrolled: 2-line block ×3, first 2 shown]
	v_add_f64 v[8:9], v[8:9], -v[18:19]
	v_add_f64 v[14:15], v[16:17], -v[14:15]
	v_add_f64 v[8:9], v[8:9], v[20:21]
	v_add_f64 v[12:13], v[12:13], -v[14:15]
	s_mov_b32 s6, 0
	v_add_f64 v[8:9], v[8:9], v[12:13]
	s_mov_b32 s7, 0x7ff00000
	v_add_f64 v[8:9], v[16:17], v[8:9]
	v_cmp_eq_f64_e32 vcc, s[6:7], v[6:7]
	v_mov_b32_e32 v12, 0x7ff80000
	s_nop 0
	v_cndmask_b32_e32 v8, v8, v6, vcc
	v_cndmask_b32_e32 v9, v9, v7, vcc
	v_cmp_ngt_f64_e32 vcc, -1.0, v[6:7]
	s_nop 1
	v_cndmask_b32_e32 v9, v12, v9, vcc
	v_cmp_nge_f64_e32 vcc, -1.0, v[6:7]
	v_mov_b32_e32 v12, 0xfff00000
	s_nop 0
	v_cndmask_b32_e32 v8, 0, v8, vcc
	v_cmp_neq_f64_e32 vcc, -1.0, v[6:7]
	s_nop 1
	v_cndmask_b32_e32 v9, v12, v9, vcc
	v_add_f64 v[134:135], v[4:5], v[8:9]
.LBB2_39:
	s_or_b64 exec, exec, s[8:9]
	v_max_f64 v[12:13], v[114:115], v[114:115]
	v_max_f64 v[4:5], v[134:135], v[134:135]
	v_min_f64 v[6:7], v[4:5], v[12:13]
	v_cmp_u_f64_e32 vcc, v[134:135], v[134:135]
	v_max_f64 v[4:5], v[4:5], v[12:13]
	v_cmp_u_f64_e64 s[6:7], v[114:115], v[114:115]
	v_cndmask_b32_e32 v6, v6, v134, vcc
	v_cndmask_b32_e32 v7, v7, v135, vcc
	;; [unrolled: 1-line block ×4, first 2 shown]
	v_cndmask_b32_e64 v7, v7, v115, s[6:7]
	v_cndmask_b32_e64 v6, v6, v114, s[6:7]
	;; [unrolled: 1-line block ×4, first 2 shown]
	v_cmp_neq_f64_e32 vcc, v[6:7], v[4:5]
	v_cmp_class_f64_e64 s[8:9], v[6:7], s13
	s_or_b64 s[8:9], vcc, s[8:9]
	s_and_saveexec_b64 s[10:11], s[8:9]
	s_cbranch_execz .LBB2_41
; %bb.40:
	s_mov_b32 s8, 0x652b82fe
	v_add_f64 v[6:7], v[6:7], -v[4:5]
	s_mov_b32 s9, 0x3ff71547
	v_mul_f64 v[8:9], v[6:7], s[8:9]
	v_rndne_f64_e32 v[8:9], v[8:9]
	s_mov_b32 s15, 0xbfe62e42
	s_mov_b32 s14, 0xfefa39ef
	v_fma_f64 v[14:15], s[14:15], v[8:9], v[6:7]
	s_mov_b32 s17, 0xbc7abc9e
	s_mov_b32 s16, 0x3b39803f
	;; [unrolled: 1-line block ×3, first 2 shown]
	v_fmac_f64_e32 v[14:15], s[16:17], v[8:9]
	v_mov_b32_e32 v16, 0xfca7ab0c
	v_mov_b32_e32 v17, 0x3e928af3
	s_mov_b32 s9, 0x3e5ade15
	v_fmac_f64_e32 v[16:17], s[8:9], v[14:15]
	v_mov_b32_e32 v18, 0x623fde64
	v_mov_b32_e32 v19, 0x3ec71dee
	v_fmac_f64_e32 v[18:19], v[14:15], v[16:17]
	v_mov_b32_e32 v16, 0x7c89e6b0
	v_mov_b32_e32 v17, 0x3efa0199
	;; [unrolled: 3-line block ×8, first 2 shown]
	s_mov_b32 s8, 0
	v_fmac_f64_e32 v[16:17], v[14:15], v[18:19]
	s_mov_b32 s9, 0x40900000
	v_fma_f64 v[16:17], v[14:15], v[16:17], 1.0
	v_cmp_nlt_f64_e32 vcc, s[8:9], v[6:7]
	s_mov_b32 s8, 0
	v_fma_f64 v[14:15], v[14:15], v[16:17], 1.0
	v_cvt_i32_f64_e32 v8, v[8:9]
	s_mov_b32 s9, 0xc090cc00
	v_ldexp_f64 v[8:9], v[14:15], v8
	v_mov_b32_e32 v14, 0x7ff00000
	v_cmp_ngt_f64_e64 s[8:9], s[8:9], v[6:7]
	v_cndmask_b32_e32 v9, v14, v9, vcc
	s_and_b64 vcc, s[8:9], vcc
	v_cndmask_b32_e64 v7, 0, v9, s[8:9]
	v_cndmask_b32_e32 v6, 0, v8, vcc
	v_add_f64 v[8:9], v[6:7], 1.0
	v_add_f64 v[14:15], v[8:9], -1.0
	v_add_f64 v[16:17], v[14:15], -v[8:9]
	v_add_f64 v[16:17], v[16:17], 1.0
	v_add_f64 v[14:15], v[6:7], -v[14:15]
	s_mov_b32 s8, 0x55555555
	v_add_f64 v[14:15], v[14:15], v[16:17]
	v_frexp_mant_f64_e32 v[16:17], v[8:9]
	s_mov_b32 s9, 0x3fe55555
	v_frexp_exp_i32_f64_e32 v18, v[8:9]
	v_cmp_gt_f64_e32 vcc, s[8:9], v[16:17]
	s_mov_b32 s8, 0xbf559e2b
	s_mov_b32 s9, 0x3fc3ab76
	v_subbrev_co_u32_e32 v32, vcc, 0, v18, vcc
	v_sub_u32_e32 v16, 0, v32
	v_ldexp_f64 v[8:9], v[8:9], v16
	v_ldexp_f64 v[14:15], v[14:15], v16
	v_add_f64 v[16:17], v[8:9], -1.0
	v_add_f64 v[22:23], v[8:9], 1.0
	v_add_f64 v[18:19], v[16:17], 1.0
	v_add_f64 v[24:25], v[22:23], -1.0
	v_add_f64 v[18:19], v[8:9], -v[18:19]
	v_add_f64 v[8:9], v[8:9], -v[24:25]
	v_add_f64 v[8:9], v[14:15], v[8:9]
	v_add_f64 v[18:19], v[14:15], v[18:19]
	;; [unrolled: 1-line block ×3, first 2 shown]
	v_rcp_f64_e32 v[24:25], v[14:15]
	v_add_f64 v[20:21], v[16:17], v[18:19]
	v_add_f64 v[16:17], v[20:21], -v[16:17]
	v_add_f64 v[16:17], v[18:19], -v[16:17]
	v_add_f64 v[18:19], v[14:15], -v[22:23]
	v_add_f64 v[8:9], v[8:9], -v[18:19]
	v_fma_f64 v[18:19], -v[14:15], v[24:25], 1.0
	v_fmac_f64_e32 v[24:25], v[18:19], v[24:25]
	v_fma_f64 v[18:19], -v[14:15], v[24:25], 1.0
	v_fmac_f64_e32 v[24:25], v[18:19], v[24:25]
	v_mul_f64 v[18:19], v[20:21], v[24:25]
	v_mul_f64 v[22:23], v[14:15], v[18:19]
	v_fma_f64 v[26:27], v[18:19], v[14:15], -v[22:23]
	v_fmac_f64_e32 v[26:27], v[18:19], v[8:9]
	v_add_f64 v[28:29], v[22:23], v[26:27]
	v_add_f64 v[30:31], v[20:21], -v[28:29]
	v_add_f64 v[20:21], v[20:21], -v[30:31]
	;; [unrolled: 1-line block ×4, first 2 shown]
	v_add_f64 v[16:17], v[16:17], v[20:21]
	v_add_f64 v[20:21], v[22:23], -v[26:27]
	v_add_f64 v[16:17], v[20:21], v[16:17]
	v_add_f64 v[20:21], v[30:31], v[16:17]
	v_add_f64 v[22:23], v[30:31], -v[20:21]
	v_add_f64 v[16:17], v[16:17], v[22:23]
	v_mul_f64 v[22:23], v[24:25], v[20:21]
	v_mul_f64 v[26:27], v[14:15], v[22:23]
	v_fma_f64 v[14:15], v[22:23], v[14:15], -v[26:27]
	v_fmac_f64_e32 v[14:15], v[22:23], v[8:9]
	v_add_f64 v[8:9], v[26:27], v[14:15]
	v_add_f64 v[28:29], v[20:21], -v[8:9]
	v_add_f64 v[20:21], v[20:21], -v[28:29]
	v_add_f64 v[26:27], v[8:9], -v[26:27]
	v_add_f64 v[8:9], v[20:21], -v[8:9]
	v_add_f64 v[8:9], v[16:17], v[8:9]
	v_add_f64 v[14:15], v[26:27], -v[14:15]
	v_add_f64 v[8:9], v[14:15], v[8:9]
	v_add_f64 v[14:15], v[18:19], v[22:23]
	;; [unrolled: 1-line block ×3, first 2 shown]
	v_add_f64 v[16:17], v[14:15], -v[18:19]
	v_mul_f64 v[8:9], v[24:25], v[8:9]
	v_add_f64 v[16:17], v[22:23], -v[16:17]
	v_add_f64 v[8:9], v[16:17], v[8:9]
	v_add_f64 v[16:17], v[14:15], v[8:9]
	v_add_f64 v[14:15], v[16:17], -v[14:15]
	v_add_f64 v[8:9], v[8:9], -v[14:15]
	v_mul_f64 v[14:15], v[16:17], v[16:17]
	v_mov_b32_e32 v18, 0x6b47b09a
	v_mov_b32_e32 v19, 0x3fc38538
	v_fmac_f64_e32 v[18:19], s[8:9], v[14:15]
	v_mov_b32_e32 v20, 0xd7f4df2e
	v_mov_b32_e32 v21, 0x3fc7474d
	v_fmac_f64_e32 v[20:21], v[14:15], v[18:19]
	;; [unrolled: 3-line block ×6, first 2 shown]
	v_cvt_f64_i32_e32 v[18:19], v32
	s_mov_b32 s15, 0x3fe62e42
	v_mul_f64 v[22:23], v[18:19], s[14:15]
	v_fma_f64 v[24:25], v[18:19], s[14:15], -v[22:23]
	s_mov_b32 s17, 0x3c7abc9e
	v_fmac_f64_e32 v[24:25], s[16:17], v[18:19]
	v_add_f64 v[18:19], v[22:23], v[24:25]
	v_add_f64 v[22:23], v[18:19], -v[22:23]
	v_mul_f64 v[14:15], v[16:17], v[14:15]
	v_add_f64 v[22:23], v[24:25], -v[22:23]
	v_ldexp_f64 v[24:25], v[16:17], 1
	v_mul_f64 v[14:15], v[14:15], v[20:21]
	v_add_f64 v[16:17], v[24:25], v[14:15]
	v_add_f64 v[20:21], v[16:17], -v[24:25]
	v_ldexp_f64 v[8:9], v[8:9], 1
	v_add_f64 v[14:15], v[14:15], -v[20:21]
	v_add_f64 v[8:9], v[8:9], v[14:15]
	v_add_f64 v[14:15], v[16:17], v[8:9]
	v_add_f64 v[16:17], v[14:15], -v[16:17]
	v_add_f64 v[8:9], v[8:9], -v[16:17]
	v_add_f64 v[16:17], v[18:19], v[14:15]
	v_add_f64 v[20:21], v[16:17], -v[18:19]
	v_add_f64 v[24:25], v[16:17], -v[20:21]
	;; [unrolled: 1-line block ×4, first 2 shown]
	v_add_f64 v[14:15], v[14:15], v[18:19]
	v_add_f64 v[18:19], v[22:23], v[8:9]
	v_add_f64 v[20:21], v[18:19], -v[22:23]
	v_add_f64 v[14:15], v[18:19], v[14:15]
	v_add_f64 v[24:25], v[18:19], -v[20:21]
	;; [unrolled: 2-line block ×3, first 2 shown]
	v_add_f64 v[8:9], v[8:9], -v[20:21]
	v_add_f64 v[16:17], v[18:19], -v[16:17]
	v_add_f64 v[8:9], v[8:9], v[22:23]
	v_add_f64 v[14:15], v[14:15], -v[16:17]
	s_mov_b32 s8, 0
	v_add_f64 v[8:9], v[8:9], v[14:15]
	s_mov_b32 s9, 0x7ff00000
	v_add_f64 v[8:9], v[18:19], v[8:9]
	v_cmp_eq_f64_e32 vcc, s[8:9], v[6:7]
	v_mov_b32_e32 v14, 0x7ff80000
	s_nop 0
	v_cndmask_b32_e32 v8, v8, v6, vcc
	v_cndmask_b32_e32 v9, v9, v7, vcc
	v_cmp_ngt_f64_e32 vcc, -1.0, v[6:7]
	s_nop 1
	v_cndmask_b32_e32 v9, v14, v9, vcc
	v_cmp_nge_f64_e32 vcc, -1.0, v[6:7]
	v_mov_b32_e32 v14, 0xfff00000
	s_nop 0
	v_cndmask_b32_e32 v8, 0, v8, vcc
	v_cmp_neq_f64_e32 vcc, -1.0, v[6:7]
	s_nop 1
	v_cndmask_b32_e32 v9, v14, v9, vcc
	v_add_f64 v[134:135], v[4:5], v[8:9]
.LBB2_41:
	s_or_b64 exec, exec, s[10:11]
	v_max_f64 v[14:15], v[100:101], v[100:101]
	v_max_f64 v[4:5], v[134:135], v[134:135]
	v_min_f64 v[6:7], v[4:5], v[14:15]
	v_cmp_u_f64_e32 vcc, v[134:135], v[134:135]
	v_max_f64 v[4:5], v[4:5], v[14:15]
	v_cmp_u_f64_e64 s[8:9], v[100:101], v[100:101]
	v_cndmask_b32_e32 v6, v6, v134, vcc
	v_cndmask_b32_e32 v7, v7, v135, vcc
	;; [unrolled: 1-line block ×4, first 2 shown]
	v_cndmask_b32_e64 v7, v7, v101, s[8:9]
	v_cndmask_b32_e64 v6, v6, v100, s[8:9]
	;; [unrolled: 1-line block ×4, first 2 shown]
	v_cmp_neq_f64_e32 vcc, v[6:7], v[4:5]
	v_cmp_class_f64_e64 s[10:11], v[6:7], s13
	s_or_b64 s[10:11], vcc, s[10:11]
	s_and_saveexec_b64 s[14:15], s[10:11]
	s_cbranch_execz .LBB2_43
; %bb.42:
	s_mov_b32 s10, 0x652b82fe
	v_add_f64 v[6:7], v[6:7], -v[4:5]
	s_mov_b32 s11, 0x3ff71547
	v_mul_f64 v[8:9], v[6:7], s[10:11]
	v_rndne_f64_e32 v[8:9], v[8:9]
	s_mov_b32 s17, 0xbfe62e42
	s_mov_b32 s16, 0xfefa39ef
	v_fma_f64 v[16:17], s[16:17], v[8:9], v[6:7]
	s_mov_b32 s19, 0xbc7abc9e
	s_mov_b32 s18, 0x3b39803f
	;; [unrolled: 1-line block ×3, first 2 shown]
	v_fmac_f64_e32 v[16:17], s[18:19], v[8:9]
	v_mov_b32_e32 v18, 0xfca7ab0c
	v_mov_b32_e32 v19, 0x3e928af3
	s_mov_b32 s11, 0x3e5ade15
	v_fmac_f64_e32 v[18:19], s[10:11], v[16:17]
	v_mov_b32_e32 v20, 0x623fde64
	v_mov_b32_e32 v21, 0x3ec71dee
	v_fmac_f64_e32 v[20:21], v[16:17], v[18:19]
	v_mov_b32_e32 v18, 0x7c89e6b0
	v_mov_b32_e32 v19, 0x3efa0199
	;; [unrolled: 3-line block ×8, first 2 shown]
	s_mov_b32 s10, 0
	v_fmac_f64_e32 v[18:19], v[16:17], v[20:21]
	s_mov_b32 s11, 0x40900000
	v_fma_f64 v[18:19], v[16:17], v[18:19], 1.0
	v_cmp_nlt_f64_e32 vcc, s[10:11], v[6:7]
	s_mov_b32 s10, 0
	v_fma_f64 v[16:17], v[16:17], v[18:19], 1.0
	v_cvt_i32_f64_e32 v8, v[8:9]
	s_mov_b32 s11, 0xc090cc00
	v_ldexp_f64 v[8:9], v[16:17], v8
	v_mov_b32_e32 v16, 0x7ff00000
	v_cmp_ngt_f64_e64 s[10:11], s[10:11], v[6:7]
	v_cndmask_b32_e32 v9, v16, v9, vcc
	s_and_b64 vcc, s[10:11], vcc
	v_cndmask_b32_e64 v7, 0, v9, s[10:11]
	v_cndmask_b32_e32 v6, 0, v8, vcc
	v_add_f64 v[8:9], v[6:7], 1.0
	v_add_f64 v[16:17], v[8:9], -1.0
	v_add_f64 v[18:19], v[16:17], -v[8:9]
	v_add_f64 v[18:19], v[18:19], 1.0
	v_add_f64 v[16:17], v[6:7], -v[16:17]
	s_mov_b32 s10, 0x55555555
	v_add_f64 v[16:17], v[16:17], v[18:19]
	v_frexp_mant_f64_e32 v[18:19], v[8:9]
	s_mov_b32 s11, 0x3fe55555
	v_frexp_exp_i32_f64_e32 v20, v[8:9]
	v_cmp_gt_f64_e32 vcc, s[10:11], v[18:19]
	s_mov_b32 s10, 0xbf559e2b
	s_mov_b32 s11, 0x3fc3ab76
	v_subbrev_co_u32_e32 v34, vcc, 0, v20, vcc
	v_sub_u32_e32 v18, 0, v34
	v_ldexp_f64 v[8:9], v[8:9], v18
	v_ldexp_f64 v[16:17], v[16:17], v18
	v_add_f64 v[18:19], v[8:9], -1.0
	v_add_f64 v[24:25], v[8:9], 1.0
	v_add_f64 v[20:21], v[18:19], 1.0
	v_add_f64 v[26:27], v[24:25], -1.0
	v_add_f64 v[20:21], v[8:9], -v[20:21]
	v_add_f64 v[8:9], v[8:9], -v[26:27]
	v_add_f64 v[8:9], v[16:17], v[8:9]
	v_add_f64 v[20:21], v[16:17], v[20:21]
	;; [unrolled: 1-line block ×3, first 2 shown]
	v_rcp_f64_e32 v[26:27], v[16:17]
	v_add_f64 v[22:23], v[18:19], v[20:21]
	v_add_f64 v[18:19], v[22:23], -v[18:19]
	v_add_f64 v[18:19], v[20:21], -v[18:19]
	;; [unrolled: 1-line block ×4, first 2 shown]
	v_fma_f64 v[20:21], -v[16:17], v[26:27], 1.0
	v_fmac_f64_e32 v[26:27], v[20:21], v[26:27]
	v_fma_f64 v[20:21], -v[16:17], v[26:27], 1.0
	v_fmac_f64_e32 v[26:27], v[20:21], v[26:27]
	v_mul_f64 v[20:21], v[22:23], v[26:27]
	v_mul_f64 v[24:25], v[16:17], v[20:21]
	v_fma_f64 v[28:29], v[20:21], v[16:17], -v[24:25]
	v_fmac_f64_e32 v[28:29], v[20:21], v[8:9]
	v_add_f64 v[30:31], v[24:25], v[28:29]
	v_add_f64 v[32:33], v[22:23], -v[30:31]
	v_add_f64 v[22:23], v[22:23], -v[32:33]
	;; [unrolled: 1-line block ×4, first 2 shown]
	v_add_f64 v[18:19], v[18:19], v[22:23]
	v_add_f64 v[22:23], v[24:25], -v[28:29]
	v_add_f64 v[18:19], v[22:23], v[18:19]
	v_add_f64 v[22:23], v[32:33], v[18:19]
	v_add_f64 v[24:25], v[32:33], -v[22:23]
	v_add_f64 v[18:19], v[18:19], v[24:25]
	v_mul_f64 v[24:25], v[26:27], v[22:23]
	v_mul_f64 v[28:29], v[16:17], v[24:25]
	v_fma_f64 v[16:17], v[24:25], v[16:17], -v[28:29]
	v_fmac_f64_e32 v[16:17], v[24:25], v[8:9]
	v_add_f64 v[8:9], v[28:29], v[16:17]
	v_add_f64 v[30:31], v[22:23], -v[8:9]
	v_add_f64 v[22:23], v[22:23], -v[30:31]
	;; [unrolled: 1-line block ×4, first 2 shown]
	v_add_f64 v[8:9], v[18:19], v[8:9]
	v_add_f64 v[16:17], v[28:29], -v[16:17]
	v_add_f64 v[8:9], v[16:17], v[8:9]
	v_add_f64 v[16:17], v[20:21], v[24:25]
	;; [unrolled: 1-line block ×3, first 2 shown]
	v_add_f64 v[18:19], v[16:17], -v[20:21]
	v_mul_f64 v[8:9], v[26:27], v[8:9]
	v_add_f64 v[18:19], v[24:25], -v[18:19]
	v_add_f64 v[8:9], v[18:19], v[8:9]
	v_add_f64 v[18:19], v[16:17], v[8:9]
	v_add_f64 v[16:17], v[18:19], -v[16:17]
	v_add_f64 v[8:9], v[8:9], -v[16:17]
	v_mul_f64 v[16:17], v[18:19], v[18:19]
	v_mov_b32_e32 v20, 0x6b47b09a
	v_mov_b32_e32 v21, 0x3fc38538
	v_fmac_f64_e32 v[20:21], s[10:11], v[16:17]
	v_mov_b32_e32 v22, 0xd7f4df2e
	v_mov_b32_e32 v23, 0x3fc7474d
	v_fmac_f64_e32 v[22:23], v[16:17], v[20:21]
	;; [unrolled: 3-line block ×6, first 2 shown]
	v_cvt_f64_i32_e32 v[20:21], v34
	s_mov_b32 s17, 0x3fe62e42
	v_mul_f64 v[24:25], v[20:21], s[16:17]
	v_fma_f64 v[26:27], v[20:21], s[16:17], -v[24:25]
	s_mov_b32 s19, 0x3c7abc9e
	v_fmac_f64_e32 v[26:27], s[18:19], v[20:21]
	v_add_f64 v[20:21], v[24:25], v[26:27]
	v_add_f64 v[24:25], v[20:21], -v[24:25]
	v_mul_f64 v[16:17], v[18:19], v[16:17]
	v_add_f64 v[24:25], v[26:27], -v[24:25]
	v_ldexp_f64 v[26:27], v[18:19], 1
	v_mul_f64 v[16:17], v[16:17], v[22:23]
	v_add_f64 v[18:19], v[26:27], v[16:17]
	v_add_f64 v[22:23], v[18:19], -v[26:27]
	v_ldexp_f64 v[8:9], v[8:9], 1
	v_add_f64 v[16:17], v[16:17], -v[22:23]
	v_add_f64 v[8:9], v[8:9], v[16:17]
	v_add_f64 v[16:17], v[18:19], v[8:9]
	v_add_f64 v[18:19], v[16:17], -v[18:19]
	v_add_f64 v[8:9], v[8:9], -v[18:19]
	v_add_f64 v[18:19], v[20:21], v[16:17]
	v_add_f64 v[22:23], v[18:19], -v[20:21]
	v_add_f64 v[26:27], v[18:19], -v[22:23]
	;; [unrolled: 1-line block ×4, first 2 shown]
	v_add_f64 v[16:17], v[16:17], v[20:21]
	v_add_f64 v[20:21], v[24:25], v[8:9]
	v_add_f64 v[22:23], v[20:21], -v[24:25]
	v_add_f64 v[16:17], v[20:21], v[16:17]
	v_add_f64 v[26:27], v[20:21], -v[22:23]
	;; [unrolled: 2-line block ×3, first 2 shown]
	v_add_f64 v[8:9], v[8:9], -v[22:23]
	v_add_f64 v[18:19], v[20:21], -v[18:19]
	v_add_f64 v[8:9], v[8:9], v[24:25]
	v_add_f64 v[16:17], v[16:17], -v[18:19]
	s_mov_b32 s10, 0
	v_add_f64 v[8:9], v[8:9], v[16:17]
	s_mov_b32 s11, 0x7ff00000
	v_add_f64 v[8:9], v[20:21], v[8:9]
	v_cmp_eq_f64_e32 vcc, s[10:11], v[6:7]
	v_mov_b32_e32 v16, 0x7ff80000
	s_nop 0
	v_cndmask_b32_e32 v8, v8, v6, vcc
	v_cndmask_b32_e32 v9, v9, v7, vcc
	v_cmp_ngt_f64_e32 vcc, -1.0, v[6:7]
	s_nop 1
	v_cndmask_b32_e32 v9, v16, v9, vcc
	v_cmp_nge_f64_e32 vcc, -1.0, v[6:7]
	v_mov_b32_e32 v16, 0xfff00000
	s_nop 0
	v_cndmask_b32_e32 v8, 0, v8, vcc
	v_cmp_neq_f64_e32 vcc, -1.0, v[6:7]
	s_nop 1
	v_cndmask_b32_e32 v9, v16, v9, vcc
	v_add_f64 v[134:135], v[4:5], v[8:9]
.LBB2_43:
	s_or_b64 exec, exec, s[14:15]
	v_max_f64 v[16:17], v[102:103], v[102:103]
	v_max_f64 v[4:5], v[134:135], v[134:135]
	v_min_f64 v[6:7], v[4:5], v[16:17]
	v_cmp_u_f64_e32 vcc, v[134:135], v[134:135]
	v_max_f64 v[4:5], v[4:5], v[16:17]
	v_cmp_u_f64_e64 s[10:11], v[102:103], v[102:103]
	v_cndmask_b32_e32 v6, v6, v134, vcc
	v_cndmask_b32_e32 v7, v7, v135, vcc
	;; [unrolled: 1-line block ×4, first 2 shown]
	v_cndmask_b32_e64 v7, v7, v103, s[10:11]
	v_cndmask_b32_e64 v6, v6, v102, s[10:11]
	;; [unrolled: 1-line block ×4, first 2 shown]
	v_cmp_neq_f64_e32 vcc, v[6:7], v[4:5]
	v_cmp_class_f64_e64 s[14:15], v[6:7], s13
	s_or_b64 s[14:15], vcc, s[14:15]
	s_and_saveexec_b64 s[16:17], s[14:15]
	s_cbranch_execz .LBB2_45
; %bb.44:
	s_mov_b32 s14, 0x652b82fe
	v_add_f64 v[6:7], v[6:7], -v[4:5]
	s_mov_b32 s15, 0x3ff71547
	v_mul_f64 v[8:9], v[6:7], s[14:15]
	v_rndne_f64_e32 v[8:9], v[8:9]
	s_mov_b32 s19, 0xbfe62e42
	s_mov_b32 s18, 0xfefa39ef
	v_fma_f64 v[18:19], s[18:19], v[8:9], v[6:7]
	s_mov_b32 s21, 0xbc7abc9e
	s_mov_b32 s20, 0x3b39803f
	s_mov_b32 s14, 0x6a5dcb37
	v_fmac_f64_e32 v[18:19], s[20:21], v[8:9]
	v_mov_b32_e32 v20, 0xfca7ab0c
	v_mov_b32_e32 v21, 0x3e928af3
	s_mov_b32 s15, 0x3e5ade15
	v_fmac_f64_e32 v[20:21], s[14:15], v[18:19]
	v_mov_b32_e32 v22, 0x623fde64
	v_mov_b32_e32 v23, 0x3ec71dee
	v_fmac_f64_e32 v[22:23], v[18:19], v[20:21]
	v_mov_b32_e32 v20, 0x7c89e6b0
	v_mov_b32_e32 v21, 0x3efa0199
	;; [unrolled: 3-line block ×8, first 2 shown]
	s_mov_b32 s14, 0
	v_fmac_f64_e32 v[20:21], v[18:19], v[22:23]
	s_mov_b32 s15, 0x40900000
	v_fma_f64 v[20:21], v[18:19], v[20:21], 1.0
	v_cmp_nlt_f64_e32 vcc, s[14:15], v[6:7]
	s_mov_b32 s14, 0
	v_fma_f64 v[18:19], v[18:19], v[20:21], 1.0
	v_cvt_i32_f64_e32 v8, v[8:9]
	s_mov_b32 s15, 0xc090cc00
	v_ldexp_f64 v[8:9], v[18:19], v8
	v_mov_b32_e32 v18, 0x7ff00000
	v_cmp_ngt_f64_e64 s[14:15], s[14:15], v[6:7]
	v_cndmask_b32_e32 v9, v18, v9, vcc
	s_and_b64 vcc, s[14:15], vcc
	v_cndmask_b32_e64 v7, 0, v9, s[14:15]
	v_cndmask_b32_e32 v6, 0, v8, vcc
	v_add_f64 v[8:9], v[6:7], 1.0
	v_add_f64 v[18:19], v[8:9], -1.0
	v_add_f64 v[20:21], v[18:19], -v[8:9]
	v_add_f64 v[20:21], v[20:21], 1.0
	v_add_f64 v[18:19], v[6:7], -v[18:19]
	s_mov_b32 s14, 0x55555555
	v_add_f64 v[18:19], v[18:19], v[20:21]
	v_frexp_mant_f64_e32 v[20:21], v[8:9]
	s_mov_b32 s15, 0x3fe55555
	v_frexp_exp_i32_f64_e32 v22, v[8:9]
	v_cmp_gt_f64_e32 vcc, s[14:15], v[20:21]
	s_mov_b32 s14, 0xbf559e2b
	s_mov_b32 s15, 0x3fc3ab76
	v_subbrev_co_u32_e32 v53, vcc, 0, v22, vcc
	v_sub_u32_e32 v20, 0, v53
	v_ldexp_f64 v[8:9], v[8:9], v20
	v_ldexp_f64 v[18:19], v[18:19], v20
	v_add_f64 v[20:21], v[8:9], -1.0
	v_add_f64 v[26:27], v[8:9], 1.0
	v_add_f64 v[22:23], v[20:21], 1.0
	v_add_f64 v[28:29], v[26:27], -1.0
	v_add_f64 v[22:23], v[8:9], -v[22:23]
	v_add_f64 v[8:9], v[8:9], -v[28:29]
	v_add_f64 v[8:9], v[18:19], v[8:9]
	v_add_f64 v[22:23], v[18:19], v[22:23]
	;; [unrolled: 1-line block ×3, first 2 shown]
	v_rcp_f64_e32 v[28:29], v[18:19]
	v_add_f64 v[24:25], v[20:21], v[22:23]
	v_add_f64 v[20:21], v[24:25], -v[20:21]
	v_add_f64 v[20:21], v[22:23], -v[20:21]
	;; [unrolled: 1-line block ×4, first 2 shown]
	v_fma_f64 v[22:23], -v[18:19], v[28:29], 1.0
	v_fmac_f64_e32 v[28:29], v[22:23], v[28:29]
	v_fma_f64 v[22:23], -v[18:19], v[28:29], 1.0
	v_fmac_f64_e32 v[28:29], v[22:23], v[28:29]
	v_mul_f64 v[22:23], v[24:25], v[28:29]
	v_mul_f64 v[26:27], v[18:19], v[22:23]
	v_fma_f64 v[30:31], v[22:23], v[18:19], -v[26:27]
	v_fmac_f64_e32 v[30:31], v[22:23], v[8:9]
	v_add_f64 v[32:33], v[26:27], v[30:31]
	v_add_f64 v[34:35], v[24:25], -v[32:33]
	v_add_f64 v[24:25], v[24:25], -v[34:35]
	;; [unrolled: 1-line block ×4, first 2 shown]
	v_add_f64 v[20:21], v[20:21], v[24:25]
	v_add_f64 v[24:25], v[26:27], -v[30:31]
	v_add_f64 v[20:21], v[24:25], v[20:21]
	v_add_f64 v[24:25], v[34:35], v[20:21]
	v_add_f64 v[26:27], v[34:35], -v[24:25]
	v_add_f64 v[20:21], v[20:21], v[26:27]
	v_mul_f64 v[26:27], v[28:29], v[24:25]
	v_mul_f64 v[30:31], v[18:19], v[26:27]
	v_fma_f64 v[18:19], v[26:27], v[18:19], -v[30:31]
	v_fmac_f64_e32 v[18:19], v[26:27], v[8:9]
	v_add_f64 v[8:9], v[30:31], v[18:19]
	v_add_f64 v[32:33], v[24:25], -v[8:9]
	v_add_f64 v[24:25], v[24:25], -v[32:33]
	;; [unrolled: 1-line block ×4, first 2 shown]
	v_add_f64 v[8:9], v[20:21], v[8:9]
	v_add_f64 v[18:19], v[30:31], -v[18:19]
	v_add_f64 v[8:9], v[18:19], v[8:9]
	v_add_f64 v[18:19], v[22:23], v[26:27]
	;; [unrolled: 1-line block ×3, first 2 shown]
	v_add_f64 v[20:21], v[18:19], -v[22:23]
	v_mul_f64 v[8:9], v[28:29], v[8:9]
	v_add_f64 v[20:21], v[26:27], -v[20:21]
	v_add_f64 v[8:9], v[20:21], v[8:9]
	v_add_f64 v[20:21], v[18:19], v[8:9]
	v_add_f64 v[18:19], v[20:21], -v[18:19]
	v_add_f64 v[8:9], v[8:9], -v[18:19]
	v_mul_f64 v[18:19], v[20:21], v[20:21]
	v_mov_b32_e32 v22, 0x6b47b09a
	v_mov_b32_e32 v23, 0x3fc38538
	v_fmac_f64_e32 v[22:23], s[14:15], v[18:19]
	v_mov_b32_e32 v24, 0xd7f4df2e
	v_mov_b32_e32 v25, 0x3fc7474d
	v_fmac_f64_e32 v[24:25], v[18:19], v[22:23]
	;; [unrolled: 3-line block ×6, first 2 shown]
	v_cvt_f64_i32_e32 v[22:23], v53
	s_mov_b32 s19, 0x3fe62e42
	v_mul_f64 v[26:27], v[22:23], s[18:19]
	v_fma_f64 v[28:29], v[22:23], s[18:19], -v[26:27]
	s_mov_b32 s21, 0x3c7abc9e
	v_fmac_f64_e32 v[28:29], s[20:21], v[22:23]
	v_add_f64 v[22:23], v[26:27], v[28:29]
	v_add_f64 v[26:27], v[22:23], -v[26:27]
	v_mul_f64 v[18:19], v[20:21], v[18:19]
	v_add_f64 v[26:27], v[28:29], -v[26:27]
	v_ldexp_f64 v[28:29], v[20:21], 1
	v_mul_f64 v[18:19], v[18:19], v[24:25]
	v_add_f64 v[20:21], v[28:29], v[18:19]
	v_add_f64 v[24:25], v[20:21], -v[28:29]
	v_ldexp_f64 v[8:9], v[8:9], 1
	v_add_f64 v[18:19], v[18:19], -v[24:25]
	v_add_f64 v[8:9], v[8:9], v[18:19]
	v_add_f64 v[18:19], v[20:21], v[8:9]
	v_add_f64 v[20:21], v[18:19], -v[20:21]
	v_add_f64 v[8:9], v[8:9], -v[20:21]
	v_add_f64 v[20:21], v[22:23], v[18:19]
	v_add_f64 v[24:25], v[20:21], -v[22:23]
	v_add_f64 v[28:29], v[20:21], -v[24:25]
	;; [unrolled: 1-line block ×4, first 2 shown]
	v_add_f64 v[18:19], v[18:19], v[22:23]
	v_add_f64 v[22:23], v[26:27], v[8:9]
	v_add_f64 v[24:25], v[22:23], -v[26:27]
	v_add_f64 v[18:19], v[22:23], v[18:19]
	v_add_f64 v[28:29], v[22:23], -v[24:25]
	;; [unrolled: 2-line block ×3, first 2 shown]
	v_add_f64 v[8:9], v[8:9], -v[24:25]
	v_add_f64 v[20:21], v[22:23], -v[20:21]
	v_add_f64 v[8:9], v[8:9], v[26:27]
	v_add_f64 v[18:19], v[18:19], -v[20:21]
	s_mov_b32 s14, 0
	v_add_f64 v[8:9], v[8:9], v[18:19]
	s_mov_b32 s15, 0x7ff00000
	v_add_f64 v[8:9], v[22:23], v[8:9]
	v_cmp_eq_f64_e32 vcc, s[14:15], v[6:7]
	v_mov_b32_e32 v18, 0x7ff80000
	s_nop 0
	v_cndmask_b32_e32 v8, v8, v6, vcc
	v_cndmask_b32_e32 v9, v9, v7, vcc
	v_cmp_ngt_f64_e32 vcc, -1.0, v[6:7]
	s_nop 1
	v_cndmask_b32_e32 v9, v18, v9, vcc
	v_cmp_nge_f64_e32 vcc, -1.0, v[6:7]
	v_mov_b32_e32 v18, 0xfff00000
	s_nop 0
	v_cndmask_b32_e32 v8, 0, v8, vcc
	v_cmp_neq_f64_e32 vcc, -1.0, v[6:7]
	s_nop 1
	v_cndmask_b32_e32 v9, v18, v9, vcc
	v_add_f64 v[134:135], v[4:5], v[8:9]
.LBB2_45:
	s_or_b64 exec, exec, s[16:17]
	v_max_f64 v[18:19], v[96:97], v[96:97]
	v_max_f64 v[4:5], v[134:135], v[134:135]
	v_min_f64 v[6:7], v[4:5], v[18:19]
	v_cmp_u_f64_e32 vcc, v[134:135], v[134:135]
	v_max_f64 v[4:5], v[4:5], v[18:19]
	v_cmp_u_f64_e64 s[42:43], v[96:97], v[96:97]
	v_cndmask_b32_e32 v6, v6, v134, vcc
	v_cndmask_b32_e32 v7, v7, v135, vcc
	;; [unrolled: 1-line block ×4, first 2 shown]
	v_cndmask_b32_e64 v7, v7, v97, s[42:43]
	v_cndmask_b32_e64 v6, v6, v96, s[42:43]
	;; [unrolled: 1-line block ×4, first 2 shown]
	v_cmp_neq_f64_e32 vcc, v[6:7], v[4:5]
	v_cmp_class_f64_e64 s[14:15], v[6:7], s13
	s_or_b64 s[14:15], vcc, s[14:15]
	s_and_saveexec_b64 s[16:17], s[14:15]
	s_cbranch_execz .LBB2_47
; %bb.46:
	s_mov_b32 s14, 0x652b82fe
	v_add_f64 v[6:7], v[6:7], -v[4:5]
	s_mov_b32 s15, 0x3ff71547
	v_mul_f64 v[8:9], v[6:7], s[14:15]
	v_rndne_f64_e32 v[8:9], v[8:9]
	s_mov_b32 s19, 0xbfe62e42
	s_mov_b32 s18, 0xfefa39ef
	v_fma_f64 v[20:21], s[18:19], v[8:9], v[6:7]
	s_mov_b32 s21, 0xbc7abc9e
	s_mov_b32 s20, 0x3b39803f
	;; [unrolled: 1-line block ×3, first 2 shown]
	v_fmac_f64_e32 v[20:21], s[20:21], v[8:9]
	v_mov_b32_e32 v22, 0xfca7ab0c
	v_mov_b32_e32 v23, 0x3e928af3
	s_mov_b32 s15, 0x3e5ade15
	v_fmac_f64_e32 v[22:23], s[14:15], v[20:21]
	v_mov_b32_e32 v24, 0x623fde64
	v_mov_b32_e32 v25, 0x3ec71dee
	v_fmac_f64_e32 v[24:25], v[20:21], v[22:23]
	v_mov_b32_e32 v22, 0x7c89e6b0
	v_mov_b32_e32 v23, 0x3efa0199
	;; [unrolled: 3-line block ×8, first 2 shown]
	s_mov_b32 s14, 0
	v_fmac_f64_e32 v[22:23], v[20:21], v[24:25]
	s_mov_b32 s15, 0x40900000
	v_fma_f64 v[22:23], v[20:21], v[22:23], 1.0
	v_cmp_nlt_f64_e32 vcc, s[14:15], v[6:7]
	s_mov_b32 s14, 0
	v_fma_f64 v[20:21], v[20:21], v[22:23], 1.0
	v_cvt_i32_f64_e32 v8, v[8:9]
	s_mov_b32 s15, 0xc090cc00
	v_ldexp_f64 v[8:9], v[20:21], v8
	v_mov_b32_e32 v20, 0x7ff00000
	v_cmp_ngt_f64_e64 s[14:15], s[14:15], v[6:7]
	v_cndmask_b32_e32 v9, v20, v9, vcc
	s_and_b64 vcc, s[14:15], vcc
	v_cndmask_b32_e64 v7, 0, v9, s[14:15]
	v_cndmask_b32_e32 v6, 0, v8, vcc
	v_add_f64 v[8:9], v[6:7], 1.0
	v_add_f64 v[20:21], v[8:9], -1.0
	v_add_f64 v[22:23], v[20:21], -v[8:9]
	v_add_f64 v[22:23], v[22:23], 1.0
	v_add_f64 v[20:21], v[6:7], -v[20:21]
	s_mov_b32 s14, 0x55555555
	v_add_f64 v[20:21], v[20:21], v[22:23]
	v_frexp_mant_f64_e32 v[22:23], v[8:9]
	s_mov_b32 s15, 0x3fe55555
	v_frexp_exp_i32_f64_e32 v24, v[8:9]
	v_cmp_gt_f64_e32 vcc, s[14:15], v[22:23]
	s_mov_b32 s14, 0xbf559e2b
	s_mov_b32 s15, 0x3fc3ab76
	v_subbrev_co_u32_e32 v53, vcc, 0, v24, vcc
	v_sub_u32_e32 v22, 0, v53
	v_ldexp_f64 v[8:9], v[8:9], v22
	v_ldexp_f64 v[20:21], v[20:21], v22
	v_add_f64 v[22:23], v[8:9], -1.0
	v_add_f64 v[28:29], v[8:9], 1.0
	v_add_f64 v[24:25], v[22:23], 1.0
	v_add_f64 v[30:31], v[28:29], -1.0
	v_add_f64 v[24:25], v[8:9], -v[24:25]
	v_add_f64 v[8:9], v[8:9], -v[30:31]
	v_add_f64 v[8:9], v[20:21], v[8:9]
	v_add_f64 v[24:25], v[20:21], v[24:25]
	;; [unrolled: 1-line block ×3, first 2 shown]
	v_rcp_f64_e32 v[30:31], v[20:21]
	v_add_f64 v[26:27], v[22:23], v[24:25]
	v_add_f64 v[22:23], v[26:27], -v[22:23]
	v_add_f64 v[22:23], v[24:25], -v[22:23]
	;; [unrolled: 1-line block ×4, first 2 shown]
	v_fma_f64 v[24:25], -v[20:21], v[30:31], 1.0
	v_fmac_f64_e32 v[30:31], v[24:25], v[30:31]
	v_fma_f64 v[24:25], -v[20:21], v[30:31], 1.0
	v_fmac_f64_e32 v[30:31], v[24:25], v[30:31]
	v_mul_f64 v[24:25], v[26:27], v[30:31]
	v_mul_f64 v[28:29], v[20:21], v[24:25]
	v_fma_f64 v[32:33], v[24:25], v[20:21], -v[28:29]
	v_fmac_f64_e32 v[32:33], v[24:25], v[8:9]
	v_add_f64 v[34:35], v[28:29], v[32:33]
	v_add_f64 v[134:135], v[26:27], -v[34:35]
	v_add_f64 v[26:27], v[26:27], -v[134:135]
	v_add_f64 v[28:29], v[34:35], -v[28:29]
	v_add_f64 v[26:27], v[26:27], -v[34:35]
	v_add_f64 v[22:23], v[22:23], v[26:27]
	v_add_f64 v[26:27], v[28:29], -v[32:33]
	v_add_f64 v[22:23], v[26:27], v[22:23]
	v_add_f64 v[26:27], v[134:135], v[22:23]
	v_add_f64 v[28:29], v[134:135], -v[26:27]
	v_add_f64 v[22:23], v[22:23], v[28:29]
	v_mul_f64 v[28:29], v[30:31], v[26:27]
	v_mul_f64 v[32:33], v[20:21], v[28:29]
	v_fma_f64 v[20:21], v[28:29], v[20:21], -v[32:33]
	v_fmac_f64_e32 v[20:21], v[28:29], v[8:9]
	v_add_f64 v[8:9], v[32:33], v[20:21]
	v_add_f64 v[34:35], v[26:27], -v[8:9]
	v_add_f64 v[26:27], v[26:27], -v[34:35]
	v_add_f64 v[32:33], v[8:9], -v[32:33]
	v_add_f64 v[8:9], v[26:27], -v[8:9]
	v_add_f64 v[8:9], v[22:23], v[8:9]
	v_add_f64 v[20:21], v[32:33], -v[20:21]
	v_add_f64 v[8:9], v[20:21], v[8:9]
	v_add_f64 v[20:21], v[24:25], v[28:29]
	;; [unrolled: 1-line block ×3, first 2 shown]
	v_add_f64 v[22:23], v[20:21], -v[24:25]
	v_mul_f64 v[8:9], v[30:31], v[8:9]
	v_add_f64 v[22:23], v[28:29], -v[22:23]
	v_add_f64 v[8:9], v[22:23], v[8:9]
	v_add_f64 v[22:23], v[20:21], v[8:9]
	v_add_f64 v[20:21], v[22:23], -v[20:21]
	v_add_f64 v[8:9], v[8:9], -v[20:21]
	v_mul_f64 v[20:21], v[22:23], v[22:23]
	v_mov_b32_e32 v24, 0x6b47b09a
	v_mov_b32_e32 v25, 0x3fc38538
	v_fmac_f64_e32 v[24:25], s[14:15], v[20:21]
	v_mov_b32_e32 v26, 0xd7f4df2e
	v_mov_b32_e32 v27, 0x3fc7474d
	v_fmac_f64_e32 v[26:27], v[20:21], v[24:25]
	;; [unrolled: 3-line block ×6, first 2 shown]
	v_cvt_f64_i32_e32 v[24:25], v53
	s_mov_b32 s19, 0x3fe62e42
	v_mul_f64 v[28:29], v[24:25], s[18:19]
	v_fma_f64 v[30:31], v[24:25], s[18:19], -v[28:29]
	s_mov_b32 s21, 0x3c7abc9e
	v_fmac_f64_e32 v[30:31], s[20:21], v[24:25]
	v_add_f64 v[24:25], v[28:29], v[30:31]
	v_add_f64 v[28:29], v[24:25], -v[28:29]
	v_mul_f64 v[20:21], v[22:23], v[20:21]
	v_add_f64 v[28:29], v[30:31], -v[28:29]
	v_ldexp_f64 v[30:31], v[22:23], 1
	v_mul_f64 v[20:21], v[20:21], v[26:27]
	v_add_f64 v[22:23], v[30:31], v[20:21]
	v_add_f64 v[26:27], v[22:23], -v[30:31]
	v_ldexp_f64 v[8:9], v[8:9], 1
	v_add_f64 v[20:21], v[20:21], -v[26:27]
	v_add_f64 v[8:9], v[8:9], v[20:21]
	v_add_f64 v[20:21], v[22:23], v[8:9]
	v_add_f64 v[22:23], v[20:21], -v[22:23]
	v_add_f64 v[8:9], v[8:9], -v[22:23]
	v_add_f64 v[22:23], v[24:25], v[20:21]
	v_add_f64 v[26:27], v[22:23], -v[24:25]
	v_add_f64 v[30:31], v[22:23], -v[26:27]
	;; [unrolled: 1-line block ×4, first 2 shown]
	v_add_f64 v[20:21], v[20:21], v[24:25]
	v_add_f64 v[24:25], v[28:29], v[8:9]
	v_add_f64 v[26:27], v[24:25], -v[28:29]
	v_add_f64 v[20:21], v[24:25], v[20:21]
	v_add_f64 v[30:31], v[24:25], -v[26:27]
	;; [unrolled: 2-line block ×3, first 2 shown]
	v_add_f64 v[8:9], v[8:9], -v[26:27]
	v_add_f64 v[22:23], v[24:25], -v[22:23]
	v_add_f64 v[8:9], v[8:9], v[28:29]
	v_add_f64 v[20:21], v[20:21], -v[22:23]
	s_mov_b32 s14, 0
	v_add_f64 v[8:9], v[8:9], v[20:21]
	s_mov_b32 s15, 0x7ff00000
	v_add_f64 v[8:9], v[24:25], v[8:9]
	v_cmp_eq_f64_e32 vcc, s[14:15], v[6:7]
	v_mov_b32_e32 v20, 0x7ff80000
	s_nop 0
	v_cndmask_b32_e32 v8, v8, v6, vcc
	v_cndmask_b32_e32 v9, v9, v7, vcc
	v_cmp_ngt_f64_e32 vcc, -1.0, v[6:7]
	s_nop 1
	v_cndmask_b32_e32 v9, v20, v9, vcc
	v_cmp_nge_f64_e32 vcc, -1.0, v[6:7]
	v_mov_b32_e32 v20, 0xfff00000
	s_nop 0
	v_cndmask_b32_e32 v8, 0, v8, vcc
	v_cmp_neq_f64_e32 vcc, -1.0, v[6:7]
	s_nop 1
	v_cndmask_b32_e32 v9, v20, v9, vcc
	v_add_f64 v[134:135], v[4:5], v[8:9]
.LBB2_47:
	s_or_b64 exec, exec, s[16:17]
	v_max_f64 v[20:21], v[98:99], v[98:99]
	v_max_f64 v[4:5], v[134:135], v[134:135]
	v_min_f64 v[6:7], v[4:5], v[20:21]
	v_cmp_u_f64_e32 vcc, v[134:135], v[134:135]
	v_max_f64 v[4:5], v[4:5], v[20:21]
	v_cmp_u_f64_e64 s[14:15], v[98:99], v[98:99]
	v_cndmask_b32_e32 v6, v6, v134, vcc
	v_cndmask_b32_e32 v7, v7, v135, vcc
	;; [unrolled: 1-line block ×4, first 2 shown]
	v_cndmask_b32_e64 v7, v7, v99, s[14:15]
	v_cndmask_b32_e64 v6, v6, v98, s[14:15]
	;; [unrolled: 1-line block ×4, first 2 shown]
	v_cmp_neq_f64_e32 vcc, v[6:7], v[4:5]
	v_cmp_class_f64_e64 s[16:17], v[6:7], s13
	s_or_b64 s[16:17], vcc, s[16:17]
	s_and_saveexec_b64 s[18:19], s[16:17]
	s_cbranch_execz .LBB2_49
; %bb.48:
	s_mov_b32 s16, 0x652b82fe
	v_add_f64 v[6:7], v[6:7], -v[4:5]
	s_mov_b32 s17, 0x3ff71547
	v_mul_f64 v[8:9], v[6:7], s[16:17]
	v_rndne_f64_e32 v[8:9], v[8:9]
	s_mov_b32 s21, 0xbfe62e42
	s_mov_b32 s20, 0xfefa39ef
	v_fma_f64 v[22:23], s[20:21], v[8:9], v[6:7]
	s_mov_b32 s23, 0xbc7abc9e
	s_mov_b32 s22, 0x3b39803f
	;; [unrolled: 1-line block ×3, first 2 shown]
	v_fmac_f64_e32 v[22:23], s[22:23], v[8:9]
	v_mov_b32_e32 v24, 0xfca7ab0c
	v_mov_b32_e32 v25, 0x3e928af3
	s_mov_b32 s17, 0x3e5ade15
	v_fmac_f64_e32 v[24:25], s[16:17], v[22:23]
	v_mov_b32_e32 v26, 0x623fde64
	v_mov_b32_e32 v27, 0x3ec71dee
	v_fmac_f64_e32 v[26:27], v[22:23], v[24:25]
	v_mov_b32_e32 v24, 0x7c89e6b0
	v_mov_b32_e32 v25, 0x3efa0199
	;; [unrolled: 3-line block ×8, first 2 shown]
	s_mov_b32 s16, 0
	v_fmac_f64_e32 v[24:25], v[22:23], v[26:27]
	s_mov_b32 s17, 0x40900000
	v_fma_f64 v[24:25], v[22:23], v[24:25], 1.0
	v_cmp_nlt_f64_e32 vcc, s[16:17], v[6:7]
	s_mov_b32 s16, 0
	v_fma_f64 v[22:23], v[22:23], v[24:25], 1.0
	v_cvt_i32_f64_e32 v8, v[8:9]
	s_mov_b32 s17, 0xc090cc00
	v_ldexp_f64 v[8:9], v[22:23], v8
	v_mov_b32_e32 v22, 0x7ff00000
	v_cmp_ngt_f64_e64 s[16:17], s[16:17], v[6:7]
	v_cndmask_b32_e32 v9, v22, v9, vcc
	s_and_b64 vcc, s[16:17], vcc
	v_cndmask_b32_e64 v7, 0, v9, s[16:17]
	v_cndmask_b32_e32 v6, 0, v8, vcc
	v_add_f64 v[8:9], v[6:7], 1.0
	v_add_f64 v[22:23], v[8:9], -1.0
	v_add_f64 v[24:25], v[22:23], -v[8:9]
	v_add_f64 v[24:25], v[24:25], 1.0
	v_add_f64 v[22:23], v[6:7], -v[22:23]
	s_mov_b32 s16, 0x55555555
	v_add_f64 v[22:23], v[22:23], v[24:25]
	v_frexp_mant_f64_e32 v[24:25], v[8:9]
	s_mov_b32 s17, 0x3fe55555
	v_frexp_exp_i32_f64_e32 v26, v[8:9]
	v_cmp_gt_f64_e32 vcc, s[16:17], v[24:25]
	s_mov_b32 s16, 0xbf559e2b
	s_mov_b32 s17, 0x3fc3ab76
	v_subbrev_co_u32_e32 v53, vcc, 0, v26, vcc
	v_sub_u32_e32 v24, 0, v53
	v_ldexp_f64 v[8:9], v[8:9], v24
	v_ldexp_f64 v[22:23], v[22:23], v24
	v_add_f64 v[24:25], v[8:9], -1.0
	v_add_f64 v[30:31], v[8:9], 1.0
	v_add_f64 v[26:27], v[24:25], 1.0
	v_add_f64 v[32:33], v[30:31], -1.0
	v_add_f64 v[26:27], v[8:9], -v[26:27]
	v_add_f64 v[8:9], v[8:9], -v[32:33]
	v_add_f64 v[8:9], v[22:23], v[8:9]
	v_add_f64 v[26:27], v[22:23], v[26:27]
	;; [unrolled: 1-line block ×3, first 2 shown]
	v_rcp_f64_e32 v[32:33], v[22:23]
	v_add_f64 v[28:29], v[24:25], v[26:27]
	v_add_f64 v[24:25], v[28:29], -v[24:25]
	v_add_f64 v[24:25], v[26:27], -v[24:25]
	;; [unrolled: 1-line block ×4, first 2 shown]
	v_fma_f64 v[26:27], -v[22:23], v[32:33], 1.0
	v_fmac_f64_e32 v[32:33], v[26:27], v[32:33]
	v_fma_f64 v[26:27], -v[22:23], v[32:33], 1.0
	v_fmac_f64_e32 v[32:33], v[26:27], v[32:33]
	v_mul_f64 v[26:27], v[28:29], v[32:33]
	v_mul_f64 v[30:31], v[22:23], v[26:27]
	v_fma_f64 v[34:35], v[26:27], v[22:23], -v[30:31]
	v_fmac_f64_e32 v[34:35], v[26:27], v[8:9]
	v_add_f64 v[134:135], v[30:31], v[34:35]
	v_add_f64 v[144:145], v[28:29], -v[134:135]
	v_add_f64 v[28:29], v[28:29], -v[144:145]
	;; [unrolled: 1-line block ×4, first 2 shown]
	v_add_f64 v[24:25], v[24:25], v[28:29]
	v_add_f64 v[28:29], v[30:31], -v[34:35]
	v_add_f64 v[24:25], v[28:29], v[24:25]
	v_add_f64 v[28:29], v[144:145], v[24:25]
	v_add_f64 v[30:31], v[144:145], -v[28:29]
	v_add_f64 v[24:25], v[24:25], v[30:31]
	v_mul_f64 v[30:31], v[32:33], v[28:29]
	v_mul_f64 v[34:35], v[22:23], v[30:31]
	v_fma_f64 v[22:23], v[30:31], v[22:23], -v[34:35]
	v_fmac_f64_e32 v[22:23], v[30:31], v[8:9]
	v_add_f64 v[8:9], v[34:35], v[22:23]
	v_add_f64 v[134:135], v[28:29], -v[8:9]
	v_add_f64 v[28:29], v[28:29], -v[134:135]
	;; [unrolled: 1-line block ×4, first 2 shown]
	v_add_f64 v[8:9], v[24:25], v[8:9]
	v_add_f64 v[22:23], v[34:35], -v[22:23]
	v_add_f64 v[8:9], v[22:23], v[8:9]
	v_add_f64 v[22:23], v[26:27], v[30:31]
	;; [unrolled: 1-line block ×3, first 2 shown]
	v_add_f64 v[24:25], v[22:23], -v[26:27]
	v_mul_f64 v[8:9], v[32:33], v[8:9]
	v_add_f64 v[24:25], v[30:31], -v[24:25]
	v_add_f64 v[8:9], v[24:25], v[8:9]
	v_add_f64 v[24:25], v[22:23], v[8:9]
	v_add_f64 v[22:23], v[24:25], -v[22:23]
	v_add_f64 v[8:9], v[8:9], -v[22:23]
	v_mul_f64 v[22:23], v[24:25], v[24:25]
	v_mov_b32_e32 v26, 0x6b47b09a
	v_mov_b32_e32 v27, 0x3fc38538
	v_fmac_f64_e32 v[26:27], s[16:17], v[22:23]
	v_mov_b32_e32 v28, 0xd7f4df2e
	v_mov_b32_e32 v29, 0x3fc7474d
	v_fmac_f64_e32 v[28:29], v[22:23], v[26:27]
	;; [unrolled: 3-line block ×6, first 2 shown]
	v_cvt_f64_i32_e32 v[26:27], v53
	s_mov_b32 s21, 0x3fe62e42
	v_mul_f64 v[30:31], v[26:27], s[20:21]
	v_fma_f64 v[32:33], v[26:27], s[20:21], -v[30:31]
	s_mov_b32 s23, 0x3c7abc9e
	v_fmac_f64_e32 v[32:33], s[22:23], v[26:27]
	v_add_f64 v[26:27], v[30:31], v[32:33]
	v_add_f64 v[30:31], v[26:27], -v[30:31]
	v_mul_f64 v[22:23], v[24:25], v[22:23]
	v_add_f64 v[30:31], v[32:33], -v[30:31]
	v_ldexp_f64 v[32:33], v[24:25], 1
	v_mul_f64 v[22:23], v[22:23], v[28:29]
	v_add_f64 v[24:25], v[32:33], v[22:23]
	v_add_f64 v[28:29], v[24:25], -v[32:33]
	v_ldexp_f64 v[8:9], v[8:9], 1
	v_add_f64 v[22:23], v[22:23], -v[28:29]
	v_add_f64 v[8:9], v[8:9], v[22:23]
	v_add_f64 v[22:23], v[24:25], v[8:9]
	v_add_f64 v[24:25], v[22:23], -v[24:25]
	v_add_f64 v[8:9], v[8:9], -v[24:25]
	v_add_f64 v[24:25], v[26:27], v[22:23]
	v_add_f64 v[28:29], v[24:25], -v[26:27]
	v_add_f64 v[32:33], v[24:25], -v[28:29]
	;; [unrolled: 1-line block ×4, first 2 shown]
	v_add_f64 v[22:23], v[22:23], v[26:27]
	v_add_f64 v[26:27], v[30:31], v[8:9]
	v_add_f64 v[28:29], v[26:27], -v[30:31]
	v_add_f64 v[22:23], v[26:27], v[22:23]
	v_add_f64 v[32:33], v[26:27], -v[28:29]
	;; [unrolled: 2-line block ×3, first 2 shown]
	v_add_f64 v[8:9], v[8:9], -v[28:29]
	v_add_f64 v[24:25], v[26:27], -v[24:25]
	v_add_f64 v[8:9], v[8:9], v[30:31]
	v_add_f64 v[22:23], v[22:23], -v[24:25]
	s_mov_b32 s16, 0
	v_add_f64 v[8:9], v[8:9], v[22:23]
	s_mov_b32 s17, 0x7ff00000
	v_add_f64 v[8:9], v[26:27], v[8:9]
	v_cmp_eq_f64_e32 vcc, s[16:17], v[6:7]
	v_mov_b32_e32 v22, 0x7ff80000
	s_nop 0
	v_cndmask_b32_e32 v8, v8, v6, vcc
	v_cndmask_b32_e32 v9, v9, v7, vcc
	v_cmp_ngt_f64_e32 vcc, -1.0, v[6:7]
	s_nop 1
	v_cndmask_b32_e32 v9, v22, v9, vcc
	v_cmp_nge_f64_e32 vcc, -1.0, v[6:7]
	v_mov_b32_e32 v22, 0xfff00000
	s_nop 0
	v_cndmask_b32_e32 v8, 0, v8, vcc
	v_cmp_neq_f64_e32 vcc, -1.0, v[6:7]
	s_nop 1
	v_cndmask_b32_e32 v9, v22, v9, vcc
	v_add_f64 v[134:135], v[4:5], v[8:9]
.LBB2_49:
	s_or_b64 exec, exec, s[18:19]
	v_max_f64 v[22:23], v[84:85], v[84:85]
	v_max_f64 v[4:5], v[134:135], v[134:135]
	v_min_f64 v[6:7], v[4:5], v[22:23]
	v_cmp_u_f64_e32 vcc, v[134:135], v[134:135]
	v_max_f64 v[4:5], v[4:5], v[22:23]
	v_cmp_u_f64_e64 s[16:17], v[84:85], v[84:85]
	v_cndmask_b32_e32 v6, v6, v134, vcc
	v_cndmask_b32_e32 v7, v7, v135, vcc
	;; [unrolled: 1-line block ×4, first 2 shown]
	v_cndmask_b32_e64 v7, v7, v85, s[16:17]
	v_cndmask_b32_e64 v6, v6, v84, s[16:17]
	v_cndmask_b32_e64 v5, v5, v85, s[16:17]
	v_cndmask_b32_e64 v4, v4, v84, s[16:17]
	v_cmp_neq_f64_e32 vcc, v[6:7], v[4:5]
	v_cmp_class_f64_e64 s[18:19], v[6:7], s13
	s_or_b64 s[18:19], vcc, s[18:19]
	s_and_saveexec_b64 s[20:21], s[18:19]
	s_cbranch_execz .LBB2_51
; %bb.50:
	s_mov_b32 s18, 0x652b82fe
	v_add_f64 v[6:7], v[6:7], -v[4:5]
	s_mov_b32 s19, 0x3ff71547
	v_mul_f64 v[8:9], v[6:7], s[18:19]
	v_rndne_f64_e32 v[8:9], v[8:9]
	s_mov_b32 s23, 0xbfe62e42
	s_mov_b32 s22, 0xfefa39ef
	v_fma_f64 v[24:25], s[22:23], v[8:9], v[6:7]
	s_mov_b32 s25, 0xbc7abc9e
	s_mov_b32 s24, 0x3b39803f
	s_mov_b32 s18, 0x6a5dcb37
	v_fmac_f64_e32 v[24:25], s[24:25], v[8:9]
	v_mov_b32_e32 v26, 0xfca7ab0c
	v_mov_b32_e32 v27, 0x3e928af3
	s_mov_b32 s19, 0x3e5ade15
	v_fmac_f64_e32 v[26:27], s[18:19], v[24:25]
	v_mov_b32_e32 v28, 0x623fde64
	v_mov_b32_e32 v29, 0x3ec71dee
	v_fmac_f64_e32 v[28:29], v[24:25], v[26:27]
	v_mov_b32_e32 v26, 0x7c89e6b0
	v_mov_b32_e32 v27, 0x3efa0199
	v_fmac_f64_e32 v[26:27], v[24:25], v[28:29]
	v_mov_b32_e32 v28, 0x14761f6e
	v_mov_b32_e32 v29, 0x3f2a01a0
	v_fmac_f64_e32 v[28:29], v[24:25], v[26:27]
	v_mov_b32_e32 v26, 0x1852b7b0
	v_mov_b32_e32 v27, 0x3f56c16c
	v_fmac_f64_e32 v[26:27], v[24:25], v[28:29]
	v_mov_b32_e32 v28, 0x11122322
	v_mov_b32_e32 v29, 0x3f811111
	v_fmac_f64_e32 v[28:29], v[24:25], v[26:27]
	v_mov_b32_e32 v26, 0x555502a1
	v_mov_b32_e32 v27, 0x3fa55555
	v_fmac_f64_e32 v[26:27], v[24:25], v[28:29]
	v_mov_b32_e32 v28, 0x55555511
	v_mov_b32_e32 v29, 0x3fc55555
	v_fmac_f64_e32 v[28:29], v[24:25], v[26:27]
	v_mov_b32_e32 v26, 11
	v_mov_b32_e32 v27, 0x3fe00000
	s_mov_b32 s18, 0
	v_fmac_f64_e32 v[26:27], v[24:25], v[28:29]
	s_mov_b32 s19, 0x40900000
	v_fma_f64 v[26:27], v[24:25], v[26:27], 1.0
	v_cmp_nlt_f64_e32 vcc, s[18:19], v[6:7]
	s_mov_b32 s18, 0
	v_fma_f64 v[24:25], v[24:25], v[26:27], 1.0
	v_cvt_i32_f64_e32 v8, v[8:9]
	s_mov_b32 s19, 0xc090cc00
	v_ldexp_f64 v[8:9], v[24:25], v8
	v_mov_b32_e32 v24, 0x7ff00000
	v_cmp_ngt_f64_e64 s[18:19], s[18:19], v[6:7]
	v_cndmask_b32_e32 v9, v24, v9, vcc
	s_and_b64 vcc, s[18:19], vcc
	v_cndmask_b32_e64 v7, 0, v9, s[18:19]
	v_cndmask_b32_e32 v6, 0, v8, vcc
	v_add_f64 v[8:9], v[6:7], 1.0
	v_add_f64 v[24:25], v[8:9], -1.0
	v_add_f64 v[26:27], v[24:25], -v[8:9]
	v_add_f64 v[26:27], v[26:27], 1.0
	v_add_f64 v[24:25], v[6:7], -v[24:25]
	s_mov_b32 s18, 0x55555555
	v_add_f64 v[24:25], v[24:25], v[26:27]
	v_frexp_mant_f64_e32 v[26:27], v[8:9]
	s_mov_b32 s19, 0x3fe55555
	v_frexp_exp_i32_f64_e32 v28, v[8:9]
	v_cmp_gt_f64_e32 vcc, s[18:19], v[26:27]
	s_mov_b32 s18, 0xbf559e2b
	s_mov_b32 s19, 0x3fc3ab76
	v_subbrev_co_u32_e32 v53, vcc, 0, v28, vcc
	v_sub_u32_e32 v26, 0, v53
	v_ldexp_f64 v[8:9], v[8:9], v26
	v_ldexp_f64 v[24:25], v[24:25], v26
	v_add_f64 v[26:27], v[8:9], -1.0
	v_add_f64 v[32:33], v[8:9], 1.0
	v_add_f64 v[28:29], v[26:27], 1.0
	v_add_f64 v[34:35], v[32:33], -1.0
	v_add_f64 v[28:29], v[8:9], -v[28:29]
	v_add_f64 v[8:9], v[8:9], -v[34:35]
	v_add_f64 v[8:9], v[24:25], v[8:9]
	v_add_f64 v[28:29], v[24:25], v[28:29]
	v_add_f64 v[24:25], v[32:33], v[8:9]
	v_rcp_f64_e32 v[34:35], v[24:25]
	v_add_f64 v[30:31], v[26:27], v[28:29]
	v_add_f64 v[26:27], v[30:31], -v[26:27]
	v_add_f64 v[26:27], v[28:29], -v[26:27]
	;; [unrolled: 1-line block ×4, first 2 shown]
	v_fma_f64 v[28:29], -v[24:25], v[34:35], 1.0
	v_fmac_f64_e32 v[34:35], v[28:29], v[34:35]
	v_fma_f64 v[28:29], -v[24:25], v[34:35], 1.0
	v_fmac_f64_e32 v[34:35], v[28:29], v[34:35]
	v_mul_f64 v[28:29], v[30:31], v[34:35]
	v_mul_f64 v[32:33], v[24:25], v[28:29]
	v_fma_f64 v[134:135], v[28:29], v[24:25], -v[32:33]
	v_fmac_f64_e32 v[134:135], v[28:29], v[8:9]
	v_add_f64 v[144:145], v[32:33], v[134:135]
	v_add_f64 v[146:147], v[30:31], -v[144:145]
	v_add_f64 v[30:31], v[30:31], -v[146:147]
	;; [unrolled: 1-line block ×4, first 2 shown]
	v_add_f64 v[26:27], v[26:27], v[30:31]
	v_add_f64 v[30:31], v[32:33], -v[134:135]
	v_add_f64 v[26:27], v[30:31], v[26:27]
	v_add_f64 v[30:31], v[146:147], v[26:27]
	v_add_f64 v[32:33], v[146:147], -v[30:31]
	v_add_f64 v[26:27], v[26:27], v[32:33]
	v_mul_f64 v[32:33], v[34:35], v[30:31]
	v_mul_f64 v[134:135], v[24:25], v[32:33]
	v_fma_f64 v[24:25], v[32:33], v[24:25], -v[134:135]
	v_fmac_f64_e32 v[24:25], v[32:33], v[8:9]
	v_add_f64 v[8:9], v[134:135], v[24:25]
	v_add_f64 v[144:145], v[30:31], -v[8:9]
	v_add_f64 v[30:31], v[30:31], -v[144:145]
	;; [unrolled: 1-line block ×4, first 2 shown]
	v_add_f64 v[8:9], v[26:27], v[8:9]
	v_add_f64 v[24:25], v[134:135], -v[24:25]
	v_add_f64 v[8:9], v[24:25], v[8:9]
	v_add_f64 v[24:25], v[28:29], v[32:33]
	;; [unrolled: 1-line block ×3, first 2 shown]
	v_add_f64 v[26:27], v[24:25], -v[28:29]
	v_mul_f64 v[8:9], v[34:35], v[8:9]
	v_add_f64 v[26:27], v[32:33], -v[26:27]
	v_add_f64 v[8:9], v[26:27], v[8:9]
	v_add_f64 v[26:27], v[24:25], v[8:9]
	v_add_f64 v[24:25], v[26:27], -v[24:25]
	v_add_f64 v[8:9], v[8:9], -v[24:25]
	v_mul_f64 v[24:25], v[26:27], v[26:27]
	v_mov_b32_e32 v28, 0x6b47b09a
	v_mov_b32_e32 v29, 0x3fc38538
	v_fmac_f64_e32 v[28:29], s[18:19], v[24:25]
	v_mov_b32_e32 v30, 0xd7f4df2e
	v_mov_b32_e32 v31, 0x3fc7474d
	v_fmac_f64_e32 v[30:31], v[24:25], v[28:29]
	;; [unrolled: 3-line block ×6, first 2 shown]
	v_cvt_f64_i32_e32 v[28:29], v53
	s_mov_b32 s23, 0x3fe62e42
	v_mul_f64 v[32:33], v[28:29], s[22:23]
	v_fma_f64 v[34:35], v[28:29], s[22:23], -v[32:33]
	s_mov_b32 s25, 0x3c7abc9e
	v_fmac_f64_e32 v[34:35], s[24:25], v[28:29]
	v_add_f64 v[28:29], v[32:33], v[34:35]
	v_add_f64 v[32:33], v[28:29], -v[32:33]
	v_mul_f64 v[24:25], v[26:27], v[24:25]
	v_add_f64 v[32:33], v[34:35], -v[32:33]
	v_ldexp_f64 v[34:35], v[26:27], 1
	v_mul_f64 v[24:25], v[24:25], v[30:31]
	v_add_f64 v[26:27], v[34:35], v[24:25]
	v_add_f64 v[30:31], v[26:27], -v[34:35]
	v_ldexp_f64 v[8:9], v[8:9], 1
	v_add_f64 v[24:25], v[24:25], -v[30:31]
	v_add_f64 v[8:9], v[8:9], v[24:25]
	v_add_f64 v[24:25], v[26:27], v[8:9]
	v_add_f64 v[26:27], v[24:25], -v[26:27]
	v_add_f64 v[8:9], v[8:9], -v[26:27]
	v_add_f64 v[26:27], v[28:29], v[24:25]
	v_add_f64 v[30:31], v[26:27], -v[28:29]
	v_add_f64 v[34:35], v[26:27], -v[30:31]
	;; [unrolled: 1-line block ×4, first 2 shown]
	v_add_f64 v[24:25], v[24:25], v[28:29]
	v_add_f64 v[28:29], v[32:33], v[8:9]
	v_add_f64 v[30:31], v[28:29], -v[32:33]
	v_add_f64 v[24:25], v[28:29], v[24:25]
	v_add_f64 v[34:35], v[28:29], -v[30:31]
	;; [unrolled: 2-line block ×3, first 2 shown]
	v_add_f64 v[8:9], v[8:9], -v[30:31]
	v_add_f64 v[26:27], v[28:29], -v[26:27]
	v_add_f64 v[8:9], v[8:9], v[32:33]
	v_add_f64 v[24:25], v[24:25], -v[26:27]
	s_mov_b32 s18, 0
	v_add_f64 v[8:9], v[8:9], v[24:25]
	s_mov_b32 s19, 0x7ff00000
	v_add_f64 v[8:9], v[28:29], v[8:9]
	v_cmp_eq_f64_e32 vcc, s[18:19], v[6:7]
	v_mov_b32_e32 v24, 0x7ff80000
	s_nop 0
	v_cndmask_b32_e32 v8, v8, v6, vcc
	v_cndmask_b32_e32 v9, v9, v7, vcc
	v_cmp_ngt_f64_e32 vcc, -1.0, v[6:7]
	s_nop 1
	v_cndmask_b32_e32 v9, v24, v9, vcc
	v_cmp_nge_f64_e32 vcc, -1.0, v[6:7]
	v_mov_b32_e32 v24, 0xfff00000
	s_nop 0
	v_cndmask_b32_e32 v8, 0, v8, vcc
	v_cmp_neq_f64_e32 vcc, -1.0, v[6:7]
	s_nop 1
	v_cndmask_b32_e32 v9, v24, v9, vcc
	v_add_f64 v[134:135], v[4:5], v[8:9]
.LBB2_51:
	s_or_b64 exec, exec, s[20:21]
	v_max_f64 v[24:25], v[86:87], v[86:87]
	v_max_f64 v[4:5], v[134:135], v[134:135]
	v_min_f64 v[6:7], v[4:5], v[24:25]
	v_cmp_u_f64_e32 vcc, v[134:135], v[134:135]
	v_max_f64 v[4:5], v[4:5], v[24:25]
	v_cmp_u_f64_e64 s[18:19], v[86:87], v[86:87]
	v_cndmask_b32_e32 v6, v6, v134, vcc
	v_cndmask_b32_e32 v7, v7, v135, vcc
	;; [unrolled: 1-line block ×4, first 2 shown]
	v_cndmask_b32_e64 v7, v7, v87, s[18:19]
	v_cndmask_b32_e64 v6, v6, v86, s[18:19]
	;; [unrolled: 1-line block ×4, first 2 shown]
	v_cmp_neq_f64_e32 vcc, v[6:7], v[4:5]
	v_cmp_class_f64_e64 s[20:21], v[6:7], s13
	s_or_b64 s[20:21], vcc, s[20:21]
	s_and_saveexec_b64 s[22:23], s[20:21]
	s_cbranch_execz .LBB2_53
; %bb.52:
	s_mov_b32 s20, 0x652b82fe
	v_add_f64 v[6:7], v[6:7], -v[4:5]
	s_mov_b32 s21, 0x3ff71547
	v_mul_f64 v[8:9], v[6:7], s[20:21]
	v_rndne_f64_e32 v[8:9], v[8:9]
	s_mov_b32 s25, 0xbfe62e42
	s_mov_b32 s24, 0xfefa39ef
	v_fma_f64 v[26:27], s[24:25], v[8:9], v[6:7]
	s_mov_b32 s27, 0xbc7abc9e
	s_mov_b32 s26, 0x3b39803f
	;; [unrolled: 1-line block ×3, first 2 shown]
	v_fmac_f64_e32 v[26:27], s[26:27], v[8:9]
	v_mov_b32_e32 v28, 0xfca7ab0c
	v_mov_b32_e32 v29, 0x3e928af3
	s_mov_b32 s21, 0x3e5ade15
	v_fmac_f64_e32 v[28:29], s[20:21], v[26:27]
	v_mov_b32_e32 v30, 0x623fde64
	v_mov_b32_e32 v31, 0x3ec71dee
	v_fmac_f64_e32 v[30:31], v[26:27], v[28:29]
	v_mov_b32_e32 v28, 0x7c89e6b0
	v_mov_b32_e32 v29, 0x3efa0199
	v_fmac_f64_e32 v[28:29], v[26:27], v[30:31]
	v_mov_b32_e32 v30, 0x14761f6e
	v_mov_b32_e32 v31, 0x3f2a01a0
	v_fmac_f64_e32 v[30:31], v[26:27], v[28:29]
	v_mov_b32_e32 v28, 0x1852b7b0
	v_mov_b32_e32 v29, 0x3f56c16c
	v_fmac_f64_e32 v[28:29], v[26:27], v[30:31]
	v_mov_b32_e32 v30, 0x11122322
	v_mov_b32_e32 v31, 0x3f811111
	v_fmac_f64_e32 v[30:31], v[26:27], v[28:29]
	v_mov_b32_e32 v28, 0x555502a1
	v_mov_b32_e32 v29, 0x3fa55555
	v_fmac_f64_e32 v[28:29], v[26:27], v[30:31]
	v_mov_b32_e32 v30, 0x55555511
	v_mov_b32_e32 v31, 0x3fc55555
	v_fmac_f64_e32 v[30:31], v[26:27], v[28:29]
	v_mov_b32_e32 v28, 11
	v_mov_b32_e32 v29, 0x3fe00000
	s_mov_b32 s20, 0
	v_fmac_f64_e32 v[28:29], v[26:27], v[30:31]
	s_mov_b32 s21, 0x40900000
	v_fma_f64 v[28:29], v[26:27], v[28:29], 1.0
	v_cmp_nlt_f64_e32 vcc, s[20:21], v[6:7]
	s_mov_b32 s20, 0
	v_fma_f64 v[26:27], v[26:27], v[28:29], 1.0
	v_cvt_i32_f64_e32 v8, v[8:9]
	s_mov_b32 s21, 0xc090cc00
	v_ldexp_f64 v[8:9], v[26:27], v8
	v_mov_b32_e32 v26, 0x7ff00000
	v_cmp_ngt_f64_e64 s[20:21], s[20:21], v[6:7]
	v_cndmask_b32_e32 v9, v26, v9, vcc
	s_and_b64 vcc, s[20:21], vcc
	v_cndmask_b32_e64 v7, 0, v9, s[20:21]
	v_cndmask_b32_e32 v6, 0, v8, vcc
	v_add_f64 v[8:9], v[6:7], 1.0
	v_add_f64 v[26:27], v[8:9], -1.0
	v_add_f64 v[28:29], v[26:27], -v[8:9]
	v_add_f64 v[28:29], v[28:29], 1.0
	v_add_f64 v[26:27], v[6:7], -v[26:27]
	s_mov_b32 s20, 0x55555555
	v_add_f64 v[26:27], v[26:27], v[28:29]
	v_frexp_mant_f64_e32 v[28:29], v[8:9]
	s_mov_b32 s21, 0x3fe55555
	v_frexp_exp_i32_f64_e32 v30, v[8:9]
	v_cmp_gt_f64_e32 vcc, s[20:21], v[28:29]
	s_mov_b32 s20, 0xbf559e2b
	s_mov_b32 s21, 0x3fc3ab76
	v_subbrev_co_u32_e32 v53, vcc, 0, v30, vcc
	v_sub_u32_e32 v28, 0, v53
	v_ldexp_f64 v[8:9], v[8:9], v28
	v_ldexp_f64 v[26:27], v[26:27], v28
	v_add_f64 v[28:29], v[8:9], -1.0
	v_add_f64 v[34:35], v[8:9], 1.0
	v_add_f64 v[30:31], v[28:29], 1.0
	v_add_f64 v[134:135], v[34:35], -1.0
	v_add_f64 v[30:31], v[8:9], -v[30:31]
	v_add_f64 v[8:9], v[8:9], -v[134:135]
	v_add_f64 v[8:9], v[26:27], v[8:9]
	v_add_f64 v[30:31], v[26:27], v[30:31]
	;; [unrolled: 1-line block ×3, first 2 shown]
	v_rcp_f64_e32 v[134:135], v[26:27]
	v_add_f64 v[32:33], v[28:29], v[30:31]
	v_add_f64 v[28:29], v[32:33], -v[28:29]
	v_add_f64 v[28:29], v[30:31], -v[28:29]
	;; [unrolled: 1-line block ×4, first 2 shown]
	v_fma_f64 v[30:31], -v[26:27], v[134:135], 1.0
	v_fmac_f64_e32 v[134:135], v[30:31], v[134:135]
	v_fma_f64 v[30:31], -v[26:27], v[134:135], 1.0
	v_fmac_f64_e32 v[134:135], v[30:31], v[134:135]
	v_mul_f64 v[30:31], v[32:33], v[134:135]
	v_mul_f64 v[34:35], v[26:27], v[30:31]
	v_fma_f64 v[144:145], v[30:31], v[26:27], -v[34:35]
	v_fmac_f64_e32 v[144:145], v[30:31], v[8:9]
	v_add_f64 v[146:147], v[34:35], v[144:145]
	v_add_f64 v[148:149], v[32:33], -v[146:147]
	v_add_f64 v[32:33], v[32:33], -v[148:149]
	;; [unrolled: 1-line block ×4, first 2 shown]
	v_add_f64 v[28:29], v[28:29], v[32:33]
	v_add_f64 v[32:33], v[34:35], -v[144:145]
	v_add_f64 v[28:29], v[32:33], v[28:29]
	v_add_f64 v[32:33], v[148:149], v[28:29]
	v_add_f64 v[34:35], v[148:149], -v[32:33]
	v_add_f64 v[28:29], v[28:29], v[34:35]
	v_mul_f64 v[34:35], v[134:135], v[32:33]
	v_mul_f64 v[144:145], v[26:27], v[34:35]
	v_fma_f64 v[26:27], v[34:35], v[26:27], -v[144:145]
	v_fmac_f64_e32 v[26:27], v[34:35], v[8:9]
	v_add_f64 v[8:9], v[144:145], v[26:27]
	v_add_f64 v[146:147], v[32:33], -v[8:9]
	v_add_f64 v[32:33], v[32:33], -v[146:147]
	;; [unrolled: 1-line block ×4, first 2 shown]
	v_add_f64 v[8:9], v[28:29], v[8:9]
	v_add_f64 v[26:27], v[144:145], -v[26:27]
	v_add_f64 v[8:9], v[26:27], v[8:9]
	v_add_f64 v[26:27], v[30:31], v[34:35]
	;; [unrolled: 1-line block ×3, first 2 shown]
	v_add_f64 v[28:29], v[26:27], -v[30:31]
	v_mul_f64 v[8:9], v[134:135], v[8:9]
	v_add_f64 v[28:29], v[34:35], -v[28:29]
	v_add_f64 v[8:9], v[28:29], v[8:9]
	v_add_f64 v[28:29], v[26:27], v[8:9]
	v_add_f64 v[26:27], v[28:29], -v[26:27]
	v_add_f64 v[8:9], v[8:9], -v[26:27]
	v_mul_f64 v[26:27], v[28:29], v[28:29]
	v_mov_b32_e32 v30, 0x6b47b09a
	v_mov_b32_e32 v31, 0x3fc38538
	v_fmac_f64_e32 v[30:31], s[20:21], v[26:27]
	v_mov_b32_e32 v32, 0xd7f4df2e
	v_mov_b32_e32 v33, 0x3fc7474d
	v_fmac_f64_e32 v[32:33], v[26:27], v[30:31]
	;; [unrolled: 3-line block ×6, first 2 shown]
	v_cvt_f64_i32_e32 v[30:31], v53
	s_mov_b32 s25, 0x3fe62e42
	v_mul_f64 v[34:35], v[30:31], s[24:25]
	v_fma_f64 v[134:135], v[30:31], s[24:25], -v[34:35]
	s_mov_b32 s27, 0x3c7abc9e
	v_fmac_f64_e32 v[134:135], s[26:27], v[30:31]
	v_add_f64 v[30:31], v[34:35], v[134:135]
	v_add_f64 v[34:35], v[30:31], -v[34:35]
	v_mul_f64 v[26:27], v[28:29], v[26:27]
	v_add_f64 v[34:35], v[134:135], -v[34:35]
	v_ldexp_f64 v[134:135], v[28:29], 1
	v_mul_f64 v[26:27], v[26:27], v[32:33]
	v_add_f64 v[28:29], v[134:135], v[26:27]
	v_add_f64 v[32:33], v[28:29], -v[134:135]
	v_ldexp_f64 v[8:9], v[8:9], 1
	v_add_f64 v[26:27], v[26:27], -v[32:33]
	v_add_f64 v[8:9], v[8:9], v[26:27]
	v_add_f64 v[26:27], v[28:29], v[8:9]
	v_add_f64 v[28:29], v[26:27], -v[28:29]
	v_add_f64 v[8:9], v[8:9], -v[28:29]
	v_add_f64 v[28:29], v[30:31], v[26:27]
	v_add_f64 v[32:33], v[28:29], -v[30:31]
	v_add_f64 v[134:135], v[28:29], -v[32:33]
	v_add_f64 v[30:31], v[30:31], -v[134:135]
	v_add_f64 v[26:27], v[26:27], -v[32:33]
	v_add_f64 v[26:27], v[26:27], v[30:31]
	v_add_f64 v[30:31], v[34:35], v[8:9]
	v_add_f64 v[32:33], v[30:31], -v[34:35]
	v_add_f64 v[26:27], v[30:31], v[26:27]
	v_add_f64 v[134:135], v[30:31], -v[32:33]
	;; [unrolled: 2-line block ×3, first 2 shown]
	v_add_f64 v[8:9], v[8:9], -v[32:33]
	v_add_f64 v[28:29], v[30:31], -v[28:29]
	v_add_f64 v[8:9], v[8:9], v[34:35]
	v_add_f64 v[26:27], v[26:27], -v[28:29]
	s_mov_b32 s20, 0
	v_add_f64 v[8:9], v[8:9], v[26:27]
	s_mov_b32 s21, 0x7ff00000
	v_add_f64 v[8:9], v[30:31], v[8:9]
	v_cmp_eq_f64_e32 vcc, s[20:21], v[6:7]
	v_mov_b32_e32 v26, 0x7ff80000
	s_nop 0
	v_cndmask_b32_e32 v8, v8, v6, vcc
	v_cndmask_b32_e32 v9, v9, v7, vcc
	v_cmp_ngt_f64_e32 vcc, -1.0, v[6:7]
	s_nop 1
	v_cndmask_b32_e32 v9, v26, v9, vcc
	v_cmp_nge_f64_e32 vcc, -1.0, v[6:7]
	v_mov_b32_e32 v26, 0xfff00000
	s_nop 0
	v_cndmask_b32_e32 v8, 0, v8, vcc
	v_cmp_neq_f64_e32 vcc, -1.0, v[6:7]
	s_nop 1
	v_cndmask_b32_e32 v9, v26, v9, vcc
	v_add_f64 v[134:135], v[4:5], v[8:9]
.LBB2_53:
	s_or_b64 exec, exec, s[22:23]
	v_max_f64 v[26:27], v[80:81], v[80:81]
	v_max_f64 v[4:5], v[134:135], v[134:135]
	v_min_f64 v[6:7], v[4:5], v[26:27]
	v_cmp_u_f64_e32 vcc, v[134:135], v[134:135]
	v_max_f64 v[4:5], v[4:5], v[26:27]
	v_cmp_u_f64_e64 s[20:21], v[80:81], v[80:81]
	v_cndmask_b32_e32 v6, v6, v134, vcc
	v_cndmask_b32_e32 v7, v7, v135, vcc
	;; [unrolled: 1-line block ×4, first 2 shown]
	v_cndmask_b32_e64 v7, v7, v81, s[20:21]
	v_cndmask_b32_e64 v6, v6, v80, s[20:21]
	;; [unrolled: 1-line block ×4, first 2 shown]
	v_cmp_neq_f64_e32 vcc, v[6:7], v[4:5]
	v_cmp_class_f64_e64 s[22:23], v[6:7], s13
	s_or_b64 s[22:23], vcc, s[22:23]
	s_and_saveexec_b64 s[24:25], s[22:23]
	s_cbranch_execz .LBB2_55
; %bb.54:
	s_mov_b32 s22, 0x652b82fe
	v_add_f64 v[6:7], v[6:7], -v[4:5]
	s_mov_b32 s23, 0x3ff71547
	v_mul_f64 v[8:9], v[6:7], s[22:23]
	v_rndne_f64_e32 v[8:9], v[8:9]
	s_mov_b32 s27, 0xbfe62e42
	s_mov_b32 s26, 0xfefa39ef
	v_fma_f64 v[28:29], s[26:27], v[8:9], v[6:7]
	s_mov_b32 s29, 0xbc7abc9e
	s_mov_b32 s28, 0x3b39803f
	;; [unrolled: 1-line block ×3, first 2 shown]
	v_fmac_f64_e32 v[28:29], s[28:29], v[8:9]
	v_mov_b32_e32 v30, 0xfca7ab0c
	v_mov_b32_e32 v31, 0x3e928af3
	s_mov_b32 s23, 0x3e5ade15
	v_fmac_f64_e32 v[30:31], s[22:23], v[28:29]
	v_mov_b32_e32 v32, 0x623fde64
	v_mov_b32_e32 v33, 0x3ec71dee
	v_fmac_f64_e32 v[32:33], v[28:29], v[30:31]
	v_mov_b32_e32 v30, 0x7c89e6b0
	v_mov_b32_e32 v31, 0x3efa0199
	;; [unrolled: 3-line block ×8, first 2 shown]
	s_mov_b32 s22, 0
	v_fmac_f64_e32 v[30:31], v[28:29], v[32:33]
	s_mov_b32 s23, 0x40900000
	v_fma_f64 v[30:31], v[28:29], v[30:31], 1.0
	v_cmp_nlt_f64_e32 vcc, s[22:23], v[6:7]
	s_mov_b32 s22, 0
	v_fma_f64 v[28:29], v[28:29], v[30:31], 1.0
	v_cvt_i32_f64_e32 v8, v[8:9]
	s_mov_b32 s23, 0xc090cc00
	v_ldexp_f64 v[8:9], v[28:29], v8
	v_mov_b32_e32 v28, 0x7ff00000
	v_cmp_ngt_f64_e64 s[22:23], s[22:23], v[6:7]
	v_cndmask_b32_e32 v9, v28, v9, vcc
	s_and_b64 vcc, s[22:23], vcc
	v_cndmask_b32_e64 v7, 0, v9, s[22:23]
	v_cndmask_b32_e32 v6, 0, v8, vcc
	v_add_f64 v[8:9], v[6:7], 1.0
	v_add_f64 v[28:29], v[8:9], -1.0
	v_add_f64 v[30:31], v[28:29], -v[8:9]
	v_add_f64 v[30:31], v[30:31], 1.0
	v_add_f64 v[28:29], v[6:7], -v[28:29]
	s_mov_b32 s22, 0x55555555
	v_add_f64 v[28:29], v[28:29], v[30:31]
	v_frexp_mant_f64_e32 v[30:31], v[8:9]
	s_mov_b32 s23, 0x3fe55555
	v_frexp_exp_i32_f64_e32 v32, v[8:9]
	v_cmp_gt_f64_e32 vcc, s[22:23], v[30:31]
	s_mov_b32 s22, 0xbf559e2b
	s_mov_b32 s23, 0x3fc3ab76
	v_subbrev_co_u32_e32 v53, vcc, 0, v32, vcc
	v_sub_u32_e32 v30, 0, v53
	v_ldexp_f64 v[8:9], v[8:9], v30
	v_ldexp_f64 v[28:29], v[28:29], v30
	v_add_f64 v[30:31], v[8:9], -1.0
	v_add_f64 v[134:135], v[8:9], 1.0
	v_add_f64 v[32:33], v[30:31], 1.0
	v_add_f64 v[144:145], v[134:135], -1.0
	v_add_f64 v[32:33], v[8:9], -v[32:33]
	v_add_f64 v[8:9], v[8:9], -v[144:145]
	v_add_f64 v[8:9], v[28:29], v[8:9]
	v_add_f64 v[32:33], v[28:29], v[32:33]
	v_add_f64 v[28:29], v[134:135], v[8:9]
	v_rcp_f64_e32 v[144:145], v[28:29]
	v_add_f64 v[34:35], v[30:31], v[32:33]
	v_add_f64 v[30:31], v[34:35], -v[30:31]
	v_add_f64 v[30:31], v[32:33], -v[30:31]
	;; [unrolled: 1-line block ×4, first 2 shown]
	v_fma_f64 v[32:33], -v[28:29], v[144:145], 1.0
	v_fmac_f64_e32 v[144:145], v[32:33], v[144:145]
	v_fma_f64 v[32:33], -v[28:29], v[144:145], 1.0
	v_fmac_f64_e32 v[144:145], v[32:33], v[144:145]
	v_mul_f64 v[32:33], v[34:35], v[144:145]
	v_mul_f64 v[134:135], v[28:29], v[32:33]
	v_fma_f64 v[146:147], v[32:33], v[28:29], -v[134:135]
	v_fmac_f64_e32 v[146:147], v[32:33], v[8:9]
	v_add_f64 v[148:149], v[134:135], v[146:147]
	v_add_f64 v[150:151], v[34:35], -v[148:149]
	v_add_f64 v[34:35], v[34:35], -v[150:151]
	;; [unrolled: 1-line block ×4, first 2 shown]
	v_add_f64 v[30:31], v[30:31], v[34:35]
	v_add_f64 v[34:35], v[134:135], -v[146:147]
	v_add_f64 v[30:31], v[34:35], v[30:31]
	v_add_f64 v[34:35], v[150:151], v[30:31]
	v_add_f64 v[134:135], v[150:151], -v[34:35]
	v_add_f64 v[30:31], v[30:31], v[134:135]
	v_mul_f64 v[134:135], v[144:145], v[34:35]
	v_mul_f64 v[146:147], v[28:29], v[134:135]
	v_fma_f64 v[28:29], v[134:135], v[28:29], -v[146:147]
	v_fmac_f64_e32 v[28:29], v[134:135], v[8:9]
	v_add_f64 v[8:9], v[146:147], v[28:29]
	v_add_f64 v[148:149], v[34:35], -v[8:9]
	v_add_f64 v[34:35], v[34:35], -v[148:149]
	;; [unrolled: 1-line block ×4, first 2 shown]
	v_add_f64 v[8:9], v[30:31], v[8:9]
	v_add_f64 v[28:29], v[146:147], -v[28:29]
	v_add_f64 v[8:9], v[28:29], v[8:9]
	v_add_f64 v[28:29], v[32:33], v[134:135]
	;; [unrolled: 1-line block ×3, first 2 shown]
	v_add_f64 v[30:31], v[28:29], -v[32:33]
	v_mul_f64 v[8:9], v[144:145], v[8:9]
	v_add_f64 v[30:31], v[134:135], -v[30:31]
	v_add_f64 v[8:9], v[30:31], v[8:9]
	v_add_f64 v[30:31], v[28:29], v[8:9]
	v_add_f64 v[28:29], v[30:31], -v[28:29]
	v_add_f64 v[8:9], v[8:9], -v[28:29]
	v_mul_f64 v[28:29], v[30:31], v[30:31]
	v_mov_b32_e32 v32, 0x6b47b09a
	v_mov_b32_e32 v33, 0x3fc38538
	v_fmac_f64_e32 v[32:33], s[22:23], v[28:29]
	v_mov_b32_e32 v34, 0xd7f4df2e
	v_mov_b32_e32 v35, 0x3fc7474d
	v_fmac_f64_e32 v[34:35], v[28:29], v[32:33]
	;; [unrolled: 3-line block ×6, first 2 shown]
	v_cvt_f64_i32_e32 v[32:33], v53
	s_mov_b32 s27, 0x3fe62e42
	v_mul_f64 v[134:135], v[32:33], s[26:27]
	v_fma_f64 v[144:145], v[32:33], s[26:27], -v[134:135]
	s_mov_b32 s29, 0x3c7abc9e
	v_fmac_f64_e32 v[144:145], s[28:29], v[32:33]
	v_add_f64 v[32:33], v[134:135], v[144:145]
	v_add_f64 v[134:135], v[32:33], -v[134:135]
	v_mul_f64 v[28:29], v[30:31], v[28:29]
	v_add_f64 v[134:135], v[144:145], -v[134:135]
	v_ldexp_f64 v[144:145], v[30:31], 1
	v_mul_f64 v[28:29], v[28:29], v[34:35]
	v_add_f64 v[30:31], v[144:145], v[28:29]
	v_add_f64 v[34:35], v[30:31], -v[144:145]
	v_ldexp_f64 v[8:9], v[8:9], 1
	v_add_f64 v[28:29], v[28:29], -v[34:35]
	v_add_f64 v[8:9], v[8:9], v[28:29]
	v_add_f64 v[28:29], v[30:31], v[8:9]
	v_add_f64 v[30:31], v[28:29], -v[30:31]
	v_add_f64 v[8:9], v[8:9], -v[30:31]
	v_add_f64 v[30:31], v[32:33], v[28:29]
	v_add_f64 v[34:35], v[30:31], -v[32:33]
	v_add_f64 v[144:145], v[30:31], -v[34:35]
	;; [unrolled: 1-line block ×4, first 2 shown]
	v_add_f64 v[28:29], v[28:29], v[32:33]
	v_add_f64 v[32:33], v[134:135], v[8:9]
	v_add_f64 v[34:35], v[32:33], -v[134:135]
	v_add_f64 v[28:29], v[32:33], v[28:29]
	v_add_f64 v[144:145], v[32:33], -v[34:35]
	;; [unrolled: 2-line block ×3, first 2 shown]
	v_add_f64 v[8:9], v[8:9], -v[34:35]
	v_add_f64 v[30:31], v[32:33], -v[30:31]
	v_add_f64 v[8:9], v[8:9], v[134:135]
	v_add_f64 v[28:29], v[28:29], -v[30:31]
	s_mov_b32 s22, 0
	v_add_f64 v[8:9], v[8:9], v[28:29]
	s_mov_b32 s23, 0x7ff00000
	v_add_f64 v[8:9], v[32:33], v[8:9]
	v_cmp_eq_f64_e32 vcc, s[22:23], v[6:7]
	v_mov_b32_e32 v28, 0x7ff80000
	s_nop 0
	v_cndmask_b32_e32 v8, v8, v6, vcc
	v_cndmask_b32_e32 v9, v9, v7, vcc
	v_cmp_ngt_f64_e32 vcc, -1.0, v[6:7]
	s_nop 1
	v_cndmask_b32_e32 v9, v28, v9, vcc
	v_cmp_nge_f64_e32 vcc, -1.0, v[6:7]
	v_mov_b32_e32 v28, 0xfff00000
	s_nop 0
	v_cndmask_b32_e32 v8, 0, v8, vcc
	v_cmp_neq_f64_e32 vcc, -1.0, v[6:7]
	s_nop 1
	v_cndmask_b32_e32 v9, v28, v9, vcc
	v_add_f64 v[134:135], v[4:5], v[8:9]
.LBB2_55:
	s_or_b64 exec, exec, s[24:25]
	v_max_f64 v[28:29], v[82:83], v[82:83]
	v_max_f64 v[4:5], v[134:135], v[134:135]
	v_min_f64 v[6:7], v[4:5], v[28:29]
	v_cmp_u_f64_e32 vcc, v[134:135], v[134:135]
	v_max_f64 v[4:5], v[4:5], v[28:29]
	v_cmp_u_f64_e64 s[22:23], v[82:83], v[82:83]
	v_cndmask_b32_e32 v6, v6, v134, vcc
	v_cndmask_b32_e32 v7, v7, v135, vcc
	;; [unrolled: 1-line block ×4, first 2 shown]
	v_cndmask_b32_e64 v7, v7, v83, s[22:23]
	v_cndmask_b32_e64 v6, v6, v82, s[22:23]
	;; [unrolled: 1-line block ×4, first 2 shown]
	v_cmp_neq_f64_e32 vcc, v[6:7], v[4:5]
	v_cmp_class_f64_e64 s[24:25], v[6:7], s13
	s_or_b64 s[24:25], vcc, s[24:25]
	s_and_saveexec_b64 s[26:27], s[24:25]
	s_cbranch_execz .LBB2_57
; %bb.56:
	s_mov_b32 s24, 0x652b82fe
	v_add_f64 v[6:7], v[6:7], -v[4:5]
	s_mov_b32 s25, 0x3ff71547
	v_mul_f64 v[8:9], v[6:7], s[24:25]
	v_rndne_f64_e32 v[8:9], v[8:9]
	s_mov_b32 s29, 0xbfe62e42
	s_mov_b32 s28, 0xfefa39ef
	v_fma_f64 v[30:31], s[28:29], v[8:9], v[6:7]
	s_mov_b32 s35, 0xbc7abc9e
	s_mov_b32 s34, 0x3b39803f
	;; [unrolled: 1-line block ×3, first 2 shown]
	v_fmac_f64_e32 v[30:31], s[34:35], v[8:9]
	v_mov_b32_e32 v32, 0xfca7ab0c
	v_mov_b32_e32 v33, 0x3e928af3
	s_mov_b32 s25, 0x3e5ade15
	v_fmac_f64_e32 v[32:33], s[24:25], v[30:31]
	v_mov_b32_e32 v34, 0x623fde64
	v_mov_b32_e32 v35, 0x3ec71dee
	v_fmac_f64_e32 v[34:35], v[30:31], v[32:33]
	v_mov_b32_e32 v32, 0x7c89e6b0
	v_mov_b32_e32 v33, 0x3efa0199
	v_fmac_f64_e32 v[32:33], v[30:31], v[34:35]
	v_mov_b32_e32 v34, 0x14761f6e
	v_mov_b32_e32 v35, 0x3f2a01a0
	v_fmac_f64_e32 v[34:35], v[30:31], v[32:33]
	v_mov_b32_e32 v32, 0x1852b7b0
	v_mov_b32_e32 v33, 0x3f56c16c
	v_fmac_f64_e32 v[32:33], v[30:31], v[34:35]
	v_mov_b32_e32 v34, 0x11122322
	v_mov_b32_e32 v35, 0x3f811111
	v_fmac_f64_e32 v[34:35], v[30:31], v[32:33]
	v_mov_b32_e32 v32, 0x555502a1
	v_mov_b32_e32 v33, 0x3fa55555
	v_fmac_f64_e32 v[32:33], v[30:31], v[34:35]
	v_mov_b32_e32 v34, 0x55555511
	v_mov_b32_e32 v35, 0x3fc55555
	v_fmac_f64_e32 v[34:35], v[30:31], v[32:33]
	v_mov_b32_e32 v32, 11
	v_mov_b32_e32 v33, 0x3fe00000
	s_mov_b32 s24, 0
	v_fmac_f64_e32 v[32:33], v[30:31], v[34:35]
	s_mov_b32 s25, 0x40900000
	v_fma_f64 v[32:33], v[30:31], v[32:33], 1.0
	v_cmp_nlt_f64_e32 vcc, s[24:25], v[6:7]
	s_mov_b32 s24, 0
	v_fma_f64 v[30:31], v[30:31], v[32:33], 1.0
	v_cvt_i32_f64_e32 v8, v[8:9]
	s_mov_b32 s25, 0xc090cc00
	v_ldexp_f64 v[8:9], v[30:31], v8
	v_mov_b32_e32 v30, 0x7ff00000
	v_cmp_ngt_f64_e64 s[24:25], s[24:25], v[6:7]
	v_cndmask_b32_e32 v9, v30, v9, vcc
	s_and_b64 vcc, s[24:25], vcc
	v_cndmask_b32_e64 v7, 0, v9, s[24:25]
	v_cndmask_b32_e32 v6, 0, v8, vcc
	v_add_f64 v[8:9], v[6:7], 1.0
	v_add_f64 v[30:31], v[8:9], -1.0
	v_add_f64 v[32:33], v[30:31], -v[8:9]
	v_add_f64 v[32:33], v[32:33], 1.0
	v_add_f64 v[30:31], v[6:7], -v[30:31]
	s_mov_b32 s24, 0x55555555
	v_add_f64 v[30:31], v[30:31], v[32:33]
	v_frexp_mant_f64_e32 v[32:33], v[8:9]
	s_mov_b32 s25, 0x3fe55555
	v_frexp_exp_i32_f64_e32 v34, v[8:9]
	v_cmp_gt_f64_e32 vcc, s[24:25], v[32:33]
	s_mov_b32 s24, 0xbf559e2b
	s_mov_b32 s25, 0x3fc3ab76
	v_subbrev_co_u32_e32 v53, vcc, 0, v34, vcc
	v_sub_u32_e32 v32, 0, v53
	v_ldexp_f64 v[8:9], v[8:9], v32
	v_ldexp_f64 v[30:31], v[30:31], v32
	v_add_f64 v[32:33], v[8:9], -1.0
	v_add_f64 v[144:145], v[8:9], 1.0
	v_add_f64 v[34:35], v[32:33], 1.0
	v_add_f64 v[146:147], v[144:145], -1.0
	v_add_f64 v[34:35], v[8:9], -v[34:35]
	v_add_f64 v[8:9], v[8:9], -v[146:147]
	v_add_f64 v[8:9], v[30:31], v[8:9]
	v_add_f64 v[34:35], v[30:31], v[34:35]
	;; [unrolled: 1-line block ×3, first 2 shown]
	v_rcp_f64_e32 v[146:147], v[30:31]
	v_add_f64 v[134:135], v[32:33], v[34:35]
	v_add_f64 v[32:33], v[134:135], -v[32:33]
	v_add_f64 v[32:33], v[34:35], -v[32:33]
	;; [unrolled: 1-line block ×4, first 2 shown]
	v_fma_f64 v[34:35], -v[30:31], v[146:147], 1.0
	v_fmac_f64_e32 v[146:147], v[34:35], v[146:147]
	v_fma_f64 v[34:35], -v[30:31], v[146:147], 1.0
	v_fmac_f64_e32 v[146:147], v[34:35], v[146:147]
	v_mul_f64 v[34:35], v[134:135], v[146:147]
	v_mul_f64 v[144:145], v[30:31], v[34:35]
	v_fma_f64 v[148:149], v[34:35], v[30:31], -v[144:145]
	v_fmac_f64_e32 v[148:149], v[34:35], v[8:9]
	v_add_f64 v[150:151], v[144:145], v[148:149]
	v_add_f64 v[160:161], v[134:135], -v[150:151]
	v_add_f64 v[134:135], v[134:135], -v[160:161]
	;; [unrolled: 1-line block ×4, first 2 shown]
	v_add_f64 v[32:33], v[32:33], v[134:135]
	v_add_f64 v[134:135], v[144:145], -v[148:149]
	v_add_f64 v[32:33], v[134:135], v[32:33]
	v_add_f64 v[134:135], v[160:161], v[32:33]
	v_add_f64 v[144:145], v[160:161], -v[134:135]
	v_add_f64 v[32:33], v[32:33], v[144:145]
	v_mul_f64 v[144:145], v[146:147], v[134:135]
	v_mul_f64 v[148:149], v[30:31], v[144:145]
	v_fma_f64 v[30:31], v[144:145], v[30:31], -v[148:149]
	v_fmac_f64_e32 v[30:31], v[144:145], v[8:9]
	v_add_f64 v[8:9], v[148:149], v[30:31]
	v_add_f64 v[150:151], v[134:135], -v[8:9]
	v_add_f64 v[134:135], v[134:135], -v[150:151]
	;; [unrolled: 1-line block ×4, first 2 shown]
	v_add_f64 v[8:9], v[32:33], v[8:9]
	v_add_f64 v[30:31], v[148:149], -v[30:31]
	v_add_f64 v[8:9], v[30:31], v[8:9]
	v_add_f64 v[30:31], v[34:35], v[144:145]
	;; [unrolled: 1-line block ×3, first 2 shown]
	v_add_f64 v[32:33], v[30:31], -v[34:35]
	v_mul_f64 v[8:9], v[146:147], v[8:9]
	v_add_f64 v[32:33], v[144:145], -v[32:33]
	v_add_f64 v[8:9], v[32:33], v[8:9]
	v_add_f64 v[32:33], v[30:31], v[8:9]
	v_add_f64 v[30:31], v[32:33], -v[30:31]
	v_add_f64 v[8:9], v[8:9], -v[30:31]
	v_mul_f64 v[30:31], v[32:33], v[32:33]
	v_mov_b32_e32 v34, 0x6b47b09a
	v_mov_b32_e32 v35, 0x3fc38538
	v_fmac_f64_e32 v[34:35], s[24:25], v[30:31]
	v_mov_b32_e32 v134, 0xd7f4df2e
	v_mov_b32_e32 v135, 0x3fc7474d
	v_fmac_f64_e32 v[134:135], v[30:31], v[34:35]
	;; [unrolled: 3-line block ×6, first 2 shown]
	v_cvt_f64_i32_e32 v[34:35], v53
	s_mov_b32 s29, 0x3fe62e42
	v_mul_f64 v[144:145], v[34:35], s[28:29]
	v_fma_f64 v[146:147], v[34:35], s[28:29], -v[144:145]
	s_mov_b32 s35, 0x3c7abc9e
	v_fmac_f64_e32 v[146:147], s[34:35], v[34:35]
	v_add_f64 v[34:35], v[144:145], v[146:147]
	v_add_f64 v[144:145], v[34:35], -v[144:145]
	v_mul_f64 v[30:31], v[32:33], v[30:31]
	v_add_f64 v[144:145], v[146:147], -v[144:145]
	v_ldexp_f64 v[146:147], v[32:33], 1
	v_mul_f64 v[30:31], v[30:31], v[134:135]
	v_add_f64 v[32:33], v[146:147], v[30:31]
	v_add_f64 v[134:135], v[32:33], -v[146:147]
	v_ldexp_f64 v[8:9], v[8:9], 1
	v_add_f64 v[30:31], v[30:31], -v[134:135]
	v_add_f64 v[8:9], v[8:9], v[30:31]
	v_add_f64 v[30:31], v[32:33], v[8:9]
	v_add_f64 v[32:33], v[30:31], -v[32:33]
	v_add_f64 v[8:9], v[8:9], -v[32:33]
	v_add_f64 v[32:33], v[34:35], v[30:31]
	v_add_f64 v[134:135], v[32:33], -v[34:35]
	v_add_f64 v[146:147], v[32:33], -v[134:135]
	;; [unrolled: 1-line block ×4, first 2 shown]
	v_add_f64 v[30:31], v[30:31], v[34:35]
	v_add_f64 v[34:35], v[144:145], v[8:9]
	v_add_f64 v[134:135], v[34:35], -v[144:145]
	v_add_f64 v[30:31], v[34:35], v[30:31]
	v_add_f64 v[146:147], v[34:35], -v[134:135]
	;; [unrolled: 2-line block ×3, first 2 shown]
	v_add_f64 v[8:9], v[8:9], -v[134:135]
	v_add_f64 v[32:33], v[34:35], -v[32:33]
	v_add_f64 v[8:9], v[8:9], v[144:145]
	v_add_f64 v[30:31], v[30:31], -v[32:33]
	s_mov_b32 s24, 0
	v_add_f64 v[8:9], v[8:9], v[30:31]
	s_mov_b32 s25, 0x7ff00000
	v_add_f64 v[8:9], v[34:35], v[8:9]
	v_cmp_eq_f64_e32 vcc, s[24:25], v[6:7]
	v_mov_b32_e32 v30, 0x7ff80000
	s_nop 0
	v_cndmask_b32_e32 v8, v8, v6, vcc
	v_cndmask_b32_e32 v9, v9, v7, vcc
	v_cmp_ngt_f64_e32 vcc, -1.0, v[6:7]
	s_nop 1
	v_cndmask_b32_e32 v9, v30, v9, vcc
	v_cmp_nge_f64_e32 vcc, -1.0, v[6:7]
	v_mov_b32_e32 v30, 0xfff00000
	s_nop 0
	v_cndmask_b32_e32 v8, 0, v8, vcc
	v_cmp_neq_f64_e32 vcc, -1.0, v[6:7]
	s_nop 1
	v_cndmask_b32_e32 v9, v30, v9, vcc
	v_add_f64 v[134:135], v[4:5], v[8:9]
.LBB2_57:
	s_or_b64 exec, exec, s[26:27]
	v_max_f64 v[30:31], v[66:67], v[66:67]
	v_max_f64 v[4:5], v[134:135], v[134:135]
	v_min_f64 v[6:7], v[4:5], v[30:31]
	v_cmp_u_f64_e32 vcc, v[134:135], v[134:135]
	v_max_f64 v[4:5], v[4:5], v[30:31]
	v_cmp_u_f64_e64 s[24:25], v[66:67], v[66:67]
	v_cndmask_b32_e32 v6, v6, v134, vcc
	v_cndmask_b32_e32 v7, v7, v135, vcc
	;; [unrolled: 1-line block ×4, first 2 shown]
	v_cndmask_b32_e64 v7, v7, v67, s[24:25]
	v_cndmask_b32_e64 v6, v6, v66, s[24:25]
	;; [unrolled: 1-line block ×4, first 2 shown]
	v_cmp_neq_f64_e32 vcc, v[6:7], v[4:5]
	v_cmp_class_f64_e64 s[26:27], v[6:7], s13
	s_or_b64 s[26:27], vcc, s[26:27]
	s_and_saveexec_b64 s[28:29], s[26:27]
	s_cbranch_execz .LBB2_59
; %bb.58:
	s_mov_b32 s26, 0x652b82fe
	v_add_f64 v[6:7], v[6:7], -v[4:5]
	s_mov_b32 s27, 0x3ff71547
	v_mul_f64 v[8:9], v[6:7], s[26:27]
	v_rndne_f64_e32 v[8:9], v[8:9]
	s_mov_b32 s35, 0xbfe62e42
	s_mov_b32 s34, 0xfefa39ef
	v_fma_f64 v[32:33], s[34:35], v[8:9], v[6:7]
	s_mov_b32 s37, 0xbc7abc9e
	s_mov_b32 s36, 0x3b39803f
	;; [unrolled: 1-line block ×3, first 2 shown]
	v_fmac_f64_e32 v[32:33], s[36:37], v[8:9]
	v_mov_b32_e32 v34, 0xfca7ab0c
	v_mov_b32_e32 v35, 0x3e928af3
	s_mov_b32 s27, 0x3e5ade15
	v_fmac_f64_e32 v[34:35], s[26:27], v[32:33]
	v_mov_b32_e32 v134, 0x623fde64
	v_mov_b32_e32 v135, 0x3ec71dee
	v_fmac_f64_e32 v[134:135], v[32:33], v[34:35]
	v_mov_b32_e32 v34, 0x7c89e6b0
	v_mov_b32_e32 v35, 0x3efa0199
	v_fmac_f64_e32 v[34:35], v[32:33], v[134:135]
	v_mov_b32_e32 v134, 0x14761f6e
	v_mov_b32_e32 v135, 0x3f2a01a0
	v_fmac_f64_e32 v[134:135], v[32:33], v[34:35]
	v_mov_b32_e32 v34, 0x1852b7b0
	v_mov_b32_e32 v35, 0x3f56c16c
	v_fmac_f64_e32 v[34:35], v[32:33], v[134:135]
	v_mov_b32_e32 v134, 0x11122322
	v_mov_b32_e32 v135, 0x3f811111
	v_fmac_f64_e32 v[134:135], v[32:33], v[34:35]
	v_mov_b32_e32 v34, 0x555502a1
	v_mov_b32_e32 v35, 0x3fa55555
	v_fmac_f64_e32 v[34:35], v[32:33], v[134:135]
	v_mov_b32_e32 v134, 0x55555511
	v_mov_b32_e32 v135, 0x3fc55555
	v_fmac_f64_e32 v[134:135], v[32:33], v[34:35]
	v_mov_b32_e32 v34, 11
	v_mov_b32_e32 v35, 0x3fe00000
	s_mov_b32 s26, 0
	v_fmac_f64_e32 v[34:35], v[32:33], v[134:135]
	s_mov_b32 s27, 0x40900000
	v_fma_f64 v[34:35], v[32:33], v[34:35], 1.0
	v_cmp_nlt_f64_e32 vcc, s[26:27], v[6:7]
	s_mov_b32 s26, 0
	v_fma_f64 v[32:33], v[32:33], v[34:35], 1.0
	v_cvt_i32_f64_e32 v8, v[8:9]
	s_mov_b32 s27, 0xc090cc00
	v_ldexp_f64 v[8:9], v[32:33], v8
	v_mov_b32_e32 v32, 0x7ff00000
	v_cmp_ngt_f64_e64 s[26:27], s[26:27], v[6:7]
	v_cndmask_b32_e32 v9, v32, v9, vcc
	s_and_b64 vcc, s[26:27], vcc
	v_cndmask_b32_e64 v7, 0, v9, s[26:27]
	v_cndmask_b32_e32 v6, 0, v8, vcc
	v_add_f64 v[8:9], v[6:7], 1.0
	v_add_f64 v[32:33], v[8:9], -1.0
	v_add_f64 v[34:35], v[32:33], -v[8:9]
	v_add_f64 v[34:35], v[34:35], 1.0
	v_add_f64 v[32:33], v[6:7], -v[32:33]
	s_mov_b32 s26, 0x55555555
	v_add_f64 v[32:33], v[32:33], v[34:35]
	v_frexp_mant_f64_e32 v[34:35], v[8:9]
	s_mov_b32 s27, 0x3fe55555
	v_frexp_exp_i32_f64_e32 v53, v[8:9]
	v_cmp_gt_f64_e32 vcc, s[26:27], v[34:35]
	s_mov_b32 s26, 0xbf559e2b
	s_mov_b32 s27, 0x3fc3ab76
	v_subbrev_co_u32_e32 v53, vcc, 0, v53, vcc
	v_sub_u32_e32 v34, 0, v53
	v_ldexp_f64 v[8:9], v[8:9], v34
	v_ldexp_f64 v[32:33], v[32:33], v34
	v_add_f64 v[34:35], v[8:9], -1.0
	v_add_f64 v[146:147], v[8:9], 1.0
	v_add_f64 v[134:135], v[34:35], 1.0
	v_add_f64 v[148:149], v[146:147], -1.0
	v_add_f64 v[134:135], v[8:9], -v[134:135]
	v_add_f64 v[8:9], v[8:9], -v[148:149]
	v_add_f64 v[8:9], v[32:33], v[8:9]
	v_add_f64 v[134:135], v[32:33], v[134:135]
	;; [unrolled: 1-line block ×3, first 2 shown]
	v_rcp_f64_e32 v[148:149], v[32:33]
	v_add_f64 v[144:145], v[34:35], v[134:135]
	v_add_f64 v[34:35], v[144:145], -v[34:35]
	v_add_f64 v[34:35], v[134:135], -v[34:35]
	;; [unrolled: 1-line block ×4, first 2 shown]
	v_fma_f64 v[134:135], -v[32:33], v[148:149], 1.0
	v_fmac_f64_e32 v[148:149], v[134:135], v[148:149]
	v_fma_f64 v[134:135], -v[32:33], v[148:149], 1.0
	v_fmac_f64_e32 v[148:149], v[134:135], v[148:149]
	v_mul_f64 v[134:135], v[144:145], v[148:149]
	v_mul_f64 v[146:147], v[32:33], v[134:135]
	v_fma_f64 v[150:151], v[134:135], v[32:33], -v[146:147]
	v_fmac_f64_e32 v[150:151], v[134:135], v[8:9]
	v_add_f64 v[160:161], v[146:147], v[150:151]
	v_add_f64 v[162:163], v[144:145], -v[160:161]
	v_add_f64 v[144:145], v[144:145], -v[162:163]
	;; [unrolled: 1-line block ×4, first 2 shown]
	v_add_f64 v[34:35], v[34:35], v[144:145]
	v_add_f64 v[144:145], v[146:147], -v[150:151]
	v_add_f64 v[34:35], v[144:145], v[34:35]
	v_add_f64 v[144:145], v[162:163], v[34:35]
	v_add_f64 v[146:147], v[162:163], -v[144:145]
	v_add_f64 v[34:35], v[34:35], v[146:147]
	v_mul_f64 v[146:147], v[148:149], v[144:145]
	v_mul_f64 v[150:151], v[32:33], v[146:147]
	v_fma_f64 v[32:33], v[146:147], v[32:33], -v[150:151]
	v_fmac_f64_e32 v[32:33], v[146:147], v[8:9]
	v_add_f64 v[8:9], v[150:151], v[32:33]
	v_add_f64 v[160:161], v[144:145], -v[8:9]
	v_add_f64 v[144:145], v[144:145], -v[160:161]
	;; [unrolled: 1-line block ×4, first 2 shown]
	v_add_f64 v[8:9], v[34:35], v[8:9]
	v_add_f64 v[32:33], v[150:151], -v[32:33]
	v_add_f64 v[8:9], v[32:33], v[8:9]
	v_add_f64 v[32:33], v[134:135], v[146:147]
	;; [unrolled: 1-line block ×3, first 2 shown]
	v_add_f64 v[34:35], v[32:33], -v[134:135]
	v_mul_f64 v[8:9], v[148:149], v[8:9]
	v_add_f64 v[34:35], v[146:147], -v[34:35]
	v_add_f64 v[8:9], v[34:35], v[8:9]
	v_add_f64 v[34:35], v[32:33], v[8:9]
	v_add_f64 v[32:33], v[34:35], -v[32:33]
	v_add_f64 v[8:9], v[8:9], -v[32:33]
	v_mul_f64 v[32:33], v[34:35], v[34:35]
	v_mov_b32_e32 v134, 0x6b47b09a
	v_mov_b32_e32 v135, 0x3fc38538
	v_fmac_f64_e32 v[134:135], s[26:27], v[32:33]
	v_mov_b32_e32 v144, 0xd7f4df2e
	v_mov_b32_e32 v145, 0x3fc7474d
	v_fmac_f64_e32 v[144:145], v[32:33], v[134:135]
	;; [unrolled: 3-line block ×6, first 2 shown]
	v_cvt_f64_i32_e32 v[134:135], v53
	s_mov_b32 s35, 0x3fe62e42
	v_mul_f64 v[146:147], v[134:135], s[34:35]
	v_fma_f64 v[148:149], v[134:135], s[34:35], -v[146:147]
	s_mov_b32 s37, 0x3c7abc9e
	v_fmac_f64_e32 v[148:149], s[36:37], v[134:135]
	v_add_f64 v[134:135], v[146:147], v[148:149]
	v_add_f64 v[146:147], v[134:135], -v[146:147]
	v_mul_f64 v[32:33], v[34:35], v[32:33]
	v_add_f64 v[146:147], v[148:149], -v[146:147]
	v_ldexp_f64 v[148:149], v[34:35], 1
	v_mul_f64 v[32:33], v[32:33], v[144:145]
	v_add_f64 v[34:35], v[148:149], v[32:33]
	v_add_f64 v[144:145], v[34:35], -v[148:149]
	v_ldexp_f64 v[8:9], v[8:9], 1
	v_add_f64 v[32:33], v[32:33], -v[144:145]
	v_add_f64 v[8:9], v[8:9], v[32:33]
	v_add_f64 v[32:33], v[34:35], v[8:9]
	v_add_f64 v[34:35], v[32:33], -v[34:35]
	v_add_f64 v[8:9], v[8:9], -v[34:35]
	v_add_f64 v[34:35], v[134:135], v[32:33]
	v_add_f64 v[144:145], v[34:35], -v[134:135]
	v_add_f64 v[148:149], v[34:35], -v[144:145]
	;; [unrolled: 1-line block ×4, first 2 shown]
	v_add_f64 v[32:33], v[32:33], v[134:135]
	v_add_f64 v[134:135], v[146:147], v[8:9]
	v_add_f64 v[144:145], v[134:135], -v[146:147]
	v_add_f64 v[32:33], v[134:135], v[32:33]
	v_add_f64 v[148:149], v[134:135], -v[144:145]
	;; [unrolled: 2-line block ×3, first 2 shown]
	v_add_f64 v[8:9], v[8:9], -v[144:145]
	v_add_f64 v[34:35], v[134:135], -v[34:35]
	v_add_f64 v[8:9], v[8:9], v[146:147]
	v_add_f64 v[32:33], v[32:33], -v[34:35]
	s_mov_b32 s26, 0
	v_add_f64 v[8:9], v[8:9], v[32:33]
	s_mov_b32 s27, 0x7ff00000
	v_add_f64 v[8:9], v[134:135], v[8:9]
	v_cmp_eq_f64_e32 vcc, s[26:27], v[6:7]
	v_mov_b32_e32 v32, 0x7ff80000
	s_nop 0
	v_cndmask_b32_e32 v8, v8, v6, vcc
	v_cndmask_b32_e32 v9, v9, v7, vcc
	v_cmp_ngt_f64_e32 vcc, -1.0, v[6:7]
	s_nop 1
	v_cndmask_b32_e32 v9, v32, v9, vcc
	v_cmp_nge_f64_e32 vcc, -1.0, v[6:7]
	v_mov_b32_e32 v32, 0xfff00000
	s_nop 0
	v_cndmask_b32_e32 v8, 0, v8, vcc
	v_cmp_neq_f64_e32 vcc, -1.0, v[6:7]
	s_nop 1
	v_cndmask_b32_e32 v9, v32, v9, vcc
	v_add_f64 v[134:135], v[4:5], v[8:9]
.LBB2_59:
	s_or_b64 exec, exec, s[28:29]
	v_max_f64 v[32:33], v[68:69], v[68:69]
	v_max_f64 v[4:5], v[134:135], v[134:135]
	v_min_f64 v[6:7], v[4:5], v[32:33]
	v_cmp_u_f64_e32 vcc, v[134:135], v[134:135]
	v_max_f64 v[4:5], v[4:5], v[32:33]
	v_cmp_u_f64_e64 s[26:27], v[68:69], v[68:69]
	v_cndmask_b32_e32 v6, v6, v134, vcc
	v_cndmask_b32_e32 v7, v7, v135, vcc
	;; [unrolled: 1-line block ×4, first 2 shown]
	v_cndmask_b32_e64 v7, v7, v69, s[26:27]
	v_cndmask_b32_e64 v6, v6, v68, s[26:27]
	;; [unrolled: 1-line block ×4, first 2 shown]
	v_cmp_neq_f64_e32 vcc, v[6:7], v[4:5]
	v_cmp_class_f64_e64 s[28:29], v[6:7], s13
	s_or_b64 s[28:29], vcc, s[28:29]
	s_and_saveexec_b64 s[34:35], s[28:29]
	s_cbranch_execz .LBB2_61
; %bb.60:
	s_mov_b32 s28, 0x652b82fe
	v_add_f64 v[6:7], v[6:7], -v[4:5]
	s_mov_b32 s29, 0x3ff71547
	v_mul_f64 v[8:9], v[6:7], s[28:29]
	v_rndne_f64_e32 v[8:9], v[8:9]
	s_mov_b32 s37, 0xbfe62e42
	s_mov_b32 s36, 0xfefa39ef
	v_fma_f64 v[34:35], s[36:37], v[8:9], v[6:7]
	s_mov_b32 s39, 0xbc7abc9e
	s_mov_b32 s38, 0x3b39803f
	s_mov_b32 s28, 0x6a5dcb37
	v_fmac_f64_e32 v[34:35], s[38:39], v[8:9]
	v_mov_b32_e32 v134, 0xfca7ab0c
	v_mov_b32_e32 v135, 0x3e928af3
	s_mov_b32 s29, 0x3e5ade15
	v_fmac_f64_e32 v[134:135], s[28:29], v[34:35]
	v_mov_b32_e32 v144, 0x623fde64
	v_mov_b32_e32 v145, 0x3ec71dee
	v_fmac_f64_e32 v[144:145], v[34:35], v[134:135]
	v_mov_b32_e32 v134, 0x7c89e6b0
	v_mov_b32_e32 v135, 0x3efa0199
	;; [unrolled: 3-line block ×8, first 2 shown]
	s_mov_b32 s28, 0
	v_fmac_f64_e32 v[134:135], v[34:35], v[144:145]
	s_mov_b32 s29, 0x40900000
	v_fma_f64 v[134:135], v[34:35], v[134:135], 1.0
	v_cmp_nlt_f64_e32 vcc, s[28:29], v[6:7]
	s_mov_b32 s28, 0
	v_fma_f64 v[34:35], v[34:35], v[134:135], 1.0
	v_cvt_i32_f64_e32 v8, v[8:9]
	s_mov_b32 s29, 0xc090cc00
	v_ldexp_f64 v[8:9], v[34:35], v8
	v_mov_b32_e32 v34, 0x7ff00000
	v_cmp_ngt_f64_e64 s[28:29], s[28:29], v[6:7]
	v_cndmask_b32_e32 v9, v34, v9, vcc
	s_and_b64 vcc, s[28:29], vcc
	v_cndmask_b32_e64 v7, 0, v9, s[28:29]
	v_cndmask_b32_e32 v6, 0, v8, vcc
	v_add_f64 v[8:9], v[6:7], 1.0
	v_add_f64 v[34:35], v[8:9], -1.0
	v_add_f64 v[134:135], v[34:35], -v[8:9]
	v_add_f64 v[134:135], v[134:135], 1.0
	v_add_f64 v[34:35], v[6:7], -v[34:35]
	s_mov_b32 s28, 0x55555555
	v_add_f64 v[34:35], v[34:35], v[134:135]
	v_frexp_mant_f64_e32 v[134:135], v[8:9]
	s_mov_b32 s29, 0x3fe55555
	v_frexp_exp_i32_f64_e32 v53, v[8:9]
	v_cmp_gt_f64_e32 vcc, s[28:29], v[134:135]
	s_mov_b32 s28, 0xbf559e2b
	s_mov_b32 s29, 0x3fc3ab76
	v_subbrev_co_u32_e32 v53, vcc, 0, v53, vcc
	v_sub_u32_e32 v71, 0, v53
	v_ldexp_f64 v[8:9], v[8:9], v71
	v_add_f64 v[134:135], v[8:9], -1.0
	v_add_f64 v[148:149], v[8:9], 1.0
	v_add_f64 v[144:145], v[134:135], 1.0
	v_add_f64 v[150:151], v[148:149], -1.0
	v_ldexp_f64 v[34:35], v[34:35], v71
	v_add_f64 v[144:145], v[8:9], -v[144:145]
	v_add_f64 v[8:9], v[8:9], -v[150:151]
	v_add_f64 v[8:9], v[34:35], v[8:9]
	v_add_f64 v[144:145], v[34:35], v[144:145]
	;; [unrolled: 1-line block ×3, first 2 shown]
	v_rcp_f64_e32 v[150:151], v[34:35]
	v_add_f64 v[146:147], v[134:135], v[144:145]
	v_add_f64 v[134:135], v[146:147], -v[134:135]
	v_add_f64 v[134:135], v[144:145], -v[134:135]
	;; [unrolled: 1-line block ×4, first 2 shown]
	v_fma_f64 v[144:145], -v[34:35], v[150:151], 1.0
	v_fmac_f64_e32 v[150:151], v[144:145], v[150:151]
	v_fma_f64 v[144:145], -v[34:35], v[150:151], 1.0
	v_fmac_f64_e32 v[150:151], v[144:145], v[150:151]
	v_mul_f64 v[144:145], v[146:147], v[150:151]
	v_mul_f64 v[148:149], v[34:35], v[144:145]
	v_fma_f64 v[160:161], v[144:145], v[34:35], -v[148:149]
	v_fmac_f64_e32 v[160:161], v[144:145], v[8:9]
	v_add_f64 v[162:163], v[148:149], v[160:161]
	v_add_f64 v[164:165], v[146:147], -v[162:163]
	v_add_f64 v[146:147], v[146:147], -v[164:165]
	;; [unrolled: 1-line block ×4, first 2 shown]
	v_add_f64 v[134:135], v[134:135], v[146:147]
	v_add_f64 v[146:147], v[148:149], -v[160:161]
	v_add_f64 v[134:135], v[146:147], v[134:135]
	v_add_f64 v[146:147], v[164:165], v[134:135]
	v_add_f64 v[148:149], v[164:165], -v[146:147]
	v_add_f64 v[134:135], v[134:135], v[148:149]
	v_mul_f64 v[148:149], v[150:151], v[146:147]
	v_mul_f64 v[160:161], v[34:35], v[148:149]
	v_fma_f64 v[34:35], v[148:149], v[34:35], -v[160:161]
	v_fmac_f64_e32 v[34:35], v[148:149], v[8:9]
	v_add_f64 v[8:9], v[160:161], v[34:35]
	v_add_f64 v[162:163], v[146:147], -v[8:9]
	v_add_f64 v[146:147], v[146:147], -v[162:163]
	;; [unrolled: 1-line block ×4, first 2 shown]
	v_add_f64 v[8:9], v[134:135], v[8:9]
	v_add_f64 v[34:35], v[160:161], -v[34:35]
	v_add_f64 v[8:9], v[34:35], v[8:9]
	v_add_f64 v[34:35], v[144:145], v[148:149]
	;; [unrolled: 1-line block ×3, first 2 shown]
	v_add_f64 v[134:135], v[34:35], -v[144:145]
	v_mul_f64 v[8:9], v[150:151], v[8:9]
	v_add_f64 v[134:135], v[148:149], -v[134:135]
	v_add_f64 v[8:9], v[134:135], v[8:9]
	v_add_f64 v[134:135], v[34:35], v[8:9]
	v_add_f64 v[34:35], v[134:135], -v[34:35]
	v_add_f64 v[8:9], v[8:9], -v[34:35]
	v_mul_f64 v[34:35], v[134:135], v[134:135]
	v_mov_b32_e32 v144, 0x6b47b09a
	v_mov_b32_e32 v145, 0x3fc38538
	v_fmac_f64_e32 v[144:145], s[28:29], v[34:35]
	v_mov_b32_e32 v146, 0xd7f4df2e
	v_mov_b32_e32 v147, 0x3fc7474d
	v_fmac_f64_e32 v[146:147], v[34:35], v[144:145]
	;; [unrolled: 3-line block ×6, first 2 shown]
	v_cvt_f64_i32_e32 v[144:145], v53
	s_mov_b32 s37, 0x3fe62e42
	v_mul_f64 v[148:149], v[144:145], s[36:37]
	v_fma_f64 v[150:151], v[144:145], s[36:37], -v[148:149]
	s_mov_b32 s39, 0x3c7abc9e
	v_fmac_f64_e32 v[150:151], s[38:39], v[144:145]
	v_add_f64 v[144:145], v[148:149], v[150:151]
	v_add_f64 v[148:149], v[144:145], -v[148:149]
	v_mul_f64 v[34:35], v[134:135], v[34:35]
	v_add_f64 v[148:149], v[150:151], -v[148:149]
	v_ldexp_f64 v[150:151], v[134:135], 1
	v_mul_f64 v[34:35], v[34:35], v[146:147]
	v_add_f64 v[134:135], v[150:151], v[34:35]
	v_add_f64 v[146:147], v[134:135], -v[150:151]
	v_ldexp_f64 v[8:9], v[8:9], 1
	v_add_f64 v[34:35], v[34:35], -v[146:147]
	v_add_f64 v[8:9], v[8:9], v[34:35]
	v_add_f64 v[34:35], v[134:135], v[8:9]
	v_add_f64 v[134:135], v[34:35], -v[134:135]
	v_add_f64 v[8:9], v[8:9], -v[134:135]
	v_add_f64 v[134:135], v[144:145], v[34:35]
	v_add_f64 v[146:147], v[134:135], -v[144:145]
	v_add_f64 v[150:151], v[134:135], -v[146:147]
	;; [unrolled: 1-line block ×4, first 2 shown]
	v_add_f64 v[34:35], v[34:35], v[144:145]
	v_add_f64 v[144:145], v[148:149], v[8:9]
	v_add_f64 v[146:147], v[144:145], -v[148:149]
	v_add_f64 v[34:35], v[144:145], v[34:35]
	v_add_f64 v[150:151], v[144:145], -v[146:147]
	;; [unrolled: 2-line block ×3, first 2 shown]
	v_add_f64 v[8:9], v[8:9], -v[146:147]
	v_add_f64 v[134:135], v[144:145], -v[134:135]
	v_add_f64 v[8:9], v[8:9], v[148:149]
	v_add_f64 v[34:35], v[34:35], -v[134:135]
	s_mov_b32 s28, 0
	v_add_f64 v[8:9], v[8:9], v[34:35]
	s_mov_b32 s29, 0x7ff00000
	v_add_f64 v[8:9], v[144:145], v[8:9]
	v_cmp_eq_f64_e32 vcc, s[28:29], v[6:7]
	v_mov_b32_e32 v34, 0x7ff80000
	s_nop 0
	v_cndmask_b32_e32 v8, v8, v6, vcc
	v_cndmask_b32_e32 v9, v9, v7, vcc
	v_cmp_ngt_f64_e32 vcc, -1.0, v[6:7]
	s_nop 1
	v_cndmask_b32_e32 v9, v34, v9, vcc
	v_cmp_nge_f64_e32 vcc, -1.0, v[6:7]
	v_mov_b32_e32 v34, 0xfff00000
	s_nop 0
	v_cndmask_b32_e32 v8, 0, v8, vcc
	v_cmp_neq_f64_e32 vcc, -1.0, v[6:7]
	s_nop 1
	v_cndmask_b32_e32 v9, v34, v9, vcc
	v_add_f64 v[134:135], v[4:5], v[8:9]
.LBB2_61:
	s_or_b64 exec, exec, s[34:35]
	v_max_f64 v[34:35], v[128:129], v[128:129]
	v_max_f64 v[4:5], v[134:135], v[134:135]
	v_min_f64 v[6:7], v[4:5], v[34:35]
	v_cmp_u_f64_e32 vcc, v[134:135], v[134:135]
	v_max_f64 v[4:5], v[4:5], v[34:35]
	v_cmp_u_f64_e64 s[28:29], v[128:129], v[128:129]
	v_cndmask_b32_e32 v6, v6, v134, vcc
	v_cndmask_b32_e32 v7, v7, v135, vcc
	;; [unrolled: 1-line block ×4, first 2 shown]
	v_cndmask_b32_e64 v7, v7, v129, s[28:29]
	v_cndmask_b32_e64 v6, v6, v128, s[28:29]
	;; [unrolled: 1-line block ×4, first 2 shown]
	v_cmp_neq_f64_e32 vcc, v[6:7], v[4:5]
	v_cmp_class_f64_e64 s[34:35], v[6:7], s13
	s_or_b64 vcc, vcc, s[34:35]
	s_and_saveexec_b64 s[36:37], vcc
	s_cbranch_execz .LBB2_63
; %bb.62:
	s_mov_b32 vcc_lo, 0x652b82fe
	v_add_f64 v[6:7], v[6:7], -v[4:5]
	s_mov_b32 vcc_hi, 0x3ff71547
	v_mul_f64 v[8:9], v[6:7], vcc
	v_rndne_f64_e32 v[8:9], v[8:9]
	s_mov_b32 s39, 0xbfe62e42
	s_mov_b32 s38, 0xfefa39ef
	v_fma_f64 v[134:135], s[38:39], v[8:9], v[6:7]
	s_mov_b32 s41, 0xbc7abc9e
	s_mov_b32 s40, 0x3b39803f
	s_mov_b32 vcc_lo, 0x6a5dcb37
	v_fmac_f64_e32 v[134:135], s[40:41], v[8:9]
	v_mov_b32_e32 v144, 0xfca7ab0c
	v_mov_b32_e32 v145, 0x3e928af3
	s_mov_b32 vcc_hi, 0x3e5ade15
	v_fmac_f64_e32 v[144:145], vcc, v[134:135]
	v_mov_b32_e32 v146, 0x623fde64
	v_mov_b32_e32 v147, 0x3ec71dee
	v_fmac_f64_e32 v[146:147], v[134:135], v[144:145]
	v_mov_b32_e32 v144, 0x7c89e6b0
	v_mov_b32_e32 v145, 0x3efa0199
	v_fmac_f64_e32 v[144:145], v[134:135], v[146:147]
	;; [unrolled: 3-line block ×8, first 2 shown]
	v_fma_f64 v[144:145], v[134:135], v[144:145], 1.0
	s_mov_b32 vcc_lo, 0
	s_mov_b32 s34, 0
	v_fma_f64 v[134:135], v[134:135], v[144:145], 1.0
	v_cvt_i32_f64_e32 v8, v[8:9]
	s_mov_b32 vcc_hi, 0x40900000
	s_mov_b32 s35, 0xc090cc00
	v_ldexp_f64 v[8:9], v[134:135], v8
	v_mov_b32_e32 v53, 0x7ff00000
	v_cmp_nlt_f64_e32 vcc, vcc, v[6:7]
	v_cmp_ngt_f64_e64 s[34:35], s[34:35], v[6:7]
	s_mov_b32 s39, 0x3fe62e42
	v_cndmask_b32_e32 v9, v53, v9, vcc
	s_and_b64 vcc, s[34:35], vcc
	v_cndmask_b32_e64 v7, 0, v9, s[34:35]
	v_cndmask_b32_e32 v6, 0, v8, vcc
	v_add_f64 v[8:9], v[6:7], 1.0
	v_add_f64 v[134:135], v[8:9], -1.0
	v_add_f64 v[144:145], v[134:135], -v[8:9]
	v_add_f64 v[144:145], v[144:145], 1.0
	v_add_f64 v[134:135], v[6:7], -v[134:135]
	s_mov_b32 vcc_lo, 0x55555555
	v_add_f64 v[134:135], v[134:135], v[144:145]
	v_frexp_mant_f64_e32 v[144:145], v[8:9]
	s_mov_b32 vcc_hi, 0x3fe55555
	v_frexp_exp_i32_f64_e32 v53, v[8:9]
	v_cmp_gt_f64_e32 vcc, vcc, v[144:145]
	s_mov_b32 s41, 0x3c7abc9e
	s_nop 0
	v_subbrev_co_u32_e32 v53, vcc, 0, v53, vcc
	v_sub_u32_e32 v71, 0, v53
	v_ldexp_f64 v[8:9], v[8:9], v71
	v_add_f64 v[144:145], v[8:9], -1.0
	v_add_f64 v[150:151], v[8:9], 1.0
	v_add_f64 v[146:147], v[144:145], 1.0
	v_add_f64 v[160:161], v[150:151], -1.0
	v_ldexp_f64 v[134:135], v[134:135], v71
	v_add_f64 v[146:147], v[8:9], -v[146:147]
	v_add_f64 v[8:9], v[8:9], -v[160:161]
	v_add_f64 v[8:9], v[134:135], v[8:9]
	v_add_f64 v[146:147], v[134:135], v[146:147]
	;; [unrolled: 1-line block ×3, first 2 shown]
	v_rcp_f64_e32 v[160:161], v[134:135]
	v_add_f64 v[148:149], v[144:145], v[146:147]
	v_add_f64 v[144:145], v[148:149], -v[144:145]
	v_add_f64 v[144:145], v[146:147], -v[144:145]
	;; [unrolled: 1-line block ×4, first 2 shown]
	v_fma_f64 v[146:147], -v[134:135], v[160:161], 1.0
	v_fmac_f64_e32 v[160:161], v[146:147], v[160:161]
	v_fma_f64 v[146:147], -v[134:135], v[160:161], 1.0
	v_fmac_f64_e32 v[160:161], v[146:147], v[160:161]
	v_mul_f64 v[146:147], v[148:149], v[160:161]
	v_mul_f64 v[150:151], v[134:135], v[146:147]
	v_fma_f64 v[162:163], v[146:147], v[134:135], -v[150:151]
	v_fmac_f64_e32 v[162:163], v[146:147], v[8:9]
	v_add_f64 v[164:165], v[150:151], v[162:163]
	v_add_f64 v[166:167], v[148:149], -v[164:165]
	v_add_f64 v[148:149], v[148:149], -v[166:167]
	;; [unrolled: 1-line block ×4, first 2 shown]
	v_add_f64 v[144:145], v[144:145], v[148:149]
	v_add_f64 v[148:149], v[150:151], -v[162:163]
	v_add_f64 v[144:145], v[148:149], v[144:145]
	v_add_f64 v[148:149], v[166:167], v[144:145]
	v_add_f64 v[150:151], v[166:167], -v[148:149]
	v_add_f64 v[144:145], v[144:145], v[150:151]
	v_mul_f64 v[150:151], v[160:161], v[148:149]
	v_mul_f64 v[162:163], v[134:135], v[150:151]
	v_fma_f64 v[134:135], v[150:151], v[134:135], -v[162:163]
	v_fmac_f64_e32 v[134:135], v[150:151], v[8:9]
	v_add_f64 v[8:9], v[162:163], v[134:135]
	v_add_f64 v[164:165], v[148:149], -v[8:9]
	v_add_f64 v[148:149], v[148:149], -v[164:165]
	;; [unrolled: 1-line block ×4, first 2 shown]
	v_add_f64 v[8:9], v[144:145], v[8:9]
	v_add_f64 v[134:135], v[162:163], -v[134:135]
	v_add_f64 v[8:9], v[134:135], v[8:9]
	v_add_f64 v[134:135], v[146:147], v[150:151]
	;; [unrolled: 1-line block ×3, first 2 shown]
	v_add_f64 v[144:145], v[134:135], -v[146:147]
	v_mul_f64 v[8:9], v[160:161], v[8:9]
	v_add_f64 v[144:145], v[150:151], -v[144:145]
	v_add_f64 v[8:9], v[144:145], v[8:9]
	v_add_f64 v[144:145], v[134:135], v[8:9]
	v_add_f64 v[134:135], v[144:145], -v[134:135]
	s_mov_b32 vcc_lo, 0xbf559e2b
	v_add_f64 v[8:9], v[8:9], -v[134:135]
	v_mul_f64 v[134:135], v[144:145], v[144:145]
	v_mov_b32_e32 v146, 0x6b47b09a
	v_mov_b32_e32 v147, 0x3fc38538
	s_mov_b32 vcc_hi, 0x3fc3ab76
	v_fmac_f64_e32 v[146:147], vcc, v[134:135]
	v_mov_b32_e32 v148, 0xd7f4df2e
	v_mov_b32_e32 v149, 0x3fc7474d
	v_fmac_f64_e32 v[148:149], v[134:135], v[146:147]
	v_mov_b32_e32 v146, 0x16291751
	v_mov_b32_e32 v147, 0x3fcc71c0
	v_fmac_f64_e32 v[146:147], v[134:135], v[148:149]
	;; [unrolled: 3-line block ×5, first 2 shown]
	v_cvt_f64_i32_e32 v[146:147], v53
	v_mul_f64 v[150:151], v[146:147], s[38:39]
	v_fma_f64 v[160:161], v[146:147], s[38:39], -v[150:151]
	v_fmac_f64_e32 v[160:161], s[40:41], v[146:147]
	v_add_f64 v[146:147], v[150:151], v[160:161]
	v_add_f64 v[150:151], v[146:147], -v[150:151]
	v_mul_f64 v[134:135], v[144:145], v[134:135]
	v_add_f64 v[150:151], v[160:161], -v[150:151]
	v_ldexp_f64 v[160:161], v[144:145], 1
	v_mul_f64 v[134:135], v[134:135], v[148:149]
	v_add_f64 v[144:145], v[160:161], v[134:135]
	v_add_f64 v[148:149], v[144:145], -v[160:161]
	v_ldexp_f64 v[8:9], v[8:9], 1
	v_add_f64 v[134:135], v[134:135], -v[148:149]
	v_add_f64 v[8:9], v[8:9], v[134:135]
	v_add_f64 v[134:135], v[144:145], v[8:9]
	v_add_f64 v[144:145], v[134:135], -v[144:145]
	v_add_f64 v[8:9], v[8:9], -v[144:145]
	v_add_f64 v[144:145], v[146:147], v[134:135]
	v_add_f64 v[148:149], v[144:145], -v[146:147]
	v_add_f64 v[160:161], v[144:145], -v[148:149]
	;; [unrolled: 1-line block ×4, first 2 shown]
	v_add_f64 v[134:135], v[134:135], v[146:147]
	v_add_f64 v[146:147], v[150:151], v[8:9]
	v_add_f64 v[148:149], v[146:147], -v[150:151]
	v_add_f64 v[134:135], v[146:147], v[134:135]
	v_add_f64 v[160:161], v[146:147], -v[148:149]
	;; [unrolled: 2-line block ×3, first 2 shown]
	v_add_f64 v[8:9], v[8:9], -v[148:149]
	v_add_f64 v[144:145], v[146:147], -v[144:145]
	v_add_f64 v[8:9], v[8:9], v[150:151]
	v_add_f64 v[134:135], v[134:135], -v[144:145]
	s_mov_b32 vcc_lo, 0
	v_add_f64 v[8:9], v[8:9], v[134:135]
	s_mov_b32 vcc_hi, 0x7ff00000
	v_add_f64 v[8:9], v[146:147], v[8:9]
	v_cmp_eq_f64_e32 vcc, vcc, v[6:7]
	v_mov_b32_e32 v53, 0x7ff80000
	s_nop 0
	v_cndmask_b32_e32 v8, v8, v6, vcc
	v_cndmask_b32_e32 v9, v9, v7, vcc
	v_cmp_ngt_f64_e32 vcc, -1.0, v[6:7]
	s_nop 1
	v_cndmask_b32_e32 v9, v53, v9, vcc
	v_cmp_nge_f64_e32 vcc, -1.0, v[6:7]
	v_mov_b32_e32 v53, 0xfff00000
	s_nop 0
	v_cndmask_b32_e32 v8, 0, v8, vcc
	v_cmp_neq_f64_e32 vcc, -1.0, v[6:7]
	s_nop 1
	v_cndmask_b32_e32 v9, v53, v9, vcc
	v_add_f64 v[134:135], v[4:5], v[8:9]
.LBB2_63:
	s_or_b64 exec, exec, s[36:37]
	v_lshrrev_b32_e32 v4, 5, v70
	v_add_lshl_u32 v4, v4, v70, 3
	v_cmp_gt_u32_e32 vcc, 64, v70
	ds_write_b64 v4, v[134:135]
	s_waitcnt lgkmcnt(0)
	s_barrier
	s_and_saveexec_b64 s[40:41], vcc
	s_cbranch_execz .LBB2_103
; %bb.64:
	v_lshlrev_b32_e32 v4, 2, v70
	v_lshrrev_b32_e32 v5, 3, v70
	v_add_lshl_u32 v53, v5, v4, 3
	ds_read2_b64 v[4:7], v53 offset1:1
	s_waitcnt lgkmcnt(0)
	v_max_f64 v[144:145], v[6:7], v[6:7]
	v_max_f64 v[8:9], v[4:5], v[4:5]
	v_min_f64 v[146:147], v[8:9], v[144:145]
	v_cmp_u_f64_e64 s[34:35], v[4:5], v[4:5]
	v_cmp_u_f64_e64 s[36:37], v[6:7], v[6:7]
	v_max_f64 v[144:145], v[8:9], v[144:145]
	v_cndmask_b32_e64 v71, v146, v4, s[34:35]
	v_cndmask_b32_e64 v146, v147, v5, s[34:35]
	;; [unrolled: 1-line block ×8, first 2 shown]
	v_cmp_neq_f64_e64 s[36:37], v[146:147], v[144:145]
	v_cmp_class_f64_e64 s[38:39], v[146:147], s13
	s_or_b64 s[36:37], s[36:37], s[38:39]
	v_mov_b64_e32 v[6:7], v[4:5]
	s_and_saveexec_b64 s[44:45], s[36:37]
	s_cbranch_execz .LBB2_66
; %bb.65:
	s_mov_b32 s36, 0x652b82fe
	v_add_f64 v[6:7], v[146:147], -v[144:145]
	s_mov_b32 s37, 0x3ff71547
	v_mul_f64 v[146:147], v[6:7], s[36:37]
	v_rndne_f64_e32 v[146:147], v[146:147]
	s_mov_b32 s49, 0xbfe62e42
	s_mov_b32 s48, 0xfefa39ef
	v_fma_f64 v[148:149], s[48:49], v[146:147], v[6:7]
	s_mov_b32 s51, 0xbc7abc9e
	s_mov_b32 s50, 0x3b39803f
	;; [unrolled: 1-line block ×3, first 2 shown]
	v_fmac_f64_e32 v[148:149], s[50:51], v[146:147]
	v_mov_b32_e32 v150, 0xfca7ab0c
	v_mov_b32_e32 v151, 0x3e928af3
	s_mov_b32 s37, 0x3e5ade15
	v_fmac_f64_e32 v[150:151], s[36:37], v[148:149]
	v_mov_b32_e32 v160, 0x623fde64
	v_mov_b32_e32 v161, 0x3ec71dee
	v_fmac_f64_e32 v[160:161], v[148:149], v[150:151]
	v_mov_b32_e32 v150, 0x7c89e6b0
	v_mov_b32_e32 v151, 0x3efa0199
	;; [unrolled: 3-line block ×8, first 2 shown]
	v_fmac_f64_e32 v[150:151], v[148:149], v[160:161]
	v_fma_f64 v[150:151], v[148:149], v[150:151], 1.0
	s_mov_b32 s36, 0
	s_mov_b32 s38, 0
	v_fma_f64 v[148:149], v[148:149], v[150:151], 1.0
	v_cvt_i32_f64_e32 v71, v[146:147]
	s_mov_b32 s37, 0x40900000
	s_mov_b32 s39, 0xc090cc00
	v_ldexp_f64 v[146:147], v[148:149], v71
	v_mov_b32_e32 v71, 0x7ff00000
	v_cmp_nlt_f64_e64 s[36:37], s[36:37], v[6:7]
	v_cmp_ngt_f64_e64 s[38:39], s[38:39], v[6:7]
	s_mov_b32 s49, 0x3fe62e42
	v_cndmask_b32_e64 v71, v71, v147, s[36:37]
	s_and_b64 s[36:37], s[38:39], s[36:37]
	v_cndmask_b32_e64 v7, 0, v71, s[38:39]
	v_cndmask_b32_e64 v6, 0, v146, s[36:37]
	v_add_f64 v[146:147], v[6:7], 1.0
	v_add_f64 v[148:149], v[146:147], -1.0
	v_add_f64 v[150:151], v[148:149], -v[146:147]
	v_add_f64 v[150:151], v[150:151], 1.0
	v_add_f64 v[148:149], v[6:7], -v[148:149]
	s_mov_b32 s36, 0x55555555
	v_add_f64 v[148:149], v[148:149], v[150:151]
	v_frexp_mant_f64_e32 v[150:151], v[146:147]
	s_mov_b32 s37, 0x3fe55555
	v_frexp_exp_i32_f64_e32 v71, v[146:147]
	v_cmp_gt_f64_e64 s[36:37], s[36:37], v[150:151]
	s_mov_b32 s51, 0x3c7abc9e
	s_nop 0
	v_subbrev_co_u32_e64 v71, s[36:37], 0, v71, s[36:37]
	v_sub_u32_e32 v150, 0, v71
	v_ldexp_f64 v[146:147], v[146:147], v150
	v_ldexp_f64 v[148:149], v[148:149], v150
	v_add_f64 v[150:151], v[146:147], -1.0
	v_add_f64 v[164:165], v[146:147], 1.0
	v_add_f64 v[160:161], v[150:151], 1.0
	v_add_f64 v[166:167], v[164:165], -1.0
	v_add_f64 v[160:161], v[146:147], -v[160:161]
	v_add_f64 v[146:147], v[146:147], -v[166:167]
	v_add_f64 v[146:147], v[148:149], v[146:147]
	v_add_f64 v[160:161], v[148:149], v[160:161]
	;; [unrolled: 1-line block ×3, first 2 shown]
	v_rcp_f64_e32 v[166:167], v[148:149]
	v_add_f64 v[162:163], v[150:151], v[160:161]
	v_add_f64 v[150:151], v[162:163], -v[150:151]
	v_add_f64 v[150:151], v[160:161], -v[150:151]
	;; [unrolled: 1-line block ×4, first 2 shown]
	v_fma_f64 v[160:161], -v[148:149], v[166:167], 1.0
	v_fmac_f64_e32 v[166:167], v[160:161], v[166:167]
	v_fma_f64 v[160:161], -v[148:149], v[166:167], 1.0
	v_fmac_f64_e32 v[166:167], v[160:161], v[166:167]
	v_mul_f64 v[160:161], v[162:163], v[166:167]
	v_mul_f64 v[164:165], v[148:149], v[160:161]
	v_fma_f64 v[176:177], v[160:161], v[148:149], -v[164:165]
	v_fmac_f64_e32 v[176:177], v[160:161], v[146:147]
	v_add_f64 v[178:179], v[164:165], v[176:177]
	v_add_f64 v[180:181], v[162:163], -v[178:179]
	v_add_f64 v[162:163], v[162:163], -v[180:181]
	;; [unrolled: 1-line block ×4, first 2 shown]
	v_add_f64 v[150:151], v[150:151], v[162:163]
	v_add_f64 v[162:163], v[164:165], -v[176:177]
	v_add_f64 v[150:151], v[162:163], v[150:151]
	v_add_f64 v[162:163], v[180:181], v[150:151]
	v_add_f64 v[164:165], v[180:181], -v[162:163]
	v_add_f64 v[150:151], v[150:151], v[164:165]
	v_mul_f64 v[164:165], v[166:167], v[162:163]
	v_mul_f64 v[176:177], v[148:149], v[164:165]
	v_fma_f64 v[148:149], v[164:165], v[148:149], -v[176:177]
	v_fmac_f64_e32 v[148:149], v[164:165], v[146:147]
	v_add_f64 v[146:147], v[176:177], v[148:149]
	v_add_f64 v[178:179], v[162:163], -v[146:147]
	v_add_f64 v[162:163], v[162:163], -v[178:179]
	;; [unrolled: 1-line block ×4, first 2 shown]
	v_add_f64 v[146:147], v[150:151], v[146:147]
	v_add_f64 v[148:149], v[176:177], -v[148:149]
	v_add_f64 v[146:147], v[148:149], v[146:147]
	v_add_f64 v[148:149], v[160:161], v[164:165]
	;; [unrolled: 1-line block ×3, first 2 shown]
	v_add_f64 v[150:151], v[148:149], -v[160:161]
	v_mul_f64 v[146:147], v[166:167], v[146:147]
	v_add_f64 v[150:151], v[164:165], -v[150:151]
	v_add_f64 v[146:147], v[150:151], v[146:147]
	v_add_f64 v[150:151], v[148:149], v[146:147]
	v_add_f64 v[148:149], v[150:151], -v[148:149]
	s_mov_b32 s36, 0xbf559e2b
	v_add_f64 v[146:147], v[146:147], -v[148:149]
	v_mul_f64 v[148:149], v[150:151], v[150:151]
	v_mov_b32_e32 v160, 0x6b47b09a
	v_mov_b32_e32 v161, 0x3fc38538
	s_mov_b32 s37, 0x3fc3ab76
	v_fmac_f64_e32 v[160:161], s[36:37], v[148:149]
	v_mov_b32_e32 v162, 0xd7f4df2e
	v_mov_b32_e32 v163, 0x3fc7474d
	v_fmac_f64_e32 v[162:163], v[148:149], v[160:161]
	v_mov_b32_e32 v160, 0x16291751
	v_mov_b32_e32 v161, 0x3fcc71c0
	;; [unrolled: 3-line block ×5, first 2 shown]
	v_fmac_f64_e32 v[162:163], v[148:149], v[160:161]
	v_cvt_f64_i32_e32 v[160:161], v71
	v_mul_f64 v[164:165], v[160:161], s[48:49]
	v_fma_f64 v[166:167], v[160:161], s[48:49], -v[164:165]
	v_fmac_f64_e32 v[166:167], s[50:51], v[160:161]
	v_add_f64 v[160:161], v[164:165], v[166:167]
	v_add_f64 v[164:165], v[160:161], -v[164:165]
	v_mul_f64 v[148:149], v[150:151], v[148:149]
	v_add_f64 v[164:165], v[166:167], -v[164:165]
	v_ldexp_f64 v[166:167], v[150:151], 1
	v_mul_f64 v[148:149], v[148:149], v[162:163]
	v_add_f64 v[150:151], v[166:167], v[148:149]
	v_add_f64 v[162:163], v[150:151], -v[166:167]
	v_ldexp_f64 v[146:147], v[146:147], 1
	v_add_f64 v[148:149], v[148:149], -v[162:163]
	v_add_f64 v[146:147], v[146:147], v[148:149]
	v_add_f64 v[148:149], v[150:151], v[146:147]
	v_add_f64 v[150:151], v[148:149], -v[150:151]
	v_add_f64 v[146:147], v[146:147], -v[150:151]
	v_add_f64 v[150:151], v[160:161], v[148:149]
	v_add_f64 v[162:163], v[150:151], -v[160:161]
	v_add_f64 v[166:167], v[150:151], -v[162:163]
	;; [unrolled: 1-line block ×4, first 2 shown]
	v_add_f64 v[148:149], v[148:149], v[160:161]
	v_add_f64 v[160:161], v[164:165], v[146:147]
	v_add_f64 v[162:163], v[160:161], -v[164:165]
	v_add_f64 v[148:149], v[160:161], v[148:149]
	v_add_f64 v[166:167], v[160:161], -v[162:163]
	;; [unrolled: 2-line block ×3, first 2 shown]
	v_add_f64 v[146:147], v[146:147], -v[162:163]
	v_add_f64 v[150:151], v[160:161], -v[150:151]
	v_add_f64 v[146:147], v[146:147], v[164:165]
	v_add_f64 v[148:149], v[148:149], -v[150:151]
	s_mov_b32 s36, 0
	v_add_f64 v[146:147], v[146:147], v[148:149]
	s_mov_b32 s37, 0x7ff00000
	v_add_f64 v[146:147], v[160:161], v[146:147]
	v_cmp_eq_f64_e64 s[36:37], s[36:37], v[6:7]
	s_nop 1
	v_cndmask_b32_e64 v71, v146, v6, s[36:37]
	v_cndmask_b32_e64 v146, v147, v7, s[36:37]
	v_mov_b32_e32 v147, 0x7ff80000
	v_cmp_ngt_f64_e64 s[36:37], -1.0, v[6:7]
	s_nop 1
	v_cndmask_b32_e64 v147, v147, v146, s[36:37]
	v_cmp_nge_f64_e64 s[36:37], -1.0, v[6:7]
	s_nop 1
	v_cndmask_b32_e64 v146, 0, v71, s[36:37]
	v_mov_b32_e32 v71, 0xfff00000
	v_cmp_neq_f64_e64 s[36:37], -1.0, v[6:7]
	s_nop 1
	v_cndmask_b32_e64 v147, v71, v147, s[36:37]
	v_add_f64 v[6:7], v[144:145], v[146:147]
.LBB2_66:
	s_or_b64 exec, exec, s[44:45]
	ds_read_b64 v[144:145], v53 offset:16
	v_max_f64 v[148:149], v[6:7], v[6:7]
	v_cmp_u_f64_e64 s[36:37], v[6:7], v[6:7]
	s_waitcnt lgkmcnt(0)
	v_max_f64 v[150:151], v[144:145], v[144:145]
	v_min_f64 v[146:147], v[148:149], v[150:151]
	v_cndmask_b32_e64 v71, v146, v6, s[36:37]
	v_cndmask_b32_e64 v146, v147, v7, s[36:37]
	v_cmp_u_f64_e64 s[38:39], v[144:145], v[144:145]
	v_max_f64 v[148:149], v[148:149], v[150:151]
	s_nop 0
	v_cndmask_b32_e64 v147, v146, v145, s[38:39]
	v_cndmask_b32_e64 v146, v71, v144, s[38:39]
	;; [unrolled: 1-line block ×6, first 2 shown]
	v_cmp_neq_f64_e64 s[36:37], v[146:147], v[144:145]
	v_cmp_class_f64_e64 s[38:39], v[146:147], s13
	s_or_b64 s[36:37], s[36:37], s[38:39]
	s_and_saveexec_b64 s[44:45], s[36:37]
	s_cbranch_execz .LBB2_68
; %bb.67:
	s_mov_b32 s36, 0x652b82fe
	v_add_f64 v[6:7], v[146:147], -v[144:145]
	s_mov_b32 s37, 0x3ff71547
	v_mul_f64 v[146:147], v[6:7], s[36:37]
	v_rndne_f64_e32 v[146:147], v[146:147]
	s_mov_b32 s49, 0xbfe62e42
	s_mov_b32 s48, 0xfefa39ef
	v_fma_f64 v[148:149], s[48:49], v[146:147], v[6:7]
	s_mov_b32 s51, 0xbc7abc9e
	s_mov_b32 s50, 0x3b39803f
	s_mov_b32 s36, 0x6a5dcb37
	v_fmac_f64_e32 v[148:149], s[50:51], v[146:147]
	v_mov_b32_e32 v150, 0xfca7ab0c
	v_mov_b32_e32 v151, 0x3e928af3
	s_mov_b32 s37, 0x3e5ade15
	v_fmac_f64_e32 v[150:151], s[36:37], v[148:149]
	v_mov_b32_e32 v160, 0x623fde64
	v_mov_b32_e32 v161, 0x3ec71dee
	v_fmac_f64_e32 v[160:161], v[148:149], v[150:151]
	v_mov_b32_e32 v150, 0x7c89e6b0
	v_mov_b32_e32 v151, 0x3efa0199
	;; [unrolled: 3-line block ×8, first 2 shown]
	v_fmac_f64_e32 v[150:151], v[148:149], v[160:161]
	v_fma_f64 v[150:151], v[148:149], v[150:151], 1.0
	s_mov_b32 s36, 0
	s_mov_b32 s38, 0
	v_fma_f64 v[148:149], v[148:149], v[150:151], 1.0
	v_cvt_i32_f64_e32 v71, v[146:147]
	s_mov_b32 s37, 0x40900000
	s_mov_b32 s39, 0xc090cc00
	v_ldexp_f64 v[146:147], v[148:149], v71
	v_mov_b32_e32 v71, 0x7ff00000
	v_cmp_nlt_f64_e64 s[36:37], s[36:37], v[6:7]
	v_cmp_ngt_f64_e64 s[38:39], s[38:39], v[6:7]
	s_mov_b32 s49, 0x3fe62e42
	v_cndmask_b32_e64 v71, v71, v147, s[36:37]
	s_and_b64 s[36:37], s[38:39], s[36:37]
	v_cndmask_b32_e64 v7, 0, v71, s[38:39]
	v_cndmask_b32_e64 v6, 0, v146, s[36:37]
	v_add_f64 v[146:147], v[6:7], 1.0
	v_add_f64 v[148:149], v[146:147], -1.0
	v_add_f64 v[150:151], v[148:149], -v[146:147]
	v_add_f64 v[150:151], v[150:151], 1.0
	v_add_f64 v[148:149], v[6:7], -v[148:149]
	s_mov_b32 s36, 0x55555555
	v_add_f64 v[148:149], v[148:149], v[150:151]
	v_frexp_mant_f64_e32 v[150:151], v[146:147]
	s_mov_b32 s37, 0x3fe55555
	v_frexp_exp_i32_f64_e32 v71, v[146:147]
	v_cmp_gt_f64_e64 s[36:37], s[36:37], v[150:151]
	s_mov_b32 s51, 0x3c7abc9e
	s_nop 0
	v_subbrev_co_u32_e64 v71, s[36:37], 0, v71, s[36:37]
	v_sub_u32_e32 v150, 0, v71
	v_ldexp_f64 v[146:147], v[146:147], v150
	v_ldexp_f64 v[148:149], v[148:149], v150
	v_add_f64 v[150:151], v[146:147], -1.0
	v_add_f64 v[164:165], v[146:147], 1.0
	v_add_f64 v[160:161], v[150:151], 1.0
	v_add_f64 v[166:167], v[164:165], -1.0
	v_add_f64 v[160:161], v[146:147], -v[160:161]
	v_add_f64 v[146:147], v[146:147], -v[166:167]
	v_add_f64 v[146:147], v[148:149], v[146:147]
	v_add_f64 v[160:161], v[148:149], v[160:161]
	;; [unrolled: 1-line block ×3, first 2 shown]
	v_rcp_f64_e32 v[166:167], v[148:149]
	v_add_f64 v[162:163], v[150:151], v[160:161]
	v_add_f64 v[150:151], v[162:163], -v[150:151]
	v_add_f64 v[150:151], v[160:161], -v[150:151]
	;; [unrolled: 1-line block ×4, first 2 shown]
	v_fma_f64 v[160:161], -v[148:149], v[166:167], 1.0
	v_fmac_f64_e32 v[166:167], v[160:161], v[166:167]
	v_fma_f64 v[160:161], -v[148:149], v[166:167], 1.0
	v_fmac_f64_e32 v[166:167], v[160:161], v[166:167]
	v_mul_f64 v[160:161], v[162:163], v[166:167]
	v_mul_f64 v[164:165], v[148:149], v[160:161]
	v_fma_f64 v[176:177], v[160:161], v[148:149], -v[164:165]
	v_fmac_f64_e32 v[176:177], v[160:161], v[146:147]
	v_add_f64 v[178:179], v[164:165], v[176:177]
	v_add_f64 v[180:181], v[162:163], -v[178:179]
	v_add_f64 v[162:163], v[162:163], -v[180:181]
	;; [unrolled: 1-line block ×4, first 2 shown]
	v_add_f64 v[150:151], v[150:151], v[162:163]
	v_add_f64 v[162:163], v[164:165], -v[176:177]
	v_add_f64 v[150:151], v[162:163], v[150:151]
	v_add_f64 v[162:163], v[180:181], v[150:151]
	v_add_f64 v[164:165], v[180:181], -v[162:163]
	v_add_f64 v[150:151], v[150:151], v[164:165]
	v_mul_f64 v[164:165], v[166:167], v[162:163]
	v_mul_f64 v[176:177], v[148:149], v[164:165]
	v_fma_f64 v[148:149], v[164:165], v[148:149], -v[176:177]
	v_fmac_f64_e32 v[148:149], v[164:165], v[146:147]
	v_add_f64 v[146:147], v[176:177], v[148:149]
	v_add_f64 v[178:179], v[162:163], -v[146:147]
	v_add_f64 v[162:163], v[162:163], -v[178:179]
	;; [unrolled: 1-line block ×4, first 2 shown]
	v_add_f64 v[146:147], v[150:151], v[146:147]
	v_add_f64 v[148:149], v[176:177], -v[148:149]
	v_add_f64 v[146:147], v[148:149], v[146:147]
	v_add_f64 v[148:149], v[160:161], v[164:165]
	;; [unrolled: 1-line block ×3, first 2 shown]
	v_add_f64 v[150:151], v[148:149], -v[160:161]
	v_mul_f64 v[146:147], v[166:167], v[146:147]
	v_add_f64 v[150:151], v[164:165], -v[150:151]
	v_add_f64 v[146:147], v[150:151], v[146:147]
	v_add_f64 v[150:151], v[148:149], v[146:147]
	v_add_f64 v[148:149], v[150:151], -v[148:149]
	s_mov_b32 s36, 0xbf559e2b
	v_add_f64 v[146:147], v[146:147], -v[148:149]
	v_mul_f64 v[148:149], v[150:151], v[150:151]
	v_mov_b32_e32 v160, 0x6b47b09a
	v_mov_b32_e32 v161, 0x3fc38538
	s_mov_b32 s37, 0x3fc3ab76
	v_fmac_f64_e32 v[160:161], s[36:37], v[148:149]
	v_mov_b32_e32 v162, 0xd7f4df2e
	v_mov_b32_e32 v163, 0x3fc7474d
	v_fmac_f64_e32 v[162:163], v[148:149], v[160:161]
	v_mov_b32_e32 v160, 0x16291751
	v_mov_b32_e32 v161, 0x3fcc71c0
	;; [unrolled: 3-line block ×5, first 2 shown]
	v_fmac_f64_e32 v[162:163], v[148:149], v[160:161]
	v_cvt_f64_i32_e32 v[160:161], v71
	v_mul_f64 v[164:165], v[160:161], s[48:49]
	v_fma_f64 v[166:167], v[160:161], s[48:49], -v[164:165]
	v_fmac_f64_e32 v[166:167], s[50:51], v[160:161]
	v_add_f64 v[160:161], v[164:165], v[166:167]
	v_add_f64 v[164:165], v[160:161], -v[164:165]
	v_mul_f64 v[148:149], v[150:151], v[148:149]
	v_add_f64 v[164:165], v[166:167], -v[164:165]
	v_ldexp_f64 v[166:167], v[150:151], 1
	v_mul_f64 v[148:149], v[148:149], v[162:163]
	v_add_f64 v[150:151], v[166:167], v[148:149]
	v_add_f64 v[162:163], v[150:151], -v[166:167]
	v_ldexp_f64 v[146:147], v[146:147], 1
	v_add_f64 v[148:149], v[148:149], -v[162:163]
	v_add_f64 v[146:147], v[146:147], v[148:149]
	v_add_f64 v[148:149], v[150:151], v[146:147]
	v_add_f64 v[150:151], v[148:149], -v[150:151]
	v_add_f64 v[146:147], v[146:147], -v[150:151]
	v_add_f64 v[150:151], v[160:161], v[148:149]
	v_add_f64 v[162:163], v[150:151], -v[160:161]
	v_add_f64 v[166:167], v[150:151], -v[162:163]
	;; [unrolled: 1-line block ×4, first 2 shown]
	v_add_f64 v[148:149], v[148:149], v[160:161]
	v_add_f64 v[160:161], v[164:165], v[146:147]
	v_add_f64 v[162:163], v[160:161], -v[164:165]
	v_add_f64 v[148:149], v[160:161], v[148:149]
	v_add_f64 v[166:167], v[160:161], -v[162:163]
	;; [unrolled: 2-line block ×3, first 2 shown]
	v_add_f64 v[146:147], v[146:147], -v[162:163]
	v_add_f64 v[150:151], v[160:161], -v[150:151]
	v_add_f64 v[146:147], v[146:147], v[164:165]
	v_add_f64 v[148:149], v[148:149], -v[150:151]
	s_mov_b32 s36, 0
	v_add_f64 v[146:147], v[146:147], v[148:149]
	s_mov_b32 s37, 0x7ff00000
	v_add_f64 v[146:147], v[160:161], v[146:147]
	v_cmp_eq_f64_e64 s[36:37], s[36:37], v[6:7]
	s_nop 1
	v_cndmask_b32_e64 v71, v146, v6, s[36:37]
	v_cndmask_b32_e64 v146, v147, v7, s[36:37]
	v_mov_b32_e32 v147, 0x7ff80000
	v_cmp_ngt_f64_e64 s[36:37], -1.0, v[6:7]
	s_nop 1
	v_cndmask_b32_e64 v147, v147, v146, s[36:37]
	v_cmp_nge_f64_e64 s[36:37], -1.0, v[6:7]
	s_nop 1
	v_cndmask_b32_e64 v146, 0, v71, s[36:37]
	v_mov_b32_e32 v71, 0xfff00000
	v_cmp_neq_f64_e64 s[36:37], -1.0, v[6:7]
	s_nop 1
	v_cndmask_b32_e64 v147, v71, v147, s[36:37]
	v_add_f64 v[6:7], v[144:145], v[146:147]
.LBB2_68:
	s_or_b64 exec, exec, s[44:45]
	ds_read_b64 v[144:145], v53 offset:24
	v_max_f64 v[148:149], v[6:7], v[6:7]
	v_cmp_u_f64_e64 s[36:37], v[6:7], v[6:7]
	s_waitcnt lgkmcnt(0)
	v_max_f64 v[150:151], v[144:145], v[144:145]
	v_min_f64 v[146:147], v[148:149], v[150:151]
	v_cndmask_b32_e64 v71, v146, v6, s[36:37]
	v_cndmask_b32_e64 v146, v147, v7, s[36:37]
	v_cmp_u_f64_e64 s[38:39], v[144:145], v[144:145]
	v_max_f64 v[148:149], v[148:149], v[150:151]
	s_nop 0
	v_cndmask_b32_e64 v147, v146, v145, s[38:39]
	v_cndmask_b32_e64 v146, v71, v144, s[38:39]
	;; [unrolled: 1-line block ×6, first 2 shown]
	v_cmp_neq_f64_e64 s[36:37], v[146:147], v[144:145]
	v_cmp_class_f64_e64 s[38:39], v[146:147], s13
	s_or_b64 s[36:37], s[36:37], s[38:39]
	s_and_saveexec_b64 s[44:45], s[36:37]
	s_cbranch_execz .LBB2_70
; %bb.69:
	s_mov_b32 s36, 0x652b82fe
	v_add_f64 v[6:7], v[146:147], -v[144:145]
	s_mov_b32 s37, 0x3ff71547
	v_mul_f64 v[146:147], v[6:7], s[36:37]
	v_rndne_f64_e32 v[146:147], v[146:147]
	s_mov_b32 s49, 0xbfe62e42
	s_mov_b32 s48, 0xfefa39ef
	v_fma_f64 v[148:149], s[48:49], v[146:147], v[6:7]
	s_mov_b32 s51, 0xbc7abc9e
	s_mov_b32 s50, 0x3b39803f
	;; [unrolled: 1-line block ×3, first 2 shown]
	v_fmac_f64_e32 v[148:149], s[50:51], v[146:147]
	v_mov_b32_e32 v150, 0xfca7ab0c
	v_mov_b32_e32 v151, 0x3e928af3
	s_mov_b32 s37, 0x3e5ade15
	v_fmac_f64_e32 v[150:151], s[36:37], v[148:149]
	v_mov_b32_e32 v160, 0x623fde64
	v_mov_b32_e32 v161, 0x3ec71dee
	v_fmac_f64_e32 v[160:161], v[148:149], v[150:151]
	v_mov_b32_e32 v150, 0x7c89e6b0
	v_mov_b32_e32 v151, 0x3efa0199
	;; [unrolled: 3-line block ×8, first 2 shown]
	v_fmac_f64_e32 v[150:151], v[148:149], v[160:161]
	v_fma_f64 v[150:151], v[148:149], v[150:151], 1.0
	s_mov_b32 s36, 0
	s_mov_b32 s38, 0
	v_fma_f64 v[148:149], v[148:149], v[150:151], 1.0
	v_cvt_i32_f64_e32 v71, v[146:147]
	s_mov_b32 s37, 0x40900000
	s_mov_b32 s39, 0xc090cc00
	v_ldexp_f64 v[146:147], v[148:149], v71
	v_mov_b32_e32 v71, 0x7ff00000
	v_cmp_nlt_f64_e64 s[36:37], s[36:37], v[6:7]
	v_cmp_ngt_f64_e64 s[38:39], s[38:39], v[6:7]
	s_mov_b32 s49, 0x3fe62e42
	v_cndmask_b32_e64 v71, v71, v147, s[36:37]
	s_and_b64 s[36:37], s[38:39], s[36:37]
	v_cndmask_b32_e64 v7, 0, v71, s[38:39]
	v_cndmask_b32_e64 v6, 0, v146, s[36:37]
	v_add_f64 v[146:147], v[6:7], 1.0
	v_add_f64 v[148:149], v[146:147], -1.0
	v_add_f64 v[150:151], v[148:149], -v[146:147]
	v_add_f64 v[150:151], v[150:151], 1.0
	v_add_f64 v[148:149], v[6:7], -v[148:149]
	s_mov_b32 s36, 0x55555555
	v_add_f64 v[148:149], v[148:149], v[150:151]
	v_frexp_mant_f64_e32 v[150:151], v[146:147]
	s_mov_b32 s37, 0x3fe55555
	v_frexp_exp_i32_f64_e32 v71, v[146:147]
	v_cmp_gt_f64_e64 s[36:37], s[36:37], v[150:151]
	s_mov_b32 s51, 0x3c7abc9e
	s_nop 0
	v_subbrev_co_u32_e64 v71, s[36:37], 0, v71, s[36:37]
	v_sub_u32_e32 v150, 0, v71
	v_ldexp_f64 v[146:147], v[146:147], v150
	v_ldexp_f64 v[148:149], v[148:149], v150
	v_add_f64 v[150:151], v[146:147], -1.0
	v_add_f64 v[164:165], v[146:147], 1.0
	v_add_f64 v[160:161], v[150:151], 1.0
	v_add_f64 v[166:167], v[164:165], -1.0
	v_add_f64 v[160:161], v[146:147], -v[160:161]
	v_add_f64 v[146:147], v[146:147], -v[166:167]
	v_add_f64 v[146:147], v[148:149], v[146:147]
	v_add_f64 v[160:161], v[148:149], v[160:161]
	;; [unrolled: 1-line block ×3, first 2 shown]
	v_rcp_f64_e32 v[166:167], v[148:149]
	v_add_f64 v[162:163], v[150:151], v[160:161]
	v_add_f64 v[150:151], v[162:163], -v[150:151]
	v_add_f64 v[150:151], v[160:161], -v[150:151]
	;; [unrolled: 1-line block ×4, first 2 shown]
	v_fma_f64 v[160:161], -v[148:149], v[166:167], 1.0
	v_fmac_f64_e32 v[166:167], v[160:161], v[166:167]
	v_fma_f64 v[160:161], -v[148:149], v[166:167], 1.0
	v_fmac_f64_e32 v[166:167], v[160:161], v[166:167]
	v_mul_f64 v[160:161], v[162:163], v[166:167]
	v_mul_f64 v[164:165], v[148:149], v[160:161]
	v_fma_f64 v[176:177], v[160:161], v[148:149], -v[164:165]
	v_fmac_f64_e32 v[176:177], v[160:161], v[146:147]
	v_add_f64 v[178:179], v[164:165], v[176:177]
	v_add_f64 v[180:181], v[162:163], -v[178:179]
	v_add_f64 v[162:163], v[162:163], -v[180:181]
	;; [unrolled: 1-line block ×4, first 2 shown]
	v_add_f64 v[150:151], v[150:151], v[162:163]
	v_add_f64 v[162:163], v[164:165], -v[176:177]
	v_add_f64 v[150:151], v[162:163], v[150:151]
	v_add_f64 v[162:163], v[180:181], v[150:151]
	v_add_f64 v[164:165], v[180:181], -v[162:163]
	v_add_f64 v[150:151], v[150:151], v[164:165]
	v_mul_f64 v[164:165], v[166:167], v[162:163]
	v_mul_f64 v[176:177], v[148:149], v[164:165]
	v_fma_f64 v[148:149], v[164:165], v[148:149], -v[176:177]
	v_fmac_f64_e32 v[148:149], v[164:165], v[146:147]
	v_add_f64 v[146:147], v[176:177], v[148:149]
	v_add_f64 v[178:179], v[162:163], -v[146:147]
	v_add_f64 v[162:163], v[162:163], -v[178:179]
	;; [unrolled: 1-line block ×4, first 2 shown]
	v_add_f64 v[146:147], v[150:151], v[146:147]
	v_add_f64 v[148:149], v[176:177], -v[148:149]
	v_add_f64 v[146:147], v[148:149], v[146:147]
	v_add_f64 v[148:149], v[160:161], v[164:165]
	;; [unrolled: 1-line block ×3, first 2 shown]
	v_add_f64 v[150:151], v[148:149], -v[160:161]
	v_mul_f64 v[146:147], v[166:167], v[146:147]
	v_add_f64 v[150:151], v[164:165], -v[150:151]
	v_add_f64 v[146:147], v[150:151], v[146:147]
	v_add_f64 v[150:151], v[148:149], v[146:147]
	v_add_f64 v[148:149], v[150:151], -v[148:149]
	s_mov_b32 s36, 0xbf559e2b
	v_add_f64 v[146:147], v[146:147], -v[148:149]
	v_mul_f64 v[148:149], v[150:151], v[150:151]
	v_mov_b32_e32 v160, 0x6b47b09a
	v_mov_b32_e32 v161, 0x3fc38538
	s_mov_b32 s37, 0x3fc3ab76
	v_fmac_f64_e32 v[160:161], s[36:37], v[148:149]
	v_mov_b32_e32 v162, 0xd7f4df2e
	v_mov_b32_e32 v163, 0x3fc7474d
	v_fmac_f64_e32 v[162:163], v[148:149], v[160:161]
	v_mov_b32_e32 v160, 0x16291751
	v_mov_b32_e32 v161, 0x3fcc71c0
	;; [unrolled: 3-line block ×5, first 2 shown]
	v_fmac_f64_e32 v[162:163], v[148:149], v[160:161]
	v_cvt_f64_i32_e32 v[160:161], v71
	v_mul_f64 v[164:165], v[160:161], s[48:49]
	v_fma_f64 v[166:167], v[160:161], s[48:49], -v[164:165]
	v_fmac_f64_e32 v[166:167], s[50:51], v[160:161]
	v_add_f64 v[160:161], v[164:165], v[166:167]
	v_add_f64 v[164:165], v[160:161], -v[164:165]
	v_mul_f64 v[148:149], v[150:151], v[148:149]
	v_add_f64 v[164:165], v[166:167], -v[164:165]
	v_ldexp_f64 v[166:167], v[150:151], 1
	v_mul_f64 v[148:149], v[148:149], v[162:163]
	v_add_f64 v[150:151], v[166:167], v[148:149]
	v_add_f64 v[162:163], v[150:151], -v[166:167]
	v_ldexp_f64 v[146:147], v[146:147], 1
	v_add_f64 v[148:149], v[148:149], -v[162:163]
	v_add_f64 v[146:147], v[146:147], v[148:149]
	v_add_f64 v[148:149], v[150:151], v[146:147]
	v_add_f64 v[150:151], v[148:149], -v[150:151]
	v_add_f64 v[146:147], v[146:147], -v[150:151]
	v_add_f64 v[150:151], v[160:161], v[148:149]
	v_add_f64 v[162:163], v[150:151], -v[160:161]
	v_add_f64 v[166:167], v[150:151], -v[162:163]
	v_add_f64 v[160:161], v[160:161], -v[166:167]
	v_add_f64 v[148:149], v[148:149], -v[162:163]
	v_add_f64 v[148:149], v[148:149], v[160:161]
	v_add_f64 v[160:161], v[164:165], v[146:147]
	v_add_f64 v[162:163], v[160:161], -v[164:165]
	v_add_f64 v[148:149], v[160:161], v[148:149]
	v_add_f64 v[166:167], v[160:161], -v[162:163]
	;; [unrolled: 2-line block ×3, first 2 shown]
	v_add_f64 v[146:147], v[146:147], -v[162:163]
	v_add_f64 v[150:151], v[160:161], -v[150:151]
	v_add_f64 v[146:147], v[146:147], v[164:165]
	v_add_f64 v[148:149], v[148:149], -v[150:151]
	s_mov_b32 s36, 0
	v_add_f64 v[146:147], v[146:147], v[148:149]
	s_mov_b32 s37, 0x7ff00000
	v_add_f64 v[146:147], v[160:161], v[146:147]
	v_cmp_eq_f64_e64 s[36:37], s[36:37], v[6:7]
	s_nop 1
	v_cndmask_b32_e64 v71, v146, v6, s[36:37]
	v_cndmask_b32_e64 v146, v147, v7, s[36:37]
	v_mov_b32_e32 v147, 0x7ff80000
	v_cmp_ngt_f64_e64 s[36:37], -1.0, v[6:7]
	s_nop 1
	v_cndmask_b32_e64 v147, v147, v146, s[36:37]
	v_cmp_nge_f64_e64 s[36:37], -1.0, v[6:7]
	s_nop 1
	v_cndmask_b32_e64 v146, 0, v71, s[36:37]
	v_mov_b32_e32 v71, 0xfff00000
	v_cmp_neq_f64_e64 s[36:37], -1.0, v[6:7]
	s_nop 1
	v_cndmask_b32_e64 v147, v71, v147, s[36:37]
	v_add_f64 v[6:7], v[144:145], v[146:147]
.LBB2_70:
	s_or_b64 exec, exec, s[44:45]
	v_mbcnt_lo_u32_b32 v71, -1, 0
	v_mbcnt_hi_u32_b32 v71, -1, v71
	v_and_b32_e32 v148, 15, v71
	v_mov_b32_dpp v144, v6 row_shr:1 row_mask:0xf bank_mask:0xf
	v_mov_b32_dpp v145, v7 row_shr:1 row_mask:0xf bank_mask:0xf
	v_cmp_ne_u32_e64 s[36:37], 0, v148
	v_mov_b32_e32 v146, v6
	v_mov_b32_e32 v147, v7
	s_and_saveexec_b64 s[38:39], s[36:37]
	s_xor_b64 s[44:45], exec, s[38:39]
	s_cbranch_execz .LBB2_74
; %bb.71:
	v_max_f64 v[150:151], v[144:145], v[144:145]
	v_max_f64 v[160:161], v[6:7], v[6:7]
	v_min_f64 v[146:147], v[150:151], v[160:161]
	v_cmp_u_f64_e64 s[36:37], v[144:145], v[144:145]
	v_max_f64 v[150:151], v[150:151], v[160:161]
	v_cmp_u_f64_e64 s[38:39], v[6:7], v[6:7]
	v_cndmask_b32_e64 v146, v146, v144, s[36:37]
	v_cndmask_b32_e64 v147, v147, v145, s[36:37]
	;; [unrolled: 1-line block ×8, first 2 shown]
	v_cmp_neq_f64_e64 s[36:37], v[146:147], v[6:7]
	v_cmp_class_f64_e64 s[38:39], v[146:147], s13
	s_or_b64 s[36:37], s[36:37], s[38:39]
	s_and_saveexec_b64 s[48:49], s[36:37]
	s_cbranch_execz .LBB2_73
; %bb.72:
	s_mov_b32 s36, 0x652b82fe
	v_add_f64 v[144:145], v[146:147], -v[6:7]
	s_mov_b32 s37, 0x3ff71547
	v_mul_f64 v[146:147], v[144:145], s[36:37]
	v_rndne_f64_e32 v[146:147], v[146:147]
	s_mov_b32 s51, 0xbfe62e42
	s_mov_b32 s50, 0xfefa39ef
	v_fma_f64 v[150:151], s[50:51], v[146:147], v[144:145]
	s_mov_b32 s53, 0xbc7abc9e
	s_mov_b32 s52, 0x3b39803f
	;; [unrolled: 1-line block ×3, first 2 shown]
	v_fmac_f64_e32 v[150:151], s[52:53], v[146:147]
	v_mov_b32_e32 v160, 0xfca7ab0c
	v_mov_b32_e32 v161, 0x3e928af3
	s_mov_b32 s37, 0x3e5ade15
	v_fmac_f64_e32 v[160:161], s[36:37], v[150:151]
	v_mov_b32_e32 v162, 0x623fde64
	v_mov_b32_e32 v163, 0x3ec71dee
	v_fmac_f64_e32 v[162:163], v[150:151], v[160:161]
	v_mov_b32_e32 v160, 0x7c89e6b0
	v_mov_b32_e32 v161, 0x3efa0199
	;; [unrolled: 3-line block ×8, first 2 shown]
	v_fmac_f64_e32 v[160:161], v[150:151], v[162:163]
	v_fma_f64 v[160:161], v[150:151], v[160:161], 1.0
	s_mov_b32 s36, 0
	s_mov_b32 s38, 0
	v_fma_f64 v[150:151], v[150:151], v[160:161], 1.0
	v_cvt_i32_f64_e32 v146, v[146:147]
	s_mov_b32 s37, 0x40900000
	s_mov_b32 s39, 0xc090cc00
	v_ldexp_f64 v[146:147], v[150:151], v146
	v_mov_b32_e32 v149, 0x7ff00000
	v_cmp_nlt_f64_e64 s[36:37], s[36:37], v[144:145]
	v_cmp_ngt_f64_e64 s[38:39], s[38:39], v[144:145]
	s_mov_b32 s51, 0x3fe62e42
	v_cndmask_b32_e64 v147, v149, v147, s[36:37]
	s_and_b64 s[36:37], s[38:39], s[36:37]
	v_cndmask_b32_e64 v145, 0, v147, s[38:39]
	v_cndmask_b32_e64 v144, 0, v146, s[36:37]
	v_add_f64 v[146:147], v[144:145], 1.0
	v_add_f64 v[150:151], v[146:147], -1.0
	v_add_f64 v[160:161], v[150:151], -v[146:147]
	v_add_f64 v[160:161], v[160:161], 1.0
	v_add_f64 v[150:151], v[144:145], -v[150:151]
	s_mov_b32 s36, 0x55555555
	v_add_f64 v[150:151], v[150:151], v[160:161]
	v_frexp_mant_f64_e32 v[160:161], v[146:147]
	s_mov_b32 s37, 0x3fe55555
	v_frexp_exp_i32_f64_e32 v149, v[146:147]
	v_cmp_gt_f64_e64 s[36:37], s[36:37], v[160:161]
	s_mov_b32 s53, 0x3c7abc9e
	s_nop 0
	v_subbrev_co_u32_e64 v149, s[36:37], 0, v149, s[36:37]
	v_sub_u32_e32 v160, 0, v149
	v_ldexp_f64 v[146:147], v[146:147], v160
	v_ldexp_f64 v[150:151], v[150:151], v160
	v_add_f64 v[160:161], v[146:147], -1.0
	v_add_f64 v[166:167], v[146:147], 1.0
	v_add_f64 v[162:163], v[160:161], 1.0
	v_add_f64 v[176:177], v[166:167], -1.0
	v_add_f64 v[162:163], v[146:147], -v[162:163]
	v_add_f64 v[146:147], v[146:147], -v[176:177]
	v_add_f64 v[146:147], v[150:151], v[146:147]
	v_add_f64 v[162:163], v[150:151], v[162:163]
	;; [unrolled: 1-line block ×3, first 2 shown]
	v_rcp_f64_e32 v[176:177], v[150:151]
	v_add_f64 v[164:165], v[160:161], v[162:163]
	v_add_f64 v[160:161], v[164:165], -v[160:161]
	v_add_f64 v[160:161], v[162:163], -v[160:161]
	;; [unrolled: 1-line block ×4, first 2 shown]
	v_fma_f64 v[162:163], -v[150:151], v[176:177], 1.0
	v_fmac_f64_e32 v[176:177], v[162:163], v[176:177]
	v_fma_f64 v[162:163], -v[150:151], v[176:177], 1.0
	v_fmac_f64_e32 v[176:177], v[162:163], v[176:177]
	v_mul_f64 v[162:163], v[164:165], v[176:177]
	v_mul_f64 v[166:167], v[150:151], v[162:163]
	v_fma_f64 v[178:179], v[162:163], v[150:151], -v[166:167]
	v_fmac_f64_e32 v[178:179], v[162:163], v[146:147]
	v_add_f64 v[180:181], v[166:167], v[178:179]
	v_add_f64 v[182:183], v[164:165], -v[180:181]
	v_add_f64 v[164:165], v[164:165], -v[182:183]
	;; [unrolled: 1-line block ×4, first 2 shown]
	v_add_f64 v[160:161], v[160:161], v[164:165]
	v_add_f64 v[164:165], v[166:167], -v[178:179]
	v_add_f64 v[160:161], v[164:165], v[160:161]
	v_add_f64 v[164:165], v[182:183], v[160:161]
	v_add_f64 v[166:167], v[182:183], -v[164:165]
	v_add_f64 v[160:161], v[160:161], v[166:167]
	v_mul_f64 v[166:167], v[176:177], v[164:165]
	v_mul_f64 v[178:179], v[150:151], v[166:167]
	v_fma_f64 v[150:151], v[166:167], v[150:151], -v[178:179]
	v_fmac_f64_e32 v[150:151], v[166:167], v[146:147]
	v_add_f64 v[146:147], v[178:179], v[150:151]
	v_add_f64 v[180:181], v[164:165], -v[146:147]
	v_add_f64 v[164:165], v[164:165], -v[180:181]
	;; [unrolled: 1-line block ×4, first 2 shown]
	v_add_f64 v[146:147], v[160:161], v[146:147]
	v_add_f64 v[150:151], v[178:179], -v[150:151]
	v_add_f64 v[146:147], v[150:151], v[146:147]
	v_add_f64 v[150:151], v[162:163], v[166:167]
	;; [unrolled: 1-line block ×3, first 2 shown]
	v_add_f64 v[160:161], v[150:151], -v[162:163]
	v_mul_f64 v[146:147], v[176:177], v[146:147]
	v_add_f64 v[160:161], v[166:167], -v[160:161]
	v_add_f64 v[146:147], v[160:161], v[146:147]
	v_add_f64 v[160:161], v[150:151], v[146:147]
	v_add_f64 v[150:151], v[160:161], -v[150:151]
	s_mov_b32 s36, 0xbf559e2b
	v_add_f64 v[146:147], v[146:147], -v[150:151]
	v_mul_f64 v[150:151], v[160:161], v[160:161]
	v_mov_b32_e32 v162, 0x6b47b09a
	v_mov_b32_e32 v163, 0x3fc38538
	s_mov_b32 s37, 0x3fc3ab76
	v_fmac_f64_e32 v[162:163], s[36:37], v[150:151]
	v_mov_b32_e32 v164, 0xd7f4df2e
	v_mov_b32_e32 v165, 0x3fc7474d
	v_fmac_f64_e32 v[164:165], v[150:151], v[162:163]
	v_mov_b32_e32 v162, 0x16291751
	v_mov_b32_e32 v163, 0x3fcc71c0
	;; [unrolled: 3-line block ×5, first 2 shown]
	v_fmac_f64_e32 v[164:165], v[150:151], v[162:163]
	v_cvt_f64_i32_e32 v[162:163], v149
	v_mul_f64 v[166:167], v[162:163], s[50:51]
	v_fma_f64 v[176:177], v[162:163], s[50:51], -v[166:167]
	v_fmac_f64_e32 v[176:177], s[52:53], v[162:163]
	v_add_f64 v[162:163], v[166:167], v[176:177]
	v_add_f64 v[166:167], v[162:163], -v[166:167]
	v_mul_f64 v[150:151], v[160:161], v[150:151]
	v_add_f64 v[166:167], v[176:177], -v[166:167]
	v_ldexp_f64 v[176:177], v[160:161], 1
	v_mul_f64 v[150:151], v[150:151], v[164:165]
	v_add_f64 v[160:161], v[176:177], v[150:151]
	v_add_f64 v[164:165], v[160:161], -v[176:177]
	v_ldexp_f64 v[146:147], v[146:147], 1
	v_add_f64 v[150:151], v[150:151], -v[164:165]
	v_add_f64 v[146:147], v[146:147], v[150:151]
	v_add_f64 v[150:151], v[160:161], v[146:147]
	v_add_f64 v[160:161], v[150:151], -v[160:161]
	v_add_f64 v[146:147], v[146:147], -v[160:161]
	v_add_f64 v[160:161], v[162:163], v[150:151]
	v_add_f64 v[164:165], v[160:161], -v[162:163]
	v_add_f64 v[176:177], v[160:161], -v[164:165]
	;; [unrolled: 1-line block ×4, first 2 shown]
	v_add_f64 v[150:151], v[150:151], v[162:163]
	v_add_f64 v[162:163], v[166:167], v[146:147]
	v_add_f64 v[164:165], v[162:163], -v[166:167]
	v_add_f64 v[150:151], v[162:163], v[150:151]
	v_add_f64 v[176:177], v[162:163], -v[164:165]
	;; [unrolled: 2-line block ×3, first 2 shown]
	v_add_f64 v[146:147], v[146:147], -v[164:165]
	v_add_f64 v[160:161], v[162:163], -v[160:161]
	v_add_f64 v[146:147], v[146:147], v[166:167]
	v_add_f64 v[150:151], v[150:151], -v[160:161]
	s_mov_b32 s36, 0
	v_add_f64 v[146:147], v[146:147], v[150:151]
	s_mov_b32 s37, 0x7ff00000
	v_add_f64 v[146:147], v[162:163], v[146:147]
	v_cmp_eq_f64_e64 s[36:37], s[36:37], v[144:145]
	v_mov_b32_e32 v149, 0x7ff80000
	s_nop 0
	v_cndmask_b32_e64 v146, v146, v144, s[36:37]
	v_cndmask_b32_e64 v147, v147, v145, s[36:37]
	v_cmp_ngt_f64_e64 s[36:37], -1.0, v[144:145]
	s_nop 1
	v_cndmask_b32_e64 v147, v149, v147, s[36:37]
	v_cmp_nge_f64_e64 s[36:37], -1.0, v[144:145]
	v_mov_b32_e32 v149, 0xfff00000
	s_nop 0
	v_cndmask_b32_e64 v146, 0, v146, s[36:37]
	v_cmp_neq_f64_e64 s[36:37], -1.0, v[144:145]
	s_nop 1
	v_cndmask_b32_e64 v147, v149, v147, s[36:37]
	v_add_f64 v[144:145], v[6:7], v[146:147]
.LBB2_73:
	s_or_b64 exec, exec, s[48:49]
	v_mov_b32_e32 v146, v144
	v_mov_b32_e32 v147, v145
	v_mov_b64_e32 v[6:7], v[144:145]
.LBB2_74:
	s_or_b64 exec, exec, s[44:45]
	v_mov_b32_dpp v144, v146 row_shr:2 row_mask:0xf bank_mask:0xf
	v_mov_b32_dpp v145, v147 row_shr:2 row_mask:0xf bank_mask:0xf
	v_cmp_lt_u32_e64 s[36:37], 1, v148
	s_and_saveexec_b64 s[44:45], s[36:37]
	s_cbranch_execz .LBB2_78
; %bb.75:
	v_max_f64 v[150:151], v[144:145], v[144:145]
	v_max_f64 v[160:161], v[6:7], v[6:7]
	v_min_f64 v[146:147], v[150:151], v[160:161]
	v_cmp_u_f64_e64 s[36:37], v[144:145], v[144:145]
	v_max_f64 v[150:151], v[150:151], v[160:161]
	v_cmp_u_f64_e64 s[38:39], v[6:7], v[6:7]
	v_cndmask_b32_e64 v146, v146, v144, s[36:37]
	v_cndmask_b32_e64 v147, v147, v145, s[36:37]
	;; [unrolled: 1-line block ×8, first 2 shown]
	v_cmp_neq_f64_e64 s[36:37], v[146:147], v[6:7]
	v_cmp_class_f64_e64 s[38:39], v[146:147], s13
	s_or_b64 s[36:37], s[36:37], s[38:39]
	s_and_saveexec_b64 s[48:49], s[36:37]
	s_cbranch_execz .LBB2_77
; %bb.76:
	s_mov_b32 s36, 0x652b82fe
	v_add_f64 v[144:145], v[146:147], -v[6:7]
	s_mov_b32 s37, 0x3ff71547
	v_mul_f64 v[146:147], v[144:145], s[36:37]
	v_rndne_f64_e32 v[146:147], v[146:147]
	s_mov_b32 s51, 0xbfe62e42
	s_mov_b32 s50, 0xfefa39ef
	v_fma_f64 v[150:151], s[50:51], v[146:147], v[144:145]
	s_mov_b32 s53, 0xbc7abc9e
	s_mov_b32 s52, 0x3b39803f
	;; [unrolled: 1-line block ×3, first 2 shown]
	v_fmac_f64_e32 v[150:151], s[52:53], v[146:147]
	v_mov_b32_e32 v160, 0xfca7ab0c
	v_mov_b32_e32 v161, 0x3e928af3
	s_mov_b32 s37, 0x3e5ade15
	v_fmac_f64_e32 v[160:161], s[36:37], v[150:151]
	v_mov_b32_e32 v162, 0x623fde64
	v_mov_b32_e32 v163, 0x3ec71dee
	v_fmac_f64_e32 v[162:163], v[150:151], v[160:161]
	v_mov_b32_e32 v160, 0x7c89e6b0
	v_mov_b32_e32 v161, 0x3efa0199
	;; [unrolled: 3-line block ×8, first 2 shown]
	v_fmac_f64_e32 v[160:161], v[150:151], v[162:163]
	v_fma_f64 v[160:161], v[150:151], v[160:161], 1.0
	s_mov_b32 s36, 0
	s_mov_b32 s38, 0
	v_fma_f64 v[150:151], v[150:151], v[160:161], 1.0
	v_cvt_i32_f64_e32 v146, v[146:147]
	s_mov_b32 s37, 0x40900000
	s_mov_b32 s39, 0xc090cc00
	v_ldexp_f64 v[146:147], v[150:151], v146
	v_mov_b32_e32 v149, 0x7ff00000
	v_cmp_nlt_f64_e64 s[36:37], s[36:37], v[144:145]
	v_cmp_ngt_f64_e64 s[38:39], s[38:39], v[144:145]
	s_mov_b32 s51, 0x3fe62e42
	v_cndmask_b32_e64 v147, v149, v147, s[36:37]
	s_and_b64 s[36:37], s[38:39], s[36:37]
	v_cndmask_b32_e64 v145, 0, v147, s[38:39]
	v_cndmask_b32_e64 v144, 0, v146, s[36:37]
	v_add_f64 v[146:147], v[144:145], 1.0
	v_add_f64 v[150:151], v[146:147], -1.0
	v_add_f64 v[160:161], v[150:151], -v[146:147]
	v_add_f64 v[160:161], v[160:161], 1.0
	v_add_f64 v[150:151], v[144:145], -v[150:151]
	s_mov_b32 s36, 0x55555555
	v_add_f64 v[150:151], v[150:151], v[160:161]
	v_frexp_mant_f64_e32 v[160:161], v[146:147]
	s_mov_b32 s37, 0x3fe55555
	v_frexp_exp_i32_f64_e32 v149, v[146:147]
	v_cmp_gt_f64_e64 s[36:37], s[36:37], v[160:161]
	s_mov_b32 s53, 0x3c7abc9e
	s_nop 0
	v_subbrev_co_u32_e64 v149, s[36:37], 0, v149, s[36:37]
	v_sub_u32_e32 v160, 0, v149
	v_ldexp_f64 v[146:147], v[146:147], v160
	v_ldexp_f64 v[150:151], v[150:151], v160
	v_add_f64 v[160:161], v[146:147], -1.0
	v_add_f64 v[166:167], v[146:147], 1.0
	v_add_f64 v[162:163], v[160:161], 1.0
	v_add_f64 v[176:177], v[166:167], -1.0
	v_add_f64 v[162:163], v[146:147], -v[162:163]
	v_add_f64 v[146:147], v[146:147], -v[176:177]
	v_add_f64 v[146:147], v[150:151], v[146:147]
	v_add_f64 v[162:163], v[150:151], v[162:163]
	;; [unrolled: 1-line block ×3, first 2 shown]
	v_rcp_f64_e32 v[176:177], v[150:151]
	v_add_f64 v[164:165], v[160:161], v[162:163]
	v_add_f64 v[160:161], v[164:165], -v[160:161]
	v_add_f64 v[160:161], v[162:163], -v[160:161]
	v_add_f64 v[162:163], v[150:151], -v[166:167]
	v_add_f64 v[146:147], v[146:147], -v[162:163]
	v_fma_f64 v[162:163], -v[150:151], v[176:177], 1.0
	v_fmac_f64_e32 v[176:177], v[162:163], v[176:177]
	v_fma_f64 v[162:163], -v[150:151], v[176:177], 1.0
	v_fmac_f64_e32 v[176:177], v[162:163], v[176:177]
	v_mul_f64 v[162:163], v[164:165], v[176:177]
	v_mul_f64 v[166:167], v[150:151], v[162:163]
	v_fma_f64 v[178:179], v[162:163], v[150:151], -v[166:167]
	v_fmac_f64_e32 v[178:179], v[162:163], v[146:147]
	v_add_f64 v[180:181], v[166:167], v[178:179]
	v_add_f64 v[182:183], v[164:165], -v[180:181]
	v_add_f64 v[164:165], v[164:165], -v[182:183]
	;; [unrolled: 1-line block ×4, first 2 shown]
	v_add_f64 v[160:161], v[160:161], v[164:165]
	v_add_f64 v[164:165], v[166:167], -v[178:179]
	v_add_f64 v[160:161], v[164:165], v[160:161]
	v_add_f64 v[164:165], v[182:183], v[160:161]
	v_add_f64 v[166:167], v[182:183], -v[164:165]
	v_add_f64 v[160:161], v[160:161], v[166:167]
	v_mul_f64 v[166:167], v[176:177], v[164:165]
	v_mul_f64 v[178:179], v[150:151], v[166:167]
	v_fma_f64 v[150:151], v[166:167], v[150:151], -v[178:179]
	v_fmac_f64_e32 v[150:151], v[166:167], v[146:147]
	v_add_f64 v[146:147], v[178:179], v[150:151]
	v_add_f64 v[180:181], v[164:165], -v[146:147]
	v_add_f64 v[164:165], v[164:165], -v[180:181]
	v_add_f64 v[178:179], v[146:147], -v[178:179]
	v_add_f64 v[146:147], v[164:165], -v[146:147]
	v_add_f64 v[146:147], v[160:161], v[146:147]
	v_add_f64 v[150:151], v[178:179], -v[150:151]
	v_add_f64 v[146:147], v[150:151], v[146:147]
	v_add_f64 v[150:151], v[162:163], v[166:167]
	;; [unrolled: 1-line block ×3, first 2 shown]
	v_add_f64 v[160:161], v[150:151], -v[162:163]
	v_mul_f64 v[146:147], v[176:177], v[146:147]
	v_add_f64 v[160:161], v[166:167], -v[160:161]
	v_add_f64 v[146:147], v[160:161], v[146:147]
	v_add_f64 v[160:161], v[150:151], v[146:147]
	v_add_f64 v[150:151], v[160:161], -v[150:151]
	s_mov_b32 s36, 0xbf559e2b
	v_add_f64 v[146:147], v[146:147], -v[150:151]
	v_mul_f64 v[150:151], v[160:161], v[160:161]
	v_mov_b32_e32 v162, 0x6b47b09a
	v_mov_b32_e32 v163, 0x3fc38538
	s_mov_b32 s37, 0x3fc3ab76
	v_fmac_f64_e32 v[162:163], s[36:37], v[150:151]
	v_mov_b32_e32 v164, 0xd7f4df2e
	v_mov_b32_e32 v165, 0x3fc7474d
	v_fmac_f64_e32 v[164:165], v[150:151], v[162:163]
	v_mov_b32_e32 v162, 0x16291751
	v_mov_b32_e32 v163, 0x3fcc71c0
	;; [unrolled: 3-line block ×5, first 2 shown]
	v_fmac_f64_e32 v[164:165], v[150:151], v[162:163]
	v_cvt_f64_i32_e32 v[162:163], v149
	v_mul_f64 v[166:167], v[162:163], s[50:51]
	v_fma_f64 v[176:177], v[162:163], s[50:51], -v[166:167]
	v_fmac_f64_e32 v[176:177], s[52:53], v[162:163]
	v_add_f64 v[162:163], v[166:167], v[176:177]
	v_add_f64 v[166:167], v[162:163], -v[166:167]
	v_mul_f64 v[150:151], v[160:161], v[150:151]
	v_add_f64 v[166:167], v[176:177], -v[166:167]
	v_ldexp_f64 v[176:177], v[160:161], 1
	v_mul_f64 v[150:151], v[150:151], v[164:165]
	v_add_f64 v[160:161], v[176:177], v[150:151]
	v_add_f64 v[164:165], v[160:161], -v[176:177]
	v_ldexp_f64 v[146:147], v[146:147], 1
	v_add_f64 v[150:151], v[150:151], -v[164:165]
	v_add_f64 v[146:147], v[146:147], v[150:151]
	v_add_f64 v[150:151], v[160:161], v[146:147]
	v_add_f64 v[160:161], v[150:151], -v[160:161]
	v_add_f64 v[146:147], v[146:147], -v[160:161]
	v_add_f64 v[160:161], v[162:163], v[150:151]
	v_add_f64 v[164:165], v[160:161], -v[162:163]
	v_add_f64 v[176:177], v[160:161], -v[164:165]
	;; [unrolled: 1-line block ×4, first 2 shown]
	v_add_f64 v[150:151], v[150:151], v[162:163]
	v_add_f64 v[162:163], v[166:167], v[146:147]
	v_add_f64 v[164:165], v[162:163], -v[166:167]
	v_add_f64 v[150:151], v[162:163], v[150:151]
	v_add_f64 v[176:177], v[162:163], -v[164:165]
	;; [unrolled: 2-line block ×3, first 2 shown]
	v_add_f64 v[146:147], v[146:147], -v[164:165]
	v_add_f64 v[160:161], v[162:163], -v[160:161]
	v_add_f64 v[146:147], v[146:147], v[166:167]
	v_add_f64 v[150:151], v[150:151], -v[160:161]
	s_mov_b32 s36, 0
	v_add_f64 v[146:147], v[146:147], v[150:151]
	s_mov_b32 s37, 0x7ff00000
	v_add_f64 v[146:147], v[162:163], v[146:147]
	v_cmp_eq_f64_e64 s[36:37], s[36:37], v[144:145]
	v_mov_b32_e32 v149, 0x7ff80000
	s_nop 0
	v_cndmask_b32_e64 v146, v146, v144, s[36:37]
	v_cndmask_b32_e64 v147, v147, v145, s[36:37]
	v_cmp_ngt_f64_e64 s[36:37], -1.0, v[144:145]
	s_nop 1
	v_cndmask_b32_e64 v147, v149, v147, s[36:37]
	v_cmp_nge_f64_e64 s[36:37], -1.0, v[144:145]
	v_mov_b32_e32 v149, 0xfff00000
	s_nop 0
	v_cndmask_b32_e64 v146, 0, v146, s[36:37]
	v_cmp_neq_f64_e64 s[36:37], -1.0, v[144:145]
	s_nop 1
	v_cndmask_b32_e64 v147, v149, v147, s[36:37]
	v_add_f64 v[144:145], v[6:7], v[146:147]
.LBB2_77:
	s_or_b64 exec, exec, s[48:49]
	v_mov_b64_e32 v[6:7], v[144:145]
	v_mov_b32_e32 v146, v144
	v_mov_b32_e32 v147, v145
.LBB2_78:
	s_or_b64 exec, exec, s[44:45]
	v_mov_b32_dpp v144, v146 row_shr:4 row_mask:0xf bank_mask:0xf
	v_mov_b32_dpp v145, v147 row_shr:4 row_mask:0xf bank_mask:0xf
	v_cmp_lt_u32_e64 s[36:37], 3, v148
	s_and_saveexec_b64 s[44:45], s[36:37]
	s_cbranch_execz .LBB2_82
; %bb.79:
	v_max_f64 v[150:151], v[144:145], v[144:145]
	v_max_f64 v[160:161], v[6:7], v[6:7]
	v_min_f64 v[146:147], v[150:151], v[160:161]
	v_cmp_u_f64_e64 s[36:37], v[144:145], v[144:145]
	v_max_f64 v[150:151], v[150:151], v[160:161]
	v_cmp_u_f64_e64 s[38:39], v[6:7], v[6:7]
	v_cndmask_b32_e64 v146, v146, v144, s[36:37]
	v_cndmask_b32_e64 v147, v147, v145, s[36:37]
	;; [unrolled: 1-line block ×8, first 2 shown]
	v_cmp_neq_f64_e64 s[36:37], v[146:147], v[6:7]
	v_cmp_class_f64_e64 s[38:39], v[146:147], s13
	s_or_b64 s[36:37], s[36:37], s[38:39]
	s_and_saveexec_b64 s[48:49], s[36:37]
	s_cbranch_execz .LBB2_81
; %bb.80:
	s_mov_b32 s36, 0x652b82fe
	v_add_f64 v[144:145], v[146:147], -v[6:7]
	s_mov_b32 s37, 0x3ff71547
	v_mul_f64 v[146:147], v[144:145], s[36:37]
	v_rndne_f64_e32 v[146:147], v[146:147]
	s_mov_b32 s51, 0xbfe62e42
	s_mov_b32 s50, 0xfefa39ef
	v_fma_f64 v[150:151], s[50:51], v[146:147], v[144:145]
	s_mov_b32 s53, 0xbc7abc9e
	s_mov_b32 s52, 0x3b39803f
	;; [unrolled: 1-line block ×3, first 2 shown]
	v_fmac_f64_e32 v[150:151], s[52:53], v[146:147]
	v_mov_b32_e32 v160, 0xfca7ab0c
	v_mov_b32_e32 v161, 0x3e928af3
	s_mov_b32 s37, 0x3e5ade15
	v_fmac_f64_e32 v[160:161], s[36:37], v[150:151]
	v_mov_b32_e32 v162, 0x623fde64
	v_mov_b32_e32 v163, 0x3ec71dee
	v_fmac_f64_e32 v[162:163], v[150:151], v[160:161]
	v_mov_b32_e32 v160, 0x7c89e6b0
	v_mov_b32_e32 v161, 0x3efa0199
	;; [unrolled: 3-line block ×8, first 2 shown]
	v_fmac_f64_e32 v[160:161], v[150:151], v[162:163]
	v_fma_f64 v[160:161], v[150:151], v[160:161], 1.0
	s_mov_b32 s36, 0
	s_mov_b32 s38, 0
	v_fma_f64 v[150:151], v[150:151], v[160:161], 1.0
	v_cvt_i32_f64_e32 v146, v[146:147]
	s_mov_b32 s37, 0x40900000
	s_mov_b32 s39, 0xc090cc00
	v_ldexp_f64 v[146:147], v[150:151], v146
	v_mov_b32_e32 v149, 0x7ff00000
	v_cmp_nlt_f64_e64 s[36:37], s[36:37], v[144:145]
	v_cmp_ngt_f64_e64 s[38:39], s[38:39], v[144:145]
	s_mov_b32 s51, 0x3fe62e42
	v_cndmask_b32_e64 v147, v149, v147, s[36:37]
	s_and_b64 s[36:37], s[38:39], s[36:37]
	v_cndmask_b32_e64 v145, 0, v147, s[38:39]
	v_cndmask_b32_e64 v144, 0, v146, s[36:37]
	v_add_f64 v[146:147], v[144:145], 1.0
	v_add_f64 v[150:151], v[146:147], -1.0
	v_add_f64 v[160:161], v[150:151], -v[146:147]
	v_add_f64 v[160:161], v[160:161], 1.0
	v_add_f64 v[150:151], v[144:145], -v[150:151]
	s_mov_b32 s36, 0x55555555
	v_add_f64 v[150:151], v[150:151], v[160:161]
	v_frexp_mant_f64_e32 v[160:161], v[146:147]
	s_mov_b32 s37, 0x3fe55555
	v_frexp_exp_i32_f64_e32 v149, v[146:147]
	v_cmp_gt_f64_e64 s[36:37], s[36:37], v[160:161]
	s_mov_b32 s53, 0x3c7abc9e
	s_nop 0
	v_subbrev_co_u32_e64 v149, s[36:37], 0, v149, s[36:37]
	v_sub_u32_e32 v160, 0, v149
	v_ldexp_f64 v[146:147], v[146:147], v160
	v_ldexp_f64 v[150:151], v[150:151], v160
	v_add_f64 v[160:161], v[146:147], -1.0
	v_add_f64 v[166:167], v[146:147], 1.0
	v_add_f64 v[162:163], v[160:161], 1.0
	v_add_f64 v[176:177], v[166:167], -1.0
	v_add_f64 v[162:163], v[146:147], -v[162:163]
	v_add_f64 v[146:147], v[146:147], -v[176:177]
	v_add_f64 v[146:147], v[150:151], v[146:147]
	v_add_f64 v[162:163], v[150:151], v[162:163]
	;; [unrolled: 1-line block ×3, first 2 shown]
	v_rcp_f64_e32 v[176:177], v[150:151]
	v_add_f64 v[164:165], v[160:161], v[162:163]
	v_add_f64 v[160:161], v[164:165], -v[160:161]
	v_add_f64 v[160:161], v[162:163], -v[160:161]
	;; [unrolled: 1-line block ×4, first 2 shown]
	v_fma_f64 v[162:163], -v[150:151], v[176:177], 1.0
	v_fmac_f64_e32 v[176:177], v[162:163], v[176:177]
	v_fma_f64 v[162:163], -v[150:151], v[176:177], 1.0
	v_fmac_f64_e32 v[176:177], v[162:163], v[176:177]
	v_mul_f64 v[162:163], v[164:165], v[176:177]
	v_mul_f64 v[166:167], v[150:151], v[162:163]
	v_fma_f64 v[178:179], v[162:163], v[150:151], -v[166:167]
	v_fmac_f64_e32 v[178:179], v[162:163], v[146:147]
	v_add_f64 v[180:181], v[166:167], v[178:179]
	v_add_f64 v[182:183], v[164:165], -v[180:181]
	v_add_f64 v[164:165], v[164:165], -v[182:183]
	;; [unrolled: 1-line block ×4, first 2 shown]
	v_add_f64 v[160:161], v[160:161], v[164:165]
	v_add_f64 v[164:165], v[166:167], -v[178:179]
	v_add_f64 v[160:161], v[164:165], v[160:161]
	v_add_f64 v[164:165], v[182:183], v[160:161]
	v_add_f64 v[166:167], v[182:183], -v[164:165]
	v_add_f64 v[160:161], v[160:161], v[166:167]
	v_mul_f64 v[166:167], v[176:177], v[164:165]
	v_mul_f64 v[178:179], v[150:151], v[166:167]
	v_fma_f64 v[150:151], v[166:167], v[150:151], -v[178:179]
	v_fmac_f64_e32 v[150:151], v[166:167], v[146:147]
	v_add_f64 v[146:147], v[178:179], v[150:151]
	v_add_f64 v[180:181], v[164:165], -v[146:147]
	v_add_f64 v[164:165], v[164:165], -v[180:181]
	;; [unrolled: 1-line block ×4, first 2 shown]
	v_add_f64 v[146:147], v[160:161], v[146:147]
	v_add_f64 v[150:151], v[178:179], -v[150:151]
	v_add_f64 v[146:147], v[150:151], v[146:147]
	v_add_f64 v[150:151], v[162:163], v[166:167]
	;; [unrolled: 1-line block ×3, first 2 shown]
	v_add_f64 v[160:161], v[150:151], -v[162:163]
	v_mul_f64 v[146:147], v[176:177], v[146:147]
	v_add_f64 v[160:161], v[166:167], -v[160:161]
	v_add_f64 v[146:147], v[160:161], v[146:147]
	v_add_f64 v[160:161], v[150:151], v[146:147]
	v_add_f64 v[150:151], v[160:161], -v[150:151]
	s_mov_b32 s36, 0xbf559e2b
	v_add_f64 v[146:147], v[146:147], -v[150:151]
	v_mul_f64 v[150:151], v[160:161], v[160:161]
	v_mov_b32_e32 v162, 0x6b47b09a
	v_mov_b32_e32 v163, 0x3fc38538
	s_mov_b32 s37, 0x3fc3ab76
	v_fmac_f64_e32 v[162:163], s[36:37], v[150:151]
	v_mov_b32_e32 v164, 0xd7f4df2e
	v_mov_b32_e32 v165, 0x3fc7474d
	v_fmac_f64_e32 v[164:165], v[150:151], v[162:163]
	v_mov_b32_e32 v162, 0x16291751
	v_mov_b32_e32 v163, 0x3fcc71c0
	;; [unrolled: 3-line block ×5, first 2 shown]
	v_fmac_f64_e32 v[164:165], v[150:151], v[162:163]
	v_cvt_f64_i32_e32 v[162:163], v149
	v_mul_f64 v[166:167], v[162:163], s[50:51]
	v_fma_f64 v[176:177], v[162:163], s[50:51], -v[166:167]
	v_fmac_f64_e32 v[176:177], s[52:53], v[162:163]
	v_add_f64 v[162:163], v[166:167], v[176:177]
	v_add_f64 v[166:167], v[162:163], -v[166:167]
	v_mul_f64 v[150:151], v[160:161], v[150:151]
	v_add_f64 v[166:167], v[176:177], -v[166:167]
	v_ldexp_f64 v[176:177], v[160:161], 1
	v_mul_f64 v[150:151], v[150:151], v[164:165]
	v_add_f64 v[160:161], v[176:177], v[150:151]
	v_add_f64 v[164:165], v[160:161], -v[176:177]
	v_ldexp_f64 v[146:147], v[146:147], 1
	v_add_f64 v[150:151], v[150:151], -v[164:165]
	v_add_f64 v[146:147], v[146:147], v[150:151]
	v_add_f64 v[150:151], v[160:161], v[146:147]
	v_add_f64 v[160:161], v[150:151], -v[160:161]
	v_add_f64 v[146:147], v[146:147], -v[160:161]
	v_add_f64 v[160:161], v[162:163], v[150:151]
	v_add_f64 v[164:165], v[160:161], -v[162:163]
	v_add_f64 v[176:177], v[160:161], -v[164:165]
	;; [unrolled: 1-line block ×4, first 2 shown]
	v_add_f64 v[150:151], v[150:151], v[162:163]
	v_add_f64 v[162:163], v[166:167], v[146:147]
	v_add_f64 v[164:165], v[162:163], -v[166:167]
	v_add_f64 v[150:151], v[162:163], v[150:151]
	v_add_f64 v[176:177], v[162:163], -v[164:165]
	;; [unrolled: 2-line block ×3, first 2 shown]
	v_add_f64 v[146:147], v[146:147], -v[164:165]
	v_add_f64 v[160:161], v[162:163], -v[160:161]
	v_add_f64 v[146:147], v[146:147], v[166:167]
	v_add_f64 v[150:151], v[150:151], -v[160:161]
	s_mov_b32 s36, 0
	v_add_f64 v[146:147], v[146:147], v[150:151]
	s_mov_b32 s37, 0x7ff00000
	v_add_f64 v[146:147], v[162:163], v[146:147]
	v_cmp_eq_f64_e64 s[36:37], s[36:37], v[144:145]
	v_mov_b32_e32 v149, 0x7ff80000
	s_nop 0
	v_cndmask_b32_e64 v146, v146, v144, s[36:37]
	v_cndmask_b32_e64 v147, v147, v145, s[36:37]
	v_cmp_ngt_f64_e64 s[36:37], -1.0, v[144:145]
	s_nop 1
	v_cndmask_b32_e64 v147, v149, v147, s[36:37]
	v_cmp_nge_f64_e64 s[36:37], -1.0, v[144:145]
	v_mov_b32_e32 v149, 0xfff00000
	s_nop 0
	v_cndmask_b32_e64 v146, 0, v146, s[36:37]
	v_cmp_neq_f64_e64 s[36:37], -1.0, v[144:145]
	s_nop 1
	v_cndmask_b32_e64 v147, v149, v147, s[36:37]
	v_add_f64 v[144:145], v[6:7], v[146:147]
.LBB2_81:
	s_or_b64 exec, exec, s[48:49]
	v_mov_b64_e32 v[6:7], v[144:145]
	v_mov_b32_e32 v146, v144
	v_mov_b32_e32 v147, v145
.LBB2_82:
	s_or_b64 exec, exec, s[44:45]
	v_mov_b32_dpp v144, v146 row_shr:8 row_mask:0xf bank_mask:0xf
	v_mov_b32_dpp v145, v147 row_shr:8 row_mask:0xf bank_mask:0xf
	v_cmp_lt_u32_e64 s[36:37], 7, v148
	s_and_saveexec_b64 s[44:45], s[36:37]
	s_cbranch_execz .LBB2_86
; %bb.83:
	v_max_f64 v[148:149], v[144:145], v[144:145]
	v_max_f64 v[150:151], v[6:7], v[6:7]
	v_min_f64 v[146:147], v[148:149], v[150:151]
	v_cmp_u_f64_e64 s[36:37], v[144:145], v[144:145]
	v_max_f64 v[148:149], v[148:149], v[150:151]
	v_cmp_u_f64_e64 s[38:39], v[6:7], v[6:7]
	v_cndmask_b32_e64 v146, v146, v144, s[36:37]
	v_cndmask_b32_e64 v147, v147, v145, s[36:37]
	v_cndmask_b32_e64 v148, v148, v144, s[36:37]
	v_cndmask_b32_e64 v149, v149, v145, s[36:37]
	v_cndmask_b32_e64 v147, v147, v7, s[38:39]
	v_cndmask_b32_e64 v146, v146, v6, s[38:39]
	v_cndmask_b32_e64 v7, v149, v7, s[38:39]
	v_cndmask_b32_e64 v6, v148, v6, s[38:39]
	v_cmp_neq_f64_e64 s[36:37], v[146:147], v[6:7]
	v_cmp_class_f64_e64 s[38:39], v[146:147], s13
	s_or_b64 s[36:37], s[36:37], s[38:39]
	s_and_saveexec_b64 s[48:49], s[36:37]
	s_cbranch_execz .LBB2_85
; %bb.84:
	s_mov_b32 s36, 0x652b82fe
	v_add_f64 v[144:145], v[146:147], -v[6:7]
	s_mov_b32 s37, 0x3ff71547
	v_mul_f64 v[146:147], v[144:145], s[36:37]
	v_rndne_f64_e32 v[146:147], v[146:147]
	s_mov_b32 s51, 0xbfe62e42
	s_mov_b32 s50, 0xfefa39ef
	v_fma_f64 v[148:149], s[50:51], v[146:147], v[144:145]
	s_mov_b32 s53, 0xbc7abc9e
	s_mov_b32 s52, 0x3b39803f
	;; [unrolled: 1-line block ×3, first 2 shown]
	v_fmac_f64_e32 v[148:149], s[52:53], v[146:147]
	v_mov_b32_e32 v150, 0xfca7ab0c
	v_mov_b32_e32 v151, 0x3e928af3
	s_mov_b32 s37, 0x3e5ade15
	v_fmac_f64_e32 v[150:151], s[36:37], v[148:149]
	v_mov_b32_e32 v160, 0x623fde64
	v_mov_b32_e32 v161, 0x3ec71dee
	v_fmac_f64_e32 v[160:161], v[148:149], v[150:151]
	v_mov_b32_e32 v150, 0x7c89e6b0
	v_mov_b32_e32 v151, 0x3efa0199
	;; [unrolled: 3-line block ×8, first 2 shown]
	v_fmac_f64_e32 v[150:151], v[148:149], v[160:161]
	v_fma_f64 v[150:151], v[148:149], v[150:151], 1.0
	s_mov_b32 s36, 0
	s_mov_b32 s38, 0
	v_fma_f64 v[148:149], v[148:149], v[150:151], 1.0
	v_cvt_i32_f64_e32 v146, v[146:147]
	s_mov_b32 s37, 0x40900000
	s_mov_b32 s39, 0xc090cc00
	v_ldexp_f64 v[146:147], v[148:149], v146
	v_mov_b32_e32 v148, 0x7ff00000
	v_cmp_nlt_f64_e64 s[36:37], s[36:37], v[144:145]
	v_cmp_ngt_f64_e64 s[38:39], s[38:39], v[144:145]
	s_mov_b32 s51, 0x3fe62e42
	v_cndmask_b32_e64 v147, v148, v147, s[36:37]
	s_and_b64 s[36:37], s[38:39], s[36:37]
	v_cndmask_b32_e64 v145, 0, v147, s[38:39]
	v_cndmask_b32_e64 v144, 0, v146, s[36:37]
	v_add_f64 v[146:147], v[144:145], 1.0
	v_add_f64 v[148:149], v[146:147], -1.0
	v_add_f64 v[150:151], v[148:149], -v[146:147]
	v_add_f64 v[150:151], v[150:151], 1.0
	v_add_f64 v[148:149], v[144:145], -v[148:149]
	s_mov_b32 s36, 0x55555555
	v_add_f64 v[148:149], v[148:149], v[150:151]
	v_frexp_mant_f64_e32 v[150:151], v[146:147]
	s_mov_b32 s37, 0x3fe55555
	v_frexp_exp_i32_f64_e32 v160, v[146:147]
	v_cmp_gt_f64_e64 s[36:37], s[36:37], v[150:151]
	s_mov_b32 s53, 0x3c7abc9e
	s_nop 0
	v_subbrev_co_u32_e64 v182, s[36:37], 0, v160, s[36:37]
	v_sub_u32_e32 v150, 0, v182
	v_ldexp_f64 v[146:147], v[146:147], v150
	v_ldexp_f64 v[148:149], v[148:149], v150
	v_add_f64 v[150:151], v[146:147], -1.0
	v_add_f64 v[164:165], v[146:147], 1.0
	v_add_f64 v[160:161], v[150:151], 1.0
	v_add_f64 v[166:167], v[164:165], -1.0
	v_add_f64 v[160:161], v[146:147], -v[160:161]
	v_add_f64 v[146:147], v[146:147], -v[166:167]
	v_add_f64 v[146:147], v[148:149], v[146:147]
	v_add_f64 v[160:161], v[148:149], v[160:161]
	;; [unrolled: 1-line block ×3, first 2 shown]
	v_rcp_f64_e32 v[166:167], v[148:149]
	v_add_f64 v[162:163], v[150:151], v[160:161]
	v_add_f64 v[150:151], v[162:163], -v[150:151]
	v_add_f64 v[150:151], v[160:161], -v[150:151]
	;; [unrolled: 1-line block ×4, first 2 shown]
	v_fma_f64 v[160:161], -v[148:149], v[166:167], 1.0
	v_fmac_f64_e32 v[166:167], v[160:161], v[166:167]
	v_fma_f64 v[160:161], -v[148:149], v[166:167], 1.0
	v_fmac_f64_e32 v[166:167], v[160:161], v[166:167]
	v_mul_f64 v[160:161], v[162:163], v[166:167]
	v_mul_f64 v[164:165], v[148:149], v[160:161]
	v_fma_f64 v[176:177], v[160:161], v[148:149], -v[164:165]
	v_fmac_f64_e32 v[176:177], v[160:161], v[146:147]
	v_add_f64 v[178:179], v[164:165], v[176:177]
	v_add_f64 v[180:181], v[162:163], -v[178:179]
	v_add_f64 v[162:163], v[162:163], -v[180:181]
	;; [unrolled: 1-line block ×4, first 2 shown]
	v_add_f64 v[150:151], v[150:151], v[162:163]
	v_add_f64 v[162:163], v[164:165], -v[176:177]
	v_add_f64 v[150:151], v[162:163], v[150:151]
	v_add_f64 v[162:163], v[180:181], v[150:151]
	v_add_f64 v[164:165], v[180:181], -v[162:163]
	v_add_f64 v[150:151], v[150:151], v[164:165]
	v_mul_f64 v[164:165], v[166:167], v[162:163]
	v_mul_f64 v[176:177], v[148:149], v[164:165]
	v_fma_f64 v[148:149], v[164:165], v[148:149], -v[176:177]
	v_fmac_f64_e32 v[148:149], v[164:165], v[146:147]
	v_add_f64 v[146:147], v[176:177], v[148:149]
	v_add_f64 v[178:179], v[162:163], -v[146:147]
	v_add_f64 v[162:163], v[162:163], -v[178:179]
	;; [unrolled: 1-line block ×4, first 2 shown]
	v_add_f64 v[146:147], v[150:151], v[146:147]
	v_add_f64 v[148:149], v[176:177], -v[148:149]
	v_add_f64 v[146:147], v[148:149], v[146:147]
	v_add_f64 v[148:149], v[160:161], v[164:165]
	;; [unrolled: 1-line block ×3, first 2 shown]
	v_add_f64 v[150:151], v[148:149], -v[160:161]
	v_mul_f64 v[146:147], v[166:167], v[146:147]
	v_add_f64 v[150:151], v[164:165], -v[150:151]
	v_add_f64 v[146:147], v[150:151], v[146:147]
	v_add_f64 v[150:151], v[148:149], v[146:147]
	v_add_f64 v[148:149], v[150:151], -v[148:149]
	s_mov_b32 s36, 0xbf559e2b
	v_add_f64 v[146:147], v[146:147], -v[148:149]
	v_mul_f64 v[148:149], v[150:151], v[150:151]
	v_mov_b32_e32 v160, 0x6b47b09a
	v_mov_b32_e32 v161, 0x3fc38538
	s_mov_b32 s37, 0x3fc3ab76
	v_fmac_f64_e32 v[160:161], s[36:37], v[148:149]
	v_mov_b32_e32 v162, 0xd7f4df2e
	v_mov_b32_e32 v163, 0x3fc7474d
	v_fmac_f64_e32 v[162:163], v[148:149], v[160:161]
	v_mov_b32_e32 v160, 0x16291751
	v_mov_b32_e32 v161, 0x3fcc71c0
	;; [unrolled: 3-line block ×5, first 2 shown]
	v_fmac_f64_e32 v[162:163], v[148:149], v[160:161]
	v_cvt_f64_i32_e32 v[160:161], v182
	v_mul_f64 v[164:165], v[160:161], s[50:51]
	v_fma_f64 v[166:167], v[160:161], s[50:51], -v[164:165]
	v_fmac_f64_e32 v[166:167], s[52:53], v[160:161]
	v_add_f64 v[160:161], v[164:165], v[166:167]
	v_add_f64 v[164:165], v[160:161], -v[164:165]
	v_mul_f64 v[148:149], v[150:151], v[148:149]
	v_add_f64 v[164:165], v[166:167], -v[164:165]
	v_ldexp_f64 v[166:167], v[150:151], 1
	v_mul_f64 v[148:149], v[148:149], v[162:163]
	v_add_f64 v[150:151], v[166:167], v[148:149]
	v_add_f64 v[162:163], v[150:151], -v[166:167]
	v_ldexp_f64 v[146:147], v[146:147], 1
	v_add_f64 v[148:149], v[148:149], -v[162:163]
	v_add_f64 v[146:147], v[146:147], v[148:149]
	v_add_f64 v[148:149], v[150:151], v[146:147]
	v_add_f64 v[150:151], v[148:149], -v[150:151]
	v_add_f64 v[146:147], v[146:147], -v[150:151]
	v_add_f64 v[150:151], v[160:161], v[148:149]
	v_add_f64 v[162:163], v[150:151], -v[160:161]
	v_add_f64 v[166:167], v[150:151], -v[162:163]
	;; [unrolled: 1-line block ×4, first 2 shown]
	v_add_f64 v[148:149], v[148:149], v[160:161]
	v_add_f64 v[160:161], v[164:165], v[146:147]
	v_add_f64 v[162:163], v[160:161], -v[164:165]
	v_add_f64 v[148:149], v[160:161], v[148:149]
	v_add_f64 v[166:167], v[160:161], -v[162:163]
	;; [unrolled: 2-line block ×3, first 2 shown]
	v_add_f64 v[146:147], v[146:147], -v[162:163]
	v_add_f64 v[150:151], v[160:161], -v[150:151]
	v_add_f64 v[146:147], v[146:147], v[164:165]
	v_add_f64 v[148:149], v[148:149], -v[150:151]
	s_mov_b32 s36, 0
	v_add_f64 v[146:147], v[146:147], v[148:149]
	s_mov_b32 s37, 0x7ff00000
	v_add_f64 v[146:147], v[160:161], v[146:147]
	v_cmp_eq_f64_e64 s[36:37], s[36:37], v[144:145]
	v_mov_b32_e32 v148, 0x7ff80000
	s_nop 0
	v_cndmask_b32_e64 v146, v146, v144, s[36:37]
	v_cndmask_b32_e64 v147, v147, v145, s[36:37]
	v_cmp_ngt_f64_e64 s[36:37], -1.0, v[144:145]
	s_nop 1
	v_cndmask_b32_e64 v147, v148, v147, s[36:37]
	v_cmp_nge_f64_e64 s[36:37], -1.0, v[144:145]
	v_mov_b32_e32 v148, 0xfff00000
	s_nop 0
	v_cndmask_b32_e64 v146, 0, v146, s[36:37]
	v_cmp_neq_f64_e64 s[36:37], -1.0, v[144:145]
	s_nop 1
	v_cndmask_b32_e64 v147, v148, v147, s[36:37]
	v_add_f64 v[144:145], v[6:7], v[146:147]
.LBB2_85:
	s_or_b64 exec, exec, s[48:49]
	v_mov_b64_e32 v[6:7], v[144:145]
	v_mov_b32_e32 v146, v144
	v_mov_b32_e32 v147, v145
.LBB2_86:
	s_or_b64 exec, exec, s[44:45]
	v_and_b32_e32 v148, 16, v71
	v_mov_b32_dpp v144, v146 row_bcast:15 row_mask:0xf bank_mask:0xf
	v_mov_b32_dpp v145, v147 row_bcast:15 row_mask:0xf bank_mask:0xf
	v_cmp_ne_u32_e64 s[36:37], 0, v148
	s_and_saveexec_b64 s[44:45], s[36:37]
	s_cbranch_execz .LBB2_90
; %bb.87:
	v_max_f64 v[148:149], v[144:145], v[144:145]
	v_max_f64 v[150:151], v[6:7], v[6:7]
	v_min_f64 v[146:147], v[148:149], v[150:151]
	v_cmp_u_f64_e64 s[36:37], v[144:145], v[144:145]
	v_max_f64 v[148:149], v[148:149], v[150:151]
	v_cmp_u_f64_e64 s[38:39], v[6:7], v[6:7]
	v_cndmask_b32_e64 v146, v146, v144, s[36:37]
	v_cndmask_b32_e64 v147, v147, v145, s[36:37]
	;; [unrolled: 1-line block ×8, first 2 shown]
	v_cmp_neq_f64_e64 s[36:37], v[146:147], v[6:7]
	v_cmp_class_f64_e64 s[38:39], v[146:147], s13
	s_or_b64 s[36:37], s[36:37], s[38:39]
	s_and_saveexec_b64 s[48:49], s[36:37]
	s_cbranch_execz .LBB2_89
; %bb.88:
	s_mov_b32 s36, 0x652b82fe
	v_add_f64 v[144:145], v[146:147], -v[6:7]
	s_mov_b32 s37, 0x3ff71547
	v_mul_f64 v[146:147], v[144:145], s[36:37]
	v_rndne_f64_e32 v[146:147], v[146:147]
	s_mov_b32 s51, 0xbfe62e42
	s_mov_b32 s50, 0xfefa39ef
	v_fma_f64 v[148:149], s[50:51], v[146:147], v[144:145]
	s_mov_b32 s53, 0xbc7abc9e
	s_mov_b32 s52, 0x3b39803f
	;; [unrolled: 1-line block ×3, first 2 shown]
	v_fmac_f64_e32 v[148:149], s[52:53], v[146:147]
	v_mov_b32_e32 v150, 0xfca7ab0c
	v_mov_b32_e32 v151, 0x3e928af3
	s_mov_b32 s37, 0x3e5ade15
	v_fmac_f64_e32 v[150:151], s[36:37], v[148:149]
	v_mov_b32_e32 v160, 0x623fde64
	v_mov_b32_e32 v161, 0x3ec71dee
	v_fmac_f64_e32 v[160:161], v[148:149], v[150:151]
	v_mov_b32_e32 v150, 0x7c89e6b0
	v_mov_b32_e32 v151, 0x3efa0199
	v_fmac_f64_e32 v[150:151], v[148:149], v[160:161]
	v_mov_b32_e32 v160, 0x14761f6e
	v_mov_b32_e32 v161, 0x3f2a01a0
	v_fmac_f64_e32 v[160:161], v[148:149], v[150:151]
	v_mov_b32_e32 v150, 0x1852b7b0
	v_mov_b32_e32 v151, 0x3f56c16c
	v_fmac_f64_e32 v[150:151], v[148:149], v[160:161]
	v_mov_b32_e32 v160, 0x11122322
	v_mov_b32_e32 v161, 0x3f811111
	v_fmac_f64_e32 v[160:161], v[148:149], v[150:151]
	v_mov_b32_e32 v150, 0x555502a1
	v_mov_b32_e32 v151, 0x3fa55555
	v_fmac_f64_e32 v[150:151], v[148:149], v[160:161]
	v_mov_b32_e32 v160, 0x55555511
	v_mov_b32_e32 v161, 0x3fc55555
	v_fmac_f64_e32 v[160:161], v[148:149], v[150:151]
	v_mov_b32_e32 v150, 11
	v_mov_b32_e32 v151, 0x3fe00000
	v_fmac_f64_e32 v[150:151], v[148:149], v[160:161]
	v_fma_f64 v[150:151], v[148:149], v[150:151], 1.0
	s_mov_b32 s36, 0
	s_mov_b32 s38, 0
	v_fma_f64 v[148:149], v[148:149], v[150:151], 1.0
	v_cvt_i32_f64_e32 v146, v[146:147]
	s_mov_b32 s37, 0x40900000
	s_mov_b32 s39, 0xc090cc00
	v_ldexp_f64 v[146:147], v[148:149], v146
	v_mov_b32_e32 v148, 0x7ff00000
	v_cmp_nlt_f64_e64 s[36:37], s[36:37], v[144:145]
	v_cmp_ngt_f64_e64 s[38:39], s[38:39], v[144:145]
	s_mov_b32 s51, 0x3fe62e42
	v_cndmask_b32_e64 v147, v148, v147, s[36:37]
	s_and_b64 s[36:37], s[38:39], s[36:37]
	v_cndmask_b32_e64 v145, 0, v147, s[38:39]
	v_cndmask_b32_e64 v144, 0, v146, s[36:37]
	v_add_f64 v[146:147], v[144:145], 1.0
	v_add_f64 v[148:149], v[146:147], -1.0
	v_add_f64 v[150:151], v[148:149], -v[146:147]
	v_add_f64 v[150:151], v[150:151], 1.0
	v_add_f64 v[148:149], v[144:145], -v[148:149]
	s_mov_b32 s36, 0x55555555
	v_add_f64 v[148:149], v[148:149], v[150:151]
	v_frexp_mant_f64_e32 v[150:151], v[146:147]
	s_mov_b32 s37, 0x3fe55555
	v_frexp_exp_i32_f64_e32 v160, v[146:147]
	v_cmp_gt_f64_e64 s[36:37], s[36:37], v[150:151]
	s_mov_b32 s53, 0x3c7abc9e
	s_nop 0
	v_subbrev_co_u32_e64 v182, s[36:37], 0, v160, s[36:37]
	v_sub_u32_e32 v150, 0, v182
	v_ldexp_f64 v[146:147], v[146:147], v150
	v_ldexp_f64 v[148:149], v[148:149], v150
	v_add_f64 v[150:151], v[146:147], -1.0
	v_add_f64 v[164:165], v[146:147], 1.0
	v_add_f64 v[160:161], v[150:151], 1.0
	v_add_f64 v[166:167], v[164:165], -1.0
	v_add_f64 v[160:161], v[146:147], -v[160:161]
	v_add_f64 v[146:147], v[146:147], -v[166:167]
	v_add_f64 v[146:147], v[148:149], v[146:147]
	v_add_f64 v[160:161], v[148:149], v[160:161]
	;; [unrolled: 1-line block ×3, first 2 shown]
	v_rcp_f64_e32 v[166:167], v[148:149]
	v_add_f64 v[162:163], v[150:151], v[160:161]
	v_add_f64 v[150:151], v[162:163], -v[150:151]
	v_add_f64 v[150:151], v[160:161], -v[150:151]
	;; [unrolled: 1-line block ×4, first 2 shown]
	v_fma_f64 v[160:161], -v[148:149], v[166:167], 1.0
	v_fmac_f64_e32 v[166:167], v[160:161], v[166:167]
	v_fma_f64 v[160:161], -v[148:149], v[166:167], 1.0
	v_fmac_f64_e32 v[166:167], v[160:161], v[166:167]
	v_mul_f64 v[160:161], v[162:163], v[166:167]
	v_mul_f64 v[164:165], v[148:149], v[160:161]
	v_fma_f64 v[176:177], v[160:161], v[148:149], -v[164:165]
	v_fmac_f64_e32 v[176:177], v[160:161], v[146:147]
	v_add_f64 v[178:179], v[164:165], v[176:177]
	v_add_f64 v[180:181], v[162:163], -v[178:179]
	v_add_f64 v[162:163], v[162:163], -v[180:181]
	;; [unrolled: 1-line block ×4, first 2 shown]
	v_add_f64 v[150:151], v[150:151], v[162:163]
	v_add_f64 v[162:163], v[164:165], -v[176:177]
	v_add_f64 v[150:151], v[162:163], v[150:151]
	v_add_f64 v[162:163], v[180:181], v[150:151]
	v_add_f64 v[164:165], v[180:181], -v[162:163]
	v_add_f64 v[150:151], v[150:151], v[164:165]
	v_mul_f64 v[164:165], v[166:167], v[162:163]
	v_mul_f64 v[176:177], v[148:149], v[164:165]
	v_fma_f64 v[148:149], v[164:165], v[148:149], -v[176:177]
	v_fmac_f64_e32 v[148:149], v[164:165], v[146:147]
	v_add_f64 v[146:147], v[176:177], v[148:149]
	v_add_f64 v[178:179], v[162:163], -v[146:147]
	v_add_f64 v[162:163], v[162:163], -v[178:179]
	;; [unrolled: 1-line block ×4, first 2 shown]
	v_add_f64 v[146:147], v[150:151], v[146:147]
	v_add_f64 v[148:149], v[176:177], -v[148:149]
	v_add_f64 v[146:147], v[148:149], v[146:147]
	v_add_f64 v[148:149], v[160:161], v[164:165]
	;; [unrolled: 1-line block ×3, first 2 shown]
	v_add_f64 v[150:151], v[148:149], -v[160:161]
	v_mul_f64 v[146:147], v[166:167], v[146:147]
	v_add_f64 v[150:151], v[164:165], -v[150:151]
	v_add_f64 v[146:147], v[150:151], v[146:147]
	v_add_f64 v[150:151], v[148:149], v[146:147]
	v_add_f64 v[148:149], v[150:151], -v[148:149]
	s_mov_b32 s36, 0xbf559e2b
	v_add_f64 v[146:147], v[146:147], -v[148:149]
	v_mul_f64 v[148:149], v[150:151], v[150:151]
	v_mov_b32_e32 v160, 0x6b47b09a
	v_mov_b32_e32 v161, 0x3fc38538
	s_mov_b32 s37, 0x3fc3ab76
	v_fmac_f64_e32 v[160:161], s[36:37], v[148:149]
	v_mov_b32_e32 v162, 0xd7f4df2e
	v_mov_b32_e32 v163, 0x3fc7474d
	v_fmac_f64_e32 v[162:163], v[148:149], v[160:161]
	v_mov_b32_e32 v160, 0x16291751
	v_mov_b32_e32 v161, 0x3fcc71c0
	v_fmac_f64_e32 v[160:161], v[148:149], v[162:163]
	v_mov_b32_e32 v162, 0x9b27acf1
	v_mov_b32_e32 v163, 0x3fd24924
	v_fmac_f64_e32 v[162:163], v[148:149], v[160:161]
	v_mov_b32_e32 v160, 0x998ef7b6
	v_mov_b32_e32 v161, 0x3fd99999
	v_fmac_f64_e32 v[160:161], v[148:149], v[162:163]
	v_mov_b32_e32 v162, 0x55555780
	v_mov_b32_e32 v163, 0x3fe55555
	v_fmac_f64_e32 v[162:163], v[148:149], v[160:161]
	v_cvt_f64_i32_e32 v[160:161], v182
	v_mul_f64 v[164:165], v[160:161], s[50:51]
	v_fma_f64 v[166:167], v[160:161], s[50:51], -v[164:165]
	v_fmac_f64_e32 v[166:167], s[52:53], v[160:161]
	v_add_f64 v[160:161], v[164:165], v[166:167]
	v_add_f64 v[164:165], v[160:161], -v[164:165]
	v_mul_f64 v[148:149], v[150:151], v[148:149]
	v_add_f64 v[164:165], v[166:167], -v[164:165]
	v_ldexp_f64 v[166:167], v[150:151], 1
	v_mul_f64 v[148:149], v[148:149], v[162:163]
	v_add_f64 v[150:151], v[166:167], v[148:149]
	v_add_f64 v[162:163], v[150:151], -v[166:167]
	v_ldexp_f64 v[146:147], v[146:147], 1
	v_add_f64 v[148:149], v[148:149], -v[162:163]
	v_add_f64 v[146:147], v[146:147], v[148:149]
	v_add_f64 v[148:149], v[150:151], v[146:147]
	v_add_f64 v[150:151], v[148:149], -v[150:151]
	v_add_f64 v[146:147], v[146:147], -v[150:151]
	v_add_f64 v[150:151], v[160:161], v[148:149]
	v_add_f64 v[162:163], v[150:151], -v[160:161]
	v_add_f64 v[166:167], v[150:151], -v[162:163]
	;; [unrolled: 1-line block ×4, first 2 shown]
	v_add_f64 v[148:149], v[148:149], v[160:161]
	v_add_f64 v[160:161], v[164:165], v[146:147]
	v_add_f64 v[162:163], v[160:161], -v[164:165]
	v_add_f64 v[148:149], v[160:161], v[148:149]
	v_add_f64 v[166:167], v[160:161], -v[162:163]
	;; [unrolled: 2-line block ×3, first 2 shown]
	v_add_f64 v[146:147], v[146:147], -v[162:163]
	v_add_f64 v[150:151], v[160:161], -v[150:151]
	v_add_f64 v[146:147], v[146:147], v[164:165]
	v_add_f64 v[148:149], v[148:149], -v[150:151]
	s_mov_b32 s36, 0
	v_add_f64 v[146:147], v[146:147], v[148:149]
	s_mov_b32 s37, 0x7ff00000
	v_add_f64 v[146:147], v[160:161], v[146:147]
	v_cmp_eq_f64_e64 s[36:37], s[36:37], v[144:145]
	v_mov_b32_e32 v148, 0x7ff80000
	s_nop 0
	v_cndmask_b32_e64 v146, v146, v144, s[36:37]
	v_cndmask_b32_e64 v147, v147, v145, s[36:37]
	v_cmp_ngt_f64_e64 s[36:37], -1.0, v[144:145]
	s_nop 1
	v_cndmask_b32_e64 v147, v148, v147, s[36:37]
	v_cmp_nge_f64_e64 s[36:37], -1.0, v[144:145]
	v_mov_b32_e32 v148, 0xfff00000
	s_nop 0
	v_cndmask_b32_e64 v146, 0, v146, s[36:37]
	v_cmp_neq_f64_e64 s[36:37], -1.0, v[144:145]
	s_nop 1
	v_cndmask_b32_e64 v147, v148, v147, s[36:37]
	v_add_f64 v[144:145], v[6:7], v[146:147]
.LBB2_89:
	s_or_b64 exec, exec, s[48:49]
	v_mov_b32_e32 v146, v144
	v_mov_b32_e32 v147, v145
	v_mov_b64_e32 v[6:7], v[144:145]
.LBB2_90:
	s_or_b64 exec, exec, s[44:45]
	v_mov_b32_dpp v144, v146 row_bcast:31 row_mask:0xf bank_mask:0xf
	v_mov_b32_dpp v145, v147 row_bcast:31 row_mask:0xf bank_mask:0xf
	v_cmp_lt_u32_e64 s[36:37], 31, v71
	s_and_saveexec_b64 s[44:45], s[36:37]
	s_cbranch_execz .LBB2_94
; %bb.91:
	v_max_f64 v[148:149], v[144:145], v[144:145]
	v_max_f64 v[150:151], v[6:7], v[6:7]
	v_min_f64 v[146:147], v[148:149], v[150:151]
	v_cmp_u_f64_e64 s[36:37], v[144:145], v[144:145]
	v_max_f64 v[148:149], v[148:149], v[150:151]
	v_cmp_u_f64_e64 s[38:39], v[6:7], v[6:7]
	v_cndmask_b32_e64 v146, v146, v144, s[36:37]
	v_cndmask_b32_e64 v147, v147, v145, s[36:37]
	;; [unrolled: 1-line block ×8, first 2 shown]
	v_cmp_neq_f64_e64 s[36:37], v[146:147], v[6:7]
	v_cmp_class_f64_e64 s[38:39], v[146:147], s13
	s_or_b64 s[36:37], s[36:37], s[38:39]
	s_and_saveexec_b64 s[48:49], s[36:37]
	s_cbranch_execz .LBB2_93
; %bb.92:
	s_mov_b32 s36, 0x652b82fe
	v_add_f64 v[144:145], v[146:147], -v[6:7]
	s_mov_b32 s37, 0x3ff71547
	v_mul_f64 v[146:147], v[144:145], s[36:37]
	v_rndne_f64_e32 v[146:147], v[146:147]
	s_mov_b32 s51, 0xbfe62e42
	s_mov_b32 s50, 0xfefa39ef
	v_fma_f64 v[148:149], s[50:51], v[146:147], v[144:145]
	s_mov_b32 s53, 0xbc7abc9e
	s_mov_b32 s52, 0x3b39803f
	;; [unrolled: 1-line block ×3, first 2 shown]
	v_fmac_f64_e32 v[148:149], s[52:53], v[146:147]
	v_mov_b32_e32 v150, 0xfca7ab0c
	v_mov_b32_e32 v151, 0x3e928af3
	s_mov_b32 s37, 0x3e5ade15
	v_fmac_f64_e32 v[150:151], s[36:37], v[148:149]
	v_mov_b32_e32 v160, 0x623fde64
	v_mov_b32_e32 v161, 0x3ec71dee
	v_fmac_f64_e32 v[160:161], v[148:149], v[150:151]
	v_mov_b32_e32 v150, 0x7c89e6b0
	v_mov_b32_e32 v151, 0x3efa0199
	;; [unrolled: 3-line block ×8, first 2 shown]
	v_fmac_f64_e32 v[150:151], v[148:149], v[160:161]
	v_fma_f64 v[150:151], v[148:149], v[150:151], 1.0
	s_mov_b32 s36, 0
	s_mov_b32 s38, 0
	v_fma_f64 v[148:149], v[148:149], v[150:151], 1.0
	v_cvt_i32_f64_e32 v146, v[146:147]
	s_mov_b32 s37, 0x40900000
	s_mov_b32 s39, 0xc090cc00
	v_ldexp_f64 v[146:147], v[148:149], v146
	v_mov_b32_e32 v148, 0x7ff00000
	v_cmp_nlt_f64_e64 s[36:37], s[36:37], v[144:145]
	v_cmp_ngt_f64_e64 s[38:39], s[38:39], v[144:145]
	s_mov_b32 s51, 0x3fe62e42
	v_cndmask_b32_e64 v147, v148, v147, s[36:37]
	s_and_b64 s[36:37], s[38:39], s[36:37]
	v_cndmask_b32_e64 v145, 0, v147, s[38:39]
	v_cndmask_b32_e64 v144, 0, v146, s[36:37]
	v_add_f64 v[146:147], v[144:145], 1.0
	v_add_f64 v[148:149], v[146:147], -1.0
	v_add_f64 v[150:151], v[148:149], -v[146:147]
	v_add_f64 v[150:151], v[150:151], 1.0
	v_add_f64 v[148:149], v[144:145], -v[148:149]
	s_mov_b32 s36, 0x55555555
	v_add_f64 v[148:149], v[148:149], v[150:151]
	v_frexp_mant_f64_e32 v[150:151], v[146:147]
	s_mov_b32 s37, 0x3fe55555
	v_frexp_exp_i32_f64_e32 v160, v[146:147]
	v_cmp_gt_f64_e64 s[36:37], s[36:37], v[150:151]
	s_mov_b32 s53, 0x3c7abc9e
	s_nop 0
	v_subbrev_co_u32_e64 v182, s[36:37], 0, v160, s[36:37]
	v_sub_u32_e32 v150, 0, v182
	v_ldexp_f64 v[146:147], v[146:147], v150
	v_ldexp_f64 v[148:149], v[148:149], v150
	v_add_f64 v[150:151], v[146:147], -1.0
	v_add_f64 v[164:165], v[146:147], 1.0
	v_add_f64 v[160:161], v[150:151], 1.0
	v_add_f64 v[166:167], v[164:165], -1.0
	v_add_f64 v[160:161], v[146:147], -v[160:161]
	v_add_f64 v[146:147], v[146:147], -v[166:167]
	v_add_f64 v[146:147], v[148:149], v[146:147]
	v_add_f64 v[160:161], v[148:149], v[160:161]
	;; [unrolled: 1-line block ×3, first 2 shown]
	v_rcp_f64_e32 v[166:167], v[148:149]
	v_add_f64 v[162:163], v[150:151], v[160:161]
	v_add_f64 v[150:151], v[162:163], -v[150:151]
	v_add_f64 v[150:151], v[160:161], -v[150:151]
	v_add_f64 v[160:161], v[148:149], -v[164:165]
	v_add_f64 v[146:147], v[146:147], -v[160:161]
	v_fma_f64 v[160:161], -v[148:149], v[166:167], 1.0
	v_fmac_f64_e32 v[166:167], v[160:161], v[166:167]
	v_fma_f64 v[160:161], -v[148:149], v[166:167], 1.0
	v_fmac_f64_e32 v[166:167], v[160:161], v[166:167]
	v_mul_f64 v[160:161], v[162:163], v[166:167]
	v_mul_f64 v[164:165], v[148:149], v[160:161]
	v_fma_f64 v[176:177], v[160:161], v[148:149], -v[164:165]
	v_fmac_f64_e32 v[176:177], v[160:161], v[146:147]
	v_add_f64 v[178:179], v[164:165], v[176:177]
	v_add_f64 v[180:181], v[162:163], -v[178:179]
	v_add_f64 v[162:163], v[162:163], -v[180:181]
	;; [unrolled: 1-line block ×4, first 2 shown]
	v_add_f64 v[150:151], v[150:151], v[162:163]
	v_add_f64 v[162:163], v[164:165], -v[176:177]
	v_add_f64 v[150:151], v[162:163], v[150:151]
	v_add_f64 v[162:163], v[180:181], v[150:151]
	v_add_f64 v[164:165], v[180:181], -v[162:163]
	v_add_f64 v[150:151], v[150:151], v[164:165]
	v_mul_f64 v[164:165], v[166:167], v[162:163]
	v_mul_f64 v[176:177], v[148:149], v[164:165]
	v_fma_f64 v[148:149], v[164:165], v[148:149], -v[176:177]
	v_fmac_f64_e32 v[148:149], v[164:165], v[146:147]
	v_add_f64 v[146:147], v[176:177], v[148:149]
	v_add_f64 v[178:179], v[162:163], -v[146:147]
	v_add_f64 v[162:163], v[162:163], -v[178:179]
	;; [unrolled: 1-line block ×4, first 2 shown]
	v_add_f64 v[146:147], v[150:151], v[146:147]
	v_add_f64 v[148:149], v[176:177], -v[148:149]
	v_add_f64 v[146:147], v[148:149], v[146:147]
	v_add_f64 v[148:149], v[160:161], v[164:165]
	;; [unrolled: 1-line block ×3, first 2 shown]
	v_add_f64 v[150:151], v[148:149], -v[160:161]
	v_mul_f64 v[146:147], v[166:167], v[146:147]
	v_add_f64 v[150:151], v[164:165], -v[150:151]
	v_add_f64 v[146:147], v[150:151], v[146:147]
	v_add_f64 v[150:151], v[148:149], v[146:147]
	v_add_f64 v[148:149], v[150:151], -v[148:149]
	s_mov_b32 s36, 0xbf559e2b
	v_add_f64 v[146:147], v[146:147], -v[148:149]
	v_mul_f64 v[148:149], v[150:151], v[150:151]
	v_mov_b32_e32 v160, 0x6b47b09a
	v_mov_b32_e32 v161, 0x3fc38538
	s_mov_b32 s37, 0x3fc3ab76
	v_fmac_f64_e32 v[160:161], s[36:37], v[148:149]
	v_mov_b32_e32 v162, 0xd7f4df2e
	v_mov_b32_e32 v163, 0x3fc7474d
	v_fmac_f64_e32 v[162:163], v[148:149], v[160:161]
	v_mov_b32_e32 v160, 0x16291751
	v_mov_b32_e32 v161, 0x3fcc71c0
	;; [unrolled: 3-line block ×5, first 2 shown]
	v_fmac_f64_e32 v[162:163], v[148:149], v[160:161]
	v_cvt_f64_i32_e32 v[160:161], v182
	v_mul_f64 v[164:165], v[160:161], s[50:51]
	v_fma_f64 v[166:167], v[160:161], s[50:51], -v[164:165]
	v_fmac_f64_e32 v[166:167], s[52:53], v[160:161]
	v_add_f64 v[160:161], v[164:165], v[166:167]
	v_add_f64 v[164:165], v[160:161], -v[164:165]
	v_mul_f64 v[148:149], v[150:151], v[148:149]
	v_add_f64 v[164:165], v[166:167], -v[164:165]
	v_ldexp_f64 v[166:167], v[150:151], 1
	v_mul_f64 v[148:149], v[148:149], v[162:163]
	v_add_f64 v[150:151], v[166:167], v[148:149]
	v_add_f64 v[162:163], v[150:151], -v[166:167]
	v_ldexp_f64 v[146:147], v[146:147], 1
	v_add_f64 v[148:149], v[148:149], -v[162:163]
	v_add_f64 v[146:147], v[146:147], v[148:149]
	v_add_f64 v[148:149], v[150:151], v[146:147]
	v_add_f64 v[150:151], v[148:149], -v[150:151]
	v_add_f64 v[146:147], v[146:147], -v[150:151]
	v_add_f64 v[150:151], v[160:161], v[148:149]
	v_add_f64 v[162:163], v[150:151], -v[160:161]
	v_add_f64 v[166:167], v[150:151], -v[162:163]
	;; [unrolled: 1-line block ×4, first 2 shown]
	v_add_f64 v[148:149], v[148:149], v[160:161]
	v_add_f64 v[160:161], v[164:165], v[146:147]
	v_add_f64 v[162:163], v[160:161], -v[164:165]
	v_add_f64 v[148:149], v[160:161], v[148:149]
	v_add_f64 v[166:167], v[160:161], -v[162:163]
	;; [unrolled: 2-line block ×3, first 2 shown]
	v_add_f64 v[146:147], v[146:147], -v[162:163]
	v_add_f64 v[150:151], v[160:161], -v[150:151]
	v_add_f64 v[146:147], v[146:147], v[164:165]
	v_add_f64 v[148:149], v[148:149], -v[150:151]
	s_mov_b32 s36, 0
	v_add_f64 v[146:147], v[146:147], v[148:149]
	s_mov_b32 s37, 0x7ff00000
	v_add_f64 v[146:147], v[160:161], v[146:147]
	v_cmp_eq_f64_e64 s[36:37], s[36:37], v[144:145]
	v_mov_b32_e32 v148, 0x7ff80000
	s_nop 0
	v_cndmask_b32_e64 v146, v146, v144, s[36:37]
	v_cndmask_b32_e64 v147, v147, v145, s[36:37]
	v_cmp_ngt_f64_e64 s[36:37], -1.0, v[144:145]
	s_nop 1
	v_cndmask_b32_e64 v147, v148, v147, s[36:37]
	v_cmp_nge_f64_e64 s[36:37], -1.0, v[144:145]
	v_mov_b32_e32 v148, 0xfff00000
	s_nop 0
	v_cndmask_b32_e64 v146, 0, v146, s[36:37]
	v_cmp_neq_f64_e64 s[36:37], -1.0, v[144:145]
	s_nop 1
	v_cndmask_b32_e64 v147, v148, v147, s[36:37]
	v_add_f64 v[144:145], v[6:7], v[146:147]
.LBB2_93:
	s_or_b64 exec, exec, s[48:49]
	v_mov_b64_e32 v[6:7], v[144:145]
.LBB2_94:
	s_or_b64 exec, exec, s[44:45]
	v_add_u32_e32 v144, -1, v71
	v_and_b32_e32 v145, 64, v71
	v_cmp_lt_i32_e64 s[36:37], v144, v145
	s_nop 1
	v_cndmask_b32_e64 v71, v144, v71, s[36:37]
	v_lshlrev_b32_e32 v71, 2, v71
	ds_bpermute_b32 v6, v71, v6
	ds_bpermute_b32 v7, v71, v7
	s_waitcnt lgkmcnt(0)
	v_max_f64 v[146:147], v[6:7], v[6:7]
	v_min_f64 v[144:145], v[146:147], v[8:9]
	v_cmp_u_f64_e64 s[36:37], v[6:7], v[6:7]
	v_max_f64 v[8:9], v[146:147], v[8:9]
	s_nop 0
	v_cndmask_b32_e64 v71, v144, v6, s[36:37]
	v_cndmask_b32_e64 v144, v145, v7, s[36:37]
	v_cndmask_b32_e64 v8, v8, v6, s[36:37]
	v_cndmask_b32_e64 v9, v9, v7, s[36:37]
	v_cndmask_b32_e64 v145, v144, v5, s[34:35]
	v_cndmask_b32_e64 v144, v71, v4, s[34:35]
	v_cndmask_b32_e64 v5, v9, v5, s[34:35]
	v_cndmask_b32_e64 v4, v8, v4, s[34:35]
	v_cmp_neq_f64_e64 s[34:35], v[144:145], v[4:5]
	v_cmp_class_f64_e64 s[36:37], v[144:145], s13
	s_or_b64 s[34:35], s[34:35], s[36:37]
	s_and_saveexec_b64 s[38:39], s[34:35]
	s_cbranch_execz .LBB2_96
; %bb.95:
	s_mov_b32 s34, 0x652b82fe
	v_add_f64 v[6:7], v[144:145], -v[4:5]
	s_mov_b32 s35, 0x3ff71547
	v_mul_f64 v[8:9], v[6:7], s[34:35]
	v_rndne_f64_e32 v[8:9], v[8:9]
	s_mov_b32 s45, 0xbfe62e42
	s_mov_b32 s44, 0xfefa39ef
	v_fma_f64 v[144:145], s[44:45], v[8:9], v[6:7]
	s_mov_b32 s49, 0xbc7abc9e
	s_mov_b32 s48, 0x3b39803f
	;; [unrolled: 1-line block ×3, first 2 shown]
	v_fmac_f64_e32 v[144:145], s[48:49], v[8:9]
	v_mov_b32_e32 v146, 0xfca7ab0c
	v_mov_b32_e32 v147, 0x3e928af3
	s_mov_b32 s35, 0x3e5ade15
	v_fmac_f64_e32 v[146:147], s[34:35], v[144:145]
	v_mov_b32_e32 v148, 0x623fde64
	v_mov_b32_e32 v149, 0x3ec71dee
	v_fmac_f64_e32 v[148:149], v[144:145], v[146:147]
	v_mov_b32_e32 v146, 0x7c89e6b0
	v_mov_b32_e32 v147, 0x3efa0199
	v_fmac_f64_e32 v[146:147], v[144:145], v[148:149]
	v_mov_b32_e32 v148, 0x14761f6e
	v_mov_b32_e32 v149, 0x3f2a01a0
	v_fmac_f64_e32 v[148:149], v[144:145], v[146:147]
	v_mov_b32_e32 v146, 0x1852b7b0
	v_mov_b32_e32 v147, 0x3f56c16c
	v_fmac_f64_e32 v[146:147], v[144:145], v[148:149]
	v_mov_b32_e32 v148, 0x11122322
	v_mov_b32_e32 v149, 0x3f811111
	v_fmac_f64_e32 v[148:149], v[144:145], v[146:147]
	v_mov_b32_e32 v146, 0x555502a1
	v_mov_b32_e32 v147, 0x3fa55555
	v_fmac_f64_e32 v[146:147], v[144:145], v[148:149]
	v_mov_b32_e32 v148, 0x55555511
	v_mov_b32_e32 v149, 0x3fc55555
	v_fmac_f64_e32 v[148:149], v[144:145], v[146:147]
	v_mov_b32_e32 v146, 11
	v_mov_b32_e32 v147, 0x3fe00000
	v_fmac_f64_e32 v[146:147], v[144:145], v[148:149]
	v_fma_f64 v[146:147], v[144:145], v[146:147], 1.0
	s_mov_b32 s34, 0
	s_mov_b32 s36, 0
	v_fma_f64 v[144:145], v[144:145], v[146:147], 1.0
	v_cvt_i32_f64_e32 v8, v[8:9]
	s_mov_b32 s35, 0x40900000
	s_mov_b32 s37, 0xc090cc00
	v_ldexp_f64 v[8:9], v[144:145], v8
	v_mov_b32_e32 v71, 0x7ff00000
	v_cmp_nlt_f64_e64 s[34:35], s[34:35], v[6:7]
	v_cmp_ngt_f64_e64 s[36:37], s[36:37], v[6:7]
	s_mov_b32 s45, 0x3fe62e42
	v_cndmask_b32_e64 v9, v71, v9, s[34:35]
	s_and_b64 s[34:35], s[36:37], s[34:35]
	v_cndmask_b32_e64 v7, 0, v9, s[36:37]
	v_cndmask_b32_e64 v6, 0, v8, s[34:35]
	v_add_f64 v[8:9], v[6:7], 1.0
	v_add_f64 v[144:145], v[8:9], -1.0
	v_add_f64 v[146:147], v[144:145], -v[8:9]
	v_add_f64 v[146:147], v[146:147], 1.0
	v_add_f64 v[144:145], v[6:7], -v[144:145]
	s_mov_b32 s34, 0x55555555
	v_add_f64 v[144:145], v[144:145], v[146:147]
	v_frexp_mant_f64_e32 v[146:147], v[8:9]
	s_mov_b32 s35, 0x3fe55555
	v_frexp_exp_i32_f64_e32 v71, v[8:9]
	v_cmp_gt_f64_e64 s[34:35], s[34:35], v[146:147]
	s_mov_b32 s49, 0x3c7abc9e
	s_nop 0
	v_subbrev_co_u32_e64 v71, s[34:35], 0, v71, s[34:35]
	v_sub_u32_e32 v146, 0, v71
	v_ldexp_f64 v[8:9], v[8:9], v146
	v_ldexp_f64 v[144:145], v[144:145], v146
	v_add_f64 v[146:147], v[8:9], -1.0
	v_add_f64 v[160:161], v[8:9], 1.0
	v_add_f64 v[148:149], v[146:147], 1.0
	v_add_f64 v[162:163], v[160:161], -1.0
	v_add_f64 v[148:149], v[8:9], -v[148:149]
	v_add_f64 v[8:9], v[8:9], -v[162:163]
	v_add_f64 v[8:9], v[144:145], v[8:9]
	v_add_f64 v[148:149], v[144:145], v[148:149]
	;; [unrolled: 1-line block ×3, first 2 shown]
	v_rcp_f64_e32 v[162:163], v[144:145]
	v_add_f64 v[150:151], v[146:147], v[148:149]
	v_add_f64 v[146:147], v[150:151], -v[146:147]
	v_add_f64 v[146:147], v[148:149], -v[146:147]
	;; [unrolled: 1-line block ×4, first 2 shown]
	v_fma_f64 v[148:149], -v[144:145], v[162:163], 1.0
	v_fmac_f64_e32 v[162:163], v[148:149], v[162:163]
	v_fma_f64 v[148:149], -v[144:145], v[162:163], 1.0
	v_fmac_f64_e32 v[162:163], v[148:149], v[162:163]
	v_mul_f64 v[148:149], v[150:151], v[162:163]
	v_mul_f64 v[160:161], v[144:145], v[148:149]
	v_fma_f64 v[164:165], v[148:149], v[144:145], -v[160:161]
	v_fmac_f64_e32 v[164:165], v[148:149], v[8:9]
	v_add_f64 v[166:167], v[160:161], v[164:165]
	v_add_f64 v[176:177], v[150:151], -v[166:167]
	v_add_f64 v[150:151], v[150:151], -v[176:177]
	;; [unrolled: 1-line block ×4, first 2 shown]
	v_add_f64 v[146:147], v[146:147], v[150:151]
	v_add_f64 v[150:151], v[160:161], -v[164:165]
	v_add_f64 v[146:147], v[150:151], v[146:147]
	v_add_f64 v[150:151], v[176:177], v[146:147]
	v_add_f64 v[160:161], v[176:177], -v[150:151]
	v_add_f64 v[146:147], v[146:147], v[160:161]
	v_mul_f64 v[160:161], v[162:163], v[150:151]
	v_mul_f64 v[164:165], v[144:145], v[160:161]
	v_fma_f64 v[144:145], v[160:161], v[144:145], -v[164:165]
	v_fmac_f64_e32 v[144:145], v[160:161], v[8:9]
	v_add_f64 v[8:9], v[164:165], v[144:145]
	v_add_f64 v[166:167], v[150:151], -v[8:9]
	v_add_f64 v[150:151], v[150:151], -v[166:167]
	;; [unrolled: 1-line block ×4, first 2 shown]
	v_add_f64 v[8:9], v[146:147], v[8:9]
	v_add_f64 v[144:145], v[164:165], -v[144:145]
	v_add_f64 v[8:9], v[144:145], v[8:9]
	v_add_f64 v[144:145], v[148:149], v[160:161]
	;; [unrolled: 1-line block ×3, first 2 shown]
	v_add_f64 v[146:147], v[144:145], -v[148:149]
	v_mul_f64 v[8:9], v[162:163], v[8:9]
	v_add_f64 v[146:147], v[160:161], -v[146:147]
	v_add_f64 v[8:9], v[146:147], v[8:9]
	v_add_f64 v[146:147], v[144:145], v[8:9]
	v_add_f64 v[144:145], v[146:147], -v[144:145]
	s_mov_b32 s34, 0xbf559e2b
	v_add_f64 v[8:9], v[8:9], -v[144:145]
	v_mul_f64 v[144:145], v[146:147], v[146:147]
	v_mov_b32_e32 v148, 0x6b47b09a
	v_mov_b32_e32 v149, 0x3fc38538
	s_mov_b32 s35, 0x3fc3ab76
	v_fmac_f64_e32 v[148:149], s[34:35], v[144:145]
	v_mov_b32_e32 v150, 0xd7f4df2e
	v_mov_b32_e32 v151, 0x3fc7474d
	v_fmac_f64_e32 v[150:151], v[144:145], v[148:149]
	v_mov_b32_e32 v148, 0x16291751
	v_mov_b32_e32 v149, 0x3fcc71c0
	;; [unrolled: 3-line block ×5, first 2 shown]
	v_fmac_f64_e32 v[150:151], v[144:145], v[148:149]
	v_cvt_f64_i32_e32 v[148:149], v71
	v_mul_f64 v[160:161], v[148:149], s[44:45]
	v_fma_f64 v[162:163], v[148:149], s[44:45], -v[160:161]
	v_fmac_f64_e32 v[162:163], s[48:49], v[148:149]
	v_add_f64 v[148:149], v[160:161], v[162:163]
	v_add_f64 v[160:161], v[148:149], -v[160:161]
	v_mul_f64 v[144:145], v[146:147], v[144:145]
	v_add_f64 v[160:161], v[162:163], -v[160:161]
	v_ldexp_f64 v[162:163], v[146:147], 1
	v_mul_f64 v[144:145], v[144:145], v[150:151]
	v_add_f64 v[146:147], v[162:163], v[144:145]
	v_add_f64 v[150:151], v[146:147], -v[162:163]
	v_ldexp_f64 v[8:9], v[8:9], 1
	v_add_f64 v[144:145], v[144:145], -v[150:151]
	v_add_f64 v[8:9], v[8:9], v[144:145]
	v_add_f64 v[144:145], v[146:147], v[8:9]
	v_add_f64 v[146:147], v[144:145], -v[146:147]
	v_add_f64 v[8:9], v[8:9], -v[146:147]
	v_add_f64 v[146:147], v[148:149], v[144:145]
	v_add_f64 v[150:151], v[146:147], -v[148:149]
	v_add_f64 v[162:163], v[146:147], -v[150:151]
	;; [unrolled: 1-line block ×4, first 2 shown]
	v_add_f64 v[144:145], v[144:145], v[148:149]
	v_add_f64 v[148:149], v[160:161], v[8:9]
	v_add_f64 v[150:151], v[148:149], -v[160:161]
	v_add_f64 v[144:145], v[148:149], v[144:145]
	v_add_f64 v[162:163], v[148:149], -v[150:151]
	;; [unrolled: 2-line block ×3, first 2 shown]
	v_add_f64 v[8:9], v[8:9], -v[150:151]
	v_add_f64 v[146:147], v[148:149], -v[146:147]
	v_add_f64 v[8:9], v[8:9], v[160:161]
	v_add_f64 v[144:145], v[144:145], -v[146:147]
	s_mov_b32 s34, 0
	v_add_f64 v[8:9], v[8:9], v[144:145]
	s_mov_b32 s35, 0x7ff00000
	v_add_f64 v[8:9], v[148:149], v[8:9]
	v_cmp_eq_f64_e64 s[34:35], s[34:35], v[6:7]
	v_mov_b32_e32 v71, 0x7ff80000
	s_nop 0
	v_cndmask_b32_e64 v8, v8, v6, s[34:35]
	v_cndmask_b32_e64 v9, v9, v7, s[34:35]
	v_cmp_ngt_f64_e64 s[34:35], -1.0, v[6:7]
	s_nop 1
	v_cndmask_b32_e64 v9, v71, v9, s[34:35]
	v_cmp_nge_f64_e64 s[34:35], -1.0, v[6:7]
	v_mov_b32_e32 v71, 0xfff00000
	s_nop 0
	v_cndmask_b32_e64 v8, 0, v8, s[34:35]
	v_cmp_neq_f64_e64 s[34:35], -1.0, v[6:7]
	s_nop 1
	v_cndmask_b32_e64 v9, v71, v9, s[34:35]
	v_add_f64 v[6:7], v[4:5], v[8:9]
.LBB2_96:
	s_or_b64 exec, exec, s[38:39]
	v_cmp_eq_u32_e64 s[34:35], 0, v70
	; wave barrier
	s_nop 1
	v_cndmask_b32_e64 v7, v7, v135, s[34:35]
	v_cndmask_b32_e64 v6, v6, v134, s[34:35]
	ds_write_b64 v53, v[6:7]
	; wave barrier
	ds_read_b64 v[4:5], v53 offset:8
	v_max_f64 v[144:145], v[6:7], v[6:7]
	v_cmp_u_f64_e64 s[34:35], v[6:7], v[6:7]
	s_waitcnt lgkmcnt(0)
	v_max_f64 v[146:147], v[4:5], v[4:5]
	v_min_f64 v[8:9], v[144:145], v[146:147]
	v_max_f64 v[144:145], v[144:145], v[146:147]
	v_cndmask_b32_e64 v8, v8, v6, s[34:35]
	v_cndmask_b32_e64 v9, v9, v7, s[34:35]
	v_cmp_u_f64_e64 s[36:37], v[4:5], v[4:5]
	v_cndmask_b32_e64 v71, v144, v6, s[34:35]
	v_cndmask_b32_e64 v144, v145, v7, s[34:35]
	v_cndmask_b32_e64 v9, v9, v5, s[36:37]
	v_cndmask_b32_e64 v8, v8, v4, s[36:37]
	v_cndmask_b32_e64 v5, v144, v5, s[36:37]
	v_cndmask_b32_e64 v4, v71, v4, s[36:37]
	v_cmp_neq_f64_e64 s[34:35], v[8:9], v[4:5]
	v_cmp_class_f64_e64 s[36:37], v[8:9], s13
	s_or_b64 s[34:35], s[34:35], s[36:37]
	s_and_saveexec_b64 s[38:39], s[34:35]
	s_cbranch_execz .LBB2_98
; %bb.97:
	s_mov_b32 s34, 0x652b82fe
	v_add_f64 v[6:7], v[8:9], -v[4:5]
	s_mov_b32 s35, 0x3ff71547
	v_mul_f64 v[8:9], v[6:7], s[34:35]
	v_rndne_f64_e32 v[8:9], v[8:9]
	s_mov_b32 s45, 0xbfe62e42
	s_mov_b32 s44, 0xfefa39ef
	v_fma_f64 v[144:145], s[44:45], v[8:9], v[6:7]
	s_mov_b32 s49, 0xbc7abc9e
	s_mov_b32 s48, 0x3b39803f
	;; [unrolled: 1-line block ×3, first 2 shown]
	v_fmac_f64_e32 v[144:145], s[48:49], v[8:9]
	v_mov_b32_e32 v146, 0xfca7ab0c
	v_mov_b32_e32 v147, 0x3e928af3
	s_mov_b32 s35, 0x3e5ade15
	v_fmac_f64_e32 v[146:147], s[34:35], v[144:145]
	v_mov_b32_e32 v148, 0x623fde64
	v_mov_b32_e32 v149, 0x3ec71dee
	v_fmac_f64_e32 v[148:149], v[144:145], v[146:147]
	v_mov_b32_e32 v146, 0x7c89e6b0
	v_mov_b32_e32 v147, 0x3efa0199
	;; [unrolled: 3-line block ×8, first 2 shown]
	v_fmac_f64_e32 v[146:147], v[144:145], v[148:149]
	v_fma_f64 v[146:147], v[144:145], v[146:147], 1.0
	s_mov_b32 s34, 0
	s_mov_b32 s36, 0
	v_fma_f64 v[144:145], v[144:145], v[146:147], 1.0
	v_cvt_i32_f64_e32 v8, v[8:9]
	s_mov_b32 s35, 0x40900000
	s_mov_b32 s37, 0xc090cc00
	v_ldexp_f64 v[8:9], v[144:145], v8
	v_mov_b32_e32 v71, 0x7ff00000
	v_cmp_nlt_f64_e64 s[34:35], s[34:35], v[6:7]
	v_cmp_ngt_f64_e64 s[36:37], s[36:37], v[6:7]
	s_mov_b32 s45, 0x3fe62e42
	v_cndmask_b32_e64 v9, v71, v9, s[34:35]
	s_and_b64 s[34:35], s[36:37], s[34:35]
	v_cndmask_b32_e64 v7, 0, v9, s[36:37]
	v_cndmask_b32_e64 v6, 0, v8, s[34:35]
	v_add_f64 v[8:9], v[6:7], 1.0
	v_add_f64 v[144:145], v[8:9], -1.0
	v_add_f64 v[146:147], v[144:145], -v[8:9]
	v_add_f64 v[146:147], v[146:147], 1.0
	v_add_f64 v[144:145], v[6:7], -v[144:145]
	s_mov_b32 s34, 0x55555555
	v_add_f64 v[144:145], v[144:145], v[146:147]
	v_frexp_mant_f64_e32 v[146:147], v[8:9]
	s_mov_b32 s35, 0x3fe55555
	v_frexp_exp_i32_f64_e32 v71, v[8:9]
	v_cmp_gt_f64_e64 s[34:35], s[34:35], v[146:147]
	s_mov_b32 s49, 0x3c7abc9e
	s_nop 0
	v_subbrev_co_u32_e64 v71, s[34:35], 0, v71, s[34:35]
	v_sub_u32_e32 v146, 0, v71
	v_ldexp_f64 v[8:9], v[8:9], v146
	v_ldexp_f64 v[144:145], v[144:145], v146
	v_add_f64 v[146:147], v[8:9], -1.0
	v_add_f64 v[160:161], v[8:9], 1.0
	v_add_f64 v[148:149], v[146:147], 1.0
	v_add_f64 v[162:163], v[160:161], -1.0
	v_add_f64 v[148:149], v[8:9], -v[148:149]
	v_add_f64 v[8:9], v[8:9], -v[162:163]
	v_add_f64 v[8:9], v[144:145], v[8:9]
	v_add_f64 v[148:149], v[144:145], v[148:149]
	;; [unrolled: 1-line block ×3, first 2 shown]
	v_rcp_f64_e32 v[162:163], v[144:145]
	v_add_f64 v[150:151], v[146:147], v[148:149]
	v_add_f64 v[146:147], v[150:151], -v[146:147]
	v_add_f64 v[146:147], v[148:149], -v[146:147]
	;; [unrolled: 1-line block ×4, first 2 shown]
	v_fma_f64 v[148:149], -v[144:145], v[162:163], 1.0
	v_fmac_f64_e32 v[162:163], v[148:149], v[162:163]
	v_fma_f64 v[148:149], -v[144:145], v[162:163], 1.0
	v_fmac_f64_e32 v[162:163], v[148:149], v[162:163]
	v_mul_f64 v[148:149], v[150:151], v[162:163]
	v_mul_f64 v[160:161], v[144:145], v[148:149]
	v_fma_f64 v[164:165], v[148:149], v[144:145], -v[160:161]
	v_fmac_f64_e32 v[164:165], v[148:149], v[8:9]
	v_add_f64 v[166:167], v[160:161], v[164:165]
	v_add_f64 v[176:177], v[150:151], -v[166:167]
	v_add_f64 v[150:151], v[150:151], -v[176:177]
	;; [unrolled: 1-line block ×4, first 2 shown]
	v_add_f64 v[146:147], v[146:147], v[150:151]
	v_add_f64 v[150:151], v[160:161], -v[164:165]
	v_add_f64 v[146:147], v[150:151], v[146:147]
	v_add_f64 v[150:151], v[176:177], v[146:147]
	v_add_f64 v[160:161], v[176:177], -v[150:151]
	v_add_f64 v[146:147], v[146:147], v[160:161]
	v_mul_f64 v[160:161], v[162:163], v[150:151]
	v_mul_f64 v[164:165], v[144:145], v[160:161]
	v_fma_f64 v[144:145], v[160:161], v[144:145], -v[164:165]
	v_fmac_f64_e32 v[144:145], v[160:161], v[8:9]
	v_add_f64 v[8:9], v[164:165], v[144:145]
	v_add_f64 v[166:167], v[150:151], -v[8:9]
	v_add_f64 v[150:151], v[150:151], -v[166:167]
	;; [unrolled: 1-line block ×4, first 2 shown]
	v_add_f64 v[8:9], v[146:147], v[8:9]
	v_add_f64 v[144:145], v[164:165], -v[144:145]
	v_add_f64 v[8:9], v[144:145], v[8:9]
	v_add_f64 v[144:145], v[148:149], v[160:161]
	;; [unrolled: 1-line block ×3, first 2 shown]
	v_add_f64 v[146:147], v[144:145], -v[148:149]
	v_mul_f64 v[8:9], v[162:163], v[8:9]
	v_add_f64 v[146:147], v[160:161], -v[146:147]
	v_add_f64 v[8:9], v[146:147], v[8:9]
	v_add_f64 v[146:147], v[144:145], v[8:9]
	v_add_f64 v[144:145], v[146:147], -v[144:145]
	s_mov_b32 s34, 0xbf559e2b
	v_add_f64 v[8:9], v[8:9], -v[144:145]
	v_mul_f64 v[144:145], v[146:147], v[146:147]
	v_mov_b32_e32 v148, 0x6b47b09a
	v_mov_b32_e32 v149, 0x3fc38538
	s_mov_b32 s35, 0x3fc3ab76
	v_fmac_f64_e32 v[148:149], s[34:35], v[144:145]
	v_mov_b32_e32 v150, 0xd7f4df2e
	v_mov_b32_e32 v151, 0x3fc7474d
	v_fmac_f64_e32 v[150:151], v[144:145], v[148:149]
	v_mov_b32_e32 v148, 0x16291751
	v_mov_b32_e32 v149, 0x3fcc71c0
	;; [unrolled: 3-line block ×5, first 2 shown]
	v_fmac_f64_e32 v[150:151], v[144:145], v[148:149]
	v_cvt_f64_i32_e32 v[148:149], v71
	v_mul_f64 v[160:161], v[148:149], s[44:45]
	v_fma_f64 v[162:163], v[148:149], s[44:45], -v[160:161]
	v_fmac_f64_e32 v[162:163], s[48:49], v[148:149]
	v_add_f64 v[148:149], v[160:161], v[162:163]
	v_add_f64 v[160:161], v[148:149], -v[160:161]
	v_mul_f64 v[144:145], v[146:147], v[144:145]
	v_add_f64 v[160:161], v[162:163], -v[160:161]
	v_ldexp_f64 v[162:163], v[146:147], 1
	v_mul_f64 v[144:145], v[144:145], v[150:151]
	v_add_f64 v[146:147], v[162:163], v[144:145]
	v_add_f64 v[150:151], v[146:147], -v[162:163]
	v_ldexp_f64 v[8:9], v[8:9], 1
	v_add_f64 v[144:145], v[144:145], -v[150:151]
	v_add_f64 v[8:9], v[8:9], v[144:145]
	v_add_f64 v[144:145], v[146:147], v[8:9]
	v_add_f64 v[146:147], v[144:145], -v[146:147]
	v_add_f64 v[8:9], v[8:9], -v[146:147]
	v_add_f64 v[146:147], v[148:149], v[144:145]
	v_add_f64 v[150:151], v[146:147], -v[148:149]
	v_add_f64 v[162:163], v[146:147], -v[150:151]
	;; [unrolled: 1-line block ×4, first 2 shown]
	v_add_f64 v[144:145], v[144:145], v[148:149]
	v_add_f64 v[148:149], v[160:161], v[8:9]
	v_add_f64 v[150:151], v[148:149], -v[160:161]
	v_add_f64 v[144:145], v[148:149], v[144:145]
	v_add_f64 v[162:163], v[148:149], -v[150:151]
	;; [unrolled: 2-line block ×3, first 2 shown]
	v_add_f64 v[8:9], v[8:9], -v[150:151]
	v_add_f64 v[146:147], v[148:149], -v[146:147]
	v_add_f64 v[8:9], v[8:9], v[160:161]
	v_add_f64 v[144:145], v[144:145], -v[146:147]
	s_mov_b32 s34, 0
	v_add_f64 v[8:9], v[8:9], v[144:145]
	s_mov_b32 s35, 0x7ff00000
	v_add_f64 v[8:9], v[148:149], v[8:9]
	v_cmp_eq_f64_e64 s[34:35], s[34:35], v[6:7]
	v_mov_b32_e32 v71, 0x7ff80000
	s_nop 0
	v_cndmask_b32_e64 v8, v8, v6, s[34:35]
	v_cndmask_b32_e64 v9, v9, v7, s[34:35]
	v_cmp_ngt_f64_e64 s[34:35], -1.0, v[6:7]
	s_nop 1
	v_cndmask_b32_e64 v9, v71, v9, s[34:35]
	v_cmp_nge_f64_e64 s[34:35], -1.0, v[6:7]
	v_mov_b32_e32 v71, 0xfff00000
	s_nop 0
	v_cndmask_b32_e64 v8, 0, v8, s[34:35]
	v_cmp_neq_f64_e64 s[34:35], -1.0, v[6:7]
	s_nop 1
	v_cndmask_b32_e64 v9, v71, v9, s[34:35]
	v_add_f64 v[6:7], v[4:5], v[8:9]
.LBB2_98:
	s_or_b64 exec, exec, s[38:39]
	ds_read_b64 v[4:5], v53 offset:16
	v_max_f64 v[144:145], v[6:7], v[6:7]
	v_cmp_u_f64_e64 s[34:35], v[6:7], v[6:7]
	ds_write_b64 v53, v[6:7] offset:8
	s_waitcnt lgkmcnt(1)
	v_max_f64 v[146:147], v[4:5], v[4:5]
	v_min_f64 v[8:9], v[144:145], v[146:147]
	v_max_f64 v[144:145], v[144:145], v[146:147]
	v_cndmask_b32_e64 v8, v8, v6, s[34:35]
	v_cndmask_b32_e64 v9, v9, v7, s[34:35]
	v_cmp_u_f64_e64 s[36:37], v[4:5], v[4:5]
	v_cndmask_b32_e64 v71, v144, v6, s[34:35]
	v_cndmask_b32_e64 v144, v145, v7, s[34:35]
	;; [unrolled: 1-line block ×6, first 2 shown]
	v_cmp_neq_f64_e64 s[34:35], v[8:9], v[4:5]
	v_cmp_class_f64_e64 s[36:37], v[8:9], s13
	s_or_b64 s[34:35], s[34:35], s[36:37]
	s_and_saveexec_b64 s[38:39], s[34:35]
	s_cbranch_execz .LBB2_100
; %bb.99:
	s_mov_b32 s34, 0x652b82fe
	v_add_f64 v[6:7], v[8:9], -v[4:5]
	s_mov_b32 s35, 0x3ff71547
	v_mul_f64 v[8:9], v[6:7], s[34:35]
	v_rndne_f64_e32 v[8:9], v[8:9]
	s_mov_b32 s45, 0xbfe62e42
	s_mov_b32 s44, 0xfefa39ef
	v_fma_f64 v[144:145], s[44:45], v[8:9], v[6:7]
	s_mov_b32 s49, 0xbc7abc9e
	s_mov_b32 s48, 0x3b39803f
	s_mov_b32 s34, 0x6a5dcb37
	v_fmac_f64_e32 v[144:145], s[48:49], v[8:9]
	v_mov_b32_e32 v146, 0xfca7ab0c
	v_mov_b32_e32 v147, 0x3e928af3
	s_mov_b32 s35, 0x3e5ade15
	v_fmac_f64_e32 v[146:147], s[34:35], v[144:145]
	v_mov_b32_e32 v148, 0x623fde64
	v_mov_b32_e32 v149, 0x3ec71dee
	v_fmac_f64_e32 v[148:149], v[144:145], v[146:147]
	v_mov_b32_e32 v146, 0x7c89e6b0
	v_mov_b32_e32 v147, 0x3efa0199
	;; [unrolled: 3-line block ×8, first 2 shown]
	v_fmac_f64_e32 v[146:147], v[144:145], v[148:149]
	v_fma_f64 v[146:147], v[144:145], v[146:147], 1.0
	s_mov_b32 s34, 0
	s_mov_b32 s36, 0
	v_fma_f64 v[144:145], v[144:145], v[146:147], 1.0
	v_cvt_i32_f64_e32 v8, v[8:9]
	s_mov_b32 s35, 0x40900000
	s_mov_b32 s37, 0xc090cc00
	v_ldexp_f64 v[8:9], v[144:145], v8
	v_mov_b32_e32 v71, 0x7ff00000
	v_cmp_nlt_f64_e64 s[34:35], s[34:35], v[6:7]
	v_cmp_ngt_f64_e64 s[36:37], s[36:37], v[6:7]
	s_mov_b32 s45, 0x3fe62e42
	v_cndmask_b32_e64 v9, v71, v9, s[34:35]
	s_and_b64 s[34:35], s[36:37], s[34:35]
	v_cndmask_b32_e64 v7, 0, v9, s[36:37]
	v_cndmask_b32_e64 v6, 0, v8, s[34:35]
	v_add_f64 v[8:9], v[6:7], 1.0
	v_add_f64 v[144:145], v[8:9], -1.0
	v_add_f64 v[146:147], v[144:145], -v[8:9]
	v_add_f64 v[146:147], v[146:147], 1.0
	v_add_f64 v[144:145], v[6:7], -v[144:145]
	s_mov_b32 s34, 0x55555555
	v_add_f64 v[144:145], v[144:145], v[146:147]
	v_frexp_mant_f64_e32 v[146:147], v[8:9]
	s_mov_b32 s35, 0x3fe55555
	v_frexp_exp_i32_f64_e32 v71, v[8:9]
	v_cmp_gt_f64_e64 s[34:35], s[34:35], v[146:147]
	s_mov_b32 s49, 0x3c7abc9e
	s_nop 0
	v_subbrev_co_u32_e64 v71, s[34:35], 0, v71, s[34:35]
	v_sub_u32_e32 v146, 0, v71
	v_ldexp_f64 v[8:9], v[8:9], v146
	v_ldexp_f64 v[144:145], v[144:145], v146
	v_add_f64 v[146:147], v[8:9], -1.0
	v_add_f64 v[160:161], v[8:9], 1.0
	v_add_f64 v[148:149], v[146:147], 1.0
	v_add_f64 v[162:163], v[160:161], -1.0
	v_add_f64 v[148:149], v[8:9], -v[148:149]
	v_add_f64 v[8:9], v[8:9], -v[162:163]
	v_add_f64 v[8:9], v[144:145], v[8:9]
	v_add_f64 v[148:149], v[144:145], v[148:149]
	;; [unrolled: 1-line block ×3, first 2 shown]
	v_rcp_f64_e32 v[162:163], v[144:145]
	v_add_f64 v[150:151], v[146:147], v[148:149]
	v_add_f64 v[146:147], v[150:151], -v[146:147]
	v_add_f64 v[146:147], v[148:149], -v[146:147]
	;; [unrolled: 1-line block ×4, first 2 shown]
	v_fma_f64 v[148:149], -v[144:145], v[162:163], 1.0
	v_fmac_f64_e32 v[162:163], v[148:149], v[162:163]
	v_fma_f64 v[148:149], -v[144:145], v[162:163], 1.0
	v_fmac_f64_e32 v[162:163], v[148:149], v[162:163]
	v_mul_f64 v[148:149], v[150:151], v[162:163]
	v_mul_f64 v[160:161], v[144:145], v[148:149]
	v_fma_f64 v[164:165], v[148:149], v[144:145], -v[160:161]
	v_fmac_f64_e32 v[164:165], v[148:149], v[8:9]
	v_add_f64 v[166:167], v[160:161], v[164:165]
	v_add_f64 v[176:177], v[150:151], -v[166:167]
	v_add_f64 v[150:151], v[150:151], -v[176:177]
	;; [unrolled: 1-line block ×4, first 2 shown]
	v_add_f64 v[146:147], v[146:147], v[150:151]
	v_add_f64 v[150:151], v[160:161], -v[164:165]
	v_add_f64 v[146:147], v[150:151], v[146:147]
	v_add_f64 v[150:151], v[176:177], v[146:147]
	v_add_f64 v[160:161], v[176:177], -v[150:151]
	v_add_f64 v[146:147], v[146:147], v[160:161]
	v_mul_f64 v[160:161], v[162:163], v[150:151]
	v_mul_f64 v[164:165], v[144:145], v[160:161]
	v_fma_f64 v[144:145], v[160:161], v[144:145], -v[164:165]
	v_fmac_f64_e32 v[144:145], v[160:161], v[8:9]
	v_add_f64 v[8:9], v[164:165], v[144:145]
	v_add_f64 v[166:167], v[150:151], -v[8:9]
	v_add_f64 v[150:151], v[150:151], -v[166:167]
	;; [unrolled: 1-line block ×4, first 2 shown]
	v_add_f64 v[8:9], v[146:147], v[8:9]
	v_add_f64 v[144:145], v[164:165], -v[144:145]
	v_add_f64 v[8:9], v[144:145], v[8:9]
	v_add_f64 v[144:145], v[148:149], v[160:161]
	;; [unrolled: 1-line block ×3, first 2 shown]
	v_add_f64 v[146:147], v[144:145], -v[148:149]
	v_mul_f64 v[8:9], v[162:163], v[8:9]
	v_add_f64 v[146:147], v[160:161], -v[146:147]
	v_add_f64 v[8:9], v[146:147], v[8:9]
	v_add_f64 v[146:147], v[144:145], v[8:9]
	v_add_f64 v[144:145], v[146:147], -v[144:145]
	s_mov_b32 s34, 0xbf559e2b
	v_add_f64 v[8:9], v[8:9], -v[144:145]
	v_mul_f64 v[144:145], v[146:147], v[146:147]
	v_mov_b32_e32 v148, 0x6b47b09a
	v_mov_b32_e32 v149, 0x3fc38538
	s_mov_b32 s35, 0x3fc3ab76
	v_fmac_f64_e32 v[148:149], s[34:35], v[144:145]
	v_mov_b32_e32 v150, 0xd7f4df2e
	v_mov_b32_e32 v151, 0x3fc7474d
	v_fmac_f64_e32 v[150:151], v[144:145], v[148:149]
	v_mov_b32_e32 v148, 0x16291751
	v_mov_b32_e32 v149, 0x3fcc71c0
	;; [unrolled: 3-line block ×5, first 2 shown]
	v_fmac_f64_e32 v[150:151], v[144:145], v[148:149]
	v_cvt_f64_i32_e32 v[148:149], v71
	v_mul_f64 v[160:161], v[148:149], s[44:45]
	v_fma_f64 v[162:163], v[148:149], s[44:45], -v[160:161]
	v_fmac_f64_e32 v[162:163], s[48:49], v[148:149]
	v_add_f64 v[148:149], v[160:161], v[162:163]
	v_add_f64 v[160:161], v[148:149], -v[160:161]
	v_mul_f64 v[144:145], v[146:147], v[144:145]
	v_add_f64 v[160:161], v[162:163], -v[160:161]
	v_ldexp_f64 v[162:163], v[146:147], 1
	v_mul_f64 v[144:145], v[144:145], v[150:151]
	v_add_f64 v[146:147], v[162:163], v[144:145]
	v_add_f64 v[150:151], v[146:147], -v[162:163]
	v_ldexp_f64 v[8:9], v[8:9], 1
	v_add_f64 v[144:145], v[144:145], -v[150:151]
	v_add_f64 v[8:9], v[8:9], v[144:145]
	v_add_f64 v[144:145], v[146:147], v[8:9]
	v_add_f64 v[146:147], v[144:145], -v[146:147]
	v_add_f64 v[8:9], v[8:9], -v[146:147]
	v_add_f64 v[146:147], v[148:149], v[144:145]
	v_add_f64 v[150:151], v[146:147], -v[148:149]
	v_add_f64 v[162:163], v[146:147], -v[150:151]
	;; [unrolled: 1-line block ×4, first 2 shown]
	v_add_f64 v[144:145], v[144:145], v[148:149]
	v_add_f64 v[148:149], v[160:161], v[8:9]
	v_add_f64 v[150:151], v[148:149], -v[160:161]
	v_add_f64 v[144:145], v[148:149], v[144:145]
	v_add_f64 v[162:163], v[148:149], -v[150:151]
	v_add_f64 v[148:149], v[146:147], v[144:145]
	v_add_f64 v[160:161], v[160:161], -v[162:163]
	v_add_f64 v[8:9], v[8:9], -v[150:151]
	v_add_f64 v[146:147], v[148:149], -v[146:147]
	v_add_f64 v[8:9], v[8:9], v[160:161]
	v_add_f64 v[144:145], v[144:145], -v[146:147]
	s_mov_b32 s34, 0
	v_add_f64 v[8:9], v[8:9], v[144:145]
	s_mov_b32 s35, 0x7ff00000
	v_add_f64 v[8:9], v[148:149], v[8:9]
	v_cmp_eq_f64_e64 s[34:35], s[34:35], v[6:7]
	v_mov_b32_e32 v71, 0x7ff80000
	s_nop 0
	v_cndmask_b32_e64 v8, v8, v6, s[34:35]
	v_cndmask_b32_e64 v9, v9, v7, s[34:35]
	v_cmp_ngt_f64_e64 s[34:35], -1.0, v[6:7]
	s_nop 1
	v_cndmask_b32_e64 v9, v71, v9, s[34:35]
	v_cmp_nge_f64_e64 s[34:35], -1.0, v[6:7]
	v_mov_b32_e32 v71, 0xfff00000
	s_nop 0
	v_cndmask_b32_e64 v8, 0, v8, s[34:35]
	v_cmp_neq_f64_e64 s[34:35], -1.0, v[6:7]
	s_nop 1
	v_cndmask_b32_e64 v9, v71, v9, s[34:35]
	v_add_f64 v[6:7], v[4:5], v[8:9]
.LBB2_100:
	s_or_b64 exec, exec, s[38:39]
	ds_read_b64 v[4:5], v53 offset:24
	v_max_f64 v[144:145], v[6:7], v[6:7]
	v_cmp_u_f64_e64 s[34:35], v[6:7], v[6:7]
	ds_write_b64 v53, v[6:7] offset:16
	s_waitcnt lgkmcnt(1)
	v_max_f64 v[146:147], v[4:5], v[4:5]
	v_min_f64 v[8:9], v[144:145], v[146:147]
	v_max_f64 v[144:145], v[144:145], v[146:147]
	v_cndmask_b32_e64 v8, v8, v6, s[34:35]
	v_cndmask_b32_e64 v9, v9, v7, s[34:35]
	v_cmp_u_f64_e64 s[36:37], v[4:5], v[4:5]
	v_cndmask_b32_e64 v71, v144, v6, s[34:35]
	v_cndmask_b32_e64 v144, v145, v7, s[34:35]
	;; [unrolled: 1-line block ×6, first 2 shown]
	v_cmp_neq_f64_e64 s[34:35], v[8:9], v[4:5]
	v_cmp_class_f64_e64 s[36:37], v[8:9], s13
	s_or_b64 s[34:35], s[34:35], s[36:37]
	s_and_saveexec_b64 s[38:39], s[34:35]
	s_cbranch_execz .LBB2_102
; %bb.101:
	s_mov_b32 s34, 0x652b82fe
	v_add_f64 v[6:7], v[8:9], -v[4:5]
	s_mov_b32 s35, 0x3ff71547
	v_mul_f64 v[8:9], v[6:7], s[34:35]
	v_rndne_f64_e32 v[8:9], v[8:9]
	s_mov_b32 s45, 0xbfe62e42
	s_mov_b32 s44, 0xfefa39ef
	v_fma_f64 v[144:145], s[44:45], v[8:9], v[6:7]
	s_mov_b32 s49, 0xbc7abc9e
	s_mov_b32 s48, 0x3b39803f
	;; [unrolled: 1-line block ×3, first 2 shown]
	v_fmac_f64_e32 v[144:145], s[48:49], v[8:9]
	v_mov_b32_e32 v146, 0xfca7ab0c
	v_mov_b32_e32 v147, 0x3e928af3
	s_mov_b32 s35, 0x3e5ade15
	v_fmac_f64_e32 v[146:147], s[34:35], v[144:145]
	v_mov_b32_e32 v148, 0x623fde64
	v_mov_b32_e32 v149, 0x3ec71dee
	v_fmac_f64_e32 v[148:149], v[144:145], v[146:147]
	v_mov_b32_e32 v146, 0x7c89e6b0
	v_mov_b32_e32 v147, 0x3efa0199
	;; [unrolled: 3-line block ×8, first 2 shown]
	v_fmac_f64_e32 v[146:147], v[144:145], v[148:149]
	v_fma_f64 v[146:147], v[144:145], v[146:147], 1.0
	s_mov_b32 s34, 0
	s_mov_b32 s36, 0
	v_fma_f64 v[144:145], v[144:145], v[146:147], 1.0
	v_cvt_i32_f64_e32 v8, v[8:9]
	s_mov_b32 s35, 0x40900000
	s_mov_b32 s37, 0xc090cc00
	v_ldexp_f64 v[8:9], v[144:145], v8
	v_mov_b32_e32 v71, 0x7ff00000
	v_cmp_nlt_f64_e64 s[34:35], s[34:35], v[6:7]
	v_cmp_ngt_f64_e64 s[36:37], s[36:37], v[6:7]
	s_mov_b32 s45, 0x3fe62e42
	v_cndmask_b32_e64 v9, v71, v9, s[34:35]
	s_and_b64 s[34:35], s[36:37], s[34:35]
	v_cndmask_b32_e64 v7, 0, v9, s[36:37]
	v_cndmask_b32_e64 v6, 0, v8, s[34:35]
	v_add_f64 v[8:9], v[6:7], 1.0
	v_add_f64 v[144:145], v[8:9], -1.0
	v_add_f64 v[146:147], v[144:145], -v[8:9]
	v_add_f64 v[146:147], v[146:147], 1.0
	v_add_f64 v[144:145], v[6:7], -v[144:145]
	s_mov_b32 s34, 0x55555555
	v_add_f64 v[144:145], v[144:145], v[146:147]
	v_frexp_mant_f64_e32 v[146:147], v[8:9]
	s_mov_b32 s35, 0x3fe55555
	v_frexp_exp_i32_f64_e32 v71, v[8:9]
	v_cmp_gt_f64_e64 s[34:35], s[34:35], v[146:147]
	s_mov_b32 s49, 0x3c7abc9e
	s_nop 0
	v_subbrev_co_u32_e64 v71, s[34:35], 0, v71, s[34:35]
	v_sub_u32_e32 v146, 0, v71
	v_ldexp_f64 v[8:9], v[8:9], v146
	v_ldexp_f64 v[144:145], v[144:145], v146
	v_add_f64 v[146:147], v[8:9], -1.0
	v_add_f64 v[160:161], v[8:9], 1.0
	v_add_f64 v[148:149], v[146:147], 1.0
	v_add_f64 v[162:163], v[160:161], -1.0
	v_add_f64 v[148:149], v[8:9], -v[148:149]
	v_add_f64 v[8:9], v[8:9], -v[162:163]
	v_add_f64 v[8:9], v[144:145], v[8:9]
	v_add_f64 v[148:149], v[144:145], v[148:149]
	;; [unrolled: 1-line block ×3, first 2 shown]
	v_rcp_f64_e32 v[162:163], v[144:145]
	v_add_f64 v[150:151], v[146:147], v[148:149]
	v_add_f64 v[146:147], v[150:151], -v[146:147]
	v_add_f64 v[146:147], v[148:149], -v[146:147]
	;; [unrolled: 1-line block ×4, first 2 shown]
	v_fma_f64 v[148:149], -v[144:145], v[162:163], 1.0
	v_fmac_f64_e32 v[162:163], v[148:149], v[162:163]
	v_fma_f64 v[148:149], -v[144:145], v[162:163], 1.0
	v_fmac_f64_e32 v[162:163], v[148:149], v[162:163]
	v_mul_f64 v[148:149], v[150:151], v[162:163]
	v_mul_f64 v[160:161], v[144:145], v[148:149]
	v_fma_f64 v[164:165], v[148:149], v[144:145], -v[160:161]
	v_fmac_f64_e32 v[164:165], v[148:149], v[8:9]
	v_add_f64 v[166:167], v[160:161], v[164:165]
	v_add_f64 v[176:177], v[150:151], -v[166:167]
	v_add_f64 v[150:151], v[150:151], -v[176:177]
	;; [unrolled: 1-line block ×4, first 2 shown]
	v_add_f64 v[146:147], v[146:147], v[150:151]
	v_add_f64 v[150:151], v[160:161], -v[164:165]
	v_add_f64 v[146:147], v[150:151], v[146:147]
	v_add_f64 v[150:151], v[176:177], v[146:147]
	v_add_f64 v[160:161], v[176:177], -v[150:151]
	v_add_f64 v[146:147], v[146:147], v[160:161]
	v_mul_f64 v[160:161], v[162:163], v[150:151]
	v_mul_f64 v[164:165], v[144:145], v[160:161]
	v_fma_f64 v[144:145], v[160:161], v[144:145], -v[164:165]
	v_fmac_f64_e32 v[144:145], v[160:161], v[8:9]
	v_add_f64 v[8:9], v[164:165], v[144:145]
	v_add_f64 v[166:167], v[150:151], -v[8:9]
	v_add_f64 v[150:151], v[150:151], -v[166:167]
	v_add_f64 v[164:165], v[8:9], -v[164:165]
	v_add_f64 v[8:9], v[150:151], -v[8:9]
	v_add_f64 v[8:9], v[146:147], v[8:9]
	v_add_f64 v[144:145], v[164:165], -v[144:145]
	v_add_f64 v[8:9], v[144:145], v[8:9]
	v_add_f64 v[144:145], v[148:149], v[160:161]
	v_add_f64 v[8:9], v[166:167], v[8:9]
	v_add_f64 v[146:147], v[144:145], -v[148:149]
	v_mul_f64 v[8:9], v[162:163], v[8:9]
	v_add_f64 v[146:147], v[160:161], -v[146:147]
	v_add_f64 v[8:9], v[146:147], v[8:9]
	v_add_f64 v[146:147], v[144:145], v[8:9]
	v_add_f64 v[144:145], v[146:147], -v[144:145]
	s_mov_b32 s34, 0xbf559e2b
	v_add_f64 v[8:9], v[8:9], -v[144:145]
	v_mul_f64 v[144:145], v[146:147], v[146:147]
	v_mov_b32_e32 v148, 0x6b47b09a
	v_mov_b32_e32 v149, 0x3fc38538
	s_mov_b32 s35, 0x3fc3ab76
	v_fmac_f64_e32 v[148:149], s[34:35], v[144:145]
	v_mov_b32_e32 v150, 0xd7f4df2e
	v_mov_b32_e32 v151, 0x3fc7474d
	v_fmac_f64_e32 v[150:151], v[144:145], v[148:149]
	v_mov_b32_e32 v148, 0x16291751
	v_mov_b32_e32 v149, 0x3fcc71c0
	;; [unrolled: 3-line block ×5, first 2 shown]
	v_fmac_f64_e32 v[150:151], v[144:145], v[148:149]
	v_cvt_f64_i32_e32 v[148:149], v71
	v_mul_f64 v[160:161], v[148:149], s[44:45]
	v_fma_f64 v[162:163], v[148:149], s[44:45], -v[160:161]
	v_fmac_f64_e32 v[162:163], s[48:49], v[148:149]
	v_add_f64 v[148:149], v[160:161], v[162:163]
	v_add_f64 v[160:161], v[148:149], -v[160:161]
	v_mul_f64 v[144:145], v[146:147], v[144:145]
	v_add_f64 v[160:161], v[162:163], -v[160:161]
	v_ldexp_f64 v[162:163], v[146:147], 1
	v_mul_f64 v[144:145], v[144:145], v[150:151]
	v_add_f64 v[146:147], v[162:163], v[144:145]
	v_add_f64 v[150:151], v[146:147], -v[162:163]
	v_ldexp_f64 v[8:9], v[8:9], 1
	v_add_f64 v[144:145], v[144:145], -v[150:151]
	v_add_f64 v[8:9], v[8:9], v[144:145]
	v_add_f64 v[144:145], v[146:147], v[8:9]
	v_add_f64 v[146:147], v[144:145], -v[146:147]
	v_add_f64 v[8:9], v[8:9], -v[146:147]
	v_add_f64 v[146:147], v[148:149], v[144:145]
	v_add_f64 v[150:151], v[146:147], -v[148:149]
	v_add_f64 v[162:163], v[146:147], -v[150:151]
	;; [unrolled: 1-line block ×4, first 2 shown]
	v_add_f64 v[144:145], v[144:145], v[148:149]
	v_add_f64 v[148:149], v[160:161], v[8:9]
	v_add_f64 v[150:151], v[148:149], -v[160:161]
	v_add_f64 v[144:145], v[148:149], v[144:145]
	v_add_f64 v[162:163], v[148:149], -v[150:151]
	;; [unrolled: 2-line block ×3, first 2 shown]
	v_add_f64 v[8:9], v[8:9], -v[150:151]
	v_add_f64 v[146:147], v[148:149], -v[146:147]
	v_add_f64 v[8:9], v[8:9], v[160:161]
	v_add_f64 v[144:145], v[144:145], -v[146:147]
	s_mov_b32 s34, 0
	v_add_f64 v[8:9], v[8:9], v[144:145]
	s_mov_b32 s35, 0x7ff00000
	v_add_f64 v[8:9], v[148:149], v[8:9]
	v_cmp_eq_f64_e64 s[34:35], s[34:35], v[6:7]
	v_mov_b32_e32 v71, 0x7ff80000
	s_nop 0
	v_cndmask_b32_e64 v8, v8, v6, s[34:35]
	v_cndmask_b32_e64 v9, v9, v7, s[34:35]
	v_cmp_ngt_f64_e64 s[34:35], -1.0, v[6:7]
	s_nop 1
	v_cndmask_b32_e64 v9, v71, v9, s[34:35]
	v_cmp_nge_f64_e64 s[34:35], -1.0, v[6:7]
	v_mov_b32_e32 v71, 0xfff00000
	s_nop 0
	v_cndmask_b32_e64 v8, 0, v8, s[34:35]
	v_cmp_neq_f64_e64 s[34:35], -1.0, v[6:7]
	s_nop 1
	v_cndmask_b32_e64 v9, v71, v9, s[34:35]
	v_add_f64 v[6:7], v[4:5], v[8:9]
.LBB2_102:
	s_or_b64 exec, exec, s[38:39]
	ds_write_b64 v53, v[6:7] offset:24
.LBB2_103:
	s_or_b64 exec, exec, s[40:41]
	v_cmp_eq_u32_e64 s[36:37], 0, v70
	v_cmp_ne_u32_e64 s[34:35], 0, v70
	s_waitcnt lgkmcnt(0)
	s_barrier
	s_and_saveexec_b64 s[38:39], s[34:35]
	s_cbranch_execz .LBB2_105
; %bb.104:
	v_add_u32_e32 v4, -1, v70
	v_lshrrev_b32_e32 v5, 5, v4
	v_add_lshl_u32 v4, v5, v4, 3
	ds_read_b64 v[134:135], v4
.LBB2_105:
	s_or_b64 exec, exec, s[38:39]
	s_and_saveexec_b64 s[48:49], vcc
	s_cbranch_execz .LBB2_223
; %bb.106:
	v_mov_b32_e32 v9, 0
	ds_read_b64 v[4:5], v9 offset:2096
	v_mbcnt_lo_u32_b32 v6, -1, 0
	v_mbcnt_hi_u32_b32 v178, -1, v6
	s_mov_b32 vcc_hi, 0
	v_cmp_eq_u32_e64 s[38:39], 0, v178
	s_and_saveexec_b64 s[40:41], s[38:39]
	s_cbranch_execz .LBB2_115
; %bb.107:
	s_add_i32 vcc_lo, s12, 64
	v_lshl_add_u64 v[144:145], vcc, 4, v[116:117]
	s_mov_b64 vcc, src_shared_base
	v_cmp_ne_u32_e32 vcc, vcc_hi, v145
	s_and_saveexec_b64 s[44:45], vcc
	s_xor_b64 s[44:45], exec, s[44:45]
	s_cbranch_execz .LBB2_113
; %bb.108:
	s_mov_b64 vcc, src_private_base
	v_cmp_ne_u32_e32 vcc, vcc_hi, v145
	s_and_saveexec_b64 s[50:51], vcc
	s_xor_b64 vcc, exec, s[50:51]
	s_cbranch_execz .LBB2_110
; %bb.109:
	v_mov_b32_e32 v6, 1
	v_mov_b32_e32 v7, 0
	s_waitcnt lgkmcnt(0)
	;;#ASMSTART
	global_store_dwordx4 v[144:145], v[4:7] off sc1	
s_waitcnt vmcnt(0)
	;;#ASMEND
                                        ; implicit-def: $vgpr144_vgpr145
.LBB2_110:
	s_andn2_saveexec_b64 vcc, vcc
	s_cbranch_execz .LBB2_112
; %bb.111:
	v_mov_b32_e32 v6, 1
	v_mov_b32_e32 v7, 0
	s_waitcnt lgkmcnt(0)
	;;#ASMSTART
	flat_store_dwordx4 v[144:145], v[4:7] sc1	
s_waitcnt vmcnt(0)
	;;#ASMEND
.LBB2_112:
	s_or_b64 exec, exec, vcc
                                        ; implicit-def: $vgpr144_vgpr145
.LBB2_113:
	s_andn2_saveexec_b64 vcc, s[44:45]
	s_cbranch_execz .LBB2_115
; %bb.114:
	v_cmp_ne_u64_e32 vcc, 0, v[144:145]
	v_mov_b32_e32 v6, 1
	v_mov_b32_e32 v7, 0
	v_cndmask_b32_e32 v8, -1, v144, vcc
	s_waitcnt lgkmcnt(0)
	;;#ASMSTART
	ds_write_b128 v8, v[4:7] 	
s_waitcnt lgkmcnt(0)
	;;#ASMEND
.LBB2_115:
	s_or_b64 exec, exec, s[40:41]
	v_xad_u32 v144, v178, -1, s12
	v_add_u32_e32 v8, 64, v144
	v_lshl_add_u64 v[146:147], v[8:9], 4, v[116:117]
	s_mov_b64 vcc, src_shared_base
	v_cmp_ne_u32_e32 vcc, vcc_hi, v147
                                        ; implicit-def: $vgpr8
                                        ; implicit-def: $vgpr176_vgpr177
                                        ; implicit-def: $vgpr166_vgpr167
                                        ; implicit-def: $vgpr164_vgpr165
                                        ; implicit-def: $vgpr162_vgpr163
                                        ; implicit-def: $vgpr160_vgpr161
                                        ; implicit-def: $vgpr150_vgpr151
                                        ; implicit-def: $vgpr148_vgpr149
	s_and_saveexec_b64 s[40:41], vcc
	s_xor_b64 s[44:45], exec, s[40:41]
	s_cbranch_execz .LBB2_121
; %bb.116:
	s_mov_b64 s[40:41], src_private_base
	v_cmp_ne_u32_e64 s[40:41], s41, v147
                                        ; implicit-def: $vgpr8
                                        ; implicit-def: $vgpr176_vgpr177
                                        ; implicit-def: $vgpr166_vgpr167
                                        ; implicit-def: $vgpr164_vgpr165
                                        ; implicit-def: $vgpr162_vgpr163
                                        ; implicit-def: $vgpr160_vgpr161
                                        ; implicit-def: $vgpr150_vgpr151
                                        ; implicit-def: $vgpr148_vgpr149
	s_and_saveexec_b64 s[50:51], s[40:41]
	s_xor_b64 s[40:41], exec, s[50:51]
	s_cbranch_execz .LBB2_118
; %bb.117:
	;;#ASMSTART
	global_load_dwordx4 v[6:9], v[146:147] off sc1	
s_waitcnt vmcnt(0)
	;;#ASMEND
	s_nop 0
	v_lshlrev_b64 v[164:165], 24, v[8:9]
	v_lshrrev_b32_e32 v53, 8, v7
	v_lshlrev_b64 v[166:167], 16, v[8:9]
	v_lshlrev_b64 v[176:177], 8, v[8:9]
	v_lshrrev_b64 v[148:149], 8, v[6:7]
	v_lshrrev_b64 v[150:151], 16, v[6:7]
	;; [unrolled: 1-line block ×3, first 2 shown]
	v_mov_b32_e32 v162, v7
	v_or_b32_e32 v164, v53, v164
	v_or_b32_sdwa v166, v7, v166 dst_sel:DWORD dst_unused:UNUSED_PAD src0_sel:WORD_1 src1_sel:DWORD
	v_or_b32_sdwa v176, v7, v176 dst_sel:DWORD dst_unused:UNUSED_PAD src0_sel:BYTE_3 src1_sel:DWORD
.LBB2_118:
	s_andn2_saveexec_b64 s[40:41], s[40:41]
	s_cbranch_execz .LBB2_120
; %bb.119:
	;;#ASMSTART
	flat_load_dwordx4 v[6:9], v[146:147] sc1	
s_waitcnt vmcnt(0)
	;;#ASMEND
	s_nop 0
	v_lshlrev_b64 v[164:165], 24, v[8:9]
	v_lshrrev_b32_e32 v53, 8, v7
	v_lshlrev_b64 v[166:167], 16, v[8:9]
	v_lshlrev_b64 v[176:177], 8, v[8:9]
	v_lshrrev_b64 v[148:149], 8, v[6:7]
	v_lshrrev_b64 v[150:151], 16, v[6:7]
	;; [unrolled: 1-line block ×3, first 2 shown]
	v_mov_b32_e32 v162, v7
	v_or_b32_e32 v164, v53, v164
	v_or_b32_sdwa v166, v7, v166 dst_sel:DWORD dst_unused:UNUSED_PAD src0_sel:WORD_1 src1_sel:DWORD
	v_or_b32_sdwa v176, v7, v176 dst_sel:DWORD dst_unused:UNUSED_PAD src0_sel:BYTE_3 src1_sel:DWORD
.LBB2_120:
	s_or_b64 exec, exec, s[40:41]
.LBB2_121:
	s_andn2_saveexec_b64 s[44:45], s[44:45]
	s_cbranch_execz .LBB2_123
; %bb.122:
	v_cmp_ne_u64_e64 s[40:41], 0, v[146:147]
	s_nop 1
	v_cndmask_b32_e64 v6, -1, v146, s[40:41]
	;;#ASMSTART
	ds_read_b128 v[6:9], v6 	
s_waitcnt lgkmcnt(0)
	;;#ASMEND
	s_nop 0
	v_lshlrev_b64 v[164:165], 24, v[8:9]
	v_lshrrev_b32_e32 v53, 8, v7
	v_lshlrev_b64 v[166:167], 16, v[8:9]
	v_lshlrev_b64 v[176:177], 8, v[8:9]
	v_lshrrev_b64 v[148:149], 8, v[6:7]
	v_lshrrev_b64 v[150:151], 16, v[6:7]
	;; [unrolled: 1-line block ×3, first 2 shown]
	v_mov_b32_e32 v162, v7
	v_or_b32_e32 v164, v53, v164
	v_or_b32_sdwa v166, v7, v166 dst_sel:DWORD dst_unused:UNUSED_PAD src0_sel:WORD_1 src1_sel:DWORD
	v_or_b32_sdwa v176, v7, v176 dst_sel:DWORD dst_unused:UNUSED_PAD src0_sel:BYTE_3 src1_sel:DWORD
.LBB2_123:
	s_or_b64 exec, exec, s[44:45]
	v_lshlrev_b32_e32 v7, 8, v148
	s_mov_b32 s13, 0xc0c0500
	v_perm_b32 v6, v7, v6, s13
	v_lshlrev_b32_e32 v7, 16, v150
	v_and_b32_e32 v7, 0xff0000, v7
	v_lshlrev_b32_e32 v9, 24, v160
	v_or3_b32 v6, v6, v7, v9
	v_lshlrev_b32_e32 v9, 8, v164
	v_and_b32_e32 v7, 0xff, v162
	v_and_b32_e32 v9, 0xff00, v9
	v_lshlrev_b32_e32 v53, 16, v166
	v_or3_b32 v7, 0, v7, v9
	v_lshlrev_b32_e32 v9, 24, v176
	v_and_b32_e32 v53, 0xff0000, v53
	v_or3_b32 v6, v6, 0, 0
	v_or3_b32 v149, v7, v53, v9
	v_mov_b32_e32 v53, 0
	v_or3_b32 v148, v6, 0, 0
	v_cmp_eq_u16_sdwa s[40:41], v8, v53 src0_sel:BYTE_0 src1_sel:DWORD
	s_and_saveexec_b64 s[50:51], s[40:41]
	s_cbranch_execz .LBB2_136
; %bb.124:
	s_mov_b64 s[40:41], src_private_base
	v_cmp_ne_u64_e64 s[44:45], 0, v[146:147]
	v_cmp_ne_u32_e64 s[40:41], s41, v147
	s_mov_b64 s[52:53], 0
	v_cndmask_b32_e64 v71, -1, v146, s[44:45]
	s_branch .LBB2_126
.LBB2_125:                              ;   in Loop: Header=BB2_126 Depth=1
	s_or_b64 exec, exec, s[44:45]
	v_cmp_ne_u16_sdwa s[44:45], v8, v53 src0_sel:BYTE_0 src1_sel:DWORD
	s_or_b64 s[52:53], s[44:45], s[52:53]
	s_andn2_b64 exec, exec, s[52:53]
	s_cbranch_execz .LBB2_135
.LBB2_126:                              ; =>This Inner Loop Header: Depth=1
                                        ; implicit-def: $vgpr8
                                        ; implicit-def: $vgpr176_vgpr177
                                        ; implicit-def: $vgpr166_vgpr167
                                        ; implicit-def: $vgpr164_vgpr165
                                        ; implicit-def: $vgpr162_vgpr163
                                        ; implicit-def: $vgpr160_vgpr161
                                        ; implicit-def: $vgpr150_vgpr151
                                        ; implicit-def: $vgpr148_vgpr149
	s_and_saveexec_b64 s[44:45], vcc
	s_xor_b64 s[44:45], exec, s[44:45]
	s_cbranch_execz .LBB2_132
; %bb.127:                              ;   in Loop: Header=BB2_126 Depth=1
                                        ; implicit-def: $vgpr8
                                        ; implicit-def: $vgpr176_vgpr177
                                        ; implicit-def: $vgpr166_vgpr167
                                        ; implicit-def: $vgpr164_vgpr165
                                        ; implicit-def: $vgpr162_vgpr163
                                        ; implicit-def: $vgpr160_vgpr161
                                        ; implicit-def: $vgpr150_vgpr151
                                        ; implicit-def: $vgpr148_vgpr149
	s_and_saveexec_b64 s[54:55], s[40:41]
	s_xor_b64 s[54:55], exec, s[54:55]
	s_cbranch_execz .LBB2_129
; %bb.128:                              ;   in Loop: Header=BB2_126 Depth=1
	;;#ASMSTART
	global_load_dwordx4 v[6:9], v[146:147] off sc1	
s_waitcnt vmcnt(0)
	;;#ASMEND
	s_nop 0
	v_lshlrev_b64 v[164:165], 24, v[8:9]
	v_lshrrev_b32_e32 v145, 8, v7
	v_lshlrev_b64 v[166:167], 16, v[8:9]
	v_lshlrev_b64 v[176:177], 8, v[8:9]
	v_lshrrev_b64 v[148:149], 8, v[6:7]
	v_lshrrev_b64 v[150:151], 16, v[6:7]
	;; [unrolled: 1-line block ×3, first 2 shown]
	v_mov_b32_e32 v162, v7
	v_or_b32_e32 v164, v145, v164
	v_or_b32_sdwa v166, v7, v166 dst_sel:DWORD dst_unused:UNUSED_PAD src0_sel:WORD_1 src1_sel:DWORD
	v_or_b32_sdwa v176, v7, v176 dst_sel:DWORD dst_unused:UNUSED_PAD src0_sel:BYTE_3 src1_sel:DWORD
.LBB2_129:                              ;   in Loop: Header=BB2_126 Depth=1
	s_andn2_saveexec_b64 s[54:55], s[54:55]
	s_cbranch_execz .LBB2_131
; %bb.130:                              ;   in Loop: Header=BB2_126 Depth=1
	;;#ASMSTART
	flat_load_dwordx4 v[6:9], v[146:147] sc1	
s_waitcnt vmcnt(0)
	;;#ASMEND
	s_nop 0
	v_lshlrev_b64 v[164:165], 24, v[8:9]
	v_lshrrev_b32_e32 v145, 8, v7
	v_lshlrev_b64 v[166:167], 16, v[8:9]
	v_lshlrev_b64 v[176:177], 8, v[8:9]
	v_lshrrev_b64 v[148:149], 8, v[6:7]
	v_lshrrev_b64 v[150:151], 16, v[6:7]
	v_lshrrev_b64 v[160:161], 24, v[6:7]
	v_mov_b32_e32 v162, v7
	v_or_b32_e32 v164, v145, v164
	v_or_b32_sdwa v166, v7, v166 dst_sel:DWORD dst_unused:UNUSED_PAD src0_sel:WORD_1 src1_sel:DWORD
	v_or_b32_sdwa v176, v7, v176 dst_sel:DWORD dst_unused:UNUSED_PAD src0_sel:BYTE_3 src1_sel:DWORD
.LBB2_131:                              ;   in Loop: Header=BB2_126 Depth=1
	s_or_b64 exec, exec, s[54:55]
.LBB2_132:                              ;   in Loop: Header=BB2_126 Depth=1
	s_andn2_saveexec_b64 s[44:45], s[44:45]
	s_cbranch_execz .LBB2_125
; %bb.133:                              ;   in Loop: Header=BB2_126 Depth=1
	;;#ASMSTART
	ds_read_b128 v[6:9], v71 	
s_waitcnt lgkmcnt(0)
	;;#ASMEND
	s_nop 0
	v_lshlrev_b64 v[164:165], 24, v[8:9]
	v_lshrrev_b32_e32 v145, 8, v7
	v_lshlrev_b64 v[166:167], 16, v[8:9]
	v_lshlrev_b64 v[176:177], 8, v[8:9]
	v_lshrrev_b64 v[148:149], 8, v[6:7]
	v_lshrrev_b64 v[150:151], 16, v[6:7]
	;; [unrolled: 1-line block ×3, first 2 shown]
	v_mov_b32_e32 v162, v7
	v_or_b32_e32 v164, v145, v164
	v_or_b32_sdwa v166, v7, v166 dst_sel:DWORD dst_unused:UNUSED_PAD src0_sel:WORD_1 src1_sel:DWORD
	v_or_b32_sdwa v176, v7, v176 dst_sel:DWORD dst_unused:UNUSED_PAD src0_sel:BYTE_3 src1_sel:DWORD
	s_branch .LBB2_125
.LBB2_134:
                                        ; implicit-def: $vgpr4_vgpr5_vgpr6_vgpr7_vgpr8_vgpr9_vgpr10_vgpr11_vgpr12_vgpr13_vgpr14_vgpr15_vgpr16_vgpr17_vgpr18_vgpr19_vgpr20_vgpr21_vgpr22_vgpr23_vgpr24_vgpr25_vgpr26_vgpr27_vgpr28_vgpr29_vgpr30_vgpr31_vgpr32_vgpr33_vgpr34_vgpr35
	s_cbranch_execnz .LBB2_258
	s_branch .LBB2_375
.LBB2_135:
	s_or_b64 exec, exec, s[52:53]
	v_lshlrev_b32_e32 v7, 8, v148
	s_mov_b32 s13, 0xc0c0500
	v_perm_b32 v6, v7, v6, s13
	v_lshlrev_b32_e32 v7, 16, v150
	v_and_b32_e32 v7, 0xff0000, v7
	v_lshlrev_b32_e32 v9, 24, v160
	v_or3_b32 v6, v6, v7, v9
	v_lshlrev_b32_e32 v9, 8, v164
	v_and_b32_e32 v7, 0xff, v162
	v_and_b32_e32 v9, 0xff00, v9
	v_or3_b32 v7, 0, v7, v9
	v_lshlrev_b32_e32 v9, 16, v166
	v_or3_b32 v6, v6, 0, 0
	v_and_b32_e32 v9, 0xff0000, v9
	v_lshlrev_b32_e32 v53, 24, v176
	v_or3_b32 v149, v7, v9, v53
	v_or3_b32 v148, v6, 0, 0
.LBB2_136:
	s_or_b64 exec, exec, s[50:51]
	v_mov_b32_e32 v6, 2
	v_cmp_eq_u16_sdwa vcc, v8, v6 src0_sel:BYTE_0 src1_sel:DWORD
	v_lshlrev_b64 v[146:147], v178, -1
	v_and_b32_e32 v53, 63, v178
	v_and_b32_e32 v6, vcc_hi, v147
	v_and_b32_e32 v7, vcc_lo, v146
	v_cmp_ne_u32_e32 vcc, 63, v53
	v_or_b32_e32 v6, 0x80000000, v6
	v_ffbl_b32_e32 v6, v6
	v_addc_co_u32_e32 v9, vcc, 0, v178, vcc
	v_lshlrev_b32_e32 v71, 2, v9
	ds_bpermute_b32 v150, v71, v148
	ds_bpermute_b32 v151, v71, v149
	v_add_u32_e32 v6, 32, v6
	v_ffbl_b32_e32 v7, v7
	v_min_u32_e32 v9, v7, v6
	v_cmp_lt_u32_e32 vcc, v53, v9
	v_mov_b64_e32 v[6:7], v[148:149]
	s_and_saveexec_b64 s[44:45], vcc
	s_cbranch_execz .LBB2_140
; %bb.137:
	s_waitcnt lgkmcnt(0)
	v_max_f64 v[6:7], v[150:151], v[150:151]
	v_max_f64 v[162:163], v[148:149], v[148:149]
	v_min_f64 v[160:161], v[6:7], v[162:163]
	v_cmp_u_f64_e32 vcc, v[150:151], v[150:151]
	v_max_f64 v[6:7], v[6:7], v[162:163]
	v_cmp_u_f64_e64 s[40:41], v[148:149], v[148:149]
	v_cndmask_b32_e32 v145, v160, v150, vcc
	v_cndmask_b32_e32 v160, v161, v151, vcc
	;; [unrolled: 1-line block ×4, first 2 shown]
	v_cndmask_b32_e64 v161, v160, v149, s[40:41]
	v_cndmask_b32_e64 v160, v145, v148, s[40:41]
	;; [unrolled: 1-line block ×4, first 2 shown]
	s_movk_i32 s13, 0x1f8
	v_cmp_neq_f64_e32 vcc, v[160:161], v[6:7]
	v_cmp_class_f64_e64 s[40:41], v[160:161], s13
	s_or_b64 vcc, vcc, s[40:41]
	s_and_saveexec_b64 s[50:51], vcc
	s_cbranch_execz .LBB2_139
; %bb.138:
	s_mov_b32 vcc_lo, 0x652b82fe
	v_add_f64 v[148:149], v[160:161], -v[6:7]
	s_mov_b32 vcc_hi, 0x3ff71547
	v_mul_f64 v[150:151], v[148:149], vcc
	v_rndne_f64_e32 v[150:151], v[150:151]
	s_mov_b32 s53, 0xbfe62e42
	s_mov_b32 s52, 0xfefa39ef
	v_fma_f64 v[160:161], s[52:53], v[150:151], v[148:149]
	s_mov_b32 s55, 0xbc7abc9e
	s_mov_b32 s54, 0x3b39803f
	s_mov_b32 vcc_lo, 0x6a5dcb37
	v_fmac_f64_e32 v[160:161], s[54:55], v[150:151]
	v_mov_b32_e32 v162, 0xfca7ab0c
	v_mov_b32_e32 v163, 0x3e928af3
	s_mov_b32 vcc_hi, 0x3e5ade15
	v_fmac_f64_e32 v[162:163], vcc, v[160:161]
	v_mov_b32_e32 v164, 0x623fde64
	v_mov_b32_e32 v165, 0x3ec71dee
	v_fmac_f64_e32 v[164:165], v[160:161], v[162:163]
	v_mov_b32_e32 v162, 0x7c89e6b0
	v_mov_b32_e32 v163, 0x3efa0199
	v_fmac_f64_e32 v[162:163], v[160:161], v[164:165]
	;; [unrolled: 3-line block ×8, first 2 shown]
	v_fma_f64 v[162:163], v[160:161], v[162:163], 1.0
	s_mov_b32 vcc_lo, 0
	s_mov_b32 s40, 0
	v_fma_f64 v[160:161], v[160:161], v[162:163], 1.0
	v_cvt_i32_f64_e32 v145, v[150:151]
	s_mov_b32 vcc_hi, 0x40900000
	s_mov_b32 s41, 0xc090cc00
	v_ldexp_f64 v[150:151], v[160:161], v145
	v_mov_b32_e32 v145, 0x7ff00000
	v_cmp_nlt_f64_e32 vcc, vcc, v[148:149]
	v_cmp_ngt_f64_e64 s[40:41], s[40:41], v[148:149]
	s_mov_b32 s53, 0x3fe62e42
	v_cndmask_b32_e32 v145, v145, v151, vcc
	s_and_b64 vcc, s[40:41], vcc
	v_cndmask_b32_e64 v149, 0, v145, s[40:41]
	v_cndmask_b32_e32 v148, 0, v150, vcc
	v_add_f64 v[150:151], v[148:149], 1.0
	v_add_f64 v[160:161], v[150:151], -1.0
	v_add_f64 v[162:163], v[160:161], -v[150:151]
	v_add_f64 v[162:163], v[162:163], 1.0
	v_add_f64 v[160:161], v[148:149], -v[160:161]
	s_mov_b32 vcc_lo, 0x55555555
	v_add_f64 v[160:161], v[160:161], v[162:163]
	v_frexp_mant_f64_e32 v[162:163], v[150:151]
	s_mov_b32 vcc_hi, 0x3fe55555
	v_frexp_exp_i32_f64_e32 v145, v[150:151]
	v_cmp_gt_f64_e32 vcc, vcc, v[162:163]
	s_mov_b32 s55, 0x3c7abc9e
	s_nop 0
	v_subbrev_co_u32_e32 v145, vcc, 0, v145, vcc
	v_sub_u32_e32 v162, 0, v145
	v_ldexp_f64 v[150:151], v[150:151], v162
	v_ldexp_f64 v[160:161], v[160:161], v162
	v_add_f64 v[162:163], v[150:151], -1.0
	v_add_f64 v[176:177], v[150:151], 1.0
	v_add_f64 v[164:165], v[162:163], 1.0
	v_add_f64 v[180:181], v[176:177], -1.0
	v_add_f64 v[164:165], v[150:151], -v[164:165]
	v_add_f64 v[150:151], v[150:151], -v[180:181]
	v_add_f64 v[150:151], v[160:161], v[150:151]
	v_add_f64 v[164:165], v[160:161], v[164:165]
	;; [unrolled: 1-line block ×3, first 2 shown]
	v_rcp_f64_e32 v[180:181], v[160:161]
	v_add_f64 v[166:167], v[162:163], v[164:165]
	v_add_f64 v[162:163], v[166:167], -v[162:163]
	v_add_f64 v[162:163], v[164:165], -v[162:163]
	;; [unrolled: 1-line block ×4, first 2 shown]
	v_fma_f64 v[164:165], -v[160:161], v[180:181], 1.0
	v_fmac_f64_e32 v[180:181], v[164:165], v[180:181]
	v_fma_f64 v[164:165], -v[160:161], v[180:181], 1.0
	v_fmac_f64_e32 v[180:181], v[164:165], v[180:181]
	v_mul_f64 v[164:165], v[166:167], v[180:181]
	v_mul_f64 v[176:177], v[160:161], v[164:165]
	v_fma_f64 v[182:183], v[164:165], v[160:161], -v[176:177]
	v_fmac_f64_e32 v[182:183], v[164:165], v[150:151]
	v_add_f64 v[192:193], v[176:177], v[182:183]
	v_add_f64 v[194:195], v[166:167], -v[192:193]
	v_add_f64 v[166:167], v[166:167], -v[194:195]
	;; [unrolled: 1-line block ×4, first 2 shown]
	v_add_f64 v[162:163], v[162:163], v[166:167]
	v_add_f64 v[166:167], v[176:177], -v[182:183]
	v_add_f64 v[162:163], v[166:167], v[162:163]
	v_add_f64 v[166:167], v[194:195], v[162:163]
	v_add_f64 v[176:177], v[194:195], -v[166:167]
	v_add_f64 v[162:163], v[162:163], v[176:177]
	v_mul_f64 v[176:177], v[180:181], v[166:167]
	v_mul_f64 v[182:183], v[160:161], v[176:177]
	v_fma_f64 v[160:161], v[176:177], v[160:161], -v[182:183]
	v_fmac_f64_e32 v[160:161], v[176:177], v[150:151]
	v_add_f64 v[150:151], v[182:183], v[160:161]
	v_add_f64 v[192:193], v[166:167], -v[150:151]
	v_add_f64 v[166:167], v[166:167], -v[192:193]
	v_add_f64 v[182:183], v[150:151], -v[182:183]
	v_add_f64 v[150:151], v[166:167], -v[150:151]
	v_add_f64 v[150:151], v[162:163], v[150:151]
	v_add_f64 v[160:161], v[182:183], -v[160:161]
	v_add_f64 v[150:151], v[160:161], v[150:151]
	v_add_f64 v[160:161], v[164:165], v[176:177]
	;; [unrolled: 1-line block ×3, first 2 shown]
	v_add_f64 v[162:163], v[160:161], -v[164:165]
	v_mul_f64 v[150:151], v[180:181], v[150:151]
	v_add_f64 v[162:163], v[176:177], -v[162:163]
	v_add_f64 v[150:151], v[162:163], v[150:151]
	v_add_f64 v[162:163], v[160:161], v[150:151]
	v_add_f64 v[160:161], v[162:163], -v[160:161]
	s_mov_b32 vcc_lo, 0xbf559e2b
	v_add_f64 v[150:151], v[150:151], -v[160:161]
	v_mul_f64 v[160:161], v[162:163], v[162:163]
	v_mov_b32_e32 v164, 0x6b47b09a
	v_mov_b32_e32 v165, 0x3fc38538
	s_mov_b32 vcc_hi, 0x3fc3ab76
	v_fmac_f64_e32 v[164:165], vcc, v[160:161]
	v_mov_b32_e32 v166, 0xd7f4df2e
	v_mov_b32_e32 v167, 0x3fc7474d
	v_fmac_f64_e32 v[166:167], v[160:161], v[164:165]
	v_mov_b32_e32 v164, 0x16291751
	v_mov_b32_e32 v165, 0x3fcc71c0
	v_fmac_f64_e32 v[164:165], v[160:161], v[166:167]
	;; [unrolled: 3-line block ×5, first 2 shown]
	v_cvt_f64_i32_e32 v[164:165], v145
	v_mul_f64 v[176:177], v[164:165], s[52:53]
	v_fma_f64 v[180:181], v[164:165], s[52:53], -v[176:177]
	v_fmac_f64_e32 v[180:181], s[54:55], v[164:165]
	v_add_f64 v[164:165], v[176:177], v[180:181]
	v_add_f64 v[176:177], v[164:165], -v[176:177]
	v_mul_f64 v[160:161], v[162:163], v[160:161]
	v_add_f64 v[176:177], v[180:181], -v[176:177]
	v_ldexp_f64 v[180:181], v[162:163], 1
	v_mul_f64 v[160:161], v[160:161], v[166:167]
	v_add_f64 v[162:163], v[180:181], v[160:161]
	v_add_f64 v[166:167], v[162:163], -v[180:181]
	v_ldexp_f64 v[150:151], v[150:151], 1
	v_add_f64 v[160:161], v[160:161], -v[166:167]
	v_add_f64 v[150:151], v[150:151], v[160:161]
	v_add_f64 v[160:161], v[162:163], v[150:151]
	v_add_f64 v[162:163], v[160:161], -v[162:163]
	v_add_f64 v[150:151], v[150:151], -v[162:163]
	v_add_f64 v[162:163], v[164:165], v[160:161]
	v_add_f64 v[166:167], v[162:163], -v[164:165]
	v_add_f64 v[180:181], v[162:163], -v[166:167]
	;; [unrolled: 1-line block ×4, first 2 shown]
	v_add_f64 v[160:161], v[160:161], v[164:165]
	v_add_f64 v[164:165], v[176:177], v[150:151]
	v_add_f64 v[166:167], v[164:165], -v[176:177]
	v_add_f64 v[160:161], v[164:165], v[160:161]
	v_add_f64 v[180:181], v[164:165], -v[166:167]
	;; [unrolled: 2-line block ×3, first 2 shown]
	v_add_f64 v[150:151], v[150:151], -v[166:167]
	v_add_f64 v[162:163], v[164:165], -v[162:163]
	v_add_f64 v[150:151], v[150:151], v[176:177]
	v_add_f64 v[160:161], v[160:161], -v[162:163]
	s_mov_b32 vcc_lo, 0
	v_add_f64 v[150:151], v[150:151], v[160:161]
	s_mov_b32 vcc_hi, 0x7ff00000
	v_add_f64 v[150:151], v[164:165], v[150:151]
	v_cmp_eq_f64_e32 vcc, vcc, v[148:149]
	s_nop 1
	v_cndmask_b32_e32 v145, v150, v148, vcc
	v_cndmask_b32_e32 v150, v151, v149, vcc
	v_mov_b32_e32 v151, 0x7ff80000
	v_cmp_ngt_f64_e32 vcc, -1.0, v[148:149]
	s_nop 1
	v_cndmask_b32_e32 v151, v151, v150, vcc
	v_cmp_nge_f64_e32 vcc, -1.0, v[148:149]
	s_nop 1
	v_cndmask_b32_e32 v150, 0, v145, vcc
	v_mov_b32_e32 v145, 0xfff00000
	v_cmp_neq_f64_e32 vcc, -1.0, v[148:149]
	s_nop 1
	v_cndmask_b32_e32 v151, v145, v151, vcc
	v_add_f64 v[150:151], v[6:7], v[150:151]
.LBB2_139:
	s_or_b64 exec, exec, s[50:51]
	v_mov_b32_e32 v148, v150
	v_mov_b32_e32 v149, v151
	v_mov_b64_e32 v[6:7], v[150:151]
.LBB2_140:
	s_or_b64 exec, exec, s[44:45]
	v_cmp_gt_u32_e32 vcc, 62, v53
	v_add_u32_e32 v246, 2, v53
	s_nop 0
	v_cndmask_b32_e64 v145, 0, 1, vcc
	v_lshlrev_b32_e32 v145, 1, v145
	v_add_lshl_u32 v245, v145, v178, 2
	s_waitcnt lgkmcnt(1)
	ds_bpermute_b32 v150, v245, v148
	s_waitcnt lgkmcnt(1)
	ds_bpermute_b32 v151, v245, v149
	v_cmp_le_u32_e32 vcc, v246, v9
	s_and_saveexec_b64 s[44:45], vcc
	s_cbranch_execz .LBB2_144
; %bb.141:
	s_waitcnt lgkmcnt(0)
	v_max_f64 v[160:161], v[150:151], v[150:151]
	v_max_f64 v[162:163], v[6:7], v[6:7]
	v_min_f64 v[148:149], v[160:161], v[162:163]
	v_cmp_u_f64_e32 vcc, v[150:151], v[150:151]
	v_cmp_u_f64_e64 s[40:41], v[6:7], v[6:7]
	v_max_f64 v[160:161], v[160:161], v[162:163]
	v_cndmask_b32_e32 v145, v148, v150, vcc
	v_cndmask_b32_e32 v148, v149, v151, vcc
	v_cndmask_b32_e64 v149, v148, v7, s[40:41]
	v_cndmask_b32_e64 v148, v145, v6, s[40:41]
	v_cndmask_b32_e32 v145, v160, v150, vcc
	v_cndmask_b32_e32 v160, v161, v151, vcc
	v_cndmask_b32_e64 v7, v160, v7, s[40:41]
	v_cndmask_b32_e64 v6, v145, v6, s[40:41]
	s_movk_i32 s13, 0x1f8
	v_cmp_neq_f64_e32 vcc, v[148:149], v[6:7]
	v_cmp_class_f64_e64 s[40:41], v[148:149], s13
	s_or_b64 vcc, vcc, s[40:41]
	s_and_saveexec_b64 s[50:51], vcc
	s_cbranch_execz .LBB2_143
; %bb.142:
	s_mov_b32 vcc_lo, 0x652b82fe
	v_add_f64 v[148:149], v[148:149], -v[6:7]
	s_mov_b32 vcc_hi, 0x3ff71547
	v_mul_f64 v[150:151], v[148:149], vcc
	v_rndne_f64_e32 v[150:151], v[150:151]
	s_mov_b32 s53, 0xbfe62e42
	s_mov_b32 s52, 0xfefa39ef
	v_fma_f64 v[160:161], s[52:53], v[150:151], v[148:149]
	s_mov_b32 s55, 0xbc7abc9e
	s_mov_b32 s54, 0x3b39803f
	s_mov_b32 vcc_lo, 0x6a5dcb37
	v_fmac_f64_e32 v[160:161], s[54:55], v[150:151]
	v_mov_b32_e32 v162, 0xfca7ab0c
	v_mov_b32_e32 v163, 0x3e928af3
	s_mov_b32 vcc_hi, 0x3e5ade15
	v_fmac_f64_e32 v[162:163], vcc, v[160:161]
	v_mov_b32_e32 v164, 0x623fde64
	v_mov_b32_e32 v165, 0x3ec71dee
	v_fmac_f64_e32 v[164:165], v[160:161], v[162:163]
	v_mov_b32_e32 v162, 0x7c89e6b0
	v_mov_b32_e32 v163, 0x3efa0199
	v_fmac_f64_e32 v[162:163], v[160:161], v[164:165]
	;; [unrolled: 3-line block ×8, first 2 shown]
	v_fma_f64 v[162:163], v[160:161], v[162:163], 1.0
	s_mov_b32 vcc_lo, 0
	s_mov_b32 s40, 0
	v_fma_f64 v[160:161], v[160:161], v[162:163], 1.0
	v_cvt_i32_f64_e32 v145, v[150:151]
	s_mov_b32 vcc_hi, 0x40900000
	s_mov_b32 s41, 0xc090cc00
	v_ldexp_f64 v[150:151], v[160:161], v145
	v_mov_b32_e32 v145, 0x7ff00000
	v_cmp_nlt_f64_e32 vcc, vcc, v[148:149]
	v_cmp_ngt_f64_e64 s[40:41], s[40:41], v[148:149]
	s_mov_b32 s53, 0x3fe62e42
	v_cndmask_b32_e32 v145, v145, v151, vcc
	s_and_b64 vcc, s[40:41], vcc
	v_cndmask_b32_e64 v149, 0, v145, s[40:41]
	v_cndmask_b32_e32 v148, 0, v150, vcc
	v_add_f64 v[150:151], v[148:149], 1.0
	v_add_f64 v[160:161], v[150:151], -1.0
	v_add_f64 v[162:163], v[160:161], -v[150:151]
	v_add_f64 v[162:163], v[162:163], 1.0
	v_add_f64 v[160:161], v[148:149], -v[160:161]
	s_mov_b32 vcc_lo, 0x55555555
	v_add_f64 v[160:161], v[160:161], v[162:163]
	v_frexp_mant_f64_e32 v[162:163], v[150:151]
	s_mov_b32 vcc_hi, 0x3fe55555
	v_frexp_exp_i32_f64_e32 v145, v[150:151]
	v_cmp_gt_f64_e32 vcc, vcc, v[162:163]
	s_mov_b32 s55, 0x3c7abc9e
	s_nop 0
	v_subbrev_co_u32_e32 v145, vcc, 0, v145, vcc
	v_sub_u32_e32 v162, 0, v145
	v_ldexp_f64 v[150:151], v[150:151], v162
	v_ldexp_f64 v[160:161], v[160:161], v162
	v_add_f64 v[162:163], v[150:151], -1.0
	v_add_f64 v[176:177], v[150:151], 1.0
	v_add_f64 v[164:165], v[162:163], 1.0
	v_add_f64 v[180:181], v[176:177], -1.0
	v_add_f64 v[164:165], v[150:151], -v[164:165]
	v_add_f64 v[150:151], v[150:151], -v[180:181]
	v_add_f64 v[150:151], v[160:161], v[150:151]
	v_add_f64 v[164:165], v[160:161], v[164:165]
	;; [unrolled: 1-line block ×3, first 2 shown]
	v_rcp_f64_e32 v[180:181], v[160:161]
	v_add_f64 v[166:167], v[162:163], v[164:165]
	v_add_f64 v[162:163], v[166:167], -v[162:163]
	v_add_f64 v[162:163], v[164:165], -v[162:163]
	;; [unrolled: 1-line block ×4, first 2 shown]
	v_fma_f64 v[164:165], -v[160:161], v[180:181], 1.0
	v_fmac_f64_e32 v[180:181], v[164:165], v[180:181]
	v_fma_f64 v[164:165], -v[160:161], v[180:181], 1.0
	v_fmac_f64_e32 v[180:181], v[164:165], v[180:181]
	v_mul_f64 v[164:165], v[166:167], v[180:181]
	v_mul_f64 v[176:177], v[160:161], v[164:165]
	v_fma_f64 v[182:183], v[164:165], v[160:161], -v[176:177]
	v_fmac_f64_e32 v[182:183], v[164:165], v[150:151]
	v_add_f64 v[192:193], v[176:177], v[182:183]
	v_add_f64 v[194:195], v[166:167], -v[192:193]
	v_add_f64 v[166:167], v[166:167], -v[194:195]
	;; [unrolled: 1-line block ×4, first 2 shown]
	v_add_f64 v[162:163], v[162:163], v[166:167]
	v_add_f64 v[166:167], v[176:177], -v[182:183]
	v_add_f64 v[162:163], v[166:167], v[162:163]
	v_add_f64 v[166:167], v[194:195], v[162:163]
	v_add_f64 v[176:177], v[194:195], -v[166:167]
	v_add_f64 v[162:163], v[162:163], v[176:177]
	v_mul_f64 v[176:177], v[180:181], v[166:167]
	v_mul_f64 v[182:183], v[160:161], v[176:177]
	v_fma_f64 v[160:161], v[176:177], v[160:161], -v[182:183]
	v_fmac_f64_e32 v[160:161], v[176:177], v[150:151]
	v_add_f64 v[150:151], v[182:183], v[160:161]
	v_add_f64 v[192:193], v[166:167], -v[150:151]
	v_add_f64 v[166:167], v[166:167], -v[192:193]
	;; [unrolled: 1-line block ×4, first 2 shown]
	v_add_f64 v[150:151], v[162:163], v[150:151]
	v_add_f64 v[160:161], v[182:183], -v[160:161]
	v_add_f64 v[150:151], v[160:161], v[150:151]
	v_add_f64 v[160:161], v[164:165], v[176:177]
	;; [unrolled: 1-line block ×3, first 2 shown]
	v_add_f64 v[162:163], v[160:161], -v[164:165]
	v_mul_f64 v[150:151], v[180:181], v[150:151]
	v_add_f64 v[162:163], v[176:177], -v[162:163]
	v_add_f64 v[150:151], v[162:163], v[150:151]
	v_add_f64 v[162:163], v[160:161], v[150:151]
	v_add_f64 v[160:161], v[162:163], -v[160:161]
	s_mov_b32 vcc_lo, 0xbf559e2b
	v_add_f64 v[150:151], v[150:151], -v[160:161]
	v_mul_f64 v[160:161], v[162:163], v[162:163]
	v_mov_b32_e32 v164, 0x6b47b09a
	v_mov_b32_e32 v165, 0x3fc38538
	s_mov_b32 vcc_hi, 0x3fc3ab76
	v_fmac_f64_e32 v[164:165], vcc, v[160:161]
	v_mov_b32_e32 v166, 0xd7f4df2e
	v_mov_b32_e32 v167, 0x3fc7474d
	v_fmac_f64_e32 v[166:167], v[160:161], v[164:165]
	v_mov_b32_e32 v164, 0x16291751
	v_mov_b32_e32 v165, 0x3fcc71c0
	v_fmac_f64_e32 v[164:165], v[160:161], v[166:167]
	;; [unrolled: 3-line block ×5, first 2 shown]
	v_cvt_f64_i32_e32 v[164:165], v145
	v_mul_f64 v[176:177], v[164:165], s[52:53]
	v_fma_f64 v[180:181], v[164:165], s[52:53], -v[176:177]
	v_fmac_f64_e32 v[180:181], s[54:55], v[164:165]
	v_add_f64 v[164:165], v[176:177], v[180:181]
	v_add_f64 v[176:177], v[164:165], -v[176:177]
	v_mul_f64 v[160:161], v[162:163], v[160:161]
	v_add_f64 v[176:177], v[180:181], -v[176:177]
	v_ldexp_f64 v[180:181], v[162:163], 1
	v_mul_f64 v[160:161], v[160:161], v[166:167]
	v_add_f64 v[162:163], v[180:181], v[160:161]
	v_add_f64 v[166:167], v[162:163], -v[180:181]
	v_ldexp_f64 v[150:151], v[150:151], 1
	v_add_f64 v[160:161], v[160:161], -v[166:167]
	v_add_f64 v[150:151], v[150:151], v[160:161]
	v_add_f64 v[160:161], v[162:163], v[150:151]
	v_add_f64 v[162:163], v[160:161], -v[162:163]
	v_add_f64 v[150:151], v[150:151], -v[162:163]
	v_add_f64 v[162:163], v[164:165], v[160:161]
	v_add_f64 v[166:167], v[162:163], -v[164:165]
	v_add_f64 v[180:181], v[162:163], -v[166:167]
	;; [unrolled: 1-line block ×4, first 2 shown]
	v_add_f64 v[160:161], v[160:161], v[164:165]
	v_add_f64 v[164:165], v[176:177], v[150:151]
	v_add_f64 v[166:167], v[164:165], -v[176:177]
	v_add_f64 v[160:161], v[164:165], v[160:161]
	v_add_f64 v[180:181], v[164:165], -v[166:167]
	;; [unrolled: 2-line block ×3, first 2 shown]
	v_add_f64 v[150:151], v[150:151], -v[166:167]
	v_add_f64 v[162:163], v[164:165], -v[162:163]
	v_add_f64 v[150:151], v[150:151], v[176:177]
	v_add_f64 v[160:161], v[160:161], -v[162:163]
	s_mov_b32 vcc_lo, 0
	v_add_f64 v[150:151], v[150:151], v[160:161]
	s_mov_b32 vcc_hi, 0x7ff00000
	v_add_f64 v[150:151], v[164:165], v[150:151]
	v_cmp_eq_f64_e32 vcc, vcc, v[148:149]
	s_nop 1
	v_cndmask_b32_e32 v145, v150, v148, vcc
	v_cndmask_b32_e32 v150, v151, v149, vcc
	v_mov_b32_e32 v151, 0x7ff80000
	v_cmp_ngt_f64_e32 vcc, -1.0, v[148:149]
	s_nop 1
	v_cndmask_b32_e32 v151, v151, v150, vcc
	v_cmp_nge_f64_e32 vcc, -1.0, v[148:149]
	s_nop 1
	v_cndmask_b32_e32 v150, 0, v145, vcc
	v_mov_b32_e32 v145, 0xfff00000
	v_cmp_neq_f64_e32 vcc, -1.0, v[148:149]
	s_nop 1
	v_cndmask_b32_e32 v151, v145, v151, vcc
	v_add_f64 v[150:151], v[6:7], v[150:151]
.LBB2_143:
	s_or_b64 exec, exec, s[50:51]
	v_mov_b32_e32 v148, v150
	v_mov_b32_e32 v149, v151
	v_mov_b64_e32 v[6:7], v[150:151]
.LBB2_144:
	s_or_b64 exec, exec, s[44:45]
	v_cmp_gt_u32_e32 vcc, 60, v53
	v_add_u32_e32 v40, 4, v53
	s_nop 0
	v_cndmask_b32_e64 v145, 0, 1, vcc
	v_lshlrev_b32_e32 v145, 2, v145
	v_add_lshl_u32 v247, v145, v178, 2
	s_waitcnt lgkmcnt(1)
	ds_bpermute_b32 v150, v247, v148
	s_waitcnt lgkmcnt(1)
	ds_bpermute_b32 v151, v247, v149
	v_cmp_le_u32_e32 vcc, v40, v9
	s_and_saveexec_b64 s[44:45], vcc
	s_cbranch_execz .LBB2_148
; %bb.145:
	s_waitcnt lgkmcnt(0)
	v_max_f64 v[160:161], v[150:151], v[150:151]
	v_max_f64 v[162:163], v[6:7], v[6:7]
	v_min_f64 v[148:149], v[160:161], v[162:163]
	v_cmp_u_f64_e32 vcc, v[150:151], v[150:151]
	v_cmp_u_f64_e64 s[40:41], v[6:7], v[6:7]
	v_max_f64 v[160:161], v[160:161], v[162:163]
	v_cndmask_b32_e32 v145, v148, v150, vcc
	v_cndmask_b32_e32 v148, v149, v151, vcc
	v_cndmask_b32_e64 v149, v148, v7, s[40:41]
	v_cndmask_b32_e64 v148, v145, v6, s[40:41]
	v_cndmask_b32_e32 v145, v160, v150, vcc
	v_cndmask_b32_e32 v160, v161, v151, vcc
	v_cndmask_b32_e64 v7, v160, v7, s[40:41]
	v_cndmask_b32_e64 v6, v145, v6, s[40:41]
	s_movk_i32 s13, 0x1f8
	v_cmp_neq_f64_e32 vcc, v[148:149], v[6:7]
	v_cmp_class_f64_e64 s[40:41], v[148:149], s13
	s_or_b64 vcc, vcc, s[40:41]
	s_and_saveexec_b64 s[50:51], vcc
	s_cbranch_execz .LBB2_147
; %bb.146:
	s_mov_b32 vcc_lo, 0x652b82fe
	v_add_f64 v[148:149], v[148:149], -v[6:7]
	s_mov_b32 vcc_hi, 0x3ff71547
	v_mul_f64 v[150:151], v[148:149], vcc
	v_rndne_f64_e32 v[150:151], v[150:151]
	s_mov_b32 s53, 0xbfe62e42
	s_mov_b32 s52, 0xfefa39ef
	v_fma_f64 v[160:161], s[52:53], v[150:151], v[148:149]
	s_mov_b32 s55, 0xbc7abc9e
	s_mov_b32 s54, 0x3b39803f
	s_mov_b32 vcc_lo, 0x6a5dcb37
	v_fmac_f64_e32 v[160:161], s[54:55], v[150:151]
	v_mov_b32_e32 v162, 0xfca7ab0c
	v_mov_b32_e32 v163, 0x3e928af3
	s_mov_b32 vcc_hi, 0x3e5ade15
	v_fmac_f64_e32 v[162:163], vcc, v[160:161]
	v_mov_b32_e32 v164, 0x623fde64
	v_mov_b32_e32 v165, 0x3ec71dee
	v_fmac_f64_e32 v[164:165], v[160:161], v[162:163]
	v_mov_b32_e32 v162, 0x7c89e6b0
	v_mov_b32_e32 v163, 0x3efa0199
	v_fmac_f64_e32 v[162:163], v[160:161], v[164:165]
	;; [unrolled: 3-line block ×8, first 2 shown]
	v_fma_f64 v[162:163], v[160:161], v[162:163], 1.0
	s_mov_b32 vcc_lo, 0
	s_mov_b32 s40, 0
	v_fma_f64 v[160:161], v[160:161], v[162:163], 1.0
	v_cvt_i32_f64_e32 v145, v[150:151]
	s_mov_b32 vcc_hi, 0x40900000
	s_mov_b32 s41, 0xc090cc00
	v_ldexp_f64 v[150:151], v[160:161], v145
	v_mov_b32_e32 v145, 0x7ff00000
	v_cmp_nlt_f64_e32 vcc, vcc, v[148:149]
	v_cmp_ngt_f64_e64 s[40:41], s[40:41], v[148:149]
	s_mov_b32 s53, 0x3fe62e42
	v_cndmask_b32_e32 v145, v145, v151, vcc
	s_and_b64 vcc, s[40:41], vcc
	v_cndmask_b32_e64 v149, 0, v145, s[40:41]
	v_cndmask_b32_e32 v148, 0, v150, vcc
	v_add_f64 v[150:151], v[148:149], 1.0
	v_add_f64 v[160:161], v[150:151], -1.0
	v_add_f64 v[162:163], v[160:161], -v[150:151]
	v_add_f64 v[162:163], v[162:163], 1.0
	v_add_f64 v[160:161], v[148:149], -v[160:161]
	s_mov_b32 vcc_lo, 0x55555555
	v_add_f64 v[160:161], v[160:161], v[162:163]
	v_frexp_mant_f64_e32 v[162:163], v[150:151]
	s_mov_b32 vcc_hi, 0x3fe55555
	v_frexp_exp_i32_f64_e32 v145, v[150:151]
	v_cmp_gt_f64_e32 vcc, vcc, v[162:163]
	s_mov_b32 s55, 0x3c7abc9e
	s_nop 0
	v_subbrev_co_u32_e32 v145, vcc, 0, v145, vcc
	v_sub_u32_e32 v162, 0, v145
	v_ldexp_f64 v[150:151], v[150:151], v162
	v_ldexp_f64 v[160:161], v[160:161], v162
	v_add_f64 v[162:163], v[150:151], -1.0
	v_add_f64 v[176:177], v[150:151], 1.0
	v_add_f64 v[164:165], v[162:163], 1.0
	v_add_f64 v[180:181], v[176:177], -1.0
	v_add_f64 v[164:165], v[150:151], -v[164:165]
	v_add_f64 v[150:151], v[150:151], -v[180:181]
	v_add_f64 v[150:151], v[160:161], v[150:151]
	v_add_f64 v[164:165], v[160:161], v[164:165]
	;; [unrolled: 1-line block ×3, first 2 shown]
	v_rcp_f64_e32 v[180:181], v[160:161]
	v_add_f64 v[166:167], v[162:163], v[164:165]
	v_add_f64 v[162:163], v[166:167], -v[162:163]
	v_add_f64 v[162:163], v[164:165], -v[162:163]
	;; [unrolled: 1-line block ×4, first 2 shown]
	v_fma_f64 v[164:165], -v[160:161], v[180:181], 1.0
	v_fmac_f64_e32 v[180:181], v[164:165], v[180:181]
	v_fma_f64 v[164:165], -v[160:161], v[180:181], 1.0
	v_fmac_f64_e32 v[180:181], v[164:165], v[180:181]
	v_mul_f64 v[164:165], v[166:167], v[180:181]
	v_mul_f64 v[176:177], v[160:161], v[164:165]
	v_fma_f64 v[182:183], v[164:165], v[160:161], -v[176:177]
	v_fmac_f64_e32 v[182:183], v[164:165], v[150:151]
	v_add_f64 v[192:193], v[176:177], v[182:183]
	v_add_f64 v[194:195], v[166:167], -v[192:193]
	v_add_f64 v[166:167], v[166:167], -v[194:195]
	v_add_f64 v[176:177], v[192:193], -v[176:177]
	v_add_f64 v[166:167], v[166:167], -v[192:193]
	v_add_f64 v[162:163], v[162:163], v[166:167]
	v_add_f64 v[166:167], v[176:177], -v[182:183]
	v_add_f64 v[162:163], v[166:167], v[162:163]
	v_add_f64 v[166:167], v[194:195], v[162:163]
	v_add_f64 v[176:177], v[194:195], -v[166:167]
	v_add_f64 v[162:163], v[162:163], v[176:177]
	v_mul_f64 v[176:177], v[180:181], v[166:167]
	v_mul_f64 v[182:183], v[160:161], v[176:177]
	v_fma_f64 v[160:161], v[176:177], v[160:161], -v[182:183]
	v_fmac_f64_e32 v[160:161], v[176:177], v[150:151]
	v_add_f64 v[150:151], v[182:183], v[160:161]
	v_add_f64 v[192:193], v[166:167], -v[150:151]
	v_add_f64 v[166:167], v[166:167], -v[192:193]
	v_add_f64 v[182:183], v[150:151], -v[182:183]
	v_add_f64 v[150:151], v[166:167], -v[150:151]
	v_add_f64 v[150:151], v[162:163], v[150:151]
	v_add_f64 v[160:161], v[182:183], -v[160:161]
	v_add_f64 v[150:151], v[160:161], v[150:151]
	v_add_f64 v[160:161], v[164:165], v[176:177]
	v_add_f64 v[150:151], v[192:193], v[150:151]
	v_add_f64 v[162:163], v[160:161], -v[164:165]
	v_mul_f64 v[150:151], v[180:181], v[150:151]
	v_add_f64 v[162:163], v[176:177], -v[162:163]
	v_add_f64 v[150:151], v[162:163], v[150:151]
	v_add_f64 v[162:163], v[160:161], v[150:151]
	v_add_f64 v[160:161], v[162:163], -v[160:161]
	s_mov_b32 vcc_lo, 0xbf559e2b
	v_add_f64 v[150:151], v[150:151], -v[160:161]
	v_mul_f64 v[160:161], v[162:163], v[162:163]
	v_mov_b32_e32 v164, 0x6b47b09a
	v_mov_b32_e32 v165, 0x3fc38538
	s_mov_b32 vcc_hi, 0x3fc3ab76
	v_fmac_f64_e32 v[164:165], vcc, v[160:161]
	v_mov_b32_e32 v166, 0xd7f4df2e
	v_mov_b32_e32 v167, 0x3fc7474d
	v_fmac_f64_e32 v[166:167], v[160:161], v[164:165]
	v_mov_b32_e32 v164, 0x16291751
	v_mov_b32_e32 v165, 0x3fcc71c0
	v_fmac_f64_e32 v[164:165], v[160:161], v[166:167]
	;; [unrolled: 3-line block ×5, first 2 shown]
	v_cvt_f64_i32_e32 v[164:165], v145
	v_mul_f64 v[176:177], v[164:165], s[52:53]
	v_fma_f64 v[180:181], v[164:165], s[52:53], -v[176:177]
	v_fmac_f64_e32 v[180:181], s[54:55], v[164:165]
	v_add_f64 v[164:165], v[176:177], v[180:181]
	v_add_f64 v[176:177], v[164:165], -v[176:177]
	v_mul_f64 v[160:161], v[162:163], v[160:161]
	v_add_f64 v[176:177], v[180:181], -v[176:177]
	v_ldexp_f64 v[180:181], v[162:163], 1
	v_mul_f64 v[160:161], v[160:161], v[166:167]
	v_add_f64 v[162:163], v[180:181], v[160:161]
	v_add_f64 v[166:167], v[162:163], -v[180:181]
	v_ldexp_f64 v[150:151], v[150:151], 1
	v_add_f64 v[160:161], v[160:161], -v[166:167]
	v_add_f64 v[150:151], v[150:151], v[160:161]
	v_add_f64 v[160:161], v[162:163], v[150:151]
	v_add_f64 v[162:163], v[160:161], -v[162:163]
	v_add_f64 v[150:151], v[150:151], -v[162:163]
	v_add_f64 v[162:163], v[164:165], v[160:161]
	v_add_f64 v[166:167], v[162:163], -v[164:165]
	v_add_f64 v[180:181], v[162:163], -v[166:167]
	;; [unrolled: 1-line block ×4, first 2 shown]
	v_add_f64 v[160:161], v[160:161], v[164:165]
	v_add_f64 v[164:165], v[176:177], v[150:151]
	v_add_f64 v[166:167], v[164:165], -v[176:177]
	v_add_f64 v[160:161], v[164:165], v[160:161]
	v_add_f64 v[180:181], v[164:165], -v[166:167]
	v_add_f64 v[164:165], v[162:163], v[160:161]
	v_add_f64 v[176:177], v[176:177], -v[180:181]
	v_add_f64 v[150:151], v[150:151], -v[166:167]
	v_add_f64 v[162:163], v[164:165], -v[162:163]
	v_add_f64 v[150:151], v[150:151], v[176:177]
	v_add_f64 v[160:161], v[160:161], -v[162:163]
	s_mov_b32 vcc_lo, 0
	v_add_f64 v[150:151], v[150:151], v[160:161]
	s_mov_b32 vcc_hi, 0x7ff00000
	v_add_f64 v[150:151], v[164:165], v[150:151]
	v_cmp_eq_f64_e32 vcc, vcc, v[148:149]
	s_nop 1
	v_cndmask_b32_e32 v145, v150, v148, vcc
	v_cndmask_b32_e32 v150, v151, v149, vcc
	v_mov_b32_e32 v151, 0x7ff80000
	v_cmp_ngt_f64_e32 vcc, -1.0, v[148:149]
	s_nop 1
	v_cndmask_b32_e32 v151, v151, v150, vcc
	v_cmp_nge_f64_e32 vcc, -1.0, v[148:149]
	s_nop 1
	v_cndmask_b32_e32 v150, 0, v145, vcc
	v_mov_b32_e32 v145, 0xfff00000
	v_cmp_neq_f64_e32 vcc, -1.0, v[148:149]
	s_nop 1
	v_cndmask_b32_e32 v151, v145, v151, vcc
	v_add_f64 v[150:151], v[6:7], v[150:151]
.LBB2_147:
	s_or_b64 exec, exec, s[50:51]
	v_mov_b32_e32 v148, v150
	v_mov_b32_e32 v149, v151
	v_mov_b64_e32 v[6:7], v[150:151]
.LBB2_148:
	s_or_b64 exec, exec, s[44:45]
	v_cmp_gt_u32_e32 vcc, 56, v53
	v_add_u32_e32 v42, 8, v53
	s_nop 0
	v_cndmask_b32_e64 v145, 0, 1, vcc
	v_lshlrev_b32_e32 v145, 3, v145
	v_add_lshl_u32 v41, v145, v178, 2
	s_waitcnt lgkmcnt(1)
	ds_bpermute_b32 v150, v41, v148
	s_waitcnt lgkmcnt(1)
	ds_bpermute_b32 v151, v41, v149
	v_cmp_le_u32_e32 vcc, v42, v9
	s_and_saveexec_b64 s[44:45], vcc
	s_cbranch_execz .LBB2_152
; %bb.149:
	s_waitcnt lgkmcnt(0)
	v_max_f64 v[160:161], v[150:151], v[150:151]
	v_max_f64 v[162:163], v[6:7], v[6:7]
	v_min_f64 v[148:149], v[160:161], v[162:163]
	v_cmp_u_f64_e32 vcc, v[150:151], v[150:151]
	v_cmp_u_f64_e64 s[40:41], v[6:7], v[6:7]
	v_max_f64 v[160:161], v[160:161], v[162:163]
	v_cndmask_b32_e32 v145, v148, v150, vcc
	v_cndmask_b32_e32 v148, v149, v151, vcc
	v_cndmask_b32_e64 v149, v148, v7, s[40:41]
	v_cndmask_b32_e64 v148, v145, v6, s[40:41]
	v_cndmask_b32_e32 v145, v160, v150, vcc
	v_cndmask_b32_e32 v160, v161, v151, vcc
	v_cndmask_b32_e64 v7, v160, v7, s[40:41]
	v_cndmask_b32_e64 v6, v145, v6, s[40:41]
	s_movk_i32 s13, 0x1f8
	v_cmp_neq_f64_e32 vcc, v[148:149], v[6:7]
	v_cmp_class_f64_e64 s[40:41], v[148:149], s13
	s_or_b64 vcc, vcc, s[40:41]
	s_and_saveexec_b64 s[50:51], vcc
	s_cbranch_execz .LBB2_151
; %bb.150:
	s_mov_b32 vcc_lo, 0x652b82fe
	v_add_f64 v[148:149], v[148:149], -v[6:7]
	s_mov_b32 vcc_hi, 0x3ff71547
	v_mul_f64 v[150:151], v[148:149], vcc
	v_rndne_f64_e32 v[150:151], v[150:151]
	s_mov_b32 s53, 0xbfe62e42
	s_mov_b32 s52, 0xfefa39ef
	v_fma_f64 v[160:161], s[52:53], v[150:151], v[148:149]
	s_mov_b32 s55, 0xbc7abc9e
	s_mov_b32 s54, 0x3b39803f
	s_mov_b32 vcc_lo, 0x6a5dcb37
	v_fmac_f64_e32 v[160:161], s[54:55], v[150:151]
	v_mov_b32_e32 v162, 0xfca7ab0c
	v_mov_b32_e32 v163, 0x3e928af3
	s_mov_b32 vcc_hi, 0x3e5ade15
	v_fmac_f64_e32 v[162:163], vcc, v[160:161]
	v_mov_b32_e32 v164, 0x623fde64
	v_mov_b32_e32 v165, 0x3ec71dee
	v_fmac_f64_e32 v[164:165], v[160:161], v[162:163]
	v_mov_b32_e32 v162, 0x7c89e6b0
	v_mov_b32_e32 v163, 0x3efa0199
	v_fmac_f64_e32 v[162:163], v[160:161], v[164:165]
	;; [unrolled: 3-line block ×8, first 2 shown]
	v_fma_f64 v[162:163], v[160:161], v[162:163], 1.0
	s_mov_b32 vcc_lo, 0
	s_mov_b32 s40, 0
	v_fma_f64 v[160:161], v[160:161], v[162:163], 1.0
	v_cvt_i32_f64_e32 v145, v[150:151]
	s_mov_b32 vcc_hi, 0x40900000
	s_mov_b32 s41, 0xc090cc00
	v_ldexp_f64 v[150:151], v[160:161], v145
	v_mov_b32_e32 v145, 0x7ff00000
	v_cmp_nlt_f64_e32 vcc, vcc, v[148:149]
	v_cmp_ngt_f64_e64 s[40:41], s[40:41], v[148:149]
	s_mov_b32 s53, 0x3fe62e42
	v_cndmask_b32_e32 v145, v145, v151, vcc
	s_and_b64 vcc, s[40:41], vcc
	v_cndmask_b32_e64 v149, 0, v145, s[40:41]
	v_cndmask_b32_e32 v148, 0, v150, vcc
	v_add_f64 v[150:151], v[148:149], 1.0
	v_add_f64 v[160:161], v[150:151], -1.0
	v_add_f64 v[162:163], v[160:161], -v[150:151]
	v_add_f64 v[162:163], v[162:163], 1.0
	v_add_f64 v[160:161], v[148:149], -v[160:161]
	s_mov_b32 vcc_lo, 0x55555555
	v_add_f64 v[160:161], v[160:161], v[162:163]
	v_frexp_mant_f64_e32 v[162:163], v[150:151]
	s_mov_b32 vcc_hi, 0x3fe55555
	v_frexp_exp_i32_f64_e32 v145, v[150:151]
	v_cmp_gt_f64_e32 vcc, vcc, v[162:163]
	s_mov_b32 s55, 0x3c7abc9e
	s_nop 0
	v_subbrev_co_u32_e32 v145, vcc, 0, v145, vcc
	v_sub_u32_e32 v162, 0, v145
	v_ldexp_f64 v[150:151], v[150:151], v162
	v_ldexp_f64 v[160:161], v[160:161], v162
	v_add_f64 v[162:163], v[150:151], -1.0
	v_add_f64 v[176:177], v[150:151], 1.0
	v_add_f64 v[164:165], v[162:163], 1.0
	v_add_f64 v[180:181], v[176:177], -1.0
	v_add_f64 v[164:165], v[150:151], -v[164:165]
	v_add_f64 v[150:151], v[150:151], -v[180:181]
	v_add_f64 v[150:151], v[160:161], v[150:151]
	v_add_f64 v[164:165], v[160:161], v[164:165]
	;; [unrolled: 1-line block ×3, first 2 shown]
	v_rcp_f64_e32 v[180:181], v[160:161]
	v_add_f64 v[166:167], v[162:163], v[164:165]
	v_add_f64 v[162:163], v[166:167], -v[162:163]
	v_add_f64 v[162:163], v[164:165], -v[162:163]
	;; [unrolled: 1-line block ×4, first 2 shown]
	v_fma_f64 v[164:165], -v[160:161], v[180:181], 1.0
	v_fmac_f64_e32 v[180:181], v[164:165], v[180:181]
	v_fma_f64 v[164:165], -v[160:161], v[180:181], 1.0
	v_fmac_f64_e32 v[180:181], v[164:165], v[180:181]
	v_mul_f64 v[164:165], v[166:167], v[180:181]
	v_mul_f64 v[176:177], v[160:161], v[164:165]
	v_fma_f64 v[182:183], v[164:165], v[160:161], -v[176:177]
	v_fmac_f64_e32 v[182:183], v[164:165], v[150:151]
	v_add_f64 v[192:193], v[176:177], v[182:183]
	v_add_f64 v[194:195], v[166:167], -v[192:193]
	v_add_f64 v[166:167], v[166:167], -v[194:195]
	;; [unrolled: 1-line block ×4, first 2 shown]
	v_add_f64 v[162:163], v[162:163], v[166:167]
	v_add_f64 v[166:167], v[176:177], -v[182:183]
	v_add_f64 v[162:163], v[166:167], v[162:163]
	v_add_f64 v[166:167], v[194:195], v[162:163]
	v_add_f64 v[176:177], v[194:195], -v[166:167]
	v_add_f64 v[162:163], v[162:163], v[176:177]
	v_mul_f64 v[176:177], v[180:181], v[166:167]
	v_mul_f64 v[182:183], v[160:161], v[176:177]
	v_fma_f64 v[160:161], v[176:177], v[160:161], -v[182:183]
	v_fmac_f64_e32 v[160:161], v[176:177], v[150:151]
	v_add_f64 v[150:151], v[182:183], v[160:161]
	v_add_f64 v[192:193], v[166:167], -v[150:151]
	v_add_f64 v[166:167], v[166:167], -v[192:193]
	;; [unrolled: 1-line block ×4, first 2 shown]
	v_add_f64 v[150:151], v[162:163], v[150:151]
	v_add_f64 v[160:161], v[182:183], -v[160:161]
	v_add_f64 v[150:151], v[160:161], v[150:151]
	v_add_f64 v[160:161], v[164:165], v[176:177]
	;; [unrolled: 1-line block ×3, first 2 shown]
	v_add_f64 v[162:163], v[160:161], -v[164:165]
	v_mul_f64 v[150:151], v[180:181], v[150:151]
	v_add_f64 v[162:163], v[176:177], -v[162:163]
	v_add_f64 v[150:151], v[162:163], v[150:151]
	v_add_f64 v[162:163], v[160:161], v[150:151]
	v_add_f64 v[160:161], v[162:163], -v[160:161]
	s_mov_b32 vcc_lo, 0xbf559e2b
	v_add_f64 v[150:151], v[150:151], -v[160:161]
	v_mul_f64 v[160:161], v[162:163], v[162:163]
	v_mov_b32_e32 v164, 0x6b47b09a
	v_mov_b32_e32 v165, 0x3fc38538
	s_mov_b32 vcc_hi, 0x3fc3ab76
	v_fmac_f64_e32 v[164:165], vcc, v[160:161]
	v_mov_b32_e32 v166, 0xd7f4df2e
	v_mov_b32_e32 v167, 0x3fc7474d
	v_fmac_f64_e32 v[166:167], v[160:161], v[164:165]
	v_mov_b32_e32 v164, 0x16291751
	v_mov_b32_e32 v165, 0x3fcc71c0
	v_fmac_f64_e32 v[164:165], v[160:161], v[166:167]
	;; [unrolled: 3-line block ×5, first 2 shown]
	v_cvt_f64_i32_e32 v[164:165], v145
	v_mul_f64 v[176:177], v[164:165], s[52:53]
	v_fma_f64 v[180:181], v[164:165], s[52:53], -v[176:177]
	v_fmac_f64_e32 v[180:181], s[54:55], v[164:165]
	v_add_f64 v[164:165], v[176:177], v[180:181]
	v_add_f64 v[176:177], v[164:165], -v[176:177]
	v_mul_f64 v[160:161], v[162:163], v[160:161]
	v_add_f64 v[176:177], v[180:181], -v[176:177]
	v_ldexp_f64 v[180:181], v[162:163], 1
	v_mul_f64 v[160:161], v[160:161], v[166:167]
	v_add_f64 v[162:163], v[180:181], v[160:161]
	v_add_f64 v[166:167], v[162:163], -v[180:181]
	v_ldexp_f64 v[150:151], v[150:151], 1
	v_add_f64 v[160:161], v[160:161], -v[166:167]
	v_add_f64 v[150:151], v[150:151], v[160:161]
	v_add_f64 v[160:161], v[162:163], v[150:151]
	v_add_f64 v[162:163], v[160:161], -v[162:163]
	v_add_f64 v[150:151], v[150:151], -v[162:163]
	v_add_f64 v[162:163], v[164:165], v[160:161]
	v_add_f64 v[166:167], v[162:163], -v[164:165]
	v_add_f64 v[180:181], v[162:163], -v[166:167]
	;; [unrolled: 1-line block ×4, first 2 shown]
	v_add_f64 v[160:161], v[160:161], v[164:165]
	v_add_f64 v[164:165], v[176:177], v[150:151]
	v_add_f64 v[166:167], v[164:165], -v[176:177]
	v_add_f64 v[160:161], v[164:165], v[160:161]
	v_add_f64 v[180:181], v[164:165], -v[166:167]
	;; [unrolled: 2-line block ×3, first 2 shown]
	v_add_f64 v[150:151], v[150:151], -v[166:167]
	v_add_f64 v[162:163], v[164:165], -v[162:163]
	v_add_f64 v[150:151], v[150:151], v[176:177]
	v_add_f64 v[160:161], v[160:161], -v[162:163]
	s_mov_b32 vcc_lo, 0
	v_add_f64 v[150:151], v[150:151], v[160:161]
	s_mov_b32 vcc_hi, 0x7ff00000
	v_add_f64 v[150:151], v[164:165], v[150:151]
	v_cmp_eq_f64_e32 vcc, vcc, v[148:149]
	s_nop 1
	v_cndmask_b32_e32 v145, v150, v148, vcc
	v_cndmask_b32_e32 v150, v151, v149, vcc
	v_mov_b32_e32 v151, 0x7ff80000
	v_cmp_ngt_f64_e32 vcc, -1.0, v[148:149]
	s_nop 1
	v_cndmask_b32_e32 v151, v151, v150, vcc
	v_cmp_nge_f64_e32 vcc, -1.0, v[148:149]
	s_nop 1
	v_cndmask_b32_e32 v150, 0, v145, vcc
	v_mov_b32_e32 v145, 0xfff00000
	v_cmp_neq_f64_e32 vcc, -1.0, v[148:149]
	s_nop 1
	v_cndmask_b32_e32 v151, v145, v151, vcc
	v_add_f64 v[150:151], v[6:7], v[150:151]
.LBB2_151:
	s_or_b64 exec, exec, s[50:51]
	v_mov_b32_e32 v148, v150
	v_mov_b32_e32 v149, v151
	v_mov_b64_e32 v[6:7], v[150:151]
.LBB2_152:
	s_or_b64 exec, exec, s[44:45]
	v_cmp_gt_u32_e32 vcc, 48, v53
	v_add_u32_e32 v44, 16, v53
	s_nop 0
	v_cndmask_b32_e64 v145, 0, 1, vcc
	v_lshlrev_b32_e32 v145, 4, v145
	v_add_lshl_u32 v43, v145, v178, 2
	s_waitcnt lgkmcnt(1)
	ds_bpermute_b32 v150, v43, v148
	s_waitcnt lgkmcnt(1)
	ds_bpermute_b32 v151, v43, v149
	v_cmp_le_u32_e32 vcc, v44, v9
	s_and_saveexec_b64 s[44:45], vcc
	s_cbranch_execz .LBB2_156
; %bb.153:
	s_waitcnt lgkmcnt(0)
	v_max_f64 v[160:161], v[150:151], v[150:151]
	v_max_f64 v[162:163], v[6:7], v[6:7]
	v_min_f64 v[148:149], v[160:161], v[162:163]
	v_cmp_u_f64_e32 vcc, v[150:151], v[150:151]
	v_cmp_u_f64_e64 s[40:41], v[6:7], v[6:7]
	v_max_f64 v[160:161], v[160:161], v[162:163]
	v_cndmask_b32_e32 v145, v148, v150, vcc
	v_cndmask_b32_e32 v148, v149, v151, vcc
	v_cndmask_b32_e64 v149, v148, v7, s[40:41]
	v_cndmask_b32_e64 v148, v145, v6, s[40:41]
	v_cndmask_b32_e32 v145, v160, v150, vcc
	v_cndmask_b32_e32 v160, v161, v151, vcc
	v_cndmask_b32_e64 v7, v160, v7, s[40:41]
	v_cndmask_b32_e64 v6, v145, v6, s[40:41]
	s_movk_i32 s13, 0x1f8
	v_cmp_neq_f64_e32 vcc, v[148:149], v[6:7]
	v_cmp_class_f64_e64 s[40:41], v[148:149], s13
	s_or_b64 vcc, vcc, s[40:41]
	s_and_saveexec_b64 s[50:51], vcc
	s_cbranch_execz .LBB2_155
; %bb.154:
	s_mov_b32 vcc_lo, 0x652b82fe
	v_add_f64 v[148:149], v[148:149], -v[6:7]
	s_mov_b32 vcc_hi, 0x3ff71547
	v_mul_f64 v[150:151], v[148:149], vcc
	v_rndne_f64_e32 v[150:151], v[150:151]
	s_mov_b32 s53, 0xbfe62e42
	s_mov_b32 s52, 0xfefa39ef
	v_fma_f64 v[160:161], s[52:53], v[150:151], v[148:149]
	s_mov_b32 s55, 0xbc7abc9e
	s_mov_b32 s54, 0x3b39803f
	s_mov_b32 vcc_lo, 0x6a5dcb37
	v_fmac_f64_e32 v[160:161], s[54:55], v[150:151]
	v_mov_b32_e32 v162, 0xfca7ab0c
	v_mov_b32_e32 v163, 0x3e928af3
	s_mov_b32 vcc_hi, 0x3e5ade15
	v_fmac_f64_e32 v[162:163], vcc, v[160:161]
	v_mov_b32_e32 v164, 0x623fde64
	v_mov_b32_e32 v165, 0x3ec71dee
	v_fmac_f64_e32 v[164:165], v[160:161], v[162:163]
	v_mov_b32_e32 v162, 0x7c89e6b0
	v_mov_b32_e32 v163, 0x3efa0199
	v_fmac_f64_e32 v[162:163], v[160:161], v[164:165]
	;; [unrolled: 3-line block ×8, first 2 shown]
	v_fma_f64 v[162:163], v[160:161], v[162:163], 1.0
	s_mov_b32 vcc_lo, 0
	s_mov_b32 s40, 0
	v_fma_f64 v[160:161], v[160:161], v[162:163], 1.0
	v_cvt_i32_f64_e32 v145, v[150:151]
	s_mov_b32 vcc_hi, 0x40900000
	s_mov_b32 s41, 0xc090cc00
	v_ldexp_f64 v[150:151], v[160:161], v145
	v_mov_b32_e32 v145, 0x7ff00000
	v_cmp_nlt_f64_e32 vcc, vcc, v[148:149]
	v_cmp_ngt_f64_e64 s[40:41], s[40:41], v[148:149]
	s_mov_b32 s53, 0x3fe62e42
	v_cndmask_b32_e32 v145, v145, v151, vcc
	s_and_b64 vcc, s[40:41], vcc
	v_cndmask_b32_e64 v149, 0, v145, s[40:41]
	v_cndmask_b32_e32 v148, 0, v150, vcc
	v_add_f64 v[150:151], v[148:149], 1.0
	v_add_f64 v[160:161], v[150:151], -1.0
	v_add_f64 v[162:163], v[160:161], -v[150:151]
	v_add_f64 v[162:163], v[162:163], 1.0
	v_add_f64 v[160:161], v[148:149], -v[160:161]
	s_mov_b32 vcc_lo, 0x55555555
	v_add_f64 v[160:161], v[160:161], v[162:163]
	v_frexp_mant_f64_e32 v[162:163], v[150:151]
	s_mov_b32 vcc_hi, 0x3fe55555
	v_frexp_exp_i32_f64_e32 v145, v[150:151]
	v_cmp_gt_f64_e32 vcc, vcc, v[162:163]
	s_mov_b32 s55, 0x3c7abc9e
	s_nop 0
	v_subbrev_co_u32_e32 v145, vcc, 0, v145, vcc
	v_sub_u32_e32 v162, 0, v145
	v_ldexp_f64 v[150:151], v[150:151], v162
	v_ldexp_f64 v[160:161], v[160:161], v162
	v_add_f64 v[162:163], v[150:151], -1.0
	v_add_f64 v[176:177], v[150:151], 1.0
	v_add_f64 v[164:165], v[162:163], 1.0
	v_add_f64 v[180:181], v[176:177], -1.0
	v_add_f64 v[164:165], v[150:151], -v[164:165]
	v_add_f64 v[150:151], v[150:151], -v[180:181]
	v_add_f64 v[150:151], v[160:161], v[150:151]
	v_add_f64 v[164:165], v[160:161], v[164:165]
	;; [unrolled: 1-line block ×3, first 2 shown]
	v_rcp_f64_e32 v[180:181], v[160:161]
	v_add_f64 v[166:167], v[162:163], v[164:165]
	v_add_f64 v[162:163], v[166:167], -v[162:163]
	v_add_f64 v[162:163], v[164:165], -v[162:163]
	;; [unrolled: 1-line block ×4, first 2 shown]
	v_fma_f64 v[164:165], -v[160:161], v[180:181], 1.0
	v_fmac_f64_e32 v[180:181], v[164:165], v[180:181]
	v_fma_f64 v[164:165], -v[160:161], v[180:181], 1.0
	v_fmac_f64_e32 v[180:181], v[164:165], v[180:181]
	v_mul_f64 v[164:165], v[166:167], v[180:181]
	v_mul_f64 v[176:177], v[160:161], v[164:165]
	v_fma_f64 v[182:183], v[164:165], v[160:161], -v[176:177]
	v_fmac_f64_e32 v[182:183], v[164:165], v[150:151]
	v_add_f64 v[192:193], v[176:177], v[182:183]
	v_add_f64 v[194:195], v[166:167], -v[192:193]
	v_add_f64 v[166:167], v[166:167], -v[194:195]
	;; [unrolled: 1-line block ×4, first 2 shown]
	v_add_f64 v[162:163], v[162:163], v[166:167]
	v_add_f64 v[166:167], v[176:177], -v[182:183]
	v_add_f64 v[162:163], v[166:167], v[162:163]
	v_add_f64 v[166:167], v[194:195], v[162:163]
	v_add_f64 v[176:177], v[194:195], -v[166:167]
	v_add_f64 v[162:163], v[162:163], v[176:177]
	v_mul_f64 v[176:177], v[180:181], v[166:167]
	v_mul_f64 v[182:183], v[160:161], v[176:177]
	v_fma_f64 v[160:161], v[176:177], v[160:161], -v[182:183]
	v_fmac_f64_e32 v[160:161], v[176:177], v[150:151]
	v_add_f64 v[150:151], v[182:183], v[160:161]
	v_add_f64 v[192:193], v[166:167], -v[150:151]
	v_add_f64 v[166:167], v[166:167], -v[192:193]
	;; [unrolled: 1-line block ×4, first 2 shown]
	v_add_f64 v[150:151], v[162:163], v[150:151]
	v_add_f64 v[160:161], v[182:183], -v[160:161]
	v_add_f64 v[150:151], v[160:161], v[150:151]
	v_add_f64 v[160:161], v[164:165], v[176:177]
	v_add_f64 v[150:151], v[192:193], v[150:151]
	v_add_f64 v[162:163], v[160:161], -v[164:165]
	v_mul_f64 v[150:151], v[180:181], v[150:151]
	v_add_f64 v[162:163], v[176:177], -v[162:163]
	v_add_f64 v[150:151], v[162:163], v[150:151]
	v_add_f64 v[162:163], v[160:161], v[150:151]
	v_add_f64 v[160:161], v[162:163], -v[160:161]
	s_mov_b32 vcc_lo, 0xbf559e2b
	v_add_f64 v[150:151], v[150:151], -v[160:161]
	v_mul_f64 v[160:161], v[162:163], v[162:163]
	v_mov_b32_e32 v164, 0x6b47b09a
	v_mov_b32_e32 v165, 0x3fc38538
	s_mov_b32 vcc_hi, 0x3fc3ab76
	v_fmac_f64_e32 v[164:165], vcc, v[160:161]
	v_mov_b32_e32 v166, 0xd7f4df2e
	v_mov_b32_e32 v167, 0x3fc7474d
	v_fmac_f64_e32 v[166:167], v[160:161], v[164:165]
	v_mov_b32_e32 v164, 0x16291751
	v_mov_b32_e32 v165, 0x3fcc71c0
	v_fmac_f64_e32 v[164:165], v[160:161], v[166:167]
	;; [unrolled: 3-line block ×5, first 2 shown]
	v_cvt_f64_i32_e32 v[164:165], v145
	v_mul_f64 v[176:177], v[164:165], s[52:53]
	v_fma_f64 v[180:181], v[164:165], s[52:53], -v[176:177]
	v_fmac_f64_e32 v[180:181], s[54:55], v[164:165]
	v_add_f64 v[164:165], v[176:177], v[180:181]
	v_add_f64 v[176:177], v[164:165], -v[176:177]
	v_mul_f64 v[160:161], v[162:163], v[160:161]
	v_add_f64 v[176:177], v[180:181], -v[176:177]
	v_ldexp_f64 v[180:181], v[162:163], 1
	v_mul_f64 v[160:161], v[160:161], v[166:167]
	v_add_f64 v[162:163], v[180:181], v[160:161]
	v_add_f64 v[166:167], v[162:163], -v[180:181]
	v_ldexp_f64 v[150:151], v[150:151], 1
	v_add_f64 v[160:161], v[160:161], -v[166:167]
	v_add_f64 v[150:151], v[150:151], v[160:161]
	v_add_f64 v[160:161], v[162:163], v[150:151]
	v_add_f64 v[162:163], v[160:161], -v[162:163]
	v_add_f64 v[150:151], v[150:151], -v[162:163]
	v_add_f64 v[162:163], v[164:165], v[160:161]
	v_add_f64 v[166:167], v[162:163], -v[164:165]
	v_add_f64 v[180:181], v[162:163], -v[166:167]
	;; [unrolled: 1-line block ×4, first 2 shown]
	v_add_f64 v[160:161], v[160:161], v[164:165]
	v_add_f64 v[164:165], v[176:177], v[150:151]
	v_add_f64 v[166:167], v[164:165], -v[176:177]
	v_add_f64 v[160:161], v[164:165], v[160:161]
	v_add_f64 v[180:181], v[164:165], -v[166:167]
	;; [unrolled: 2-line block ×3, first 2 shown]
	v_add_f64 v[150:151], v[150:151], -v[166:167]
	v_add_f64 v[162:163], v[164:165], -v[162:163]
	v_add_f64 v[150:151], v[150:151], v[176:177]
	v_add_f64 v[160:161], v[160:161], -v[162:163]
	s_mov_b32 vcc_lo, 0
	v_add_f64 v[150:151], v[150:151], v[160:161]
	s_mov_b32 vcc_hi, 0x7ff00000
	v_add_f64 v[150:151], v[164:165], v[150:151]
	v_cmp_eq_f64_e32 vcc, vcc, v[148:149]
	s_nop 1
	v_cndmask_b32_e32 v145, v150, v148, vcc
	v_cndmask_b32_e32 v150, v151, v149, vcc
	v_mov_b32_e32 v151, 0x7ff80000
	v_cmp_ngt_f64_e32 vcc, -1.0, v[148:149]
	s_nop 1
	v_cndmask_b32_e32 v151, v151, v150, vcc
	v_cmp_nge_f64_e32 vcc, -1.0, v[148:149]
	s_nop 1
	v_cndmask_b32_e32 v150, 0, v145, vcc
	v_mov_b32_e32 v145, 0xfff00000
	v_cmp_neq_f64_e32 vcc, -1.0, v[148:149]
	s_nop 1
	v_cndmask_b32_e32 v151, v145, v151, vcc
	v_add_f64 v[150:151], v[6:7], v[150:151]
.LBB2_155:
	s_or_b64 exec, exec, s[50:51]
	v_mov_b32_e32 v148, v150
	v_mov_b32_e32 v149, v151
	v_mov_b64_e32 v[6:7], v[150:151]
.LBB2_156:
	s_or_b64 exec, exec, s[44:45]
	v_cmp_gt_u32_e32 vcc, 32, v53
	v_add_u32_e32 v46, 32, v53
	s_nop 0
	v_cndmask_b32_e64 v145, 0, 1, vcc
	v_lshlrev_b32_e32 v145, 5, v145
	v_add_lshl_u32 v45, v145, v178, 2
	ds_bpermute_b32 v148, v45, v148
	ds_bpermute_b32 v149, v45, v149
	v_cmp_le_u32_e32 vcc, v46, v9
	s_and_saveexec_b64 s[44:45], vcc
	s_cbranch_execz .LBB2_160
; %bb.157:
	s_waitcnt lgkmcnt(0)
	v_max_f64 v[160:161], v[148:149], v[148:149]
	v_max_f64 v[162:163], v[6:7], v[6:7]
	v_min_f64 v[150:151], v[160:161], v[162:163]
	v_cmp_u_f64_e32 vcc, v[148:149], v[148:149]
	v_cmp_u_f64_e64 s[40:41], v[6:7], v[6:7]
	v_max_f64 v[160:161], v[160:161], v[162:163]
	v_cndmask_b32_e32 v9, v150, v148, vcc
	v_cndmask_b32_e32 v145, v151, v149, vcc
	v_cndmask_b32_e64 v151, v145, v7, s[40:41]
	v_cndmask_b32_e64 v150, v9, v6, s[40:41]
	v_cndmask_b32_e32 v9, v160, v148, vcc
	v_cndmask_b32_e32 v145, v161, v149, vcc
	v_cndmask_b32_e64 v7, v145, v7, s[40:41]
	v_cndmask_b32_e64 v6, v9, v6, s[40:41]
	s_movk_i32 s13, 0x1f8
	v_cmp_neq_f64_e32 vcc, v[150:151], v[6:7]
	v_cmp_class_f64_e64 s[40:41], v[150:151], s13
	s_or_b64 vcc, vcc, s[40:41]
	s_and_saveexec_b64 s[50:51], vcc
	s_cbranch_execz .LBB2_159
; %bb.158:
	s_mov_b32 vcc_lo, 0x652b82fe
	v_add_f64 v[148:149], v[150:151], -v[6:7]
	s_mov_b32 vcc_hi, 0x3ff71547
	v_mul_f64 v[150:151], v[148:149], vcc
	v_rndne_f64_e32 v[150:151], v[150:151]
	s_mov_b32 s53, 0xbfe62e42
	s_mov_b32 s52, 0xfefa39ef
	v_fma_f64 v[160:161], s[52:53], v[150:151], v[148:149]
	s_mov_b32 s55, 0xbc7abc9e
	s_mov_b32 s54, 0x3b39803f
	s_mov_b32 vcc_lo, 0x6a5dcb37
	v_fmac_f64_e32 v[160:161], s[54:55], v[150:151]
	v_mov_b32_e32 v162, 0xfca7ab0c
	v_mov_b32_e32 v163, 0x3e928af3
	s_mov_b32 vcc_hi, 0x3e5ade15
	v_fmac_f64_e32 v[162:163], vcc, v[160:161]
	v_mov_b32_e32 v164, 0x623fde64
	v_mov_b32_e32 v165, 0x3ec71dee
	v_fmac_f64_e32 v[164:165], v[160:161], v[162:163]
	v_mov_b32_e32 v162, 0x7c89e6b0
	v_mov_b32_e32 v163, 0x3efa0199
	v_fmac_f64_e32 v[162:163], v[160:161], v[164:165]
	;; [unrolled: 3-line block ×8, first 2 shown]
	v_fma_f64 v[162:163], v[160:161], v[162:163], 1.0
	s_mov_b32 vcc_lo, 0
	s_mov_b32 s40, 0
	v_fma_f64 v[160:161], v[160:161], v[162:163], 1.0
	v_cvt_i32_f64_e32 v9, v[150:151]
	s_mov_b32 vcc_hi, 0x40900000
	s_mov_b32 s41, 0xc090cc00
	v_ldexp_f64 v[150:151], v[160:161], v9
	v_mov_b32_e32 v9, 0x7ff00000
	v_cmp_nlt_f64_e32 vcc, vcc, v[148:149]
	v_cmp_ngt_f64_e64 s[40:41], s[40:41], v[148:149]
	s_mov_b32 s53, 0x3fe62e42
	v_cndmask_b32_e32 v9, v9, v151, vcc
	s_and_b64 vcc, s[40:41], vcc
	v_cndmask_b32_e64 v149, 0, v9, s[40:41]
	v_cndmask_b32_e32 v148, 0, v150, vcc
	v_add_f64 v[150:151], v[148:149], 1.0
	v_add_f64 v[160:161], v[150:151], -1.0
	v_add_f64 v[162:163], v[160:161], -v[150:151]
	v_add_f64 v[162:163], v[162:163], 1.0
	v_add_f64 v[160:161], v[148:149], -v[160:161]
	s_mov_b32 vcc_lo, 0x55555555
	v_add_f64 v[160:161], v[160:161], v[162:163]
	v_frexp_mant_f64_e32 v[162:163], v[150:151]
	s_mov_b32 vcc_hi, 0x3fe55555
	v_frexp_exp_i32_f64_e32 v9, v[150:151]
	v_cmp_gt_f64_e32 vcc, vcc, v[162:163]
	s_mov_b32 s55, 0x3c7abc9e
	s_nop 0
	v_subbrev_co_u32_e32 v9, vcc, 0, v9, vcc
	v_sub_u32_e32 v145, 0, v9
	v_ldexp_f64 v[150:151], v[150:151], v145
	v_add_f64 v[162:163], v[150:151], -1.0
	v_add_f64 v[176:177], v[150:151], 1.0
	v_add_f64 v[164:165], v[162:163], 1.0
	v_add_f64 v[178:179], v[176:177], -1.0
	v_ldexp_f64 v[160:161], v[160:161], v145
	v_add_f64 v[164:165], v[150:151], -v[164:165]
	v_add_f64 v[150:151], v[150:151], -v[178:179]
	v_add_f64 v[150:151], v[160:161], v[150:151]
	v_add_f64 v[164:165], v[160:161], v[164:165]
	;; [unrolled: 1-line block ×3, first 2 shown]
	v_rcp_f64_e32 v[178:179], v[160:161]
	v_add_f64 v[166:167], v[162:163], v[164:165]
	v_add_f64 v[162:163], v[166:167], -v[162:163]
	v_add_f64 v[162:163], v[164:165], -v[162:163]
	;; [unrolled: 1-line block ×4, first 2 shown]
	v_fma_f64 v[164:165], -v[160:161], v[178:179], 1.0
	v_fmac_f64_e32 v[178:179], v[164:165], v[178:179]
	v_fma_f64 v[164:165], -v[160:161], v[178:179], 1.0
	v_fmac_f64_e32 v[178:179], v[164:165], v[178:179]
	v_mul_f64 v[164:165], v[166:167], v[178:179]
	v_mul_f64 v[176:177], v[160:161], v[164:165]
	v_fma_f64 v[180:181], v[164:165], v[160:161], -v[176:177]
	v_fmac_f64_e32 v[180:181], v[164:165], v[150:151]
	v_add_f64 v[182:183], v[176:177], v[180:181]
	v_add_f64 v[192:193], v[166:167], -v[182:183]
	v_add_f64 v[166:167], v[166:167], -v[192:193]
	;; [unrolled: 1-line block ×4, first 2 shown]
	v_add_f64 v[162:163], v[162:163], v[166:167]
	v_add_f64 v[166:167], v[176:177], -v[180:181]
	v_add_f64 v[162:163], v[166:167], v[162:163]
	v_add_f64 v[166:167], v[192:193], v[162:163]
	v_add_f64 v[176:177], v[192:193], -v[166:167]
	v_add_f64 v[162:163], v[162:163], v[176:177]
	v_mul_f64 v[176:177], v[178:179], v[166:167]
	v_mul_f64 v[180:181], v[160:161], v[176:177]
	v_fma_f64 v[160:161], v[176:177], v[160:161], -v[180:181]
	v_fmac_f64_e32 v[160:161], v[176:177], v[150:151]
	v_add_f64 v[150:151], v[180:181], v[160:161]
	v_add_f64 v[182:183], v[166:167], -v[150:151]
	v_add_f64 v[166:167], v[166:167], -v[182:183]
	;; [unrolled: 1-line block ×4, first 2 shown]
	v_add_f64 v[150:151], v[162:163], v[150:151]
	v_add_f64 v[160:161], v[180:181], -v[160:161]
	v_add_f64 v[150:151], v[160:161], v[150:151]
	v_add_f64 v[160:161], v[164:165], v[176:177]
	;; [unrolled: 1-line block ×3, first 2 shown]
	v_add_f64 v[162:163], v[160:161], -v[164:165]
	v_mul_f64 v[150:151], v[178:179], v[150:151]
	v_add_f64 v[162:163], v[176:177], -v[162:163]
	v_add_f64 v[150:151], v[162:163], v[150:151]
	v_add_f64 v[162:163], v[160:161], v[150:151]
	v_add_f64 v[160:161], v[162:163], -v[160:161]
	s_mov_b32 vcc_lo, 0xbf559e2b
	v_add_f64 v[150:151], v[150:151], -v[160:161]
	v_mul_f64 v[160:161], v[162:163], v[162:163]
	v_mov_b32_e32 v164, 0x6b47b09a
	v_mov_b32_e32 v165, 0x3fc38538
	s_mov_b32 vcc_hi, 0x3fc3ab76
	v_fmac_f64_e32 v[164:165], vcc, v[160:161]
	v_mov_b32_e32 v166, 0xd7f4df2e
	v_mov_b32_e32 v167, 0x3fc7474d
	v_fmac_f64_e32 v[166:167], v[160:161], v[164:165]
	v_mov_b32_e32 v164, 0x16291751
	v_mov_b32_e32 v165, 0x3fcc71c0
	v_fmac_f64_e32 v[164:165], v[160:161], v[166:167]
	;; [unrolled: 3-line block ×5, first 2 shown]
	v_cvt_f64_i32_e32 v[164:165], v9
	v_mul_f64 v[176:177], v[164:165], s[52:53]
	v_fma_f64 v[178:179], v[164:165], s[52:53], -v[176:177]
	v_fmac_f64_e32 v[178:179], s[54:55], v[164:165]
	v_add_f64 v[164:165], v[176:177], v[178:179]
	v_add_f64 v[176:177], v[164:165], -v[176:177]
	v_mul_f64 v[160:161], v[162:163], v[160:161]
	v_add_f64 v[176:177], v[178:179], -v[176:177]
	v_ldexp_f64 v[178:179], v[162:163], 1
	v_mul_f64 v[160:161], v[160:161], v[166:167]
	v_add_f64 v[162:163], v[178:179], v[160:161]
	v_add_f64 v[166:167], v[162:163], -v[178:179]
	v_ldexp_f64 v[150:151], v[150:151], 1
	v_add_f64 v[160:161], v[160:161], -v[166:167]
	v_add_f64 v[150:151], v[150:151], v[160:161]
	v_add_f64 v[160:161], v[162:163], v[150:151]
	v_add_f64 v[162:163], v[160:161], -v[162:163]
	v_add_f64 v[150:151], v[150:151], -v[162:163]
	v_add_f64 v[162:163], v[164:165], v[160:161]
	v_add_f64 v[166:167], v[162:163], -v[164:165]
	v_add_f64 v[178:179], v[162:163], -v[166:167]
	;; [unrolled: 1-line block ×4, first 2 shown]
	v_add_f64 v[160:161], v[160:161], v[164:165]
	v_add_f64 v[164:165], v[176:177], v[150:151]
	v_add_f64 v[166:167], v[164:165], -v[176:177]
	v_add_f64 v[160:161], v[164:165], v[160:161]
	v_add_f64 v[178:179], v[164:165], -v[166:167]
	;; [unrolled: 2-line block ×3, first 2 shown]
	v_add_f64 v[150:151], v[150:151], -v[166:167]
	v_add_f64 v[162:163], v[164:165], -v[162:163]
	v_add_f64 v[150:151], v[150:151], v[176:177]
	v_add_f64 v[160:161], v[160:161], -v[162:163]
	s_mov_b32 vcc_lo, 0
	v_add_f64 v[150:151], v[150:151], v[160:161]
	s_mov_b32 vcc_hi, 0x7ff00000
	v_add_f64 v[150:151], v[164:165], v[150:151]
	v_cmp_eq_f64_e32 vcc, vcc, v[148:149]
	s_nop 1
	v_cndmask_b32_e32 v9, v150, v148, vcc
	v_cndmask_b32_e32 v145, v151, v149, vcc
	v_mov_b32_e32 v150, 0x7ff80000
	v_cmp_ngt_f64_e32 vcc, -1.0, v[148:149]
	s_nop 1
	v_cndmask_b32_e32 v145, v150, v145, vcc
	v_cmp_nge_f64_e32 vcc, -1.0, v[148:149]
	s_nop 1
	v_cndmask_b32_e32 v150, 0, v9, vcc
	v_mov_b32_e32 v9, 0xfff00000
	v_cmp_neq_f64_e32 vcc, -1.0, v[148:149]
	s_nop 1
	v_cndmask_b32_e32 v151, v9, v145, vcc
	v_add_f64 v[148:149], v[6:7], v[150:151]
.LBB2_159:
	s_or_b64 exec, exec, s[50:51]
	v_mov_b64_e32 v[6:7], v[148:149]
.LBB2_160:
	s_or_b64 exec, exec, s[44:45]
	s_mov_b64 s[50:51], src_shared_base
	s_mov_b32 s54, 0x652b82fe
	s_mov_b32 s56, 0xfefa39ef
	;; [unrolled: 1-line block ×9, first 2 shown]
	v_mov_b32_e32 v145, 0
	s_mov_b64 s[52:53], src_private_base
	s_mov_b32 s13, 0xc0c0500
	s_movk_i32 s50, 0x1f8
	s_mov_b32 s55, 0x3ff71547
	s_mov_b32 s57, 0xbfe62e42
	;; [unrolled: 1-line block ×11, first 2 shown]
	v_mov_b32_e32 v47, 2
	s_waitcnt lgkmcnt(3)
	v_mov_b32_e32 v150, 0xfca7ab0c
	s_waitcnt lgkmcnt(2)
	v_mov_b32_e32 v151, 0x3e928af3
	v_mov_b32_e32 v160, 0x623fde64
	;; [unrolled: 1-line block ×32, first 2 shown]
	s_branch .LBB2_162
.LBB2_161:                              ;   in Loop: Header=BB2_162 Depth=1
	s_or_b64 exec, exec, s[44:45]
	v_subrev_u32_e32 v144, 64, v144
.LBB2_162:                              ; =>This Loop Header: Depth=1
                                        ;     Child Loop BB2_174 Depth 2
	v_cmp_ne_u16_sdwa vcc, v8, v47 src0_sel:BYTE_0 src1_sel:DWORD
	s_waitcnt lgkmcnt(0)
	v_mov_b64_e32 v[148:149], v[6:7]
	v_cndmask_b32_e64 v8, 0, 1, vcc
	;;#ASMSTART
	;;#ASMEND
	s_nop 0
	v_cmp_ne_u32_e32 vcc, 0, v8
	s_cmp_lg_u64 vcc, exec
	s_cbranch_scc1 .LBB2_182
; %bb.163:                              ;   in Loop: Header=BB2_162 Depth=1
	v_lshl_add_u64 v[212:213], v[144:145], 4, v[116:117]
	v_cmp_ne_u32_e32 vcc, s51, v213
                                        ; implicit-def: $vgpr8
                                        ; implicit-def: $vgpr242_vgpr243
                                        ; implicit-def: $vgpr240_vgpr241
                                        ; implicit-def: $vgpr230_vgpr231
                                        ; implicit-def: $vgpr228_vgpr229
                                        ; implicit-def: $vgpr226_vgpr227
                                        ; implicit-def: $vgpr224_vgpr225
                                        ; implicit-def: $vgpr214_vgpr215
	s_and_saveexec_b64 s[40:41], vcc
	s_xor_b64 s[44:45], exec, s[40:41]
	s_cbranch_execz .LBB2_169
; %bb.164:                              ;   in Loop: Header=BB2_162 Depth=1
	v_cmp_ne_u32_e64 s[40:41], s53, v213
                                        ; implicit-def: $vgpr8
                                        ; implicit-def: $vgpr242_vgpr243
                                        ; implicit-def: $vgpr240_vgpr241
                                        ; implicit-def: $vgpr230_vgpr231
                                        ; implicit-def: $vgpr228_vgpr229
                                        ; implicit-def: $vgpr226_vgpr227
                                        ; implicit-def: $vgpr224_vgpr225
                                        ; implicit-def: $vgpr214_vgpr215
	s_and_saveexec_b64 s[76:77], s[40:41]
	s_xor_b64 s[40:41], exec, s[76:77]
	s_cbranch_execz .LBB2_166
; %bb.165:                              ;   in Loop: Header=BB2_162 Depth=1
	;;#ASMSTART
	global_load_dwordx4 v[6:9], v[212:213] off sc1	
s_waitcnt vmcnt(0)
	;;#ASMEND
	s_nop 0
	v_lshrrev_b64 v[214:215], 8, v[6:7]
	v_lshlrev_b64 v[230:231], 24, v[8:9]
	v_lshrrev_b32_e32 v215, 8, v7
	v_lshlrev_b64 v[240:241], 16, v[8:9]
	v_lshlrev_b64 v[242:243], 8, v[8:9]
	v_lshrrev_b64 v[224:225], 16, v[6:7]
	v_lshrrev_b64 v[226:227], 24, v[6:7]
	v_mov_b32_e32 v228, v7
	v_or_b32_e32 v230, v215, v230
	v_or_b32_sdwa v240, v7, v240 dst_sel:DWORD dst_unused:UNUSED_PAD src0_sel:WORD_1 src1_sel:DWORD
	v_or_b32_sdwa v242, v7, v242 dst_sel:DWORD dst_unused:UNUSED_PAD src0_sel:BYTE_3 src1_sel:DWORD
.LBB2_166:                              ;   in Loop: Header=BB2_162 Depth=1
	s_andn2_saveexec_b64 s[40:41], s[40:41]
	s_cbranch_execz .LBB2_168
; %bb.167:                              ;   in Loop: Header=BB2_162 Depth=1
	;;#ASMSTART
	flat_load_dwordx4 v[6:9], v[212:213] sc1	
s_waitcnt vmcnt(0)
	;;#ASMEND
	s_nop 0
	v_lshrrev_b64 v[214:215], 8, v[6:7]
	v_lshlrev_b64 v[230:231], 24, v[8:9]
	v_lshrrev_b32_e32 v215, 8, v7
	v_lshlrev_b64 v[240:241], 16, v[8:9]
	v_lshlrev_b64 v[242:243], 8, v[8:9]
	v_lshrrev_b64 v[224:225], 16, v[6:7]
	v_lshrrev_b64 v[226:227], 24, v[6:7]
	v_mov_b32_e32 v228, v7
	v_or_b32_e32 v230, v215, v230
	v_or_b32_sdwa v240, v7, v240 dst_sel:DWORD dst_unused:UNUSED_PAD src0_sel:WORD_1 src1_sel:DWORD
	v_or_b32_sdwa v242, v7, v242 dst_sel:DWORD dst_unused:UNUSED_PAD src0_sel:BYTE_3 src1_sel:DWORD
.LBB2_168:                              ;   in Loop: Header=BB2_162 Depth=1
	s_or_b64 exec, exec, s[40:41]
.LBB2_169:                              ;   in Loop: Header=BB2_162 Depth=1
	s_andn2_saveexec_b64 s[44:45], s[44:45]
	s_cbranch_execz .LBB2_171
; %bb.170:                              ;   in Loop: Header=BB2_162 Depth=1
	v_cmp_ne_u64_e64 s[40:41], 0, v[212:213]
	s_nop 1
	v_cndmask_b32_e64 v6, -1, v212, s[40:41]
	;;#ASMSTART
	ds_read_b128 v[6:9], v6 	
s_waitcnt lgkmcnt(0)
	;;#ASMEND
	s_nop 0
	v_lshrrev_b64 v[214:215], 8, v[6:7]
	v_lshlrev_b64 v[230:231], 24, v[8:9]
	v_lshrrev_b32_e32 v215, 8, v7
	v_lshlrev_b64 v[240:241], 16, v[8:9]
	v_lshlrev_b64 v[242:243], 8, v[8:9]
	v_lshrrev_b64 v[224:225], 16, v[6:7]
	v_lshrrev_b64 v[226:227], 24, v[6:7]
	v_mov_b32_e32 v228, v7
	v_or_b32_e32 v230, v215, v230
	v_or_b32_sdwa v240, v7, v240 dst_sel:DWORD dst_unused:UNUSED_PAD src0_sel:WORD_1 src1_sel:DWORD
	v_or_b32_sdwa v242, v7, v242 dst_sel:DWORD dst_unused:UNUSED_PAD src0_sel:BYTE_3 src1_sel:DWORD
.LBB2_171:                              ;   in Loop: Header=BB2_162 Depth=1
	s_or_b64 exec, exec, s[44:45]
	v_lshlrev_b32_e32 v7, 8, v214
	v_perm_b32 v6, v7, v6, s13
	v_lshlrev_b32_e32 v7, 16, v224
	v_and_b32_e32 v7, 0xff0000, v7
	v_lshlrev_b32_e32 v9, 24, v226
	v_or3_b32 v6, v6, v7, v9
	v_lshlrev_b32_e32 v9, 8, v230
	v_and_b32_e32 v7, 0xff, v228
	v_and_b32_e32 v9, 0xff00, v9
	v_lshlrev_b32_e32 v214, 16, v240
	v_or3_b32 v7, 0, v7, v9
	v_or3_b32 v6, v6, 0, 0
	v_lshlrev_b32_e32 v9, 24, v242
	v_and_b32_e32 v214, 0xff0000, v214
	v_or3_b32 v215, v7, v214, v9
	v_or3_b32 v214, v6, 0, 0
	v_cmp_eq_u16_sdwa s[40:41], v8, v145 src0_sel:BYTE_0 src1_sel:DWORD
	s_and_saveexec_b64 s[76:77], s[40:41]
	s_cbranch_execz .LBB2_184
; %bb.172:                              ;   in Loop: Header=BB2_162 Depth=1
	v_cmp_ne_u64_e64 s[44:45], 0, v[212:213]
	v_cmp_ne_u32_e64 s[40:41], s53, v213
	s_mov_b64 s[78:79], 0
	v_cndmask_b32_e64 v59, -1, v212, s[44:45]
	s_branch .LBB2_174
.LBB2_173:                              ;   in Loop: Header=BB2_174 Depth=2
	s_or_b64 exec, exec, s[44:45]
	v_cmp_ne_u16_sdwa s[44:45], v8, v145 src0_sel:BYTE_0 src1_sel:DWORD
	s_or_b64 s[78:79], s[44:45], s[78:79]
	s_andn2_b64 exec, exec, s[78:79]
	s_cbranch_execz .LBB2_183
.LBB2_174:                              ;   Parent Loop BB2_162 Depth=1
                                        ; =>  This Inner Loop Header: Depth=2
                                        ; implicit-def: $vgpr8
                                        ; implicit-def: $vgpr242_vgpr243
                                        ; implicit-def: $vgpr240_vgpr241
                                        ; implicit-def: $vgpr230_vgpr231
                                        ; implicit-def: $vgpr228_vgpr229
                                        ; implicit-def: $vgpr226_vgpr227
                                        ; implicit-def: $vgpr224_vgpr225
                                        ; implicit-def: $vgpr214_vgpr215
	s_and_saveexec_b64 s[44:45], vcc
	s_xor_b64 s[44:45], exec, s[44:45]
	s_cbranch_execz .LBB2_180
; %bb.175:                              ;   in Loop: Header=BB2_174 Depth=2
                                        ; implicit-def: $vgpr8
                                        ; implicit-def: $vgpr242_vgpr243
                                        ; implicit-def: $vgpr240_vgpr241
                                        ; implicit-def: $vgpr230_vgpr231
                                        ; implicit-def: $vgpr228_vgpr229
                                        ; implicit-def: $vgpr226_vgpr227
                                        ; implicit-def: $vgpr224_vgpr225
                                        ; implicit-def: $vgpr214_vgpr215
	s_and_saveexec_b64 s[80:81], s[40:41]
	s_xor_b64 s[80:81], exec, s[80:81]
	s_cbranch_execz .LBB2_177
; %bb.176:                              ;   in Loop: Header=BB2_174 Depth=2
	;;#ASMSTART
	global_load_dwordx4 v[6:9], v[212:213] off sc1	
s_waitcnt vmcnt(0)
	;;#ASMEND
	s_nop 0
	v_lshrrev_b64 v[214:215], 8, v[6:7]
	v_lshlrev_b64 v[230:231], 24, v[8:9]
	v_lshrrev_b32_e32 v215, 8, v7
	v_lshlrev_b64 v[240:241], 16, v[8:9]
	v_lshlrev_b64 v[242:243], 8, v[8:9]
	v_lshrrev_b64 v[224:225], 16, v[6:7]
	v_lshrrev_b64 v[226:227], 24, v[6:7]
	v_mov_b32_e32 v228, v7
	v_or_b32_e32 v230, v215, v230
	v_or_b32_sdwa v240, v7, v240 dst_sel:DWORD dst_unused:UNUSED_PAD src0_sel:WORD_1 src1_sel:DWORD
	v_or_b32_sdwa v242, v7, v242 dst_sel:DWORD dst_unused:UNUSED_PAD src0_sel:BYTE_3 src1_sel:DWORD
.LBB2_177:                              ;   in Loop: Header=BB2_174 Depth=2
	s_andn2_saveexec_b64 s[80:81], s[80:81]
	s_cbranch_execz .LBB2_179
; %bb.178:                              ;   in Loop: Header=BB2_174 Depth=2
	;;#ASMSTART
	flat_load_dwordx4 v[6:9], v[212:213] sc1	
s_waitcnt vmcnt(0)
	;;#ASMEND
	s_nop 0
	v_lshrrev_b64 v[214:215], 8, v[6:7]
	v_lshlrev_b64 v[230:231], 24, v[8:9]
	v_lshrrev_b32_e32 v215, 8, v7
	v_lshlrev_b64 v[240:241], 16, v[8:9]
	v_lshlrev_b64 v[242:243], 8, v[8:9]
	v_lshrrev_b64 v[224:225], 16, v[6:7]
	v_lshrrev_b64 v[226:227], 24, v[6:7]
	v_mov_b32_e32 v228, v7
	v_or_b32_e32 v230, v215, v230
	v_or_b32_sdwa v240, v7, v240 dst_sel:DWORD dst_unused:UNUSED_PAD src0_sel:WORD_1 src1_sel:DWORD
	v_or_b32_sdwa v242, v7, v242 dst_sel:DWORD dst_unused:UNUSED_PAD src0_sel:BYTE_3 src1_sel:DWORD
.LBB2_179:                              ;   in Loop: Header=BB2_174 Depth=2
	s_or_b64 exec, exec, s[80:81]
.LBB2_180:                              ;   in Loop: Header=BB2_174 Depth=2
	s_andn2_saveexec_b64 s[44:45], s[44:45]
	s_cbranch_execz .LBB2_173
; %bb.181:                              ;   in Loop: Header=BB2_174 Depth=2
	;;#ASMSTART
	ds_read_b128 v[6:9], v59 	
s_waitcnt lgkmcnt(0)
	;;#ASMEND
	s_nop 0
	v_lshrrev_b64 v[214:215], 8, v[6:7]
	v_lshlrev_b64 v[230:231], 24, v[8:9]
	v_lshrrev_b32_e32 v215, 8, v7
	v_lshlrev_b64 v[240:241], 16, v[8:9]
	v_lshlrev_b64 v[242:243], 8, v[8:9]
	v_lshrrev_b64 v[224:225], 16, v[6:7]
	v_lshrrev_b64 v[226:227], 24, v[6:7]
	v_mov_b32_e32 v228, v7
	v_or_b32_e32 v230, v215, v230
	v_or_b32_sdwa v240, v7, v240 dst_sel:DWORD dst_unused:UNUSED_PAD src0_sel:WORD_1 src1_sel:DWORD
	v_or_b32_sdwa v242, v7, v242 dst_sel:DWORD dst_unused:UNUSED_PAD src0_sel:BYTE_3 src1_sel:DWORD
	s_branch .LBB2_173
.LBB2_182:                              ;   in Loop: Header=BB2_162 Depth=1
                                        ; implicit-def: $vgpr6_vgpr7
                                        ; implicit-def: $vgpr8
	s_cbranch_execz .LBB2_162
	s_branch .LBB2_210
.LBB2_183:                              ;   in Loop: Header=BB2_162 Depth=1
	s_or_b64 exec, exec, s[78:79]
	v_lshlrev_b32_e32 v7, 8, v214
	v_perm_b32 v6, v7, v6, s13
	v_lshlrev_b32_e32 v7, 16, v224
	v_and_b32_e32 v7, 0xff0000, v7
	v_lshlrev_b32_e32 v9, 24, v226
	v_or3_b32 v6, v6, v7, v9
	v_lshlrev_b32_e32 v9, 8, v230
	v_and_b32_e32 v7, 0xff, v228
	v_and_b32_e32 v9, 0xff00, v9
	v_or3_b32 v7, 0, v7, v9
	v_lshlrev_b32_e32 v9, 16, v240
	v_or3_b32 v6, v6, 0, 0
	v_and_b32_e32 v9, 0xff0000, v9
	v_lshlrev_b32_e32 v212, 24, v242
	v_or3_b32 v215, v7, v9, v212
	v_or3_b32 v214, v6, 0, 0
.LBB2_184:                              ;   in Loop: Header=BB2_162 Depth=1
	s_or_b64 exec, exec, s[76:77]
	v_cmp_eq_u16_sdwa vcc, v8, v47 src0_sel:BYTE_0 src1_sel:DWORD
	ds_bpermute_b32 v212, v71, v214
	ds_bpermute_b32 v213, v71, v215
	v_and_b32_e32 v6, vcc_hi, v147
	v_or_b32_e32 v6, 0x80000000, v6
	v_and_b32_e32 v7, vcc_lo, v146
	v_ffbl_b32_e32 v6, v6
	v_add_u32_e32 v6, 32, v6
	v_ffbl_b32_e32 v7, v7
	v_min_u32_e32 v9, v7, v6
	v_cmp_lt_u32_e32 vcc, v53, v9
	v_mov_b64_e32 v[6:7], v[214:215]
	s_and_saveexec_b64 s[44:45], vcc
	s_cbranch_execz .LBB2_188
; %bb.185:                              ;   in Loop: Header=BB2_162 Depth=1
	s_waitcnt lgkmcnt(0)
	v_max_f64 v[6:7], v[212:213], v[212:213]
	v_max_f64 v[226:227], v[214:215], v[214:215]
	v_min_f64 v[224:225], v[6:7], v[226:227]
	v_cmp_u_f64_e32 vcc, v[212:213], v[212:213]
	v_max_f64 v[6:7], v[6:7], v[226:227]
	v_cmp_u_f64_e64 s[40:41], v[214:215], v[214:215]
	v_cndmask_b32_e32 v224, v224, v212, vcc
	v_cndmask_b32_e32 v225, v225, v213, vcc
	;; [unrolled: 1-line block ×4, first 2 shown]
	v_cndmask_b32_e64 v225, v225, v215, s[40:41]
	v_cndmask_b32_e64 v224, v224, v214, s[40:41]
	;; [unrolled: 1-line block ×4, first 2 shown]
	v_cmp_neq_f64_e32 vcc, v[224:225], v[6:7]
	v_cmp_class_f64_e64 s[40:41], v[224:225], s50
	s_or_b64 vcc, vcc, s[40:41]
	s_and_saveexec_b64 s[76:77], vcc
	s_cbranch_execz .LBB2_187
; %bb.186:                              ;   in Loop: Header=BB2_162 Depth=1
	v_add_f64 v[212:213], v[224:225], -v[6:7]
	v_mul_f64 v[214:215], v[212:213], s[54:55]
	v_rndne_f64_e32 v[214:215], v[214:215]
	v_fma_f64 v[224:225], s[56:57], v[214:215], v[212:213]
	v_fmac_f64_e32 v[224:225], s[58:59], v[214:215]
	v_mov_b64_e32 v[226:227], v[150:151]
	v_fmac_f64_e32 v[226:227], s[60:61], v[224:225]
	v_mov_b64_e32 v[228:229], v[160:161]
	;; [unrolled: 2-line block ×9, first 2 shown]
	v_fmac_f64_e32 v[226:227], v[224:225], v[228:229]
	v_fma_f64 v[226:227], v[224:225], v[226:227], 1.0
	v_fma_f64 v[224:225], v[224:225], v[226:227], 1.0
	v_cvt_i32_f64_e32 v214, v[214:215]
	v_ldexp_f64 v[214:215], v[224:225], v214
	v_cmp_nlt_f64_e32 vcc, s[62:63], v[212:213]
	v_cmp_ngt_f64_e64 s[40:41], s[64:65], v[212:213]
	s_mov_b32 s70, s56
	v_cndmask_b32_e32 v215, v56, v215, vcc
	s_and_b64 vcc, s[40:41], vcc
	v_cndmask_b32_e64 v213, 0, v215, s[40:41]
	v_cndmask_b32_e32 v212, 0, v214, vcc
	v_add_f64 v[214:215], v[212:213], 1.0
	v_add_f64 v[224:225], v[214:215], -1.0
	v_add_f64 v[226:227], v[224:225], -v[214:215]
	v_add_f64 v[226:227], v[226:227], 1.0
	v_add_f64 v[224:225], v[212:213], -v[224:225]
	v_add_f64 v[224:225], v[224:225], v[226:227]
	v_frexp_mant_f64_e32 v[226:227], v[214:215]
	v_frexp_exp_i32_f64_e32 v228, v[214:215]
	v_cmp_gt_f64_e32 vcc, s[66:67], v[226:227]
	s_mov_b32 s72, s58
	s_nop 0
	v_subbrev_co_u32_e32 v59, vcc, 0, v228, vcc
	v_sub_u32_e32 v226, 0, v59
	v_ldexp_f64 v[214:215], v[214:215], v226
	v_ldexp_f64 v[224:225], v[224:225], v226
	v_add_f64 v[226:227], v[214:215], -1.0
	v_add_f64 v[240:241], v[214:215], 1.0
	v_add_f64 v[228:229], v[226:227], 1.0
	v_add_f64 v[242:243], v[240:241], -1.0
	v_add_f64 v[228:229], v[214:215], -v[228:229]
	v_add_f64 v[214:215], v[214:215], -v[242:243]
	v_add_f64 v[214:215], v[224:225], v[214:215]
	v_add_f64 v[228:229], v[224:225], v[228:229]
	;; [unrolled: 1-line block ×3, first 2 shown]
	v_rcp_f64_e32 v[242:243], v[224:225]
	v_add_f64 v[230:231], v[226:227], v[228:229]
	v_add_f64 v[226:227], v[230:231], -v[226:227]
	v_add_f64 v[226:227], v[228:229], -v[226:227]
	;; [unrolled: 1-line block ×4, first 2 shown]
	v_fma_f64 v[228:229], -v[224:225], v[242:243], 1.0
	v_fmac_f64_e32 v[242:243], v[228:229], v[242:243]
	v_fma_f64 v[228:229], -v[224:225], v[242:243], 1.0
	v_fmac_f64_e32 v[242:243], v[228:229], v[242:243]
	v_mul_f64 v[228:229], v[230:231], v[242:243]
	v_mul_f64 v[240:241], v[224:225], v[228:229]
	v_fma_f64 v[60:61], v[228:229], v[224:225], -v[240:241]
	v_fmac_f64_e32 v[60:61], v[228:229], v[214:215]
	v_add_f64 v[62:63], v[240:241], v[60:61]
	v_add_f64 v[72:73], v[230:231], -v[62:63]
	v_add_f64 v[230:231], v[230:231], -v[72:73]
	;; [unrolled: 1-line block ×4, first 2 shown]
	v_add_f64 v[226:227], v[226:227], v[230:231]
	v_add_f64 v[230:231], v[240:241], -v[60:61]
	v_add_f64 v[226:227], v[230:231], v[226:227]
	v_add_f64 v[230:231], v[72:73], v[226:227]
	v_add_f64 v[240:241], v[72:73], -v[230:231]
	v_add_f64 v[226:227], v[226:227], v[240:241]
	v_mul_f64 v[240:241], v[242:243], v[230:231]
	v_mul_f64 v[60:61], v[224:225], v[240:241]
	v_fma_f64 v[224:225], v[240:241], v[224:225], -v[60:61]
	v_fmac_f64_e32 v[224:225], v[240:241], v[214:215]
	v_add_f64 v[214:215], v[60:61], v[224:225]
	v_add_f64 v[62:63], v[230:231], -v[214:215]
	v_add_f64 v[230:231], v[230:231], -v[62:63]
	;; [unrolled: 1-line block ×4, first 2 shown]
	v_add_f64 v[214:215], v[226:227], v[214:215]
	v_add_f64 v[224:225], v[60:61], -v[224:225]
	v_add_f64 v[214:215], v[224:225], v[214:215]
	v_add_f64 v[224:225], v[228:229], v[240:241]
	;; [unrolled: 1-line block ×3, first 2 shown]
	v_add_f64 v[226:227], v[224:225], -v[228:229]
	v_mul_f64 v[214:215], v[242:243], v[214:215]
	v_add_f64 v[226:227], v[240:241], -v[226:227]
	v_add_f64 v[214:215], v[226:227], v[214:215]
	v_add_f64 v[226:227], v[224:225], v[214:215]
	v_add_f64 v[224:225], v[226:227], -v[224:225]
	v_add_f64 v[214:215], v[214:215], -v[224:225]
	v_mul_f64 v[224:225], v[226:227], v[226:227]
	v_mov_b64_e32 v[228:229], v[192:193]
	v_fmac_f64_e32 v[228:229], s[68:69], v[224:225]
	v_mov_b64_e32 v[230:231], v[194:195]
	v_fmac_f64_e32 v[230:231], v[224:225], v[228:229]
	;; [unrolled: 2-line block ×6, first 2 shown]
	v_cvt_f64_i32_e32 v[228:229], v59
	v_mul_f64 v[240:241], v[228:229], s[70:71]
	v_fma_f64 v[242:243], v[228:229], s[70:71], -v[240:241]
	v_fmac_f64_e32 v[242:243], s[72:73], v[228:229]
	v_add_f64 v[228:229], v[240:241], v[242:243]
	v_add_f64 v[240:241], v[228:229], -v[240:241]
	v_mul_f64 v[224:225], v[226:227], v[224:225]
	v_add_f64 v[240:241], v[242:243], -v[240:241]
	v_ldexp_f64 v[242:243], v[226:227], 1
	v_mul_f64 v[224:225], v[224:225], v[230:231]
	v_add_f64 v[226:227], v[242:243], v[224:225]
	v_add_f64 v[230:231], v[226:227], -v[242:243]
	v_ldexp_f64 v[214:215], v[214:215], 1
	v_add_f64 v[224:225], v[224:225], -v[230:231]
	v_add_f64 v[214:215], v[214:215], v[224:225]
	v_add_f64 v[224:225], v[226:227], v[214:215]
	v_add_f64 v[226:227], v[224:225], -v[226:227]
	v_add_f64 v[214:215], v[214:215], -v[226:227]
	v_add_f64 v[226:227], v[228:229], v[224:225]
	v_add_f64 v[230:231], v[226:227], -v[228:229]
	v_add_f64 v[242:243], v[226:227], -v[230:231]
	;; [unrolled: 1-line block ×4, first 2 shown]
	v_add_f64 v[224:225], v[224:225], v[228:229]
	v_add_f64 v[228:229], v[240:241], v[214:215]
	v_add_f64 v[230:231], v[228:229], -v[240:241]
	v_add_f64 v[224:225], v[228:229], v[224:225]
	v_add_f64 v[242:243], v[228:229], -v[230:231]
	;; [unrolled: 2-line block ×3, first 2 shown]
	v_add_f64 v[214:215], v[214:215], -v[230:231]
	v_add_f64 v[226:227], v[228:229], -v[226:227]
	v_add_f64 v[214:215], v[214:215], v[240:241]
	v_add_f64 v[224:225], v[224:225], -v[226:227]
	v_add_f64 v[214:215], v[214:215], v[224:225]
	v_add_f64 v[214:215], v[228:229], v[214:215]
	v_cmp_eq_f64_e32 vcc, s[74:75], v[212:213]
	s_nop 1
	v_cndmask_b32_e32 v214, v214, v212, vcc
	v_cndmask_b32_e32 v215, v215, v213, vcc
	v_cmp_ngt_f64_e32 vcc, -1.0, v[212:213]
	s_nop 1
	v_cndmask_b32_e32 v215, v57, v215, vcc
	v_cmp_nge_f64_e32 vcc, -1.0, v[212:213]
	s_nop 1
	v_cndmask_b32_e32 v214, 0, v214, vcc
	v_cmp_neq_f64_e32 vcc, -1.0, v[212:213]
	s_nop 1
	v_cndmask_b32_e32 v215, v58, v215, vcc
	v_add_f64 v[212:213], v[6:7], v[214:215]
.LBB2_187:                              ;   in Loop: Header=BB2_162 Depth=1
	s_or_b64 exec, exec, s[76:77]
	v_mov_b32_e32 v214, v212
	v_mov_b32_e32 v215, v213
	v_mov_b64_e32 v[6:7], v[212:213]
.LBB2_188:                              ;   in Loop: Header=BB2_162 Depth=1
	s_or_b64 exec, exec, s[44:45]
	s_waitcnt lgkmcnt(1)
	ds_bpermute_b32 v212, v245, v214
	s_waitcnt lgkmcnt(1)
	ds_bpermute_b32 v213, v245, v215
	v_cmp_le_u32_e32 vcc, v246, v9
	s_and_saveexec_b64 s[44:45], vcc
	s_cbranch_execz .LBB2_192
; %bb.189:                              ;   in Loop: Header=BB2_162 Depth=1
	s_waitcnt lgkmcnt(0)
	v_max_f64 v[224:225], v[212:213], v[212:213]
	v_max_f64 v[226:227], v[6:7], v[6:7]
	v_min_f64 v[214:215], v[224:225], v[226:227]
	v_cmp_u_f64_e32 vcc, v[212:213], v[212:213]
	v_max_f64 v[224:225], v[224:225], v[226:227]
	v_cmp_u_f64_e64 s[40:41], v[6:7], v[6:7]
	v_cndmask_b32_e32 v214, v214, v212, vcc
	v_cndmask_b32_e32 v215, v215, v213, vcc
	;; [unrolled: 1-line block ×4, first 2 shown]
	v_cndmask_b32_e64 v215, v215, v7, s[40:41]
	v_cndmask_b32_e64 v214, v214, v6, s[40:41]
	v_cndmask_b32_e64 v7, v225, v7, s[40:41]
	v_cndmask_b32_e64 v6, v224, v6, s[40:41]
	v_cmp_neq_f64_e32 vcc, v[214:215], v[6:7]
	v_cmp_class_f64_e64 s[40:41], v[214:215], s50
	s_or_b64 vcc, vcc, s[40:41]
	s_and_saveexec_b64 s[76:77], vcc
	s_cbranch_execz .LBB2_191
; %bb.190:                              ;   in Loop: Header=BB2_162 Depth=1
	v_add_f64 v[212:213], v[214:215], -v[6:7]
	v_mul_f64 v[214:215], v[212:213], s[54:55]
	v_rndne_f64_e32 v[214:215], v[214:215]
	v_fma_f64 v[224:225], s[56:57], v[214:215], v[212:213]
	v_fmac_f64_e32 v[224:225], s[58:59], v[214:215]
	v_mov_b64_e32 v[226:227], v[150:151]
	v_fmac_f64_e32 v[226:227], s[60:61], v[224:225]
	v_mov_b64_e32 v[228:229], v[160:161]
	;; [unrolled: 2-line block ×9, first 2 shown]
	v_fmac_f64_e32 v[226:227], v[224:225], v[228:229]
	v_fma_f64 v[226:227], v[224:225], v[226:227], 1.0
	v_fma_f64 v[224:225], v[224:225], v[226:227], 1.0
	v_cvt_i32_f64_e32 v214, v[214:215]
	v_ldexp_f64 v[214:215], v[224:225], v214
	v_cmp_nlt_f64_e32 vcc, s[62:63], v[212:213]
	v_cmp_ngt_f64_e64 s[40:41], s[64:65], v[212:213]
	s_mov_b32 s70, s56
	v_cndmask_b32_e32 v215, v56, v215, vcc
	s_and_b64 vcc, s[40:41], vcc
	v_cndmask_b32_e64 v213, 0, v215, s[40:41]
	v_cndmask_b32_e32 v212, 0, v214, vcc
	v_add_f64 v[214:215], v[212:213], 1.0
	v_add_f64 v[224:225], v[214:215], -1.0
	v_add_f64 v[226:227], v[224:225], -v[214:215]
	v_add_f64 v[226:227], v[226:227], 1.0
	v_add_f64 v[224:225], v[212:213], -v[224:225]
	v_add_f64 v[224:225], v[224:225], v[226:227]
	v_frexp_mant_f64_e32 v[226:227], v[214:215]
	v_frexp_exp_i32_f64_e32 v228, v[214:215]
	v_cmp_gt_f64_e32 vcc, s[66:67], v[226:227]
	s_mov_b32 s72, s58
	s_nop 0
	v_subbrev_co_u32_e32 v59, vcc, 0, v228, vcc
	v_sub_u32_e32 v226, 0, v59
	v_ldexp_f64 v[214:215], v[214:215], v226
	v_ldexp_f64 v[224:225], v[224:225], v226
	v_add_f64 v[226:227], v[214:215], -1.0
	v_add_f64 v[240:241], v[214:215], 1.0
	v_add_f64 v[228:229], v[226:227], 1.0
	v_add_f64 v[242:243], v[240:241], -1.0
	v_add_f64 v[228:229], v[214:215], -v[228:229]
	v_add_f64 v[214:215], v[214:215], -v[242:243]
	v_add_f64 v[214:215], v[224:225], v[214:215]
	v_add_f64 v[228:229], v[224:225], v[228:229]
	;; [unrolled: 1-line block ×3, first 2 shown]
	v_rcp_f64_e32 v[242:243], v[224:225]
	v_add_f64 v[230:231], v[226:227], v[228:229]
	v_add_f64 v[226:227], v[230:231], -v[226:227]
	v_add_f64 v[226:227], v[228:229], -v[226:227]
	v_add_f64 v[228:229], v[224:225], -v[240:241]
	v_add_f64 v[214:215], v[214:215], -v[228:229]
	v_fma_f64 v[228:229], -v[224:225], v[242:243], 1.0
	v_fmac_f64_e32 v[242:243], v[228:229], v[242:243]
	v_fma_f64 v[228:229], -v[224:225], v[242:243], 1.0
	v_fmac_f64_e32 v[242:243], v[228:229], v[242:243]
	v_mul_f64 v[228:229], v[230:231], v[242:243]
	v_mul_f64 v[240:241], v[224:225], v[228:229]
	v_fma_f64 v[60:61], v[228:229], v[224:225], -v[240:241]
	v_fmac_f64_e32 v[60:61], v[228:229], v[214:215]
	v_add_f64 v[62:63], v[240:241], v[60:61]
	v_add_f64 v[72:73], v[230:231], -v[62:63]
	v_add_f64 v[230:231], v[230:231], -v[72:73]
	;; [unrolled: 1-line block ×4, first 2 shown]
	v_add_f64 v[226:227], v[226:227], v[230:231]
	v_add_f64 v[230:231], v[240:241], -v[60:61]
	v_add_f64 v[226:227], v[230:231], v[226:227]
	v_add_f64 v[230:231], v[72:73], v[226:227]
	v_add_f64 v[240:241], v[72:73], -v[230:231]
	v_add_f64 v[226:227], v[226:227], v[240:241]
	v_mul_f64 v[240:241], v[242:243], v[230:231]
	v_mul_f64 v[60:61], v[224:225], v[240:241]
	v_fma_f64 v[224:225], v[240:241], v[224:225], -v[60:61]
	v_fmac_f64_e32 v[224:225], v[240:241], v[214:215]
	v_add_f64 v[214:215], v[60:61], v[224:225]
	v_add_f64 v[62:63], v[230:231], -v[214:215]
	v_add_f64 v[230:231], v[230:231], -v[62:63]
	;; [unrolled: 1-line block ×4, first 2 shown]
	v_add_f64 v[214:215], v[226:227], v[214:215]
	v_add_f64 v[224:225], v[60:61], -v[224:225]
	v_add_f64 v[214:215], v[224:225], v[214:215]
	v_add_f64 v[224:225], v[228:229], v[240:241]
	;; [unrolled: 1-line block ×3, first 2 shown]
	v_add_f64 v[226:227], v[224:225], -v[228:229]
	v_mul_f64 v[214:215], v[242:243], v[214:215]
	v_add_f64 v[226:227], v[240:241], -v[226:227]
	v_add_f64 v[214:215], v[226:227], v[214:215]
	v_add_f64 v[226:227], v[224:225], v[214:215]
	v_add_f64 v[224:225], v[226:227], -v[224:225]
	v_add_f64 v[214:215], v[214:215], -v[224:225]
	v_mul_f64 v[224:225], v[226:227], v[226:227]
	v_mov_b64_e32 v[228:229], v[192:193]
	v_fmac_f64_e32 v[228:229], s[68:69], v[224:225]
	v_mov_b64_e32 v[230:231], v[194:195]
	v_fmac_f64_e32 v[230:231], v[224:225], v[228:229]
	v_mov_b64_e32 v[228:229], v[196:197]
	v_fmac_f64_e32 v[228:229], v[224:225], v[230:231]
	v_mov_b64_e32 v[230:231], v[198:199]
	v_fmac_f64_e32 v[230:231], v[224:225], v[228:229]
	v_mov_b64_e32 v[228:229], v[208:209]
	v_fmac_f64_e32 v[228:229], v[224:225], v[230:231]
	v_mov_b64_e32 v[230:231], v[210:211]
	v_fmac_f64_e32 v[230:231], v[224:225], v[228:229]
	v_cvt_f64_i32_e32 v[228:229], v59
	v_mul_f64 v[240:241], v[228:229], s[70:71]
	v_fma_f64 v[242:243], v[228:229], s[70:71], -v[240:241]
	v_fmac_f64_e32 v[242:243], s[72:73], v[228:229]
	v_add_f64 v[228:229], v[240:241], v[242:243]
	v_add_f64 v[240:241], v[228:229], -v[240:241]
	v_mul_f64 v[224:225], v[226:227], v[224:225]
	v_add_f64 v[240:241], v[242:243], -v[240:241]
	v_ldexp_f64 v[242:243], v[226:227], 1
	v_mul_f64 v[224:225], v[224:225], v[230:231]
	v_add_f64 v[226:227], v[242:243], v[224:225]
	v_add_f64 v[230:231], v[226:227], -v[242:243]
	v_ldexp_f64 v[214:215], v[214:215], 1
	v_add_f64 v[224:225], v[224:225], -v[230:231]
	v_add_f64 v[214:215], v[214:215], v[224:225]
	v_add_f64 v[224:225], v[226:227], v[214:215]
	v_add_f64 v[226:227], v[224:225], -v[226:227]
	v_add_f64 v[214:215], v[214:215], -v[226:227]
	v_add_f64 v[226:227], v[228:229], v[224:225]
	v_add_f64 v[230:231], v[226:227], -v[228:229]
	v_add_f64 v[242:243], v[226:227], -v[230:231]
	;; [unrolled: 1-line block ×4, first 2 shown]
	v_add_f64 v[224:225], v[224:225], v[228:229]
	v_add_f64 v[228:229], v[240:241], v[214:215]
	v_add_f64 v[230:231], v[228:229], -v[240:241]
	v_add_f64 v[224:225], v[228:229], v[224:225]
	v_add_f64 v[242:243], v[228:229], -v[230:231]
	;; [unrolled: 2-line block ×3, first 2 shown]
	v_add_f64 v[214:215], v[214:215], -v[230:231]
	v_add_f64 v[226:227], v[228:229], -v[226:227]
	v_add_f64 v[214:215], v[214:215], v[240:241]
	v_add_f64 v[224:225], v[224:225], -v[226:227]
	v_add_f64 v[214:215], v[214:215], v[224:225]
	v_add_f64 v[214:215], v[228:229], v[214:215]
	v_cmp_eq_f64_e32 vcc, s[74:75], v[212:213]
	s_nop 1
	v_cndmask_b32_e32 v214, v214, v212, vcc
	v_cndmask_b32_e32 v215, v215, v213, vcc
	v_cmp_ngt_f64_e32 vcc, -1.0, v[212:213]
	s_nop 1
	v_cndmask_b32_e32 v215, v57, v215, vcc
	v_cmp_nge_f64_e32 vcc, -1.0, v[212:213]
	s_nop 1
	v_cndmask_b32_e32 v214, 0, v214, vcc
	v_cmp_neq_f64_e32 vcc, -1.0, v[212:213]
	s_nop 1
	v_cndmask_b32_e32 v215, v58, v215, vcc
	v_add_f64 v[212:213], v[6:7], v[214:215]
.LBB2_191:                              ;   in Loop: Header=BB2_162 Depth=1
	s_or_b64 exec, exec, s[76:77]
	v_mov_b32_e32 v214, v212
	v_mov_b32_e32 v215, v213
	v_mov_b64_e32 v[6:7], v[212:213]
.LBB2_192:                              ;   in Loop: Header=BB2_162 Depth=1
	s_or_b64 exec, exec, s[44:45]
	s_waitcnt lgkmcnt(1)
	ds_bpermute_b32 v212, v247, v214
	s_waitcnt lgkmcnt(1)
	ds_bpermute_b32 v213, v247, v215
	v_cmp_le_u32_e32 vcc, v40, v9
	s_and_saveexec_b64 s[44:45], vcc
	s_cbranch_execz .LBB2_196
; %bb.193:                              ;   in Loop: Header=BB2_162 Depth=1
	s_waitcnt lgkmcnt(0)
	v_max_f64 v[224:225], v[212:213], v[212:213]
	v_max_f64 v[226:227], v[6:7], v[6:7]
	v_min_f64 v[214:215], v[224:225], v[226:227]
	v_cmp_u_f64_e32 vcc, v[212:213], v[212:213]
	v_max_f64 v[224:225], v[224:225], v[226:227]
	v_cmp_u_f64_e64 s[40:41], v[6:7], v[6:7]
	v_cndmask_b32_e32 v214, v214, v212, vcc
	v_cndmask_b32_e32 v215, v215, v213, vcc
	;; [unrolled: 1-line block ×4, first 2 shown]
	v_cndmask_b32_e64 v215, v215, v7, s[40:41]
	v_cndmask_b32_e64 v214, v214, v6, s[40:41]
	;; [unrolled: 1-line block ×4, first 2 shown]
	v_cmp_neq_f64_e32 vcc, v[214:215], v[6:7]
	v_cmp_class_f64_e64 s[40:41], v[214:215], s50
	s_or_b64 vcc, vcc, s[40:41]
	s_and_saveexec_b64 s[76:77], vcc
	s_cbranch_execz .LBB2_195
; %bb.194:                              ;   in Loop: Header=BB2_162 Depth=1
	v_add_f64 v[212:213], v[214:215], -v[6:7]
	v_mul_f64 v[214:215], v[212:213], s[54:55]
	v_rndne_f64_e32 v[214:215], v[214:215]
	v_fma_f64 v[224:225], s[56:57], v[214:215], v[212:213]
	v_fmac_f64_e32 v[224:225], s[58:59], v[214:215]
	v_mov_b64_e32 v[226:227], v[150:151]
	v_fmac_f64_e32 v[226:227], s[60:61], v[224:225]
	v_mov_b64_e32 v[228:229], v[160:161]
	;; [unrolled: 2-line block ×9, first 2 shown]
	v_fmac_f64_e32 v[226:227], v[224:225], v[228:229]
	v_fma_f64 v[226:227], v[224:225], v[226:227], 1.0
	v_fma_f64 v[224:225], v[224:225], v[226:227], 1.0
	v_cvt_i32_f64_e32 v214, v[214:215]
	v_ldexp_f64 v[214:215], v[224:225], v214
	v_cmp_nlt_f64_e32 vcc, s[62:63], v[212:213]
	v_cmp_ngt_f64_e64 s[40:41], s[64:65], v[212:213]
	s_mov_b32 s70, s56
	v_cndmask_b32_e32 v215, v56, v215, vcc
	s_and_b64 vcc, s[40:41], vcc
	v_cndmask_b32_e64 v213, 0, v215, s[40:41]
	v_cndmask_b32_e32 v212, 0, v214, vcc
	v_add_f64 v[214:215], v[212:213], 1.0
	v_add_f64 v[224:225], v[214:215], -1.0
	v_add_f64 v[226:227], v[224:225], -v[214:215]
	v_add_f64 v[226:227], v[226:227], 1.0
	v_add_f64 v[224:225], v[212:213], -v[224:225]
	v_add_f64 v[224:225], v[224:225], v[226:227]
	v_frexp_mant_f64_e32 v[226:227], v[214:215]
	v_frexp_exp_i32_f64_e32 v228, v[214:215]
	v_cmp_gt_f64_e32 vcc, s[66:67], v[226:227]
	s_mov_b32 s72, s58
	s_nop 0
	v_subbrev_co_u32_e32 v59, vcc, 0, v228, vcc
	v_sub_u32_e32 v226, 0, v59
	v_ldexp_f64 v[214:215], v[214:215], v226
	v_ldexp_f64 v[224:225], v[224:225], v226
	v_add_f64 v[226:227], v[214:215], -1.0
	v_add_f64 v[240:241], v[214:215], 1.0
	v_add_f64 v[228:229], v[226:227], 1.0
	v_add_f64 v[242:243], v[240:241], -1.0
	v_add_f64 v[228:229], v[214:215], -v[228:229]
	v_add_f64 v[214:215], v[214:215], -v[242:243]
	v_add_f64 v[214:215], v[224:225], v[214:215]
	v_add_f64 v[228:229], v[224:225], v[228:229]
	;; [unrolled: 1-line block ×3, first 2 shown]
	v_rcp_f64_e32 v[242:243], v[224:225]
	v_add_f64 v[230:231], v[226:227], v[228:229]
	v_add_f64 v[226:227], v[230:231], -v[226:227]
	v_add_f64 v[226:227], v[228:229], -v[226:227]
	;; [unrolled: 1-line block ×4, first 2 shown]
	v_fma_f64 v[228:229], -v[224:225], v[242:243], 1.0
	v_fmac_f64_e32 v[242:243], v[228:229], v[242:243]
	v_fma_f64 v[228:229], -v[224:225], v[242:243], 1.0
	v_fmac_f64_e32 v[242:243], v[228:229], v[242:243]
	v_mul_f64 v[228:229], v[230:231], v[242:243]
	v_mul_f64 v[240:241], v[224:225], v[228:229]
	v_fma_f64 v[60:61], v[228:229], v[224:225], -v[240:241]
	v_fmac_f64_e32 v[60:61], v[228:229], v[214:215]
	v_add_f64 v[62:63], v[240:241], v[60:61]
	v_add_f64 v[72:73], v[230:231], -v[62:63]
	v_add_f64 v[230:231], v[230:231], -v[72:73]
	;; [unrolled: 1-line block ×4, first 2 shown]
	v_add_f64 v[226:227], v[226:227], v[230:231]
	v_add_f64 v[230:231], v[240:241], -v[60:61]
	v_add_f64 v[226:227], v[230:231], v[226:227]
	v_add_f64 v[230:231], v[72:73], v[226:227]
	v_add_f64 v[240:241], v[72:73], -v[230:231]
	v_add_f64 v[226:227], v[226:227], v[240:241]
	v_mul_f64 v[240:241], v[242:243], v[230:231]
	v_mul_f64 v[60:61], v[224:225], v[240:241]
	v_fma_f64 v[224:225], v[240:241], v[224:225], -v[60:61]
	v_fmac_f64_e32 v[224:225], v[240:241], v[214:215]
	v_add_f64 v[214:215], v[60:61], v[224:225]
	v_add_f64 v[62:63], v[230:231], -v[214:215]
	v_add_f64 v[230:231], v[230:231], -v[62:63]
	v_add_f64 v[60:61], v[214:215], -v[60:61]
	v_add_f64 v[214:215], v[230:231], -v[214:215]
	v_add_f64 v[214:215], v[226:227], v[214:215]
	v_add_f64 v[224:225], v[60:61], -v[224:225]
	v_add_f64 v[214:215], v[224:225], v[214:215]
	v_add_f64 v[224:225], v[228:229], v[240:241]
	;; [unrolled: 1-line block ×3, first 2 shown]
	v_add_f64 v[226:227], v[224:225], -v[228:229]
	v_mul_f64 v[214:215], v[242:243], v[214:215]
	v_add_f64 v[226:227], v[240:241], -v[226:227]
	v_add_f64 v[214:215], v[226:227], v[214:215]
	v_add_f64 v[226:227], v[224:225], v[214:215]
	v_add_f64 v[224:225], v[226:227], -v[224:225]
	v_add_f64 v[214:215], v[214:215], -v[224:225]
	v_mul_f64 v[224:225], v[226:227], v[226:227]
	v_mov_b64_e32 v[228:229], v[192:193]
	v_fmac_f64_e32 v[228:229], s[68:69], v[224:225]
	v_mov_b64_e32 v[230:231], v[194:195]
	v_fmac_f64_e32 v[230:231], v[224:225], v[228:229]
	;; [unrolled: 2-line block ×6, first 2 shown]
	v_cvt_f64_i32_e32 v[228:229], v59
	v_mul_f64 v[240:241], v[228:229], s[70:71]
	v_fma_f64 v[242:243], v[228:229], s[70:71], -v[240:241]
	v_fmac_f64_e32 v[242:243], s[72:73], v[228:229]
	v_add_f64 v[228:229], v[240:241], v[242:243]
	v_add_f64 v[240:241], v[228:229], -v[240:241]
	v_mul_f64 v[224:225], v[226:227], v[224:225]
	v_add_f64 v[240:241], v[242:243], -v[240:241]
	v_ldexp_f64 v[242:243], v[226:227], 1
	v_mul_f64 v[224:225], v[224:225], v[230:231]
	v_add_f64 v[226:227], v[242:243], v[224:225]
	v_add_f64 v[230:231], v[226:227], -v[242:243]
	v_ldexp_f64 v[214:215], v[214:215], 1
	v_add_f64 v[224:225], v[224:225], -v[230:231]
	v_add_f64 v[214:215], v[214:215], v[224:225]
	v_add_f64 v[224:225], v[226:227], v[214:215]
	v_add_f64 v[226:227], v[224:225], -v[226:227]
	v_add_f64 v[214:215], v[214:215], -v[226:227]
	v_add_f64 v[226:227], v[228:229], v[224:225]
	v_add_f64 v[230:231], v[226:227], -v[228:229]
	v_add_f64 v[242:243], v[226:227], -v[230:231]
	;; [unrolled: 1-line block ×4, first 2 shown]
	v_add_f64 v[224:225], v[224:225], v[228:229]
	v_add_f64 v[228:229], v[240:241], v[214:215]
	v_add_f64 v[230:231], v[228:229], -v[240:241]
	v_add_f64 v[224:225], v[228:229], v[224:225]
	v_add_f64 v[242:243], v[228:229], -v[230:231]
	;; [unrolled: 2-line block ×3, first 2 shown]
	v_add_f64 v[214:215], v[214:215], -v[230:231]
	v_add_f64 v[226:227], v[228:229], -v[226:227]
	v_add_f64 v[214:215], v[214:215], v[240:241]
	v_add_f64 v[224:225], v[224:225], -v[226:227]
	v_add_f64 v[214:215], v[214:215], v[224:225]
	v_add_f64 v[214:215], v[228:229], v[214:215]
	v_cmp_eq_f64_e32 vcc, s[74:75], v[212:213]
	s_nop 1
	v_cndmask_b32_e32 v214, v214, v212, vcc
	v_cndmask_b32_e32 v215, v215, v213, vcc
	v_cmp_ngt_f64_e32 vcc, -1.0, v[212:213]
	s_nop 1
	v_cndmask_b32_e32 v215, v57, v215, vcc
	v_cmp_nge_f64_e32 vcc, -1.0, v[212:213]
	s_nop 1
	v_cndmask_b32_e32 v214, 0, v214, vcc
	v_cmp_neq_f64_e32 vcc, -1.0, v[212:213]
	s_nop 1
	v_cndmask_b32_e32 v215, v58, v215, vcc
	v_add_f64 v[212:213], v[6:7], v[214:215]
.LBB2_195:                              ;   in Loop: Header=BB2_162 Depth=1
	s_or_b64 exec, exec, s[76:77]
	v_mov_b32_e32 v214, v212
	v_mov_b32_e32 v215, v213
	v_mov_b64_e32 v[6:7], v[212:213]
.LBB2_196:                              ;   in Loop: Header=BB2_162 Depth=1
	s_or_b64 exec, exec, s[44:45]
	s_waitcnt lgkmcnt(1)
	ds_bpermute_b32 v212, v41, v214
	s_waitcnt lgkmcnt(1)
	ds_bpermute_b32 v213, v41, v215
	v_cmp_le_u32_e32 vcc, v42, v9
	s_and_saveexec_b64 s[44:45], vcc
	s_cbranch_execz .LBB2_200
; %bb.197:                              ;   in Loop: Header=BB2_162 Depth=1
	s_waitcnt lgkmcnt(0)
	v_max_f64 v[224:225], v[212:213], v[212:213]
	v_max_f64 v[226:227], v[6:7], v[6:7]
	v_min_f64 v[214:215], v[224:225], v[226:227]
	v_cmp_u_f64_e32 vcc, v[212:213], v[212:213]
	v_max_f64 v[224:225], v[224:225], v[226:227]
	v_cmp_u_f64_e64 s[40:41], v[6:7], v[6:7]
	v_cndmask_b32_e32 v214, v214, v212, vcc
	v_cndmask_b32_e32 v215, v215, v213, vcc
	v_cndmask_b32_e32 v224, v224, v212, vcc
	v_cndmask_b32_e32 v225, v225, v213, vcc
	v_cndmask_b32_e64 v215, v215, v7, s[40:41]
	v_cndmask_b32_e64 v214, v214, v6, s[40:41]
	;; [unrolled: 1-line block ×4, first 2 shown]
	v_cmp_neq_f64_e32 vcc, v[214:215], v[6:7]
	v_cmp_class_f64_e64 s[40:41], v[214:215], s50
	s_or_b64 vcc, vcc, s[40:41]
	s_and_saveexec_b64 s[76:77], vcc
	s_cbranch_execz .LBB2_199
; %bb.198:                              ;   in Loop: Header=BB2_162 Depth=1
	v_add_f64 v[212:213], v[214:215], -v[6:7]
	v_mul_f64 v[214:215], v[212:213], s[54:55]
	v_rndne_f64_e32 v[214:215], v[214:215]
	v_fma_f64 v[224:225], s[56:57], v[214:215], v[212:213]
	v_fmac_f64_e32 v[224:225], s[58:59], v[214:215]
	v_mov_b64_e32 v[226:227], v[150:151]
	v_fmac_f64_e32 v[226:227], s[60:61], v[224:225]
	v_mov_b64_e32 v[228:229], v[160:161]
	v_fmac_f64_e32 v[228:229], v[224:225], v[226:227]
	v_mov_b64_e32 v[226:227], v[162:163]
	v_fmac_f64_e32 v[226:227], v[224:225], v[228:229]
	v_mov_b64_e32 v[228:229], v[164:165]
	v_fmac_f64_e32 v[228:229], v[224:225], v[226:227]
	v_mov_b64_e32 v[226:227], v[166:167]
	v_fmac_f64_e32 v[226:227], v[224:225], v[228:229]
	v_mov_b64_e32 v[228:229], v[176:177]
	v_fmac_f64_e32 v[228:229], v[224:225], v[226:227]
	v_mov_b64_e32 v[226:227], v[178:179]
	v_fmac_f64_e32 v[226:227], v[224:225], v[228:229]
	v_mov_b64_e32 v[228:229], v[180:181]
	v_fmac_f64_e32 v[228:229], v[224:225], v[226:227]
	v_mov_b64_e32 v[226:227], v[182:183]
	v_fmac_f64_e32 v[226:227], v[224:225], v[228:229]
	v_fma_f64 v[226:227], v[224:225], v[226:227], 1.0
	v_fma_f64 v[224:225], v[224:225], v[226:227], 1.0
	v_cvt_i32_f64_e32 v214, v[214:215]
	v_ldexp_f64 v[214:215], v[224:225], v214
	v_cmp_nlt_f64_e32 vcc, s[62:63], v[212:213]
	v_cmp_ngt_f64_e64 s[40:41], s[64:65], v[212:213]
	s_mov_b32 s70, s56
	v_cndmask_b32_e32 v215, v56, v215, vcc
	s_and_b64 vcc, s[40:41], vcc
	v_cndmask_b32_e64 v213, 0, v215, s[40:41]
	v_cndmask_b32_e32 v212, 0, v214, vcc
	v_add_f64 v[214:215], v[212:213], 1.0
	v_add_f64 v[224:225], v[214:215], -1.0
	v_add_f64 v[226:227], v[224:225], -v[214:215]
	v_add_f64 v[226:227], v[226:227], 1.0
	v_add_f64 v[224:225], v[212:213], -v[224:225]
	v_add_f64 v[224:225], v[224:225], v[226:227]
	v_frexp_mant_f64_e32 v[226:227], v[214:215]
	v_frexp_exp_i32_f64_e32 v228, v[214:215]
	v_cmp_gt_f64_e32 vcc, s[66:67], v[226:227]
	s_mov_b32 s72, s58
	s_nop 0
	v_subbrev_co_u32_e32 v59, vcc, 0, v228, vcc
	v_sub_u32_e32 v226, 0, v59
	v_ldexp_f64 v[214:215], v[214:215], v226
	v_ldexp_f64 v[224:225], v[224:225], v226
	v_add_f64 v[226:227], v[214:215], -1.0
	v_add_f64 v[240:241], v[214:215], 1.0
	v_add_f64 v[228:229], v[226:227], 1.0
	v_add_f64 v[242:243], v[240:241], -1.0
	v_add_f64 v[228:229], v[214:215], -v[228:229]
	v_add_f64 v[214:215], v[214:215], -v[242:243]
	v_add_f64 v[214:215], v[224:225], v[214:215]
	v_add_f64 v[228:229], v[224:225], v[228:229]
	;; [unrolled: 1-line block ×3, first 2 shown]
	v_rcp_f64_e32 v[242:243], v[224:225]
	v_add_f64 v[230:231], v[226:227], v[228:229]
	v_add_f64 v[226:227], v[230:231], -v[226:227]
	v_add_f64 v[226:227], v[228:229], -v[226:227]
	v_add_f64 v[228:229], v[224:225], -v[240:241]
	v_add_f64 v[214:215], v[214:215], -v[228:229]
	v_fma_f64 v[228:229], -v[224:225], v[242:243], 1.0
	v_fmac_f64_e32 v[242:243], v[228:229], v[242:243]
	v_fma_f64 v[228:229], -v[224:225], v[242:243], 1.0
	v_fmac_f64_e32 v[242:243], v[228:229], v[242:243]
	v_mul_f64 v[228:229], v[230:231], v[242:243]
	v_mul_f64 v[240:241], v[224:225], v[228:229]
	v_fma_f64 v[60:61], v[228:229], v[224:225], -v[240:241]
	v_fmac_f64_e32 v[60:61], v[228:229], v[214:215]
	v_add_f64 v[62:63], v[240:241], v[60:61]
	v_add_f64 v[72:73], v[230:231], -v[62:63]
	v_add_f64 v[230:231], v[230:231], -v[72:73]
	;; [unrolled: 1-line block ×4, first 2 shown]
	v_add_f64 v[226:227], v[226:227], v[230:231]
	v_add_f64 v[230:231], v[240:241], -v[60:61]
	v_add_f64 v[226:227], v[230:231], v[226:227]
	v_add_f64 v[230:231], v[72:73], v[226:227]
	v_add_f64 v[240:241], v[72:73], -v[230:231]
	v_add_f64 v[226:227], v[226:227], v[240:241]
	v_mul_f64 v[240:241], v[242:243], v[230:231]
	v_mul_f64 v[60:61], v[224:225], v[240:241]
	v_fma_f64 v[224:225], v[240:241], v[224:225], -v[60:61]
	v_fmac_f64_e32 v[224:225], v[240:241], v[214:215]
	v_add_f64 v[214:215], v[60:61], v[224:225]
	v_add_f64 v[62:63], v[230:231], -v[214:215]
	v_add_f64 v[230:231], v[230:231], -v[62:63]
	;; [unrolled: 1-line block ×4, first 2 shown]
	v_add_f64 v[214:215], v[226:227], v[214:215]
	v_add_f64 v[224:225], v[60:61], -v[224:225]
	v_add_f64 v[214:215], v[224:225], v[214:215]
	v_add_f64 v[224:225], v[228:229], v[240:241]
	v_add_f64 v[214:215], v[62:63], v[214:215]
	v_add_f64 v[226:227], v[224:225], -v[228:229]
	v_mul_f64 v[214:215], v[242:243], v[214:215]
	v_add_f64 v[226:227], v[240:241], -v[226:227]
	v_add_f64 v[214:215], v[226:227], v[214:215]
	v_add_f64 v[226:227], v[224:225], v[214:215]
	v_add_f64 v[224:225], v[226:227], -v[224:225]
	v_add_f64 v[214:215], v[214:215], -v[224:225]
	v_mul_f64 v[224:225], v[226:227], v[226:227]
	v_mov_b64_e32 v[228:229], v[192:193]
	v_fmac_f64_e32 v[228:229], s[68:69], v[224:225]
	v_mov_b64_e32 v[230:231], v[194:195]
	v_fmac_f64_e32 v[230:231], v[224:225], v[228:229]
	;; [unrolled: 2-line block ×6, first 2 shown]
	v_cvt_f64_i32_e32 v[228:229], v59
	v_mul_f64 v[240:241], v[228:229], s[70:71]
	v_fma_f64 v[242:243], v[228:229], s[70:71], -v[240:241]
	v_fmac_f64_e32 v[242:243], s[72:73], v[228:229]
	v_add_f64 v[228:229], v[240:241], v[242:243]
	v_add_f64 v[240:241], v[228:229], -v[240:241]
	v_mul_f64 v[224:225], v[226:227], v[224:225]
	v_add_f64 v[240:241], v[242:243], -v[240:241]
	v_ldexp_f64 v[242:243], v[226:227], 1
	v_mul_f64 v[224:225], v[224:225], v[230:231]
	v_add_f64 v[226:227], v[242:243], v[224:225]
	v_add_f64 v[230:231], v[226:227], -v[242:243]
	v_ldexp_f64 v[214:215], v[214:215], 1
	v_add_f64 v[224:225], v[224:225], -v[230:231]
	v_add_f64 v[214:215], v[214:215], v[224:225]
	v_add_f64 v[224:225], v[226:227], v[214:215]
	v_add_f64 v[226:227], v[224:225], -v[226:227]
	v_add_f64 v[214:215], v[214:215], -v[226:227]
	v_add_f64 v[226:227], v[228:229], v[224:225]
	v_add_f64 v[230:231], v[226:227], -v[228:229]
	v_add_f64 v[242:243], v[226:227], -v[230:231]
	;; [unrolled: 1-line block ×4, first 2 shown]
	v_add_f64 v[224:225], v[224:225], v[228:229]
	v_add_f64 v[228:229], v[240:241], v[214:215]
	v_add_f64 v[230:231], v[228:229], -v[240:241]
	v_add_f64 v[224:225], v[228:229], v[224:225]
	v_add_f64 v[242:243], v[228:229], -v[230:231]
	v_add_f64 v[228:229], v[226:227], v[224:225]
	v_add_f64 v[240:241], v[240:241], -v[242:243]
	v_add_f64 v[214:215], v[214:215], -v[230:231]
	v_add_f64 v[226:227], v[228:229], -v[226:227]
	v_add_f64 v[214:215], v[214:215], v[240:241]
	v_add_f64 v[224:225], v[224:225], -v[226:227]
	v_add_f64 v[214:215], v[214:215], v[224:225]
	v_add_f64 v[214:215], v[228:229], v[214:215]
	v_cmp_eq_f64_e32 vcc, s[74:75], v[212:213]
	s_nop 1
	v_cndmask_b32_e32 v214, v214, v212, vcc
	v_cndmask_b32_e32 v215, v215, v213, vcc
	v_cmp_ngt_f64_e32 vcc, -1.0, v[212:213]
	s_nop 1
	v_cndmask_b32_e32 v215, v57, v215, vcc
	v_cmp_nge_f64_e32 vcc, -1.0, v[212:213]
	s_nop 1
	v_cndmask_b32_e32 v214, 0, v214, vcc
	v_cmp_neq_f64_e32 vcc, -1.0, v[212:213]
	s_nop 1
	v_cndmask_b32_e32 v215, v58, v215, vcc
	v_add_f64 v[212:213], v[6:7], v[214:215]
.LBB2_199:                              ;   in Loop: Header=BB2_162 Depth=1
	s_or_b64 exec, exec, s[76:77]
	v_mov_b32_e32 v214, v212
	v_mov_b32_e32 v215, v213
	v_mov_b64_e32 v[6:7], v[212:213]
.LBB2_200:                              ;   in Loop: Header=BB2_162 Depth=1
	s_or_b64 exec, exec, s[44:45]
	s_waitcnt lgkmcnt(1)
	ds_bpermute_b32 v212, v43, v214
	s_waitcnt lgkmcnt(1)
	ds_bpermute_b32 v213, v43, v215
	v_cmp_le_u32_e32 vcc, v44, v9
	s_and_saveexec_b64 s[44:45], vcc
	s_cbranch_execz .LBB2_204
; %bb.201:                              ;   in Loop: Header=BB2_162 Depth=1
	s_waitcnt lgkmcnt(0)
	v_max_f64 v[224:225], v[212:213], v[212:213]
	v_max_f64 v[226:227], v[6:7], v[6:7]
	v_min_f64 v[214:215], v[224:225], v[226:227]
	v_cmp_u_f64_e32 vcc, v[212:213], v[212:213]
	v_max_f64 v[224:225], v[224:225], v[226:227]
	v_cmp_u_f64_e64 s[40:41], v[6:7], v[6:7]
	v_cndmask_b32_e32 v214, v214, v212, vcc
	v_cndmask_b32_e32 v215, v215, v213, vcc
	;; [unrolled: 1-line block ×4, first 2 shown]
	v_cndmask_b32_e64 v215, v215, v7, s[40:41]
	v_cndmask_b32_e64 v214, v214, v6, s[40:41]
	;; [unrolled: 1-line block ×4, first 2 shown]
	v_cmp_neq_f64_e32 vcc, v[214:215], v[6:7]
	v_cmp_class_f64_e64 s[40:41], v[214:215], s50
	s_or_b64 vcc, vcc, s[40:41]
	s_and_saveexec_b64 s[76:77], vcc
	s_cbranch_execz .LBB2_203
; %bb.202:                              ;   in Loop: Header=BB2_162 Depth=1
	v_add_f64 v[212:213], v[214:215], -v[6:7]
	v_mul_f64 v[214:215], v[212:213], s[54:55]
	v_rndne_f64_e32 v[214:215], v[214:215]
	v_fma_f64 v[224:225], s[56:57], v[214:215], v[212:213]
	v_fmac_f64_e32 v[224:225], s[58:59], v[214:215]
	v_mov_b64_e32 v[226:227], v[150:151]
	v_fmac_f64_e32 v[226:227], s[60:61], v[224:225]
	v_mov_b64_e32 v[228:229], v[160:161]
	;; [unrolled: 2-line block ×9, first 2 shown]
	v_fmac_f64_e32 v[226:227], v[224:225], v[228:229]
	v_fma_f64 v[226:227], v[224:225], v[226:227], 1.0
	v_fma_f64 v[224:225], v[224:225], v[226:227], 1.0
	v_cvt_i32_f64_e32 v214, v[214:215]
	v_ldexp_f64 v[214:215], v[224:225], v214
	v_cmp_nlt_f64_e32 vcc, s[62:63], v[212:213]
	v_cmp_ngt_f64_e64 s[40:41], s[64:65], v[212:213]
	s_mov_b32 s70, s56
	v_cndmask_b32_e32 v215, v56, v215, vcc
	s_and_b64 vcc, s[40:41], vcc
	v_cndmask_b32_e64 v213, 0, v215, s[40:41]
	v_cndmask_b32_e32 v212, 0, v214, vcc
	v_add_f64 v[214:215], v[212:213], 1.0
	v_add_f64 v[224:225], v[214:215], -1.0
	v_add_f64 v[226:227], v[224:225], -v[214:215]
	v_add_f64 v[226:227], v[226:227], 1.0
	v_add_f64 v[224:225], v[212:213], -v[224:225]
	v_add_f64 v[224:225], v[224:225], v[226:227]
	v_frexp_mant_f64_e32 v[226:227], v[214:215]
	v_frexp_exp_i32_f64_e32 v228, v[214:215]
	v_cmp_gt_f64_e32 vcc, s[66:67], v[226:227]
	s_mov_b32 s72, s58
	s_nop 0
	v_subbrev_co_u32_e32 v59, vcc, 0, v228, vcc
	v_sub_u32_e32 v226, 0, v59
	v_ldexp_f64 v[214:215], v[214:215], v226
	v_ldexp_f64 v[224:225], v[224:225], v226
	v_add_f64 v[226:227], v[214:215], -1.0
	v_add_f64 v[240:241], v[214:215], 1.0
	v_add_f64 v[228:229], v[226:227], 1.0
	v_add_f64 v[242:243], v[240:241], -1.0
	v_add_f64 v[228:229], v[214:215], -v[228:229]
	v_add_f64 v[214:215], v[214:215], -v[242:243]
	v_add_f64 v[214:215], v[224:225], v[214:215]
	v_add_f64 v[228:229], v[224:225], v[228:229]
	;; [unrolled: 1-line block ×3, first 2 shown]
	v_rcp_f64_e32 v[242:243], v[224:225]
	v_add_f64 v[230:231], v[226:227], v[228:229]
	v_add_f64 v[226:227], v[230:231], -v[226:227]
	v_add_f64 v[226:227], v[228:229], -v[226:227]
	;; [unrolled: 1-line block ×4, first 2 shown]
	v_fma_f64 v[228:229], -v[224:225], v[242:243], 1.0
	v_fmac_f64_e32 v[242:243], v[228:229], v[242:243]
	v_fma_f64 v[228:229], -v[224:225], v[242:243], 1.0
	v_fmac_f64_e32 v[242:243], v[228:229], v[242:243]
	v_mul_f64 v[228:229], v[230:231], v[242:243]
	v_mul_f64 v[240:241], v[224:225], v[228:229]
	v_fma_f64 v[60:61], v[228:229], v[224:225], -v[240:241]
	v_fmac_f64_e32 v[60:61], v[228:229], v[214:215]
	v_add_f64 v[62:63], v[240:241], v[60:61]
	v_add_f64 v[72:73], v[230:231], -v[62:63]
	v_add_f64 v[230:231], v[230:231], -v[72:73]
	;; [unrolled: 1-line block ×4, first 2 shown]
	v_add_f64 v[226:227], v[226:227], v[230:231]
	v_add_f64 v[230:231], v[240:241], -v[60:61]
	v_add_f64 v[226:227], v[230:231], v[226:227]
	v_add_f64 v[230:231], v[72:73], v[226:227]
	v_add_f64 v[240:241], v[72:73], -v[230:231]
	v_add_f64 v[226:227], v[226:227], v[240:241]
	v_mul_f64 v[240:241], v[242:243], v[230:231]
	v_mul_f64 v[60:61], v[224:225], v[240:241]
	v_fma_f64 v[224:225], v[240:241], v[224:225], -v[60:61]
	v_fmac_f64_e32 v[224:225], v[240:241], v[214:215]
	v_add_f64 v[214:215], v[60:61], v[224:225]
	v_add_f64 v[62:63], v[230:231], -v[214:215]
	v_add_f64 v[230:231], v[230:231], -v[62:63]
	;; [unrolled: 1-line block ×4, first 2 shown]
	v_add_f64 v[214:215], v[226:227], v[214:215]
	v_add_f64 v[224:225], v[60:61], -v[224:225]
	v_add_f64 v[214:215], v[224:225], v[214:215]
	v_add_f64 v[224:225], v[228:229], v[240:241]
	;; [unrolled: 1-line block ×3, first 2 shown]
	v_add_f64 v[226:227], v[224:225], -v[228:229]
	v_mul_f64 v[214:215], v[242:243], v[214:215]
	v_add_f64 v[226:227], v[240:241], -v[226:227]
	v_add_f64 v[214:215], v[226:227], v[214:215]
	v_add_f64 v[226:227], v[224:225], v[214:215]
	v_add_f64 v[224:225], v[226:227], -v[224:225]
	v_add_f64 v[214:215], v[214:215], -v[224:225]
	v_mul_f64 v[224:225], v[226:227], v[226:227]
	v_mov_b64_e32 v[228:229], v[192:193]
	v_fmac_f64_e32 v[228:229], s[68:69], v[224:225]
	v_mov_b64_e32 v[230:231], v[194:195]
	v_fmac_f64_e32 v[230:231], v[224:225], v[228:229]
	;; [unrolled: 2-line block ×6, first 2 shown]
	v_cvt_f64_i32_e32 v[228:229], v59
	v_mul_f64 v[240:241], v[228:229], s[70:71]
	v_fma_f64 v[242:243], v[228:229], s[70:71], -v[240:241]
	v_fmac_f64_e32 v[242:243], s[72:73], v[228:229]
	v_add_f64 v[228:229], v[240:241], v[242:243]
	v_add_f64 v[240:241], v[228:229], -v[240:241]
	v_mul_f64 v[224:225], v[226:227], v[224:225]
	v_add_f64 v[240:241], v[242:243], -v[240:241]
	v_ldexp_f64 v[242:243], v[226:227], 1
	v_mul_f64 v[224:225], v[224:225], v[230:231]
	v_add_f64 v[226:227], v[242:243], v[224:225]
	v_add_f64 v[230:231], v[226:227], -v[242:243]
	v_ldexp_f64 v[214:215], v[214:215], 1
	v_add_f64 v[224:225], v[224:225], -v[230:231]
	v_add_f64 v[214:215], v[214:215], v[224:225]
	v_add_f64 v[224:225], v[226:227], v[214:215]
	v_add_f64 v[226:227], v[224:225], -v[226:227]
	v_add_f64 v[214:215], v[214:215], -v[226:227]
	v_add_f64 v[226:227], v[228:229], v[224:225]
	v_add_f64 v[230:231], v[226:227], -v[228:229]
	v_add_f64 v[242:243], v[226:227], -v[230:231]
	;; [unrolled: 1-line block ×4, first 2 shown]
	v_add_f64 v[224:225], v[224:225], v[228:229]
	v_add_f64 v[228:229], v[240:241], v[214:215]
	v_add_f64 v[230:231], v[228:229], -v[240:241]
	v_add_f64 v[224:225], v[228:229], v[224:225]
	v_add_f64 v[242:243], v[228:229], -v[230:231]
	;; [unrolled: 2-line block ×3, first 2 shown]
	v_add_f64 v[214:215], v[214:215], -v[230:231]
	v_add_f64 v[226:227], v[228:229], -v[226:227]
	v_add_f64 v[214:215], v[214:215], v[240:241]
	v_add_f64 v[224:225], v[224:225], -v[226:227]
	v_add_f64 v[214:215], v[214:215], v[224:225]
	v_add_f64 v[214:215], v[228:229], v[214:215]
	v_cmp_eq_f64_e32 vcc, s[74:75], v[212:213]
	s_nop 1
	v_cndmask_b32_e32 v214, v214, v212, vcc
	v_cndmask_b32_e32 v215, v215, v213, vcc
	v_cmp_ngt_f64_e32 vcc, -1.0, v[212:213]
	s_nop 1
	v_cndmask_b32_e32 v215, v57, v215, vcc
	v_cmp_nge_f64_e32 vcc, -1.0, v[212:213]
	s_nop 1
	v_cndmask_b32_e32 v214, 0, v214, vcc
	v_cmp_neq_f64_e32 vcc, -1.0, v[212:213]
	s_nop 1
	v_cndmask_b32_e32 v215, v58, v215, vcc
	v_add_f64 v[212:213], v[6:7], v[214:215]
.LBB2_203:                              ;   in Loop: Header=BB2_162 Depth=1
	s_or_b64 exec, exec, s[76:77]
	v_mov_b32_e32 v214, v212
	v_mov_b32_e32 v215, v213
	v_mov_b64_e32 v[6:7], v[212:213]
.LBB2_204:                              ;   in Loop: Header=BB2_162 Depth=1
	s_or_b64 exec, exec, s[44:45]
	s_waitcnt lgkmcnt(1)
	ds_bpermute_b32 v212, v45, v214
	s_waitcnt lgkmcnt(1)
	ds_bpermute_b32 v213, v45, v215
	v_cmp_le_u32_e32 vcc, v46, v9
	s_and_saveexec_b64 s[44:45], vcc
	s_cbranch_execz .LBB2_208
; %bb.205:                              ;   in Loop: Header=BB2_162 Depth=1
	s_waitcnt lgkmcnt(0)
	v_max_f64 v[224:225], v[212:213], v[212:213]
	v_max_f64 v[226:227], v[6:7], v[6:7]
	v_min_f64 v[214:215], v[224:225], v[226:227]
	v_cmp_u_f64_e32 vcc, v[212:213], v[212:213]
	v_cmp_u_f64_e64 s[40:41], v[6:7], v[6:7]
	v_max_f64 v[224:225], v[224:225], v[226:227]
	v_cndmask_b32_e32 v9, v214, v212, vcc
	v_cndmask_b32_e32 v214, v215, v213, vcc
	v_cndmask_b32_e64 v215, v214, v7, s[40:41]
	v_cndmask_b32_e64 v214, v9, v6, s[40:41]
	v_cndmask_b32_e32 v9, v224, v212, vcc
	v_cndmask_b32_e32 v224, v225, v213, vcc
	v_cndmask_b32_e64 v7, v224, v7, s[40:41]
	v_cndmask_b32_e64 v6, v9, v6, s[40:41]
	v_cmp_neq_f64_e32 vcc, v[214:215], v[6:7]
	v_cmp_class_f64_e64 s[40:41], v[214:215], s50
	s_or_b64 vcc, vcc, s[40:41]
	s_and_saveexec_b64 s[76:77], vcc
	s_cbranch_execz .LBB2_207
; %bb.206:                              ;   in Loop: Header=BB2_162 Depth=1
	v_add_f64 v[212:213], v[214:215], -v[6:7]
	v_mul_f64 v[214:215], v[212:213], s[54:55]
	v_rndne_f64_e32 v[214:215], v[214:215]
	v_fma_f64 v[224:225], s[56:57], v[214:215], v[212:213]
	v_fmac_f64_e32 v[224:225], s[58:59], v[214:215]
	v_mov_b64_e32 v[226:227], v[150:151]
	v_fmac_f64_e32 v[226:227], s[60:61], v[224:225]
	v_mov_b64_e32 v[228:229], v[160:161]
	;; [unrolled: 2-line block ×9, first 2 shown]
	v_fmac_f64_e32 v[226:227], v[224:225], v[228:229]
	v_fma_f64 v[226:227], v[224:225], v[226:227], 1.0
	v_fma_f64 v[224:225], v[224:225], v[226:227], 1.0
	v_cvt_i32_f64_e32 v9, v[214:215]
	v_ldexp_f64 v[214:215], v[224:225], v9
	v_cmp_nlt_f64_e32 vcc, s[62:63], v[212:213]
	v_cmp_ngt_f64_e64 s[40:41], s[64:65], v[212:213]
	s_mov_b32 s70, s56
	v_cndmask_b32_e32 v9, v56, v215, vcc
	s_and_b64 vcc, s[40:41], vcc
	v_cndmask_b32_e64 v213, 0, v9, s[40:41]
	v_cndmask_b32_e32 v212, 0, v214, vcc
	v_add_f64 v[214:215], v[212:213], 1.0
	v_add_f64 v[224:225], v[214:215], -1.0
	v_add_f64 v[226:227], v[224:225], -v[214:215]
	v_add_f64 v[226:227], v[226:227], 1.0
	v_add_f64 v[224:225], v[212:213], -v[224:225]
	v_add_f64 v[224:225], v[224:225], v[226:227]
	v_frexp_mant_f64_e32 v[226:227], v[214:215]
	v_frexp_exp_i32_f64_e32 v9, v[214:215]
	v_cmp_gt_f64_e32 vcc, s[66:67], v[226:227]
	s_mov_b32 s72, s58
	s_nop 0
	v_subbrev_co_u32_e32 v9, vcc, 0, v9, vcc
	v_sub_u32_e32 v226, 0, v9
	v_ldexp_f64 v[214:215], v[214:215], v226
	v_ldexp_f64 v[224:225], v[224:225], v226
	v_add_f64 v[226:227], v[214:215], -1.0
	v_add_f64 v[240:241], v[214:215], 1.0
	v_add_f64 v[228:229], v[226:227], 1.0
	v_add_f64 v[242:243], v[240:241], -1.0
	v_add_f64 v[228:229], v[214:215], -v[228:229]
	v_add_f64 v[214:215], v[214:215], -v[242:243]
	v_add_f64 v[214:215], v[224:225], v[214:215]
	v_add_f64 v[228:229], v[224:225], v[228:229]
	;; [unrolled: 1-line block ×3, first 2 shown]
	v_rcp_f64_e32 v[242:243], v[224:225]
	v_add_f64 v[230:231], v[226:227], v[228:229]
	v_add_f64 v[226:227], v[230:231], -v[226:227]
	v_add_f64 v[226:227], v[228:229], -v[226:227]
	v_add_f64 v[228:229], v[224:225], -v[240:241]
	v_add_f64 v[214:215], v[214:215], -v[228:229]
	v_fma_f64 v[228:229], -v[224:225], v[242:243], 1.0
	v_fmac_f64_e32 v[242:243], v[228:229], v[242:243]
	v_fma_f64 v[228:229], -v[224:225], v[242:243], 1.0
	v_fmac_f64_e32 v[242:243], v[228:229], v[242:243]
	v_mul_f64 v[228:229], v[230:231], v[242:243]
	v_mul_f64 v[240:241], v[224:225], v[228:229]
	v_fma_f64 v[60:61], v[228:229], v[224:225], -v[240:241]
	v_fmac_f64_e32 v[60:61], v[228:229], v[214:215]
	v_add_f64 v[62:63], v[240:241], v[60:61]
	v_add_f64 v[72:73], v[230:231], -v[62:63]
	v_add_f64 v[230:231], v[230:231], -v[72:73]
	;; [unrolled: 1-line block ×4, first 2 shown]
	v_add_f64 v[226:227], v[226:227], v[230:231]
	v_add_f64 v[230:231], v[240:241], -v[60:61]
	v_add_f64 v[226:227], v[230:231], v[226:227]
	v_add_f64 v[230:231], v[72:73], v[226:227]
	v_add_f64 v[240:241], v[72:73], -v[230:231]
	v_add_f64 v[226:227], v[226:227], v[240:241]
	v_mul_f64 v[240:241], v[242:243], v[230:231]
	v_mul_f64 v[60:61], v[224:225], v[240:241]
	v_fma_f64 v[224:225], v[240:241], v[224:225], -v[60:61]
	v_fmac_f64_e32 v[224:225], v[240:241], v[214:215]
	v_add_f64 v[214:215], v[60:61], v[224:225]
	v_add_f64 v[62:63], v[230:231], -v[214:215]
	v_add_f64 v[230:231], v[230:231], -v[62:63]
	v_add_f64 v[60:61], v[214:215], -v[60:61]
	v_add_f64 v[214:215], v[230:231], -v[214:215]
	v_add_f64 v[214:215], v[226:227], v[214:215]
	v_add_f64 v[224:225], v[60:61], -v[224:225]
	v_add_f64 v[214:215], v[224:225], v[214:215]
	v_add_f64 v[224:225], v[228:229], v[240:241]
	;; [unrolled: 1-line block ×3, first 2 shown]
	v_add_f64 v[226:227], v[224:225], -v[228:229]
	v_mul_f64 v[214:215], v[242:243], v[214:215]
	v_add_f64 v[226:227], v[240:241], -v[226:227]
	v_add_f64 v[214:215], v[226:227], v[214:215]
	v_add_f64 v[226:227], v[224:225], v[214:215]
	v_add_f64 v[224:225], v[226:227], -v[224:225]
	v_add_f64 v[214:215], v[214:215], -v[224:225]
	v_mul_f64 v[224:225], v[226:227], v[226:227]
	v_mov_b64_e32 v[228:229], v[192:193]
	v_fmac_f64_e32 v[228:229], s[68:69], v[224:225]
	v_mov_b64_e32 v[230:231], v[194:195]
	v_fmac_f64_e32 v[230:231], v[224:225], v[228:229]
	;; [unrolled: 2-line block ×6, first 2 shown]
	v_cvt_f64_i32_e32 v[228:229], v9
	v_mul_f64 v[240:241], v[228:229], s[70:71]
	v_fma_f64 v[242:243], v[228:229], s[70:71], -v[240:241]
	v_fmac_f64_e32 v[242:243], s[72:73], v[228:229]
	v_add_f64 v[228:229], v[240:241], v[242:243]
	v_add_f64 v[240:241], v[228:229], -v[240:241]
	v_mul_f64 v[224:225], v[226:227], v[224:225]
	v_add_f64 v[240:241], v[242:243], -v[240:241]
	v_ldexp_f64 v[242:243], v[226:227], 1
	v_mul_f64 v[224:225], v[224:225], v[230:231]
	v_add_f64 v[226:227], v[242:243], v[224:225]
	v_add_f64 v[230:231], v[226:227], -v[242:243]
	v_ldexp_f64 v[214:215], v[214:215], 1
	v_add_f64 v[224:225], v[224:225], -v[230:231]
	v_add_f64 v[214:215], v[214:215], v[224:225]
	v_add_f64 v[224:225], v[226:227], v[214:215]
	v_add_f64 v[226:227], v[224:225], -v[226:227]
	v_add_f64 v[214:215], v[214:215], -v[226:227]
	v_add_f64 v[226:227], v[228:229], v[224:225]
	v_add_f64 v[230:231], v[226:227], -v[228:229]
	v_add_f64 v[242:243], v[226:227], -v[230:231]
	;; [unrolled: 1-line block ×4, first 2 shown]
	v_add_f64 v[224:225], v[224:225], v[228:229]
	v_add_f64 v[228:229], v[240:241], v[214:215]
	v_add_f64 v[230:231], v[228:229], -v[240:241]
	v_add_f64 v[224:225], v[228:229], v[224:225]
	v_add_f64 v[242:243], v[228:229], -v[230:231]
	;; [unrolled: 2-line block ×3, first 2 shown]
	v_add_f64 v[214:215], v[214:215], -v[230:231]
	v_add_f64 v[226:227], v[228:229], -v[226:227]
	v_add_f64 v[214:215], v[214:215], v[240:241]
	v_add_f64 v[224:225], v[224:225], -v[226:227]
	v_add_f64 v[214:215], v[214:215], v[224:225]
	v_add_f64 v[214:215], v[228:229], v[214:215]
	v_cmp_eq_f64_e32 vcc, s[74:75], v[212:213]
	s_nop 1
	v_cndmask_b32_e32 v9, v214, v212, vcc
	v_cndmask_b32_e32 v214, v215, v213, vcc
	v_cmp_ngt_f64_e32 vcc, -1.0, v[212:213]
	s_nop 1
	v_cndmask_b32_e32 v215, v57, v214, vcc
	v_cmp_nge_f64_e32 vcc, -1.0, v[212:213]
	s_nop 1
	v_cndmask_b32_e32 v214, 0, v9, vcc
	v_cmp_neq_f64_e32 vcc, -1.0, v[212:213]
	s_nop 1
	v_cndmask_b32_e32 v215, v58, v215, vcc
	v_add_f64 v[212:213], v[6:7], v[214:215]
.LBB2_207:                              ;   in Loop: Header=BB2_162 Depth=1
	s_or_b64 exec, exec, s[76:77]
	v_mov_b64_e32 v[6:7], v[212:213]
.LBB2_208:                              ;   in Loop: Header=BB2_162 Depth=1
	s_or_b64 exec, exec, s[44:45]
	s_waitcnt lgkmcnt(0)
	v_max_f64 v[212:213], v[148:149], v[148:149]
	v_max_f64 v[224:225], v[6:7], v[6:7]
	v_min_f64 v[214:215], v[224:225], v[212:213]
	v_cmp_u_f64_e32 vcc, v[6:7], v[6:7]
	v_cmp_u_f64_e64 s[40:41], v[148:149], v[148:149]
	v_max_f64 v[212:213], v[224:225], v[212:213]
	v_cndmask_b32_e32 v9, v214, v6, vcc
	v_cndmask_b32_e32 v214, v215, v7, vcc
	v_cndmask_b32_e64 v215, v214, v149, s[40:41]
	v_cndmask_b32_e64 v214, v9, v148, s[40:41]
	v_cndmask_b32_e32 v9, v212, v6, vcc
	v_cndmask_b32_e32 v212, v213, v7, vcc
	v_cndmask_b32_e64 v213, v212, v149, s[40:41]
	v_cndmask_b32_e64 v212, v9, v148, s[40:41]
	v_cmp_neq_f64_e32 vcc, v[214:215], v[212:213]
	v_cmp_class_f64_e64 s[40:41], v[214:215], s50
	s_or_b64 vcc, vcc, s[40:41]
	s_and_saveexec_b64 s[40:41], vcc
	s_xor_b64 s[44:45], exec, s[40:41]
	s_cbranch_execz .LBB2_161
; %bb.209:                              ;   in Loop: Header=BB2_162 Depth=1
	v_add_f64 v[6:7], v[214:215], -v[212:213]
	v_mul_f64 v[214:215], v[6:7], s[54:55]
	v_rndne_f64_e32 v[214:215], v[214:215]
	v_fma_f64 v[224:225], s[56:57], v[214:215], v[6:7]
	v_fmac_f64_e32 v[224:225], s[58:59], v[214:215]
	v_mov_b64_e32 v[226:227], v[150:151]
	v_fmac_f64_e32 v[226:227], s[60:61], v[224:225]
	v_mov_b64_e32 v[228:229], v[160:161]
	;; [unrolled: 2-line block ×9, first 2 shown]
	v_fmac_f64_e32 v[226:227], v[224:225], v[228:229]
	v_fma_f64 v[226:227], v[224:225], v[226:227], 1.0
	v_fma_f64 v[224:225], v[224:225], v[226:227], 1.0
	v_cvt_i32_f64_e32 v9, v[214:215]
	v_ldexp_f64 v[214:215], v[224:225], v9
	v_cmp_nlt_f64_e32 vcc, s[62:63], v[6:7]
	v_cmp_ngt_f64_e64 s[40:41], s[64:65], v[6:7]
	s_mov_b32 s70, s56
	v_cndmask_b32_e32 v9, v56, v215, vcc
	s_and_b64 vcc, s[40:41], vcc
	v_cndmask_b32_e64 v7, 0, v9, s[40:41]
	v_cndmask_b32_e32 v6, 0, v214, vcc
	v_add_f64 v[214:215], v[6:7], 1.0
	v_add_f64 v[224:225], v[214:215], -1.0
	v_add_f64 v[226:227], v[224:225], -v[214:215]
	v_add_f64 v[226:227], v[226:227], 1.0
	v_add_f64 v[224:225], v[6:7], -v[224:225]
	v_add_f64 v[224:225], v[224:225], v[226:227]
	v_frexp_mant_f64_e32 v[226:227], v[214:215]
	v_frexp_exp_i32_f64_e32 v9, v[214:215]
	v_cmp_gt_f64_e32 vcc, s[66:67], v[226:227]
	s_mov_b32 s72, s58
	s_nop 0
	v_subbrev_co_u32_e32 v9, vcc, 0, v9, vcc
	v_sub_u32_e32 v226, 0, v9
	v_ldexp_f64 v[214:215], v[214:215], v226
	v_ldexp_f64 v[224:225], v[224:225], v226
	v_add_f64 v[226:227], v[214:215], -1.0
	v_add_f64 v[240:241], v[214:215], 1.0
	v_add_f64 v[228:229], v[226:227], 1.0
	v_add_f64 v[242:243], v[240:241], -1.0
	v_add_f64 v[228:229], v[214:215], -v[228:229]
	v_add_f64 v[214:215], v[214:215], -v[242:243]
	v_add_f64 v[214:215], v[224:225], v[214:215]
	v_add_f64 v[228:229], v[224:225], v[228:229]
	;; [unrolled: 1-line block ×3, first 2 shown]
	v_rcp_f64_e32 v[242:243], v[224:225]
	v_add_f64 v[230:231], v[226:227], v[228:229]
	v_add_f64 v[226:227], v[230:231], -v[226:227]
	v_add_f64 v[226:227], v[228:229], -v[226:227]
	;; [unrolled: 1-line block ×4, first 2 shown]
	v_fma_f64 v[228:229], -v[224:225], v[242:243], 1.0
	v_fmac_f64_e32 v[242:243], v[228:229], v[242:243]
	v_fma_f64 v[228:229], -v[224:225], v[242:243], 1.0
	v_fmac_f64_e32 v[242:243], v[228:229], v[242:243]
	v_mul_f64 v[228:229], v[230:231], v[242:243]
	v_mul_f64 v[240:241], v[224:225], v[228:229]
	v_fma_f64 v[60:61], v[228:229], v[224:225], -v[240:241]
	v_fmac_f64_e32 v[60:61], v[228:229], v[214:215]
	v_add_f64 v[62:63], v[240:241], v[60:61]
	v_add_f64 v[72:73], v[230:231], -v[62:63]
	v_add_f64 v[230:231], v[230:231], -v[72:73]
	;; [unrolled: 1-line block ×4, first 2 shown]
	v_add_f64 v[226:227], v[226:227], v[230:231]
	v_add_f64 v[230:231], v[240:241], -v[60:61]
	v_add_f64 v[226:227], v[230:231], v[226:227]
	v_add_f64 v[230:231], v[72:73], v[226:227]
	v_add_f64 v[240:241], v[72:73], -v[230:231]
	v_add_f64 v[226:227], v[226:227], v[240:241]
	v_mul_f64 v[240:241], v[242:243], v[230:231]
	v_mul_f64 v[60:61], v[224:225], v[240:241]
	v_fma_f64 v[224:225], v[240:241], v[224:225], -v[60:61]
	v_fmac_f64_e32 v[224:225], v[240:241], v[214:215]
	v_add_f64 v[214:215], v[60:61], v[224:225]
	v_add_f64 v[62:63], v[230:231], -v[214:215]
	v_add_f64 v[230:231], v[230:231], -v[62:63]
	;; [unrolled: 1-line block ×4, first 2 shown]
	v_add_f64 v[214:215], v[226:227], v[214:215]
	v_add_f64 v[224:225], v[60:61], -v[224:225]
	v_add_f64 v[214:215], v[224:225], v[214:215]
	v_add_f64 v[224:225], v[228:229], v[240:241]
	;; [unrolled: 1-line block ×3, first 2 shown]
	v_add_f64 v[226:227], v[224:225], -v[228:229]
	v_mul_f64 v[214:215], v[242:243], v[214:215]
	v_add_f64 v[226:227], v[240:241], -v[226:227]
	v_add_f64 v[214:215], v[226:227], v[214:215]
	v_add_f64 v[226:227], v[224:225], v[214:215]
	v_add_f64 v[224:225], v[226:227], -v[224:225]
	v_add_f64 v[214:215], v[214:215], -v[224:225]
	v_mul_f64 v[224:225], v[226:227], v[226:227]
	v_mov_b64_e32 v[228:229], v[192:193]
	v_fmac_f64_e32 v[228:229], s[68:69], v[224:225]
	v_mov_b64_e32 v[230:231], v[194:195]
	v_fmac_f64_e32 v[230:231], v[224:225], v[228:229]
	;; [unrolled: 2-line block ×6, first 2 shown]
	v_cvt_f64_i32_e32 v[228:229], v9
	v_mul_f64 v[240:241], v[228:229], s[70:71]
	v_fma_f64 v[242:243], v[228:229], s[70:71], -v[240:241]
	v_fmac_f64_e32 v[242:243], s[72:73], v[228:229]
	v_add_f64 v[228:229], v[240:241], v[242:243]
	v_add_f64 v[240:241], v[228:229], -v[240:241]
	v_mul_f64 v[224:225], v[226:227], v[224:225]
	v_add_f64 v[240:241], v[242:243], -v[240:241]
	v_ldexp_f64 v[242:243], v[226:227], 1
	v_mul_f64 v[224:225], v[224:225], v[230:231]
	v_add_f64 v[226:227], v[242:243], v[224:225]
	v_add_f64 v[230:231], v[226:227], -v[242:243]
	v_ldexp_f64 v[214:215], v[214:215], 1
	v_add_f64 v[224:225], v[224:225], -v[230:231]
	v_add_f64 v[214:215], v[214:215], v[224:225]
	v_add_f64 v[224:225], v[226:227], v[214:215]
	v_add_f64 v[226:227], v[224:225], -v[226:227]
	v_add_f64 v[214:215], v[214:215], -v[226:227]
	v_add_f64 v[226:227], v[228:229], v[224:225]
	v_add_f64 v[230:231], v[226:227], -v[228:229]
	v_add_f64 v[242:243], v[226:227], -v[230:231]
	;; [unrolled: 1-line block ×4, first 2 shown]
	v_add_f64 v[224:225], v[224:225], v[228:229]
	v_add_f64 v[228:229], v[240:241], v[214:215]
	v_add_f64 v[230:231], v[228:229], -v[240:241]
	v_add_f64 v[224:225], v[228:229], v[224:225]
	v_add_f64 v[242:243], v[228:229], -v[230:231]
	;; [unrolled: 2-line block ×3, first 2 shown]
	v_add_f64 v[214:215], v[214:215], -v[230:231]
	v_add_f64 v[226:227], v[228:229], -v[226:227]
	v_add_f64 v[214:215], v[214:215], v[240:241]
	v_add_f64 v[224:225], v[224:225], -v[226:227]
	v_add_f64 v[214:215], v[214:215], v[224:225]
	v_add_f64 v[214:215], v[228:229], v[214:215]
	v_cmp_eq_f64_e32 vcc, s[74:75], v[6:7]
	s_nop 1
	v_cndmask_b32_e32 v9, v214, v6, vcc
	v_cndmask_b32_e32 v214, v215, v7, vcc
	v_cmp_ngt_f64_e32 vcc, -1.0, v[6:7]
	s_nop 1
	v_cndmask_b32_e32 v215, v57, v214, vcc
	v_cmp_nge_f64_e32 vcc, -1.0, v[6:7]
	s_nop 1
	v_cndmask_b32_e32 v214, 0, v9, vcc
	v_cmp_neq_f64_e32 vcc, -1.0, v[6:7]
	s_nop 1
	v_cndmask_b32_e32 v215, v58, v215, vcc
	v_add_f64 v[6:7], v[212:213], v[214:215]
	s_branch .LBB2_161
.LBB2_210:
	s_and_saveexec_b64 s[40:41], s[38:39]
	s_cbranch_execz .LBB2_221
; %bb.211:
	v_max_f64 v[6:7], v[4:5], v[4:5]
	v_max_f64 v[144:145], v[148:149], v[148:149]
	v_min_f64 v[8:9], v[144:145], v[6:7]
	v_cmp_u_f64_e32 vcc, v[148:149], v[148:149]
	v_max_f64 v[6:7], v[144:145], v[6:7]
	v_cmp_u_f64_e64 s[38:39], v[4:5], v[4:5]
	v_cndmask_b32_e32 v8, v8, v148, vcc
	v_cndmask_b32_e32 v9, v9, v149, vcc
	;; [unrolled: 1-line block ×4, first 2 shown]
	v_cndmask_b32_e64 v9, v9, v5, s[38:39]
	v_cndmask_b32_e64 v8, v8, v4, s[38:39]
	;; [unrolled: 1-line block ×4, first 2 shown]
	s_movk_i32 s13, 0x1f8
	v_cmp_neq_f64_e32 vcc, v[8:9], v[6:7]
	v_cmp_class_f64_e64 s[38:39], v[8:9], s13
	s_or_b64 vcc, vcc, s[38:39]
	v_mov_b64_e32 v[4:5], v[148:149]
	s_and_saveexec_b64 s[44:45], vcc
	s_cbranch_execz .LBB2_213
; %bb.212:
	s_mov_b32 vcc_lo, 0x652b82fe
	v_add_f64 v[4:5], v[8:9], -v[6:7]
	s_mov_b32 vcc_hi, 0x3ff71547
	v_mul_f64 v[8:9], v[4:5], vcc
	v_rndne_f64_e32 v[8:9], v[8:9]
	s_mov_b32 s51, 0xbfe62e42
	s_mov_b32 s50, 0xfefa39ef
	v_fma_f64 v[144:145], s[50:51], v[8:9], v[4:5]
	s_mov_b32 s53, 0xbc7abc9e
	s_mov_b32 s52, 0x3b39803f
	s_mov_b32 vcc_lo, 0x6a5dcb37
	v_fmac_f64_e32 v[144:145], s[52:53], v[8:9]
	v_mov_b32_e32 v146, 0xfca7ab0c
	v_mov_b32_e32 v147, 0x3e928af3
	s_mov_b32 vcc_hi, 0x3e5ade15
	v_fmac_f64_e32 v[146:147], vcc, v[144:145]
	v_mov_b32_e32 v150, 0x623fde64
	v_mov_b32_e32 v151, 0x3ec71dee
	v_fmac_f64_e32 v[150:151], v[144:145], v[146:147]
	v_mov_b32_e32 v146, 0x7c89e6b0
	v_mov_b32_e32 v147, 0x3efa0199
	v_fmac_f64_e32 v[146:147], v[144:145], v[150:151]
	;; [unrolled: 3-line block ×8, first 2 shown]
	v_fma_f64 v[146:147], v[144:145], v[146:147], 1.0
	s_mov_b32 vcc_lo, 0
	s_mov_b32 s38, 0
	v_fma_f64 v[144:145], v[144:145], v[146:147], 1.0
	v_cvt_i32_f64_e32 v8, v[8:9]
	s_mov_b32 vcc_hi, 0x40900000
	s_mov_b32 s39, 0xc090cc00
	v_ldexp_f64 v[8:9], v[144:145], v8
	v_mov_b32_e32 v53, 0x7ff00000
	v_cmp_nlt_f64_e32 vcc, vcc, v[4:5]
	v_cmp_ngt_f64_e64 s[38:39], s[38:39], v[4:5]
	s_mov_b32 s51, 0x3fe62e42
	v_cndmask_b32_e32 v9, v53, v9, vcc
	s_and_b64 vcc, s[38:39], vcc
	v_cndmask_b32_e64 v5, 0, v9, s[38:39]
	v_cndmask_b32_e32 v4, 0, v8, vcc
	v_add_f64 v[8:9], v[4:5], 1.0
	v_add_f64 v[144:145], v[8:9], -1.0
	v_add_f64 v[146:147], v[144:145], -v[8:9]
	v_add_f64 v[146:147], v[146:147], 1.0
	v_add_f64 v[144:145], v[4:5], -v[144:145]
	s_mov_b32 vcc_lo, 0x55555555
	v_add_f64 v[144:145], v[144:145], v[146:147]
	v_frexp_mant_f64_e32 v[146:147], v[8:9]
	s_mov_b32 vcc_hi, 0x3fe55555
	v_frexp_exp_i32_f64_e32 v53, v[8:9]
	v_cmp_gt_f64_e32 vcc, vcc, v[146:147]
	s_mov_b32 s53, 0x3c7abc9e
	s_nop 0
	v_subbrev_co_u32_e32 v53, vcc, 0, v53, vcc
	v_sub_u32_e32 v71, 0, v53
	v_ldexp_f64 v[8:9], v[8:9], v71
	v_add_f64 v[146:147], v[8:9], -1.0
	v_add_f64 v[162:163], v[8:9], 1.0
	v_add_f64 v[150:151], v[146:147], 1.0
	v_add_f64 v[164:165], v[162:163], -1.0
	v_ldexp_f64 v[144:145], v[144:145], v71
	v_add_f64 v[150:151], v[8:9], -v[150:151]
	v_add_f64 v[8:9], v[8:9], -v[164:165]
	v_add_f64 v[8:9], v[144:145], v[8:9]
	v_add_f64 v[150:151], v[144:145], v[150:151]
	v_add_f64 v[144:145], v[162:163], v[8:9]
	v_rcp_f64_e32 v[164:165], v[144:145]
	v_add_f64 v[160:161], v[146:147], v[150:151]
	v_add_f64 v[146:147], v[160:161], -v[146:147]
	v_add_f64 v[146:147], v[150:151], -v[146:147]
	;; [unrolled: 1-line block ×4, first 2 shown]
	v_fma_f64 v[150:151], -v[144:145], v[164:165], 1.0
	v_fmac_f64_e32 v[164:165], v[150:151], v[164:165]
	v_fma_f64 v[150:151], -v[144:145], v[164:165], 1.0
	v_fmac_f64_e32 v[164:165], v[150:151], v[164:165]
	v_mul_f64 v[150:151], v[160:161], v[164:165]
	v_mul_f64 v[162:163], v[144:145], v[150:151]
	v_fma_f64 v[166:167], v[150:151], v[144:145], -v[162:163]
	v_fmac_f64_e32 v[166:167], v[150:151], v[8:9]
	v_add_f64 v[176:177], v[162:163], v[166:167]
	v_add_f64 v[178:179], v[160:161], -v[176:177]
	v_add_f64 v[160:161], v[160:161], -v[178:179]
	;; [unrolled: 1-line block ×4, first 2 shown]
	v_add_f64 v[146:147], v[146:147], v[160:161]
	v_add_f64 v[160:161], v[162:163], -v[166:167]
	v_add_f64 v[146:147], v[160:161], v[146:147]
	v_add_f64 v[160:161], v[178:179], v[146:147]
	v_add_f64 v[162:163], v[178:179], -v[160:161]
	v_add_f64 v[146:147], v[146:147], v[162:163]
	v_mul_f64 v[162:163], v[164:165], v[160:161]
	v_mul_f64 v[166:167], v[144:145], v[162:163]
	v_fma_f64 v[144:145], v[162:163], v[144:145], -v[166:167]
	v_fmac_f64_e32 v[144:145], v[162:163], v[8:9]
	v_add_f64 v[8:9], v[166:167], v[144:145]
	v_add_f64 v[176:177], v[160:161], -v[8:9]
	v_add_f64 v[160:161], v[160:161], -v[176:177]
	;; [unrolled: 1-line block ×4, first 2 shown]
	v_add_f64 v[8:9], v[146:147], v[8:9]
	v_add_f64 v[144:145], v[166:167], -v[144:145]
	v_add_f64 v[8:9], v[144:145], v[8:9]
	v_add_f64 v[144:145], v[150:151], v[162:163]
	;; [unrolled: 1-line block ×3, first 2 shown]
	v_add_f64 v[146:147], v[144:145], -v[150:151]
	v_mul_f64 v[8:9], v[164:165], v[8:9]
	v_add_f64 v[146:147], v[162:163], -v[146:147]
	v_add_f64 v[8:9], v[146:147], v[8:9]
	v_add_f64 v[146:147], v[144:145], v[8:9]
	v_add_f64 v[144:145], v[146:147], -v[144:145]
	s_mov_b32 vcc_lo, 0xbf559e2b
	v_add_f64 v[8:9], v[8:9], -v[144:145]
	v_mul_f64 v[144:145], v[146:147], v[146:147]
	v_mov_b32_e32 v150, 0x6b47b09a
	v_mov_b32_e32 v151, 0x3fc38538
	s_mov_b32 vcc_hi, 0x3fc3ab76
	v_fmac_f64_e32 v[150:151], vcc, v[144:145]
	v_mov_b32_e32 v160, 0xd7f4df2e
	v_mov_b32_e32 v161, 0x3fc7474d
	v_fmac_f64_e32 v[160:161], v[144:145], v[150:151]
	v_mov_b32_e32 v150, 0x16291751
	v_mov_b32_e32 v151, 0x3fcc71c0
	v_fmac_f64_e32 v[150:151], v[144:145], v[160:161]
	;; [unrolled: 3-line block ×5, first 2 shown]
	v_cvt_f64_i32_e32 v[150:151], v53
	v_mul_f64 v[162:163], v[150:151], s[50:51]
	v_fma_f64 v[164:165], v[150:151], s[50:51], -v[162:163]
	v_fmac_f64_e32 v[164:165], s[52:53], v[150:151]
	v_add_f64 v[150:151], v[162:163], v[164:165]
	v_add_f64 v[162:163], v[150:151], -v[162:163]
	v_mul_f64 v[144:145], v[146:147], v[144:145]
	v_add_f64 v[162:163], v[164:165], -v[162:163]
	v_ldexp_f64 v[164:165], v[146:147], 1
	v_mul_f64 v[144:145], v[144:145], v[160:161]
	v_add_f64 v[146:147], v[164:165], v[144:145]
	v_add_f64 v[160:161], v[146:147], -v[164:165]
	v_ldexp_f64 v[8:9], v[8:9], 1
	v_add_f64 v[144:145], v[144:145], -v[160:161]
	v_add_f64 v[8:9], v[8:9], v[144:145]
	v_add_f64 v[144:145], v[146:147], v[8:9]
	v_add_f64 v[146:147], v[144:145], -v[146:147]
	v_add_f64 v[8:9], v[8:9], -v[146:147]
	v_add_f64 v[146:147], v[150:151], v[144:145]
	v_add_f64 v[160:161], v[146:147], -v[150:151]
	v_add_f64 v[164:165], v[146:147], -v[160:161]
	;; [unrolled: 1-line block ×4, first 2 shown]
	v_add_f64 v[144:145], v[144:145], v[150:151]
	v_add_f64 v[150:151], v[162:163], v[8:9]
	v_add_f64 v[160:161], v[150:151], -v[162:163]
	v_add_f64 v[144:145], v[150:151], v[144:145]
	v_add_f64 v[164:165], v[150:151], -v[160:161]
	;; [unrolled: 2-line block ×3, first 2 shown]
	v_add_f64 v[8:9], v[8:9], -v[160:161]
	v_add_f64 v[146:147], v[150:151], -v[146:147]
	v_add_f64 v[8:9], v[8:9], v[162:163]
	v_add_f64 v[144:145], v[144:145], -v[146:147]
	s_mov_b32 vcc_lo, 0
	v_add_f64 v[8:9], v[8:9], v[144:145]
	s_mov_b32 vcc_hi, 0x7ff00000
	v_add_f64 v[8:9], v[150:151], v[8:9]
	v_cmp_eq_f64_e32 vcc, vcc, v[4:5]
	v_mov_b32_e32 v53, 0x7ff80000
	s_nop 0
	v_cndmask_b32_e32 v8, v8, v4, vcc
	v_cndmask_b32_e32 v9, v9, v5, vcc
	v_cmp_ngt_f64_e32 vcc, -1.0, v[4:5]
	s_nop 1
	v_cndmask_b32_e32 v9, v53, v9, vcc
	v_cmp_nge_f64_e32 vcc, -1.0, v[4:5]
	v_mov_b32_e32 v53, 0xfff00000
	s_nop 0
	v_cndmask_b32_e32 v8, 0, v8, vcc
	v_cmp_neq_f64_e32 vcc, -1.0, v[4:5]
	s_nop 1
	v_cndmask_b32_e32 v9, v53, v9, vcc
	v_add_f64 v[4:5], v[6:7], v[8:9]
.LBB2_213:
	s_or_b64 exec, exec, s[44:45]
	s_add_i32 s12, s12, 64
	s_mov_b32 s13, 0
	v_lshl_add_u64 v[8:9], s[12:13], 4, v[116:117]
	s_mov_b64 s[12:13], src_shared_base
	v_cmp_ne_u32_e32 vcc, s13, v9
	s_and_saveexec_b64 s[12:13], vcc
	s_xor_b64 s[12:13], exec, s[12:13]
	s_cbranch_execz .LBB2_219
; %bb.214:
	s_mov_b64 vcc, src_private_base
	v_cmp_ne_u32_e32 vcc, vcc_hi, v9
	s_and_saveexec_b64 s[38:39], vcc
	s_xor_b64 vcc, exec, s[38:39]
	s_cbranch_execz .LBB2_216
; %bb.215:
	v_mov_b32_e32 v7, 0
	v_mov_b32_e32 v6, 2
	;;#ASMSTART
	global_store_dwordx4 v[8:9], v[4:7] off sc1	
s_waitcnt vmcnt(0)
	;;#ASMEND
                                        ; implicit-def: $vgpr4_vgpr5
                                        ; implicit-def: $vgpr8_vgpr9
.LBB2_216:
	s_andn2_saveexec_b64 vcc, vcc
	s_cbranch_execz .LBB2_218
; %bb.217:
	v_mov_b32_e32 v7, 0
	v_mov_b32_e32 v6, 2
	;;#ASMSTART
	flat_store_dwordx4 v[8:9], v[4:7] sc1	
s_waitcnt vmcnt(0)
	;;#ASMEND
.LBB2_218:
	s_or_b64 exec, exec, vcc
                                        ; implicit-def: $vgpr8_vgpr9
                                        ; implicit-def: $vgpr4_vgpr5
.LBB2_219:
	s_andn2_saveexec_b64 s[12:13], s[12:13]
	s_cbranch_execz .LBB2_221
; %bb.220:
	v_cmp_ne_u64_e32 vcc, 0, v[8:9]
	v_mov_b32_e32 v7, 0
	v_mov_b32_e32 v6, 2
	v_cndmask_b32_e32 v8, -1, v8, vcc
	;;#ASMSTART
	ds_write_b128 v8, v[4:7] 	
s_waitcnt lgkmcnt(0)
	;;#ASMEND
.LBB2_221:
	s_or_b64 exec, exec, s[40:41]
	s_and_b64 exec, exec, s[36:37]
	s_cbranch_execz .LBB2_223
; %bb.222:
	v_mov_b32_e32 v4, 0
	ds_write_b64 v4, v[148:149]
.LBB2_223:
	s_or_b64 exec, exec, s[48:49]
	v_mov_b32_e32 v4, 0
	s_waitcnt lgkmcnt(0)
	s_barrier
	ds_read_b64 v[4:5], v4
	v_mov_b64_e32 v[6:7], v[0:1]
	s_and_saveexec_b64 s[36:37], s[34:35]
	s_cbranch_execz .LBB2_227
; %bb.224:
	v_max_f64 v[6:7], v[134:135], v[134:135]
	v_min_f64 v[8:9], v[6:7], v[132:133]
	v_cmp_u_f64_e32 vcc, v[134:135], v[134:135]
	v_max_f64 v[6:7], v[6:7], v[132:133]
	s_movk_i32 s12, 0x1f8
	v_cndmask_b32_e32 v8, v8, v134, vcc
	v_cndmask_b32_e32 v9, v9, v135, vcc
	;; [unrolled: 1-line block ×4, first 2 shown]
	v_cndmask_b32_e64 v9, v9, v1, s[30:31]
	v_cndmask_b32_e64 v8, v8, v0, s[30:31]
	;; [unrolled: 1-line block ×4, first 2 shown]
	v_cmp_neq_f64_e32 vcc, v[8:9], v[6:7]
	v_cmp_class_f64_e64 s[12:13], v[8:9], s12
	s_or_b64 s[12:13], vcc, s[12:13]
	s_and_saveexec_b64 s[30:31], s[12:13]
	s_cbranch_execz .LBB2_226
; %bb.225:
	s_mov_b32 s12, 0x652b82fe
	v_add_f64 v[8:9], v[8:9], -v[6:7]
	s_mov_b32 s13, 0x3ff71547
	v_mul_f64 v[132:133], v[8:9], s[12:13]
	v_rndne_f64_e32 v[132:133], v[132:133]
	s_mov_b32 s35, 0xbfe62e42
	s_mov_b32 s34, 0xfefa39ef
	v_fma_f64 v[134:135], s[34:35], v[132:133], v[8:9]
	s_mov_b32 s39, 0xbc7abc9e
	s_mov_b32 s38, 0x3b39803f
	;; [unrolled: 1-line block ×3, first 2 shown]
	v_fmac_f64_e32 v[134:135], s[38:39], v[132:133]
	v_mov_b32_e32 v144, 0xfca7ab0c
	v_mov_b32_e32 v145, 0x3e928af3
	s_mov_b32 s13, 0x3e5ade15
	v_fmac_f64_e32 v[144:145], s[12:13], v[134:135]
	v_mov_b32_e32 v146, 0x623fde64
	v_mov_b32_e32 v147, 0x3ec71dee
	v_fmac_f64_e32 v[146:147], v[134:135], v[144:145]
	v_mov_b32_e32 v144, 0x7c89e6b0
	v_mov_b32_e32 v145, 0x3efa0199
	;; [unrolled: 3-line block ×8, first 2 shown]
	s_mov_b32 s12, 0
	v_fmac_f64_e32 v[144:145], v[134:135], v[146:147]
	s_mov_b32 s13, 0x40900000
	v_fma_f64 v[144:145], v[134:135], v[144:145], 1.0
	v_cmp_nlt_f64_e32 vcc, s[12:13], v[8:9]
	s_mov_b32 s12, 0
	v_fma_f64 v[134:135], v[134:135], v[144:145], 1.0
	v_cvt_i32_f64_e32 v53, v[132:133]
	s_mov_b32 s13, 0xc090cc00
	v_ldexp_f64 v[132:133], v[134:135], v53
	v_mov_b32_e32 v53, 0x7ff00000
	v_cmp_ngt_f64_e64 s[12:13], s[12:13], v[8:9]
	v_cndmask_b32_e32 v53, v53, v133, vcc
	s_and_b64 vcc, s[12:13], vcc
	v_cndmask_b32_e64 v9, 0, v53, s[12:13]
	v_cndmask_b32_e32 v8, 0, v132, vcc
	v_add_f64 v[132:133], v[8:9], 1.0
	v_add_f64 v[134:135], v[132:133], -1.0
	v_add_f64 v[144:145], v[134:135], -v[132:133]
	v_add_f64 v[144:145], v[144:145], 1.0
	v_add_f64 v[134:135], v[8:9], -v[134:135]
	s_mov_b32 s12, 0x55555555
	v_add_f64 v[134:135], v[134:135], v[144:145]
	v_frexp_mant_f64_e32 v[144:145], v[132:133]
	s_mov_b32 s13, 0x3fe55555
	v_frexp_exp_i32_f64_e32 v53, v[132:133]
	v_cmp_gt_f64_e32 vcc, s[12:13], v[144:145]
	s_mov_b32 s12, 0xbf559e2b
	s_mov_b32 s13, 0x3fc3ab76
	v_subbrev_co_u32_e32 v53, vcc, 0, v53, vcc
	v_sub_u32_e32 v71, 0, v53
	v_ldexp_f64 v[132:133], v[132:133], v71
	v_add_f64 v[144:145], v[132:133], -1.0
	v_add_f64 v[150:151], v[132:133], 1.0
	v_add_f64 v[146:147], v[144:145], 1.0
	v_add_f64 v[160:161], v[150:151], -1.0
	v_ldexp_f64 v[134:135], v[134:135], v71
	v_add_f64 v[146:147], v[132:133], -v[146:147]
	v_add_f64 v[132:133], v[132:133], -v[160:161]
	v_add_f64 v[132:133], v[134:135], v[132:133]
	v_add_f64 v[146:147], v[134:135], v[146:147]
	;; [unrolled: 1-line block ×3, first 2 shown]
	v_rcp_f64_e32 v[160:161], v[134:135]
	v_add_f64 v[148:149], v[144:145], v[146:147]
	v_add_f64 v[144:145], v[148:149], -v[144:145]
	v_add_f64 v[144:145], v[146:147], -v[144:145]
	;; [unrolled: 1-line block ×4, first 2 shown]
	v_fma_f64 v[146:147], -v[134:135], v[160:161], 1.0
	v_fmac_f64_e32 v[160:161], v[146:147], v[160:161]
	v_fma_f64 v[146:147], -v[134:135], v[160:161], 1.0
	v_fmac_f64_e32 v[160:161], v[146:147], v[160:161]
	v_mul_f64 v[146:147], v[148:149], v[160:161]
	v_mul_f64 v[150:151], v[134:135], v[146:147]
	v_fma_f64 v[162:163], v[146:147], v[134:135], -v[150:151]
	v_fmac_f64_e32 v[162:163], v[146:147], v[132:133]
	v_add_f64 v[164:165], v[150:151], v[162:163]
	v_add_f64 v[166:167], v[148:149], -v[164:165]
	v_add_f64 v[148:149], v[148:149], -v[166:167]
	;; [unrolled: 1-line block ×4, first 2 shown]
	v_add_f64 v[144:145], v[144:145], v[148:149]
	v_add_f64 v[148:149], v[150:151], -v[162:163]
	v_add_f64 v[144:145], v[148:149], v[144:145]
	v_add_f64 v[148:149], v[166:167], v[144:145]
	v_add_f64 v[150:151], v[166:167], -v[148:149]
	v_add_f64 v[144:145], v[144:145], v[150:151]
	v_mul_f64 v[150:151], v[160:161], v[148:149]
	v_mul_f64 v[162:163], v[134:135], v[150:151]
	v_fma_f64 v[134:135], v[150:151], v[134:135], -v[162:163]
	v_fmac_f64_e32 v[134:135], v[150:151], v[132:133]
	v_add_f64 v[132:133], v[162:163], v[134:135]
	v_add_f64 v[164:165], v[148:149], -v[132:133]
	v_add_f64 v[148:149], v[148:149], -v[164:165]
	;; [unrolled: 1-line block ×4, first 2 shown]
	v_add_f64 v[132:133], v[144:145], v[132:133]
	v_add_f64 v[134:135], v[162:163], -v[134:135]
	v_add_f64 v[132:133], v[134:135], v[132:133]
	v_add_f64 v[134:135], v[146:147], v[150:151]
	;; [unrolled: 1-line block ×3, first 2 shown]
	v_add_f64 v[144:145], v[134:135], -v[146:147]
	v_mul_f64 v[132:133], v[160:161], v[132:133]
	v_add_f64 v[144:145], v[150:151], -v[144:145]
	v_add_f64 v[132:133], v[144:145], v[132:133]
	v_add_f64 v[144:145], v[134:135], v[132:133]
	v_add_f64 v[134:135], v[144:145], -v[134:135]
	v_add_f64 v[132:133], v[132:133], -v[134:135]
	v_mul_f64 v[134:135], v[144:145], v[144:145]
	v_mov_b32_e32 v146, 0x6b47b09a
	v_mov_b32_e32 v147, 0x3fc38538
	v_fmac_f64_e32 v[146:147], s[12:13], v[134:135]
	v_mov_b32_e32 v148, 0xd7f4df2e
	v_mov_b32_e32 v149, 0x3fc7474d
	v_fmac_f64_e32 v[148:149], v[134:135], v[146:147]
	;; [unrolled: 3-line block ×6, first 2 shown]
	v_cvt_f64_i32_e32 v[146:147], v53
	s_mov_b32 s35, 0x3fe62e42
	v_mul_f64 v[150:151], v[146:147], s[34:35]
	v_fma_f64 v[160:161], v[146:147], s[34:35], -v[150:151]
	s_mov_b32 s39, 0x3c7abc9e
	v_fmac_f64_e32 v[160:161], s[38:39], v[146:147]
	v_add_f64 v[146:147], v[150:151], v[160:161]
	v_add_f64 v[150:151], v[146:147], -v[150:151]
	v_mul_f64 v[134:135], v[144:145], v[134:135]
	v_add_f64 v[150:151], v[160:161], -v[150:151]
	v_ldexp_f64 v[160:161], v[144:145], 1
	v_mul_f64 v[134:135], v[134:135], v[148:149]
	v_add_f64 v[144:145], v[160:161], v[134:135]
	v_add_f64 v[148:149], v[144:145], -v[160:161]
	v_ldexp_f64 v[132:133], v[132:133], 1
	v_add_f64 v[134:135], v[134:135], -v[148:149]
	v_add_f64 v[132:133], v[132:133], v[134:135]
	v_add_f64 v[134:135], v[144:145], v[132:133]
	v_add_f64 v[144:145], v[134:135], -v[144:145]
	v_add_f64 v[132:133], v[132:133], -v[144:145]
	v_add_f64 v[144:145], v[146:147], v[134:135]
	v_add_f64 v[148:149], v[144:145], -v[146:147]
	v_add_f64 v[160:161], v[144:145], -v[148:149]
	;; [unrolled: 1-line block ×4, first 2 shown]
	v_add_f64 v[134:135], v[134:135], v[146:147]
	v_add_f64 v[146:147], v[150:151], v[132:133]
	v_add_f64 v[148:149], v[146:147], -v[150:151]
	v_add_f64 v[134:135], v[146:147], v[134:135]
	v_add_f64 v[160:161], v[146:147], -v[148:149]
	;; [unrolled: 2-line block ×3, first 2 shown]
	v_add_f64 v[132:133], v[132:133], -v[148:149]
	v_add_f64 v[144:145], v[146:147], -v[144:145]
	v_add_f64 v[132:133], v[132:133], v[150:151]
	v_add_f64 v[134:135], v[134:135], -v[144:145]
	s_mov_b32 s12, 0
	v_add_f64 v[132:133], v[132:133], v[134:135]
	s_mov_b32 s13, 0x7ff00000
	v_add_f64 v[132:133], v[146:147], v[132:133]
	v_cmp_eq_f64_e32 vcc, s[12:13], v[8:9]
	s_nop 1
	v_cndmask_b32_e32 v53, v132, v8, vcc
	v_cndmask_b32_e32 v71, v133, v9, vcc
	v_mov_b32_e32 v132, 0x7ff80000
	v_cmp_ngt_f64_e32 vcc, -1.0, v[8:9]
	s_nop 1
	v_cndmask_b32_e32 v71, v132, v71, vcc
	v_cmp_nge_f64_e32 vcc, -1.0, v[8:9]
	s_nop 1
	v_cndmask_b32_e32 v132, 0, v53, vcc
	v_mov_b32_e32 v53, 0xfff00000
	v_cmp_neq_f64_e32 vcc, -1.0, v[8:9]
	s_nop 1
	v_cndmask_b32_e32 v133, v53, v71, vcc
	v_add_f64 v[134:135], v[6:7], v[132:133]
.LBB2_226:
	s_or_b64 exec, exec, s[30:31]
	v_mov_b64_e32 v[6:7], v[134:135]
.LBB2_227:
	s_or_b64 exec, exec, s[36:37]
	v_max_f64 v[132:133], v[6:7], v[6:7]
	s_waitcnt lgkmcnt(0)
	v_max_f64 v[134:135], v[4:5], v[4:5]
	v_min_f64 v[8:9], v[134:135], v[132:133]
	v_cmp_u_f64_e32 vcc, v[4:5], v[4:5]
	v_max_f64 v[132:133], v[134:135], v[132:133]
	v_cmp_u_f64_e64 s[12:13], v[6:7], v[6:7]
	v_cndmask_b32_e32 v8, v8, v4, vcc
	v_cndmask_b32_e32 v9, v9, v5, vcc
	v_cndmask_b32_e32 v53, v132, v4, vcc
	v_cndmask_b32_e32 v71, v133, v5, vcc
	v_cndmask_b32_e64 v9, v9, v7, s[12:13]
	v_cndmask_b32_e64 v8, v8, v6, s[12:13]
	;; [unrolled: 1-line block ×4, first 2 shown]
	s_movk_i32 s38, 0x1f8
	v_cmp_neq_f64_e32 vcc, v[8:9], v[6:7]
	v_cmp_class_f64_e64 s[12:13], v[8:9], s38
	s_or_b64 s[12:13], vcc, s[12:13]
	s_and_saveexec_b64 s[30:31], s[12:13]
	s_cbranch_execz .LBB2_229
; %bb.228:
	s_mov_b32 s12, 0x652b82fe
	v_add_f64 v[4:5], v[8:9], -v[6:7]
	s_mov_b32 s13, 0x3ff71547
	v_mul_f64 v[8:9], v[4:5], s[12:13]
	v_rndne_f64_e32 v[8:9], v[8:9]
	s_mov_b32 s35, 0xbfe62e42
	s_mov_b32 s34, 0xfefa39ef
	v_fma_f64 v[132:133], s[34:35], v[8:9], v[4:5]
	s_mov_b32 s37, 0xbc7abc9e
	s_mov_b32 s36, 0x3b39803f
	;; [unrolled: 1-line block ×3, first 2 shown]
	v_fmac_f64_e32 v[132:133], s[36:37], v[8:9]
	v_mov_b32_e32 v134, 0xfca7ab0c
	v_mov_b32_e32 v135, 0x3e928af3
	s_mov_b32 s13, 0x3e5ade15
	v_fmac_f64_e32 v[134:135], s[12:13], v[132:133]
	v_mov_b32_e32 v144, 0x623fde64
	v_mov_b32_e32 v145, 0x3ec71dee
	v_fmac_f64_e32 v[144:145], v[132:133], v[134:135]
	v_mov_b32_e32 v134, 0x7c89e6b0
	v_mov_b32_e32 v135, 0x3efa0199
	;; [unrolled: 3-line block ×8, first 2 shown]
	s_mov_b32 s12, 0
	v_fmac_f64_e32 v[134:135], v[132:133], v[144:145]
	s_mov_b32 s13, 0x40900000
	v_fma_f64 v[134:135], v[132:133], v[134:135], 1.0
	v_cmp_nlt_f64_e32 vcc, s[12:13], v[4:5]
	s_mov_b32 s12, 0
	v_fma_f64 v[132:133], v[132:133], v[134:135], 1.0
	v_cvt_i32_f64_e32 v8, v[8:9]
	s_mov_b32 s13, 0xc090cc00
	v_ldexp_f64 v[8:9], v[132:133], v8
	v_mov_b32_e32 v53, 0x7ff00000
	v_cmp_ngt_f64_e64 s[12:13], s[12:13], v[4:5]
	v_cndmask_b32_e32 v9, v53, v9, vcc
	s_and_b64 vcc, s[12:13], vcc
	v_cndmask_b32_e64 v5, 0, v9, s[12:13]
	v_cndmask_b32_e32 v4, 0, v8, vcc
	v_add_f64 v[8:9], v[4:5], 1.0
	v_add_f64 v[132:133], v[8:9], -1.0
	v_add_f64 v[134:135], v[132:133], -v[8:9]
	v_add_f64 v[134:135], v[134:135], 1.0
	v_add_f64 v[132:133], v[4:5], -v[132:133]
	s_mov_b32 s12, 0x55555555
	v_add_f64 v[132:133], v[132:133], v[134:135]
	v_frexp_mant_f64_e32 v[134:135], v[8:9]
	s_mov_b32 s13, 0x3fe55555
	v_frexp_exp_i32_f64_e32 v53, v[8:9]
	v_cmp_gt_f64_e32 vcc, s[12:13], v[134:135]
	s_mov_b32 s12, 0xbf559e2b
	s_mov_b32 s13, 0x3fc3ab76
	v_subbrev_co_u32_e32 v53, vcc, 0, v53, vcc
	v_sub_u32_e32 v71, 0, v53
	v_ldexp_f64 v[8:9], v[8:9], v71
	v_add_f64 v[134:135], v[8:9], -1.0
	v_add_f64 v[148:149], v[8:9], 1.0
	v_add_f64 v[144:145], v[134:135], 1.0
	v_add_f64 v[150:151], v[148:149], -1.0
	v_ldexp_f64 v[132:133], v[132:133], v71
	v_add_f64 v[144:145], v[8:9], -v[144:145]
	v_add_f64 v[8:9], v[8:9], -v[150:151]
	v_add_f64 v[8:9], v[132:133], v[8:9]
	v_add_f64 v[144:145], v[132:133], v[144:145]
	;; [unrolled: 1-line block ×3, first 2 shown]
	v_rcp_f64_e32 v[150:151], v[132:133]
	v_add_f64 v[146:147], v[134:135], v[144:145]
	v_add_f64 v[134:135], v[146:147], -v[134:135]
	v_add_f64 v[134:135], v[144:145], -v[134:135]
	;; [unrolled: 1-line block ×4, first 2 shown]
	v_fma_f64 v[144:145], -v[132:133], v[150:151], 1.0
	v_fmac_f64_e32 v[150:151], v[144:145], v[150:151]
	v_fma_f64 v[144:145], -v[132:133], v[150:151], 1.0
	v_fmac_f64_e32 v[150:151], v[144:145], v[150:151]
	v_mul_f64 v[144:145], v[146:147], v[150:151]
	v_mul_f64 v[148:149], v[132:133], v[144:145]
	v_fma_f64 v[160:161], v[144:145], v[132:133], -v[148:149]
	v_fmac_f64_e32 v[160:161], v[144:145], v[8:9]
	v_add_f64 v[162:163], v[148:149], v[160:161]
	v_add_f64 v[164:165], v[146:147], -v[162:163]
	v_add_f64 v[146:147], v[146:147], -v[164:165]
	;; [unrolled: 1-line block ×4, first 2 shown]
	v_add_f64 v[134:135], v[134:135], v[146:147]
	v_add_f64 v[146:147], v[148:149], -v[160:161]
	v_add_f64 v[134:135], v[146:147], v[134:135]
	v_add_f64 v[146:147], v[164:165], v[134:135]
	v_add_f64 v[148:149], v[164:165], -v[146:147]
	v_add_f64 v[134:135], v[134:135], v[148:149]
	v_mul_f64 v[148:149], v[150:151], v[146:147]
	v_mul_f64 v[160:161], v[132:133], v[148:149]
	v_fma_f64 v[132:133], v[148:149], v[132:133], -v[160:161]
	v_fmac_f64_e32 v[132:133], v[148:149], v[8:9]
	v_add_f64 v[8:9], v[160:161], v[132:133]
	v_add_f64 v[162:163], v[146:147], -v[8:9]
	v_add_f64 v[146:147], v[146:147], -v[162:163]
	;; [unrolled: 1-line block ×4, first 2 shown]
	v_add_f64 v[8:9], v[134:135], v[8:9]
	v_add_f64 v[132:133], v[160:161], -v[132:133]
	v_add_f64 v[8:9], v[132:133], v[8:9]
	v_add_f64 v[132:133], v[144:145], v[148:149]
	;; [unrolled: 1-line block ×3, first 2 shown]
	v_add_f64 v[134:135], v[132:133], -v[144:145]
	v_mul_f64 v[8:9], v[150:151], v[8:9]
	v_add_f64 v[134:135], v[148:149], -v[134:135]
	v_add_f64 v[8:9], v[134:135], v[8:9]
	v_add_f64 v[134:135], v[132:133], v[8:9]
	v_add_f64 v[132:133], v[134:135], -v[132:133]
	v_add_f64 v[8:9], v[8:9], -v[132:133]
	v_mul_f64 v[132:133], v[134:135], v[134:135]
	v_mov_b32_e32 v144, 0x6b47b09a
	v_mov_b32_e32 v145, 0x3fc38538
	v_fmac_f64_e32 v[144:145], s[12:13], v[132:133]
	v_mov_b32_e32 v146, 0xd7f4df2e
	v_mov_b32_e32 v147, 0x3fc7474d
	v_fmac_f64_e32 v[146:147], v[132:133], v[144:145]
	;; [unrolled: 3-line block ×6, first 2 shown]
	v_cvt_f64_i32_e32 v[144:145], v53
	s_mov_b32 s35, 0x3fe62e42
	v_mul_f64 v[148:149], v[144:145], s[34:35]
	v_fma_f64 v[150:151], v[144:145], s[34:35], -v[148:149]
	s_mov_b32 s37, 0x3c7abc9e
	v_fmac_f64_e32 v[150:151], s[36:37], v[144:145]
	v_add_f64 v[144:145], v[148:149], v[150:151]
	v_add_f64 v[148:149], v[144:145], -v[148:149]
	v_mul_f64 v[132:133], v[134:135], v[132:133]
	v_add_f64 v[148:149], v[150:151], -v[148:149]
	v_ldexp_f64 v[150:151], v[134:135], 1
	v_mul_f64 v[132:133], v[132:133], v[146:147]
	v_add_f64 v[134:135], v[150:151], v[132:133]
	v_add_f64 v[146:147], v[134:135], -v[150:151]
	v_ldexp_f64 v[8:9], v[8:9], 1
	v_add_f64 v[132:133], v[132:133], -v[146:147]
	v_add_f64 v[8:9], v[8:9], v[132:133]
	v_add_f64 v[132:133], v[134:135], v[8:9]
	v_add_f64 v[134:135], v[132:133], -v[134:135]
	v_add_f64 v[8:9], v[8:9], -v[134:135]
	v_add_f64 v[134:135], v[144:145], v[132:133]
	v_add_f64 v[146:147], v[134:135], -v[144:145]
	v_add_f64 v[150:151], v[134:135], -v[146:147]
	;; [unrolled: 1-line block ×4, first 2 shown]
	v_add_f64 v[132:133], v[132:133], v[144:145]
	v_add_f64 v[144:145], v[148:149], v[8:9]
	v_add_f64 v[146:147], v[144:145], -v[148:149]
	v_add_f64 v[132:133], v[144:145], v[132:133]
	v_add_f64 v[150:151], v[144:145], -v[146:147]
	v_add_f64 v[144:145], v[134:135], v[132:133]
	v_add_f64 v[148:149], v[148:149], -v[150:151]
	v_add_f64 v[8:9], v[8:9], -v[146:147]
	v_add_f64 v[134:135], v[144:145], -v[134:135]
	v_add_f64 v[8:9], v[8:9], v[148:149]
	v_add_f64 v[132:133], v[132:133], -v[134:135]
	s_mov_b32 s12, 0
	v_add_f64 v[8:9], v[8:9], v[132:133]
	s_mov_b32 s13, 0x7ff00000
	v_add_f64 v[8:9], v[144:145], v[8:9]
	v_cmp_eq_f64_e32 vcc, s[12:13], v[4:5]
	v_mov_b32_e32 v53, 0x7ff80000
	s_nop 0
	v_cndmask_b32_e32 v8, v8, v4, vcc
	v_cndmask_b32_e32 v9, v9, v5, vcc
	v_cmp_ngt_f64_e32 vcc, -1.0, v[4:5]
	s_nop 1
	v_cndmask_b32_e32 v9, v53, v9, vcc
	v_cmp_nge_f64_e32 vcc, -1.0, v[4:5]
	v_mov_b32_e32 v53, 0xfff00000
	s_nop 0
	v_cndmask_b32_e32 v8, 0, v8, vcc
	v_cmp_neq_f64_e32 vcc, -1.0, v[4:5]
	s_nop 1
	v_cndmask_b32_e32 v9, v53, v9, vcc
	v_add_f64 v[4:5], v[6:7], v[8:9]
.LBB2_229:
	s_or_b64 exec, exec, s[30:31]
	v_max_f64 v[6:7], v[4:5], v[4:5]
	v_min_f64 v[8:9], v[6:7], v[130:131]
	v_cmp_u_f64_e32 vcc, v[4:5], v[4:5]
	v_max_f64 v[6:7], v[6:7], v[130:131]
	s_nop 0
	v_cndmask_b32_e32 v8, v8, v4, vcc
	v_cndmask_b32_e32 v9, v9, v5, vcc
	;; [unrolled: 1-line block ×4, first 2 shown]
	v_cndmask_b32_e64 v133, v9, v3, s[2:3]
	v_cndmask_b32_e64 v132, v8, v2, s[2:3]
	;; [unrolled: 1-line block ×4, first 2 shown]
	v_cmp_neq_f64_e32 vcc, v[132:133], v[8:9]
	v_cmp_class_f64_e64 s[2:3], v[132:133], s38
	s_or_b64 s[2:3], vcc, s[2:3]
	v_mov_b64_e32 v[6:7], v[4:5]
	s_and_saveexec_b64 s[12:13], s[2:3]
	s_cbranch_execz .LBB2_231
; %bb.230:
	s_mov_b32 s2, 0x652b82fe
	v_add_f64 v[6:7], v[132:133], -v[8:9]
	s_mov_b32 s3, 0x3ff71547
	v_mul_f64 v[132:133], v[6:7], s[2:3]
	v_rndne_f64_e32 v[132:133], v[132:133]
	s_mov_b32 s31, 0xbfe62e42
	s_mov_b32 s30, 0xfefa39ef
	v_fma_f64 v[134:135], s[30:31], v[132:133], v[6:7]
	s_mov_b32 s35, 0xbc7abc9e
	s_mov_b32 s34, 0x3b39803f
	;; [unrolled: 1-line block ×3, first 2 shown]
	v_fmac_f64_e32 v[134:135], s[34:35], v[132:133]
	v_mov_b32_e32 v144, 0xfca7ab0c
	v_mov_b32_e32 v145, 0x3e928af3
	s_mov_b32 s3, 0x3e5ade15
	v_fmac_f64_e32 v[144:145], s[2:3], v[134:135]
	v_mov_b32_e32 v146, 0x623fde64
	v_mov_b32_e32 v147, 0x3ec71dee
	v_fmac_f64_e32 v[146:147], v[134:135], v[144:145]
	v_mov_b32_e32 v144, 0x7c89e6b0
	v_mov_b32_e32 v145, 0x3efa0199
	;; [unrolled: 3-line block ×8, first 2 shown]
	s_mov_b32 s2, 0
	v_fmac_f64_e32 v[144:145], v[134:135], v[146:147]
	s_mov_b32 s3, 0x40900000
	v_fma_f64 v[144:145], v[134:135], v[144:145], 1.0
	v_cmp_nlt_f64_e32 vcc, s[2:3], v[6:7]
	s_mov_b32 s2, 0
	v_fma_f64 v[134:135], v[134:135], v[144:145], 1.0
	v_cvt_i32_f64_e32 v53, v[132:133]
	s_mov_b32 s3, 0xc090cc00
	v_ldexp_f64 v[132:133], v[134:135], v53
	v_mov_b32_e32 v53, 0x7ff00000
	v_cmp_ngt_f64_e64 s[2:3], s[2:3], v[6:7]
	v_cndmask_b32_e32 v53, v53, v133, vcc
	s_and_b64 vcc, s[2:3], vcc
	v_cndmask_b32_e64 v7, 0, v53, s[2:3]
	v_cndmask_b32_e32 v6, 0, v132, vcc
	v_add_f64 v[132:133], v[6:7], 1.0
	v_add_f64 v[134:135], v[132:133], -1.0
	v_add_f64 v[144:145], v[134:135], -v[132:133]
	v_add_f64 v[144:145], v[144:145], 1.0
	v_add_f64 v[134:135], v[6:7], -v[134:135]
	s_mov_b32 s2, 0x55555555
	v_add_f64 v[134:135], v[134:135], v[144:145]
	v_frexp_mant_f64_e32 v[144:145], v[132:133]
	s_mov_b32 s3, 0x3fe55555
	v_frexp_exp_i32_f64_e32 v53, v[132:133]
	v_cmp_gt_f64_e32 vcc, s[2:3], v[144:145]
	s_mov_b32 s2, 0xbf559e2b
	s_mov_b32 s3, 0x3fc3ab76
	v_subbrev_co_u32_e32 v53, vcc, 0, v53, vcc
	v_sub_u32_e32 v71, 0, v53
	v_ldexp_f64 v[132:133], v[132:133], v71
	v_add_f64 v[144:145], v[132:133], -1.0
	v_add_f64 v[150:151], v[132:133], 1.0
	v_add_f64 v[146:147], v[144:145], 1.0
	v_add_f64 v[160:161], v[150:151], -1.0
	v_ldexp_f64 v[134:135], v[134:135], v71
	v_add_f64 v[146:147], v[132:133], -v[146:147]
	v_add_f64 v[132:133], v[132:133], -v[160:161]
	v_add_f64 v[132:133], v[134:135], v[132:133]
	v_add_f64 v[146:147], v[134:135], v[146:147]
	;; [unrolled: 1-line block ×3, first 2 shown]
	v_rcp_f64_e32 v[160:161], v[134:135]
	v_add_f64 v[148:149], v[144:145], v[146:147]
	v_add_f64 v[144:145], v[148:149], -v[144:145]
	v_add_f64 v[144:145], v[146:147], -v[144:145]
	;; [unrolled: 1-line block ×4, first 2 shown]
	v_fma_f64 v[146:147], -v[134:135], v[160:161], 1.0
	v_fmac_f64_e32 v[160:161], v[146:147], v[160:161]
	v_fma_f64 v[146:147], -v[134:135], v[160:161], 1.0
	v_fmac_f64_e32 v[160:161], v[146:147], v[160:161]
	v_mul_f64 v[146:147], v[148:149], v[160:161]
	v_mul_f64 v[150:151], v[134:135], v[146:147]
	v_fma_f64 v[162:163], v[146:147], v[134:135], -v[150:151]
	v_fmac_f64_e32 v[162:163], v[146:147], v[132:133]
	v_add_f64 v[164:165], v[150:151], v[162:163]
	v_add_f64 v[166:167], v[148:149], -v[164:165]
	v_add_f64 v[148:149], v[148:149], -v[166:167]
	;; [unrolled: 1-line block ×4, first 2 shown]
	v_add_f64 v[144:145], v[144:145], v[148:149]
	v_add_f64 v[148:149], v[150:151], -v[162:163]
	v_add_f64 v[144:145], v[148:149], v[144:145]
	v_add_f64 v[148:149], v[166:167], v[144:145]
	v_add_f64 v[150:151], v[166:167], -v[148:149]
	v_add_f64 v[144:145], v[144:145], v[150:151]
	v_mul_f64 v[150:151], v[160:161], v[148:149]
	v_mul_f64 v[162:163], v[134:135], v[150:151]
	v_fma_f64 v[134:135], v[150:151], v[134:135], -v[162:163]
	v_fmac_f64_e32 v[134:135], v[150:151], v[132:133]
	v_add_f64 v[132:133], v[162:163], v[134:135]
	v_add_f64 v[164:165], v[148:149], -v[132:133]
	v_add_f64 v[148:149], v[148:149], -v[164:165]
	;; [unrolled: 1-line block ×4, first 2 shown]
	v_add_f64 v[132:133], v[144:145], v[132:133]
	v_add_f64 v[134:135], v[162:163], -v[134:135]
	v_add_f64 v[132:133], v[134:135], v[132:133]
	v_add_f64 v[134:135], v[146:147], v[150:151]
	;; [unrolled: 1-line block ×3, first 2 shown]
	v_add_f64 v[144:145], v[134:135], -v[146:147]
	v_mul_f64 v[132:133], v[160:161], v[132:133]
	v_add_f64 v[144:145], v[150:151], -v[144:145]
	v_add_f64 v[132:133], v[144:145], v[132:133]
	v_add_f64 v[144:145], v[134:135], v[132:133]
	v_add_f64 v[134:135], v[144:145], -v[134:135]
	v_add_f64 v[132:133], v[132:133], -v[134:135]
	v_mul_f64 v[134:135], v[144:145], v[144:145]
	v_mov_b32_e32 v146, 0x6b47b09a
	v_mov_b32_e32 v147, 0x3fc38538
	v_fmac_f64_e32 v[146:147], s[2:3], v[134:135]
	v_mov_b32_e32 v148, 0xd7f4df2e
	v_mov_b32_e32 v149, 0x3fc7474d
	v_fmac_f64_e32 v[148:149], v[134:135], v[146:147]
	;; [unrolled: 3-line block ×6, first 2 shown]
	v_cvt_f64_i32_e32 v[146:147], v53
	s_mov_b32 s31, 0x3fe62e42
	v_mul_f64 v[150:151], v[146:147], s[30:31]
	v_fma_f64 v[160:161], v[146:147], s[30:31], -v[150:151]
	s_mov_b32 s35, 0x3c7abc9e
	v_fmac_f64_e32 v[160:161], s[34:35], v[146:147]
	v_add_f64 v[146:147], v[150:151], v[160:161]
	v_add_f64 v[150:151], v[146:147], -v[150:151]
	v_mul_f64 v[134:135], v[144:145], v[134:135]
	v_add_f64 v[150:151], v[160:161], -v[150:151]
	v_ldexp_f64 v[160:161], v[144:145], 1
	v_mul_f64 v[134:135], v[134:135], v[148:149]
	v_add_f64 v[144:145], v[160:161], v[134:135]
	v_add_f64 v[148:149], v[144:145], -v[160:161]
	v_ldexp_f64 v[132:133], v[132:133], 1
	v_add_f64 v[134:135], v[134:135], -v[148:149]
	v_add_f64 v[132:133], v[132:133], v[134:135]
	v_add_f64 v[134:135], v[144:145], v[132:133]
	v_add_f64 v[144:145], v[134:135], -v[144:145]
	v_add_f64 v[132:133], v[132:133], -v[144:145]
	v_add_f64 v[144:145], v[146:147], v[134:135]
	v_add_f64 v[148:149], v[144:145], -v[146:147]
	v_add_f64 v[160:161], v[144:145], -v[148:149]
	v_add_f64 v[146:147], v[146:147], -v[160:161]
	v_add_f64 v[134:135], v[134:135], -v[148:149]
	v_add_f64 v[134:135], v[134:135], v[146:147]
	v_add_f64 v[146:147], v[150:151], v[132:133]
	v_add_f64 v[148:149], v[146:147], -v[150:151]
	v_add_f64 v[134:135], v[146:147], v[134:135]
	v_add_f64 v[160:161], v[146:147], -v[148:149]
	v_add_f64 v[146:147], v[144:145], v[134:135]
	v_add_f64 v[150:151], v[150:151], -v[160:161]
	v_add_f64 v[132:133], v[132:133], -v[148:149]
	v_add_f64 v[144:145], v[146:147], -v[144:145]
	v_add_f64 v[132:133], v[132:133], v[150:151]
	v_add_f64 v[134:135], v[134:135], -v[144:145]
	s_mov_b32 s2, 0
	v_add_f64 v[132:133], v[132:133], v[134:135]
	s_mov_b32 s3, 0x7ff00000
	v_add_f64 v[132:133], v[146:147], v[132:133]
	v_cmp_eq_f64_e32 vcc, s[2:3], v[6:7]
	s_nop 1
	v_cndmask_b32_e32 v53, v132, v6, vcc
	v_cndmask_b32_e32 v71, v133, v7, vcc
	v_mov_b32_e32 v132, 0x7ff80000
	v_cmp_ngt_f64_e32 vcc, -1.0, v[6:7]
	s_nop 1
	v_cndmask_b32_e32 v71, v132, v71, vcc
	v_cmp_nge_f64_e32 vcc, -1.0, v[6:7]
	s_nop 1
	v_cndmask_b32_e32 v132, 0, v53, vcc
	v_mov_b32_e32 v53, 0xfff00000
	v_cmp_neq_f64_e32 vcc, -1.0, v[6:7]
	s_nop 1
	v_cndmask_b32_e32 v133, v53, v71, vcc
	v_add_f64 v[6:7], v[8:9], v[132:133]
.LBB2_231:
	s_or_b64 exec, exec, s[12:13]
	v_max_f64 v[8:9], v[6:7], v[6:7]
	v_min_f64 v[132:133], v[8:9], v[10:11]
	v_cmp_u_f64_e32 vcc, v[6:7], v[6:7]
	v_max_f64 v[8:9], v[8:9], v[10:11]
	s_movk_i32 s34, 0x1f8
	v_cndmask_b32_e32 v53, v132, v6, vcc
	v_cndmask_b32_e32 v71, v133, v7, vcc
	;; [unrolled: 1-line block ×4, first 2 shown]
	v_cndmask_b32_e64 v133, v71, v113, s[4:5]
	v_cndmask_b32_e64 v132, v53, v112, s[4:5]
	;; [unrolled: 1-line block ×4, first 2 shown]
	v_cmp_neq_f64_e32 vcc, v[132:133], v[10:11]
	v_cmp_class_f64_e64 s[2:3], v[132:133], s34
	s_or_b64 s[2:3], vcc, s[2:3]
	v_mov_b64_e32 v[8:9], v[6:7]
	s_and_saveexec_b64 s[4:5], s[2:3]
	s_cbranch_execz .LBB2_233
; %bb.232:
	s_mov_b32 s2, 0x652b82fe
	v_add_f64 v[8:9], v[132:133], -v[10:11]
	s_mov_b32 s3, 0x3ff71547
	v_mul_f64 v[132:133], v[8:9], s[2:3]
	v_rndne_f64_e32 v[132:133], v[132:133]
	s_mov_b32 s13, 0xbfe62e42
	s_mov_b32 s12, 0xfefa39ef
	v_fma_f64 v[134:135], s[12:13], v[132:133], v[8:9]
	s_mov_b32 s31, 0xbc7abc9e
	s_mov_b32 s30, 0x3b39803f
	;; [unrolled: 1-line block ×3, first 2 shown]
	v_fmac_f64_e32 v[134:135], s[30:31], v[132:133]
	v_mov_b32_e32 v144, 0xfca7ab0c
	v_mov_b32_e32 v145, 0x3e928af3
	s_mov_b32 s3, 0x3e5ade15
	v_fmac_f64_e32 v[144:145], s[2:3], v[134:135]
	v_mov_b32_e32 v146, 0x623fde64
	v_mov_b32_e32 v147, 0x3ec71dee
	v_fmac_f64_e32 v[146:147], v[134:135], v[144:145]
	v_mov_b32_e32 v144, 0x7c89e6b0
	v_mov_b32_e32 v145, 0x3efa0199
	;; [unrolled: 3-line block ×8, first 2 shown]
	s_mov_b32 s2, 0
	v_fmac_f64_e32 v[144:145], v[134:135], v[146:147]
	s_mov_b32 s3, 0x40900000
	v_fma_f64 v[144:145], v[134:135], v[144:145], 1.0
	v_cmp_nlt_f64_e32 vcc, s[2:3], v[8:9]
	s_mov_b32 s2, 0
	v_fma_f64 v[134:135], v[134:135], v[144:145], 1.0
	v_cvt_i32_f64_e32 v53, v[132:133]
	s_mov_b32 s3, 0xc090cc00
	v_ldexp_f64 v[132:133], v[134:135], v53
	v_mov_b32_e32 v53, 0x7ff00000
	v_cmp_ngt_f64_e64 s[2:3], s[2:3], v[8:9]
	v_cndmask_b32_e32 v53, v53, v133, vcc
	s_and_b64 vcc, s[2:3], vcc
	v_cndmask_b32_e64 v9, 0, v53, s[2:3]
	v_cndmask_b32_e32 v8, 0, v132, vcc
	v_add_f64 v[132:133], v[8:9], 1.0
	v_add_f64 v[134:135], v[132:133], -1.0
	v_add_f64 v[144:145], v[134:135], -v[132:133]
	v_add_f64 v[144:145], v[144:145], 1.0
	v_add_f64 v[134:135], v[8:9], -v[134:135]
	s_mov_b32 s2, 0x55555555
	v_add_f64 v[134:135], v[134:135], v[144:145]
	v_frexp_mant_f64_e32 v[144:145], v[132:133]
	s_mov_b32 s3, 0x3fe55555
	v_frexp_exp_i32_f64_e32 v53, v[132:133]
	v_cmp_gt_f64_e32 vcc, s[2:3], v[144:145]
	s_mov_b32 s2, 0xbf559e2b
	s_mov_b32 s3, 0x3fc3ab76
	v_subbrev_co_u32_e32 v53, vcc, 0, v53, vcc
	v_sub_u32_e32 v71, 0, v53
	v_ldexp_f64 v[132:133], v[132:133], v71
	v_add_f64 v[144:145], v[132:133], -1.0
	v_add_f64 v[150:151], v[132:133], 1.0
	v_add_f64 v[146:147], v[144:145], 1.0
	v_add_f64 v[160:161], v[150:151], -1.0
	v_ldexp_f64 v[134:135], v[134:135], v71
	v_add_f64 v[146:147], v[132:133], -v[146:147]
	v_add_f64 v[132:133], v[132:133], -v[160:161]
	v_add_f64 v[132:133], v[134:135], v[132:133]
	v_add_f64 v[146:147], v[134:135], v[146:147]
	;; [unrolled: 1-line block ×3, first 2 shown]
	v_rcp_f64_e32 v[160:161], v[134:135]
	v_add_f64 v[148:149], v[144:145], v[146:147]
	v_add_f64 v[144:145], v[148:149], -v[144:145]
	v_add_f64 v[144:145], v[146:147], -v[144:145]
	;; [unrolled: 1-line block ×4, first 2 shown]
	v_fma_f64 v[146:147], -v[134:135], v[160:161], 1.0
	v_fmac_f64_e32 v[160:161], v[146:147], v[160:161]
	v_fma_f64 v[146:147], -v[134:135], v[160:161], 1.0
	v_fmac_f64_e32 v[160:161], v[146:147], v[160:161]
	v_mul_f64 v[146:147], v[148:149], v[160:161]
	v_mul_f64 v[150:151], v[134:135], v[146:147]
	v_fma_f64 v[162:163], v[146:147], v[134:135], -v[150:151]
	v_fmac_f64_e32 v[162:163], v[146:147], v[132:133]
	v_add_f64 v[164:165], v[150:151], v[162:163]
	v_add_f64 v[166:167], v[148:149], -v[164:165]
	v_add_f64 v[148:149], v[148:149], -v[166:167]
	v_add_f64 v[150:151], v[164:165], -v[150:151]
	v_add_f64 v[148:149], v[148:149], -v[164:165]
	v_add_f64 v[144:145], v[144:145], v[148:149]
	v_add_f64 v[148:149], v[150:151], -v[162:163]
	v_add_f64 v[144:145], v[148:149], v[144:145]
	v_add_f64 v[148:149], v[166:167], v[144:145]
	v_add_f64 v[150:151], v[166:167], -v[148:149]
	v_add_f64 v[144:145], v[144:145], v[150:151]
	v_mul_f64 v[150:151], v[160:161], v[148:149]
	v_mul_f64 v[162:163], v[134:135], v[150:151]
	v_fma_f64 v[134:135], v[150:151], v[134:135], -v[162:163]
	v_fmac_f64_e32 v[134:135], v[150:151], v[132:133]
	v_add_f64 v[132:133], v[162:163], v[134:135]
	v_add_f64 v[164:165], v[148:149], -v[132:133]
	v_add_f64 v[148:149], v[148:149], -v[164:165]
	v_add_f64 v[162:163], v[132:133], -v[162:163]
	v_add_f64 v[132:133], v[148:149], -v[132:133]
	v_add_f64 v[132:133], v[144:145], v[132:133]
	v_add_f64 v[134:135], v[162:163], -v[134:135]
	v_add_f64 v[132:133], v[134:135], v[132:133]
	v_add_f64 v[134:135], v[146:147], v[150:151]
	v_add_f64 v[132:133], v[164:165], v[132:133]
	v_add_f64 v[144:145], v[134:135], -v[146:147]
	v_mul_f64 v[132:133], v[160:161], v[132:133]
	v_add_f64 v[144:145], v[150:151], -v[144:145]
	v_add_f64 v[132:133], v[144:145], v[132:133]
	v_add_f64 v[144:145], v[134:135], v[132:133]
	v_add_f64 v[134:135], v[144:145], -v[134:135]
	v_add_f64 v[132:133], v[132:133], -v[134:135]
	v_mul_f64 v[134:135], v[144:145], v[144:145]
	v_mov_b32_e32 v146, 0x6b47b09a
	v_mov_b32_e32 v147, 0x3fc38538
	v_fmac_f64_e32 v[146:147], s[2:3], v[134:135]
	v_mov_b32_e32 v148, 0xd7f4df2e
	v_mov_b32_e32 v149, 0x3fc7474d
	v_fmac_f64_e32 v[148:149], v[134:135], v[146:147]
	;; [unrolled: 3-line block ×6, first 2 shown]
	v_cvt_f64_i32_e32 v[146:147], v53
	s_mov_b32 s13, 0x3fe62e42
	v_mul_f64 v[150:151], v[146:147], s[12:13]
	v_fma_f64 v[160:161], v[146:147], s[12:13], -v[150:151]
	s_mov_b32 s31, 0x3c7abc9e
	v_fmac_f64_e32 v[160:161], s[30:31], v[146:147]
	v_add_f64 v[146:147], v[150:151], v[160:161]
	v_add_f64 v[150:151], v[146:147], -v[150:151]
	v_mul_f64 v[134:135], v[144:145], v[134:135]
	v_add_f64 v[150:151], v[160:161], -v[150:151]
	v_ldexp_f64 v[160:161], v[144:145], 1
	v_mul_f64 v[134:135], v[134:135], v[148:149]
	v_add_f64 v[144:145], v[160:161], v[134:135]
	v_add_f64 v[148:149], v[144:145], -v[160:161]
	v_ldexp_f64 v[132:133], v[132:133], 1
	v_add_f64 v[134:135], v[134:135], -v[148:149]
	v_add_f64 v[132:133], v[132:133], v[134:135]
	v_add_f64 v[134:135], v[144:145], v[132:133]
	v_add_f64 v[144:145], v[134:135], -v[144:145]
	v_add_f64 v[132:133], v[132:133], -v[144:145]
	v_add_f64 v[144:145], v[146:147], v[134:135]
	v_add_f64 v[148:149], v[144:145], -v[146:147]
	v_add_f64 v[160:161], v[144:145], -v[148:149]
	;; [unrolled: 1-line block ×4, first 2 shown]
	v_add_f64 v[134:135], v[134:135], v[146:147]
	v_add_f64 v[146:147], v[150:151], v[132:133]
	v_add_f64 v[148:149], v[146:147], -v[150:151]
	v_add_f64 v[134:135], v[146:147], v[134:135]
	v_add_f64 v[160:161], v[146:147], -v[148:149]
	;; [unrolled: 2-line block ×3, first 2 shown]
	v_add_f64 v[132:133], v[132:133], -v[148:149]
	v_add_f64 v[144:145], v[146:147], -v[144:145]
	v_add_f64 v[132:133], v[132:133], v[150:151]
	v_add_f64 v[134:135], v[134:135], -v[144:145]
	s_mov_b32 s2, 0
	v_add_f64 v[132:133], v[132:133], v[134:135]
	s_mov_b32 s3, 0x7ff00000
	v_add_f64 v[132:133], v[146:147], v[132:133]
	v_cmp_eq_f64_e32 vcc, s[2:3], v[8:9]
	s_nop 1
	v_cndmask_b32_e32 v53, v132, v8, vcc
	v_cndmask_b32_e32 v71, v133, v9, vcc
	v_mov_b32_e32 v132, 0x7ff80000
	v_cmp_ngt_f64_e32 vcc, -1.0, v[8:9]
	s_nop 1
	v_cndmask_b32_e32 v71, v132, v71, vcc
	v_cmp_nge_f64_e32 vcc, -1.0, v[8:9]
	s_nop 1
	v_cndmask_b32_e32 v132, 0, v53, vcc
	v_mov_b32_e32 v53, 0xfff00000
	v_cmp_neq_f64_e32 vcc, -1.0, v[8:9]
	s_nop 1
	v_cndmask_b32_e32 v133, v53, v71, vcc
	v_add_f64 v[8:9], v[10:11], v[132:133]
.LBB2_233:
	s_or_b64 exec, exec, s[4:5]
	v_max_f64 v[10:11], v[8:9], v[8:9]
	v_min_f64 v[132:133], v[10:11], v[12:13]
	v_cmp_u_f64_e32 vcc, v[8:9], v[8:9]
	v_max_f64 v[10:11], v[10:11], v[12:13]
	s_nop 0
	v_cndmask_b32_e32 v53, v132, v8, vcc
	v_cndmask_b32_e32 v71, v133, v9, vcc
	;; [unrolled: 1-line block ×4, first 2 shown]
	v_cndmask_b32_e64 v133, v71, v115, s[6:7]
	v_cndmask_b32_e64 v132, v53, v114, s[6:7]
	;; [unrolled: 1-line block ×4, first 2 shown]
	v_cmp_neq_f64_e32 vcc, v[132:133], v[12:13]
	v_cmp_class_f64_e64 s[2:3], v[132:133], s34
	s_or_b64 s[2:3], vcc, s[2:3]
	v_mov_b64_e32 v[10:11], v[8:9]
	s_and_saveexec_b64 s[4:5], s[2:3]
	s_cbranch_execz .LBB2_235
; %bb.234:
	s_mov_b32 s2, 0x652b82fe
	v_add_f64 v[10:11], v[132:133], -v[12:13]
	s_mov_b32 s3, 0x3ff71547
	v_mul_f64 v[132:133], v[10:11], s[2:3]
	v_rndne_f64_e32 v[132:133], v[132:133]
	s_mov_b32 s7, 0xbfe62e42
	s_mov_b32 s6, 0xfefa39ef
	v_fma_f64 v[134:135], s[6:7], v[132:133], v[10:11]
	s_mov_b32 s13, 0xbc7abc9e
	s_mov_b32 s12, 0x3b39803f
	;; [unrolled: 1-line block ×3, first 2 shown]
	v_fmac_f64_e32 v[134:135], s[12:13], v[132:133]
	v_mov_b32_e32 v144, 0xfca7ab0c
	v_mov_b32_e32 v145, 0x3e928af3
	s_mov_b32 s3, 0x3e5ade15
	v_fmac_f64_e32 v[144:145], s[2:3], v[134:135]
	v_mov_b32_e32 v146, 0x623fde64
	v_mov_b32_e32 v147, 0x3ec71dee
	v_fmac_f64_e32 v[146:147], v[134:135], v[144:145]
	v_mov_b32_e32 v144, 0x7c89e6b0
	v_mov_b32_e32 v145, 0x3efa0199
	;; [unrolled: 3-line block ×8, first 2 shown]
	s_mov_b32 s2, 0
	v_fmac_f64_e32 v[144:145], v[134:135], v[146:147]
	s_mov_b32 s3, 0x40900000
	v_fma_f64 v[144:145], v[134:135], v[144:145], 1.0
	v_cmp_nlt_f64_e32 vcc, s[2:3], v[10:11]
	s_mov_b32 s2, 0
	v_fma_f64 v[134:135], v[134:135], v[144:145], 1.0
	v_cvt_i32_f64_e32 v53, v[132:133]
	s_mov_b32 s3, 0xc090cc00
	v_ldexp_f64 v[132:133], v[134:135], v53
	v_mov_b32_e32 v53, 0x7ff00000
	v_cmp_ngt_f64_e64 s[2:3], s[2:3], v[10:11]
	v_cndmask_b32_e32 v53, v53, v133, vcc
	s_and_b64 vcc, s[2:3], vcc
	v_cndmask_b32_e64 v11, 0, v53, s[2:3]
	v_cndmask_b32_e32 v10, 0, v132, vcc
	v_add_f64 v[132:133], v[10:11], 1.0
	v_add_f64 v[134:135], v[132:133], -1.0
	v_add_f64 v[144:145], v[134:135], -v[132:133]
	v_add_f64 v[144:145], v[144:145], 1.0
	v_add_f64 v[134:135], v[10:11], -v[134:135]
	s_mov_b32 s2, 0x55555555
	v_add_f64 v[134:135], v[134:135], v[144:145]
	v_frexp_mant_f64_e32 v[144:145], v[132:133]
	s_mov_b32 s3, 0x3fe55555
	v_frexp_exp_i32_f64_e32 v53, v[132:133]
	v_cmp_gt_f64_e32 vcc, s[2:3], v[144:145]
	s_mov_b32 s2, 0xbf559e2b
	s_mov_b32 s3, 0x3fc3ab76
	v_subbrev_co_u32_e32 v53, vcc, 0, v53, vcc
	v_sub_u32_e32 v71, 0, v53
	v_ldexp_f64 v[132:133], v[132:133], v71
	v_add_f64 v[144:145], v[132:133], -1.0
	v_add_f64 v[150:151], v[132:133], 1.0
	v_add_f64 v[146:147], v[144:145], 1.0
	v_add_f64 v[160:161], v[150:151], -1.0
	v_ldexp_f64 v[134:135], v[134:135], v71
	v_add_f64 v[146:147], v[132:133], -v[146:147]
	v_add_f64 v[132:133], v[132:133], -v[160:161]
	v_add_f64 v[132:133], v[134:135], v[132:133]
	v_add_f64 v[146:147], v[134:135], v[146:147]
	;; [unrolled: 1-line block ×3, first 2 shown]
	v_rcp_f64_e32 v[160:161], v[134:135]
	v_add_f64 v[148:149], v[144:145], v[146:147]
	v_add_f64 v[144:145], v[148:149], -v[144:145]
	v_add_f64 v[144:145], v[146:147], -v[144:145]
	;; [unrolled: 1-line block ×4, first 2 shown]
	v_fma_f64 v[146:147], -v[134:135], v[160:161], 1.0
	v_fmac_f64_e32 v[160:161], v[146:147], v[160:161]
	v_fma_f64 v[146:147], -v[134:135], v[160:161], 1.0
	v_fmac_f64_e32 v[160:161], v[146:147], v[160:161]
	v_mul_f64 v[146:147], v[148:149], v[160:161]
	v_mul_f64 v[150:151], v[134:135], v[146:147]
	v_fma_f64 v[162:163], v[146:147], v[134:135], -v[150:151]
	v_fmac_f64_e32 v[162:163], v[146:147], v[132:133]
	v_add_f64 v[164:165], v[150:151], v[162:163]
	v_add_f64 v[166:167], v[148:149], -v[164:165]
	v_add_f64 v[148:149], v[148:149], -v[166:167]
	;; [unrolled: 1-line block ×4, first 2 shown]
	v_add_f64 v[144:145], v[144:145], v[148:149]
	v_add_f64 v[148:149], v[150:151], -v[162:163]
	v_add_f64 v[144:145], v[148:149], v[144:145]
	v_add_f64 v[148:149], v[166:167], v[144:145]
	v_add_f64 v[150:151], v[166:167], -v[148:149]
	v_add_f64 v[144:145], v[144:145], v[150:151]
	v_mul_f64 v[150:151], v[160:161], v[148:149]
	v_mul_f64 v[162:163], v[134:135], v[150:151]
	v_fma_f64 v[134:135], v[150:151], v[134:135], -v[162:163]
	v_fmac_f64_e32 v[134:135], v[150:151], v[132:133]
	v_add_f64 v[132:133], v[162:163], v[134:135]
	v_add_f64 v[164:165], v[148:149], -v[132:133]
	v_add_f64 v[148:149], v[148:149], -v[164:165]
	;; [unrolled: 1-line block ×4, first 2 shown]
	v_add_f64 v[132:133], v[144:145], v[132:133]
	v_add_f64 v[134:135], v[162:163], -v[134:135]
	v_add_f64 v[132:133], v[134:135], v[132:133]
	v_add_f64 v[134:135], v[146:147], v[150:151]
	v_add_f64 v[132:133], v[164:165], v[132:133]
	v_add_f64 v[144:145], v[134:135], -v[146:147]
	v_mul_f64 v[132:133], v[160:161], v[132:133]
	v_add_f64 v[144:145], v[150:151], -v[144:145]
	v_add_f64 v[132:133], v[144:145], v[132:133]
	v_add_f64 v[144:145], v[134:135], v[132:133]
	v_add_f64 v[134:135], v[144:145], -v[134:135]
	v_add_f64 v[132:133], v[132:133], -v[134:135]
	v_mul_f64 v[134:135], v[144:145], v[144:145]
	v_mov_b32_e32 v146, 0x6b47b09a
	v_mov_b32_e32 v147, 0x3fc38538
	v_fmac_f64_e32 v[146:147], s[2:3], v[134:135]
	v_mov_b32_e32 v148, 0xd7f4df2e
	v_mov_b32_e32 v149, 0x3fc7474d
	v_fmac_f64_e32 v[148:149], v[134:135], v[146:147]
	;; [unrolled: 3-line block ×6, first 2 shown]
	v_cvt_f64_i32_e32 v[146:147], v53
	s_mov_b32 s7, 0x3fe62e42
	v_mul_f64 v[150:151], v[146:147], s[6:7]
	v_fma_f64 v[160:161], v[146:147], s[6:7], -v[150:151]
	s_mov_b32 s13, 0x3c7abc9e
	v_fmac_f64_e32 v[160:161], s[12:13], v[146:147]
	v_add_f64 v[146:147], v[150:151], v[160:161]
	v_add_f64 v[150:151], v[146:147], -v[150:151]
	v_mul_f64 v[134:135], v[144:145], v[134:135]
	v_add_f64 v[150:151], v[160:161], -v[150:151]
	v_ldexp_f64 v[160:161], v[144:145], 1
	v_mul_f64 v[134:135], v[134:135], v[148:149]
	v_add_f64 v[144:145], v[160:161], v[134:135]
	v_add_f64 v[148:149], v[144:145], -v[160:161]
	v_ldexp_f64 v[132:133], v[132:133], 1
	v_add_f64 v[134:135], v[134:135], -v[148:149]
	v_add_f64 v[132:133], v[132:133], v[134:135]
	v_add_f64 v[134:135], v[144:145], v[132:133]
	v_add_f64 v[144:145], v[134:135], -v[144:145]
	v_add_f64 v[132:133], v[132:133], -v[144:145]
	v_add_f64 v[144:145], v[146:147], v[134:135]
	v_add_f64 v[148:149], v[144:145], -v[146:147]
	v_add_f64 v[160:161], v[144:145], -v[148:149]
	;; [unrolled: 1-line block ×4, first 2 shown]
	v_add_f64 v[134:135], v[134:135], v[146:147]
	v_add_f64 v[146:147], v[150:151], v[132:133]
	v_add_f64 v[148:149], v[146:147], -v[150:151]
	v_add_f64 v[134:135], v[146:147], v[134:135]
	v_add_f64 v[160:161], v[146:147], -v[148:149]
	;; [unrolled: 2-line block ×3, first 2 shown]
	v_add_f64 v[132:133], v[132:133], -v[148:149]
	v_add_f64 v[144:145], v[146:147], -v[144:145]
	v_add_f64 v[132:133], v[132:133], v[150:151]
	v_add_f64 v[134:135], v[134:135], -v[144:145]
	s_mov_b32 s2, 0
	v_add_f64 v[132:133], v[132:133], v[134:135]
	s_mov_b32 s3, 0x7ff00000
	v_add_f64 v[132:133], v[146:147], v[132:133]
	v_cmp_eq_f64_e32 vcc, s[2:3], v[10:11]
	s_nop 1
	v_cndmask_b32_e32 v53, v132, v10, vcc
	v_cndmask_b32_e32 v71, v133, v11, vcc
	v_mov_b32_e32 v132, 0x7ff80000
	v_cmp_ngt_f64_e32 vcc, -1.0, v[10:11]
	s_nop 1
	v_cndmask_b32_e32 v71, v132, v71, vcc
	v_cmp_nge_f64_e32 vcc, -1.0, v[10:11]
	s_nop 1
	v_cndmask_b32_e32 v132, 0, v53, vcc
	v_mov_b32_e32 v53, 0xfff00000
	v_cmp_neq_f64_e32 vcc, -1.0, v[10:11]
	s_nop 1
	v_cndmask_b32_e32 v133, v53, v71, vcc
	v_add_f64 v[10:11], v[12:13], v[132:133]
.LBB2_235:
	s_or_b64 exec, exec, s[4:5]
	v_max_f64 v[12:13], v[10:11], v[10:11]
	v_min_f64 v[132:133], v[12:13], v[14:15]
	v_cmp_u_f64_e32 vcc, v[10:11], v[10:11]
	v_max_f64 v[12:13], v[12:13], v[14:15]
	s_movk_i32 s12, 0x1f8
	v_cndmask_b32_e32 v53, v132, v10, vcc
	v_cndmask_b32_e32 v71, v133, v11, vcc
	;; [unrolled: 1-line block ×4, first 2 shown]
	v_cndmask_b32_e64 v133, v71, v101, s[8:9]
	v_cndmask_b32_e64 v132, v53, v100, s[8:9]
	;; [unrolled: 1-line block ×4, first 2 shown]
	v_cmp_neq_f64_e32 vcc, v[132:133], v[14:15]
	v_cmp_class_f64_e64 s[2:3], v[132:133], s12
	s_or_b64 s[2:3], vcc, s[2:3]
	v_mov_b64_e32 v[12:13], v[10:11]
	s_and_saveexec_b64 s[4:5], s[2:3]
	s_cbranch_execz .LBB2_237
; %bb.236:
	s_mov_b32 s2, 0x652b82fe
	v_add_f64 v[12:13], v[132:133], -v[14:15]
	s_mov_b32 s3, 0x3ff71547
	v_mul_f64 v[132:133], v[12:13], s[2:3]
	v_rndne_f64_e32 v[132:133], v[132:133]
	s_mov_b32 s7, 0xbfe62e42
	s_mov_b32 s6, 0xfefa39ef
	v_fma_f64 v[134:135], s[6:7], v[132:133], v[12:13]
	s_mov_b32 s9, 0xbc7abc9e
	s_mov_b32 s8, 0x3b39803f
	;; [unrolled: 1-line block ×3, first 2 shown]
	v_fmac_f64_e32 v[134:135], s[8:9], v[132:133]
	v_mov_b32_e32 v144, 0xfca7ab0c
	v_mov_b32_e32 v145, 0x3e928af3
	s_mov_b32 s3, 0x3e5ade15
	v_fmac_f64_e32 v[144:145], s[2:3], v[134:135]
	v_mov_b32_e32 v146, 0x623fde64
	v_mov_b32_e32 v147, 0x3ec71dee
	v_fmac_f64_e32 v[146:147], v[134:135], v[144:145]
	v_mov_b32_e32 v144, 0x7c89e6b0
	v_mov_b32_e32 v145, 0x3efa0199
	;; [unrolled: 3-line block ×8, first 2 shown]
	s_mov_b32 s2, 0
	v_fmac_f64_e32 v[144:145], v[134:135], v[146:147]
	s_mov_b32 s3, 0x40900000
	v_fma_f64 v[144:145], v[134:135], v[144:145], 1.0
	v_cmp_nlt_f64_e32 vcc, s[2:3], v[12:13]
	s_mov_b32 s2, 0
	v_fma_f64 v[134:135], v[134:135], v[144:145], 1.0
	v_cvt_i32_f64_e32 v53, v[132:133]
	s_mov_b32 s3, 0xc090cc00
	v_ldexp_f64 v[132:133], v[134:135], v53
	v_mov_b32_e32 v53, 0x7ff00000
	v_cmp_ngt_f64_e64 s[2:3], s[2:3], v[12:13]
	v_cndmask_b32_e32 v53, v53, v133, vcc
	s_and_b64 vcc, s[2:3], vcc
	v_cndmask_b32_e64 v13, 0, v53, s[2:3]
	v_cndmask_b32_e32 v12, 0, v132, vcc
	v_add_f64 v[132:133], v[12:13], 1.0
	v_add_f64 v[134:135], v[132:133], -1.0
	v_add_f64 v[144:145], v[134:135], -v[132:133]
	v_add_f64 v[144:145], v[144:145], 1.0
	v_add_f64 v[134:135], v[12:13], -v[134:135]
	s_mov_b32 s2, 0x55555555
	v_add_f64 v[134:135], v[134:135], v[144:145]
	v_frexp_mant_f64_e32 v[144:145], v[132:133]
	s_mov_b32 s3, 0x3fe55555
	v_frexp_exp_i32_f64_e32 v53, v[132:133]
	v_cmp_gt_f64_e32 vcc, s[2:3], v[144:145]
	s_mov_b32 s2, 0xbf559e2b
	s_mov_b32 s3, 0x3fc3ab76
	v_subbrev_co_u32_e32 v53, vcc, 0, v53, vcc
	v_sub_u32_e32 v71, 0, v53
	v_ldexp_f64 v[132:133], v[132:133], v71
	v_add_f64 v[144:145], v[132:133], -1.0
	v_add_f64 v[150:151], v[132:133], 1.0
	v_add_f64 v[146:147], v[144:145], 1.0
	v_add_f64 v[160:161], v[150:151], -1.0
	v_ldexp_f64 v[134:135], v[134:135], v71
	v_add_f64 v[146:147], v[132:133], -v[146:147]
	v_add_f64 v[132:133], v[132:133], -v[160:161]
	v_add_f64 v[132:133], v[134:135], v[132:133]
	v_add_f64 v[146:147], v[134:135], v[146:147]
	;; [unrolled: 1-line block ×3, first 2 shown]
	v_rcp_f64_e32 v[160:161], v[134:135]
	v_add_f64 v[148:149], v[144:145], v[146:147]
	v_add_f64 v[144:145], v[148:149], -v[144:145]
	v_add_f64 v[144:145], v[146:147], -v[144:145]
	;; [unrolled: 1-line block ×4, first 2 shown]
	v_fma_f64 v[146:147], -v[134:135], v[160:161], 1.0
	v_fmac_f64_e32 v[160:161], v[146:147], v[160:161]
	v_fma_f64 v[146:147], -v[134:135], v[160:161], 1.0
	v_fmac_f64_e32 v[160:161], v[146:147], v[160:161]
	v_mul_f64 v[146:147], v[148:149], v[160:161]
	v_mul_f64 v[150:151], v[134:135], v[146:147]
	v_fma_f64 v[162:163], v[146:147], v[134:135], -v[150:151]
	v_fmac_f64_e32 v[162:163], v[146:147], v[132:133]
	v_add_f64 v[164:165], v[150:151], v[162:163]
	v_add_f64 v[166:167], v[148:149], -v[164:165]
	v_add_f64 v[148:149], v[148:149], -v[166:167]
	;; [unrolled: 1-line block ×4, first 2 shown]
	v_add_f64 v[144:145], v[144:145], v[148:149]
	v_add_f64 v[148:149], v[150:151], -v[162:163]
	v_add_f64 v[144:145], v[148:149], v[144:145]
	v_add_f64 v[148:149], v[166:167], v[144:145]
	v_add_f64 v[150:151], v[166:167], -v[148:149]
	v_add_f64 v[144:145], v[144:145], v[150:151]
	v_mul_f64 v[150:151], v[160:161], v[148:149]
	v_mul_f64 v[162:163], v[134:135], v[150:151]
	v_fma_f64 v[134:135], v[150:151], v[134:135], -v[162:163]
	v_fmac_f64_e32 v[134:135], v[150:151], v[132:133]
	v_add_f64 v[132:133], v[162:163], v[134:135]
	v_add_f64 v[164:165], v[148:149], -v[132:133]
	v_add_f64 v[148:149], v[148:149], -v[164:165]
	;; [unrolled: 1-line block ×4, first 2 shown]
	v_add_f64 v[132:133], v[144:145], v[132:133]
	v_add_f64 v[134:135], v[162:163], -v[134:135]
	v_add_f64 v[132:133], v[134:135], v[132:133]
	v_add_f64 v[134:135], v[146:147], v[150:151]
	;; [unrolled: 1-line block ×3, first 2 shown]
	v_add_f64 v[144:145], v[134:135], -v[146:147]
	v_mul_f64 v[132:133], v[160:161], v[132:133]
	v_add_f64 v[144:145], v[150:151], -v[144:145]
	v_add_f64 v[132:133], v[144:145], v[132:133]
	v_add_f64 v[144:145], v[134:135], v[132:133]
	v_add_f64 v[134:135], v[144:145], -v[134:135]
	v_add_f64 v[132:133], v[132:133], -v[134:135]
	v_mul_f64 v[134:135], v[144:145], v[144:145]
	v_mov_b32_e32 v146, 0x6b47b09a
	v_mov_b32_e32 v147, 0x3fc38538
	v_fmac_f64_e32 v[146:147], s[2:3], v[134:135]
	v_mov_b32_e32 v148, 0xd7f4df2e
	v_mov_b32_e32 v149, 0x3fc7474d
	v_fmac_f64_e32 v[148:149], v[134:135], v[146:147]
	;; [unrolled: 3-line block ×6, first 2 shown]
	v_cvt_f64_i32_e32 v[146:147], v53
	s_mov_b32 s7, 0x3fe62e42
	v_mul_f64 v[150:151], v[146:147], s[6:7]
	v_fma_f64 v[160:161], v[146:147], s[6:7], -v[150:151]
	s_mov_b32 s9, 0x3c7abc9e
	v_fmac_f64_e32 v[160:161], s[8:9], v[146:147]
	v_add_f64 v[146:147], v[150:151], v[160:161]
	v_add_f64 v[150:151], v[146:147], -v[150:151]
	v_mul_f64 v[134:135], v[144:145], v[134:135]
	v_add_f64 v[150:151], v[160:161], -v[150:151]
	v_ldexp_f64 v[160:161], v[144:145], 1
	v_mul_f64 v[134:135], v[134:135], v[148:149]
	v_add_f64 v[144:145], v[160:161], v[134:135]
	v_add_f64 v[148:149], v[144:145], -v[160:161]
	v_ldexp_f64 v[132:133], v[132:133], 1
	v_add_f64 v[134:135], v[134:135], -v[148:149]
	v_add_f64 v[132:133], v[132:133], v[134:135]
	v_add_f64 v[134:135], v[144:145], v[132:133]
	v_add_f64 v[144:145], v[134:135], -v[144:145]
	v_add_f64 v[132:133], v[132:133], -v[144:145]
	v_add_f64 v[144:145], v[146:147], v[134:135]
	v_add_f64 v[148:149], v[144:145], -v[146:147]
	v_add_f64 v[160:161], v[144:145], -v[148:149]
	;; [unrolled: 1-line block ×4, first 2 shown]
	v_add_f64 v[134:135], v[134:135], v[146:147]
	v_add_f64 v[146:147], v[150:151], v[132:133]
	v_add_f64 v[148:149], v[146:147], -v[150:151]
	v_add_f64 v[134:135], v[146:147], v[134:135]
	v_add_f64 v[160:161], v[146:147], -v[148:149]
	;; [unrolled: 2-line block ×3, first 2 shown]
	v_add_f64 v[132:133], v[132:133], -v[148:149]
	v_add_f64 v[144:145], v[146:147], -v[144:145]
	v_add_f64 v[132:133], v[132:133], v[150:151]
	v_add_f64 v[134:135], v[134:135], -v[144:145]
	s_mov_b32 s2, 0
	v_add_f64 v[132:133], v[132:133], v[134:135]
	s_mov_b32 s3, 0x7ff00000
	v_add_f64 v[132:133], v[146:147], v[132:133]
	v_cmp_eq_f64_e32 vcc, s[2:3], v[12:13]
	s_nop 1
	v_cndmask_b32_e32 v53, v132, v12, vcc
	v_cndmask_b32_e32 v71, v133, v13, vcc
	v_mov_b32_e32 v132, 0x7ff80000
	v_cmp_ngt_f64_e32 vcc, -1.0, v[12:13]
	s_nop 1
	v_cndmask_b32_e32 v71, v132, v71, vcc
	v_cmp_nge_f64_e32 vcc, -1.0, v[12:13]
	s_nop 1
	v_cndmask_b32_e32 v132, 0, v53, vcc
	v_mov_b32_e32 v53, 0xfff00000
	v_cmp_neq_f64_e32 vcc, -1.0, v[12:13]
	s_nop 1
	v_cndmask_b32_e32 v133, v53, v71, vcc
	v_add_f64 v[12:13], v[14:15], v[132:133]
.LBB2_237:
	s_or_b64 exec, exec, s[4:5]
	v_max_f64 v[14:15], v[12:13], v[12:13]
	v_min_f64 v[132:133], v[14:15], v[16:17]
	v_cmp_u_f64_e32 vcc, v[12:13], v[12:13]
	v_max_f64 v[14:15], v[14:15], v[16:17]
	s_nop 0
	v_cndmask_b32_e32 v53, v132, v12, vcc
	v_cndmask_b32_e32 v71, v133, v13, vcc
	;; [unrolled: 1-line block ×4, first 2 shown]
	v_cndmask_b32_e64 v133, v71, v103, s[10:11]
	v_cndmask_b32_e64 v132, v53, v102, s[10:11]
	;; [unrolled: 1-line block ×4, first 2 shown]
	v_cmp_neq_f64_e32 vcc, v[132:133], v[16:17]
	v_cmp_class_f64_e64 s[2:3], v[132:133], s12
	s_or_b64 s[2:3], vcc, s[2:3]
	v_mov_b64_e32 v[14:15], v[12:13]
	s_and_saveexec_b64 s[4:5], s[2:3]
	s_cbranch_execz .LBB2_239
; %bb.238:
	s_mov_b32 s2, 0x652b82fe
	v_add_f64 v[14:15], v[132:133], -v[16:17]
	s_mov_b32 s3, 0x3ff71547
	v_mul_f64 v[132:133], v[14:15], s[2:3]
	v_rndne_f64_e32 v[132:133], v[132:133]
	s_mov_b32 s7, 0xbfe62e42
	s_mov_b32 s6, 0xfefa39ef
	v_fma_f64 v[134:135], s[6:7], v[132:133], v[14:15]
	s_mov_b32 s9, 0xbc7abc9e
	s_mov_b32 s8, 0x3b39803f
	s_mov_b32 s2, 0x6a5dcb37
	v_fmac_f64_e32 v[134:135], s[8:9], v[132:133]
	v_mov_b32_e32 v144, 0xfca7ab0c
	v_mov_b32_e32 v145, 0x3e928af3
	s_mov_b32 s3, 0x3e5ade15
	v_fmac_f64_e32 v[144:145], s[2:3], v[134:135]
	v_mov_b32_e32 v146, 0x623fde64
	v_mov_b32_e32 v147, 0x3ec71dee
	v_fmac_f64_e32 v[146:147], v[134:135], v[144:145]
	v_mov_b32_e32 v144, 0x7c89e6b0
	v_mov_b32_e32 v145, 0x3efa0199
	;; [unrolled: 3-line block ×8, first 2 shown]
	s_mov_b32 s2, 0
	v_fmac_f64_e32 v[144:145], v[134:135], v[146:147]
	s_mov_b32 s3, 0x40900000
	v_fma_f64 v[144:145], v[134:135], v[144:145], 1.0
	v_cmp_nlt_f64_e32 vcc, s[2:3], v[14:15]
	s_mov_b32 s2, 0
	v_fma_f64 v[134:135], v[134:135], v[144:145], 1.0
	v_cvt_i32_f64_e32 v53, v[132:133]
	s_mov_b32 s3, 0xc090cc00
	v_ldexp_f64 v[132:133], v[134:135], v53
	v_mov_b32_e32 v53, 0x7ff00000
	v_cmp_ngt_f64_e64 s[2:3], s[2:3], v[14:15]
	v_cndmask_b32_e32 v53, v53, v133, vcc
	s_and_b64 vcc, s[2:3], vcc
	v_cndmask_b32_e64 v15, 0, v53, s[2:3]
	v_cndmask_b32_e32 v14, 0, v132, vcc
	v_add_f64 v[132:133], v[14:15], 1.0
	v_add_f64 v[134:135], v[132:133], -1.0
	v_add_f64 v[144:145], v[134:135], -v[132:133]
	v_add_f64 v[144:145], v[144:145], 1.0
	v_add_f64 v[134:135], v[14:15], -v[134:135]
	s_mov_b32 s2, 0x55555555
	v_add_f64 v[134:135], v[134:135], v[144:145]
	v_frexp_mant_f64_e32 v[144:145], v[132:133]
	s_mov_b32 s3, 0x3fe55555
	v_frexp_exp_i32_f64_e32 v53, v[132:133]
	v_cmp_gt_f64_e32 vcc, s[2:3], v[144:145]
	s_mov_b32 s2, 0xbf559e2b
	s_mov_b32 s3, 0x3fc3ab76
	v_subbrev_co_u32_e32 v53, vcc, 0, v53, vcc
	v_sub_u32_e32 v71, 0, v53
	v_ldexp_f64 v[132:133], v[132:133], v71
	v_add_f64 v[144:145], v[132:133], -1.0
	v_add_f64 v[150:151], v[132:133], 1.0
	v_add_f64 v[146:147], v[144:145], 1.0
	v_add_f64 v[160:161], v[150:151], -1.0
	v_ldexp_f64 v[134:135], v[134:135], v71
	v_add_f64 v[146:147], v[132:133], -v[146:147]
	v_add_f64 v[132:133], v[132:133], -v[160:161]
	v_add_f64 v[132:133], v[134:135], v[132:133]
	v_add_f64 v[146:147], v[134:135], v[146:147]
	;; [unrolled: 1-line block ×3, first 2 shown]
	v_rcp_f64_e32 v[160:161], v[134:135]
	v_add_f64 v[148:149], v[144:145], v[146:147]
	v_add_f64 v[144:145], v[148:149], -v[144:145]
	v_add_f64 v[144:145], v[146:147], -v[144:145]
	;; [unrolled: 1-line block ×4, first 2 shown]
	v_fma_f64 v[146:147], -v[134:135], v[160:161], 1.0
	v_fmac_f64_e32 v[160:161], v[146:147], v[160:161]
	v_fma_f64 v[146:147], -v[134:135], v[160:161], 1.0
	v_fmac_f64_e32 v[160:161], v[146:147], v[160:161]
	v_mul_f64 v[146:147], v[148:149], v[160:161]
	v_mul_f64 v[150:151], v[134:135], v[146:147]
	v_fma_f64 v[162:163], v[146:147], v[134:135], -v[150:151]
	v_fmac_f64_e32 v[162:163], v[146:147], v[132:133]
	v_add_f64 v[164:165], v[150:151], v[162:163]
	v_add_f64 v[166:167], v[148:149], -v[164:165]
	v_add_f64 v[148:149], v[148:149], -v[166:167]
	v_add_f64 v[150:151], v[164:165], -v[150:151]
	v_add_f64 v[148:149], v[148:149], -v[164:165]
	v_add_f64 v[144:145], v[144:145], v[148:149]
	v_add_f64 v[148:149], v[150:151], -v[162:163]
	v_add_f64 v[144:145], v[148:149], v[144:145]
	v_add_f64 v[148:149], v[166:167], v[144:145]
	v_add_f64 v[150:151], v[166:167], -v[148:149]
	v_add_f64 v[144:145], v[144:145], v[150:151]
	v_mul_f64 v[150:151], v[160:161], v[148:149]
	v_mul_f64 v[162:163], v[134:135], v[150:151]
	v_fma_f64 v[134:135], v[150:151], v[134:135], -v[162:163]
	v_fmac_f64_e32 v[134:135], v[150:151], v[132:133]
	v_add_f64 v[132:133], v[162:163], v[134:135]
	v_add_f64 v[164:165], v[148:149], -v[132:133]
	v_add_f64 v[148:149], v[148:149], -v[164:165]
	;; [unrolled: 1-line block ×4, first 2 shown]
	v_add_f64 v[132:133], v[144:145], v[132:133]
	v_add_f64 v[134:135], v[162:163], -v[134:135]
	v_add_f64 v[132:133], v[134:135], v[132:133]
	v_add_f64 v[134:135], v[146:147], v[150:151]
	v_add_f64 v[132:133], v[164:165], v[132:133]
	v_add_f64 v[144:145], v[134:135], -v[146:147]
	v_mul_f64 v[132:133], v[160:161], v[132:133]
	v_add_f64 v[144:145], v[150:151], -v[144:145]
	v_add_f64 v[132:133], v[144:145], v[132:133]
	v_add_f64 v[144:145], v[134:135], v[132:133]
	v_add_f64 v[134:135], v[144:145], -v[134:135]
	v_add_f64 v[132:133], v[132:133], -v[134:135]
	v_mul_f64 v[134:135], v[144:145], v[144:145]
	v_mov_b32_e32 v146, 0x6b47b09a
	v_mov_b32_e32 v147, 0x3fc38538
	v_fmac_f64_e32 v[146:147], s[2:3], v[134:135]
	v_mov_b32_e32 v148, 0xd7f4df2e
	v_mov_b32_e32 v149, 0x3fc7474d
	v_fmac_f64_e32 v[148:149], v[134:135], v[146:147]
	;; [unrolled: 3-line block ×6, first 2 shown]
	v_cvt_f64_i32_e32 v[146:147], v53
	s_mov_b32 s7, 0x3fe62e42
	v_mul_f64 v[150:151], v[146:147], s[6:7]
	v_fma_f64 v[160:161], v[146:147], s[6:7], -v[150:151]
	s_mov_b32 s9, 0x3c7abc9e
	v_fmac_f64_e32 v[160:161], s[8:9], v[146:147]
	v_add_f64 v[146:147], v[150:151], v[160:161]
	v_add_f64 v[150:151], v[146:147], -v[150:151]
	v_mul_f64 v[134:135], v[144:145], v[134:135]
	v_add_f64 v[150:151], v[160:161], -v[150:151]
	v_ldexp_f64 v[160:161], v[144:145], 1
	v_mul_f64 v[134:135], v[134:135], v[148:149]
	v_add_f64 v[144:145], v[160:161], v[134:135]
	v_add_f64 v[148:149], v[144:145], -v[160:161]
	v_ldexp_f64 v[132:133], v[132:133], 1
	v_add_f64 v[134:135], v[134:135], -v[148:149]
	v_add_f64 v[132:133], v[132:133], v[134:135]
	v_add_f64 v[134:135], v[144:145], v[132:133]
	v_add_f64 v[144:145], v[134:135], -v[144:145]
	v_add_f64 v[132:133], v[132:133], -v[144:145]
	v_add_f64 v[144:145], v[146:147], v[134:135]
	v_add_f64 v[148:149], v[144:145], -v[146:147]
	v_add_f64 v[160:161], v[144:145], -v[148:149]
	;; [unrolled: 1-line block ×4, first 2 shown]
	v_add_f64 v[134:135], v[134:135], v[146:147]
	v_add_f64 v[146:147], v[150:151], v[132:133]
	v_add_f64 v[148:149], v[146:147], -v[150:151]
	v_add_f64 v[134:135], v[146:147], v[134:135]
	v_add_f64 v[160:161], v[146:147], -v[148:149]
	;; [unrolled: 2-line block ×3, first 2 shown]
	v_add_f64 v[132:133], v[132:133], -v[148:149]
	v_add_f64 v[144:145], v[146:147], -v[144:145]
	v_add_f64 v[132:133], v[132:133], v[150:151]
	v_add_f64 v[134:135], v[134:135], -v[144:145]
	s_mov_b32 s2, 0
	v_add_f64 v[132:133], v[132:133], v[134:135]
	s_mov_b32 s3, 0x7ff00000
	v_add_f64 v[132:133], v[146:147], v[132:133]
	v_cmp_eq_f64_e32 vcc, s[2:3], v[14:15]
	s_nop 1
	v_cndmask_b32_e32 v53, v132, v14, vcc
	v_cndmask_b32_e32 v71, v133, v15, vcc
	v_mov_b32_e32 v132, 0x7ff80000
	v_cmp_ngt_f64_e32 vcc, -1.0, v[14:15]
	s_nop 1
	v_cndmask_b32_e32 v71, v132, v71, vcc
	v_cmp_nge_f64_e32 vcc, -1.0, v[14:15]
	s_nop 1
	v_cndmask_b32_e32 v132, 0, v53, vcc
	v_mov_b32_e32 v53, 0xfff00000
	v_cmp_neq_f64_e32 vcc, -1.0, v[14:15]
	s_nop 1
	v_cndmask_b32_e32 v133, v53, v71, vcc
	v_add_f64 v[14:15], v[16:17], v[132:133]
.LBB2_239:
	s_or_b64 exec, exec, s[4:5]
	v_max_f64 v[16:17], v[14:15], v[14:15]
	v_min_f64 v[132:133], v[16:17], v[18:19]
	v_cmp_u_f64_e32 vcc, v[14:15], v[14:15]
	v_max_f64 v[16:17], v[16:17], v[18:19]
	s_movk_i32 s10, 0x1f8
	v_cndmask_b32_e32 v53, v132, v14, vcc
	v_cndmask_b32_e32 v71, v133, v15, vcc
	;; [unrolled: 1-line block ×4, first 2 shown]
	v_cndmask_b32_e64 v133, v71, v97, s[42:43]
	v_cndmask_b32_e64 v132, v53, v96, s[42:43]
	;; [unrolled: 1-line block ×4, first 2 shown]
	v_cmp_neq_f64_e32 vcc, v[132:133], v[18:19]
	v_cmp_class_f64_e64 s[2:3], v[132:133], s10
	s_or_b64 s[2:3], vcc, s[2:3]
	v_mov_b64_e32 v[16:17], v[14:15]
	s_and_saveexec_b64 s[4:5], s[2:3]
	s_cbranch_execz .LBB2_241
; %bb.240:
	s_mov_b32 s2, 0x652b82fe
	v_add_f64 v[16:17], v[132:133], -v[18:19]
	s_mov_b32 s3, 0x3ff71547
	v_mul_f64 v[132:133], v[16:17], s[2:3]
	v_rndne_f64_e32 v[132:133], v[132:133]
	s_mov_b32 s7, 0xbfe62e42
	s_mov_b32 s6, 0xfefa39ef
	v_fma_f64 v[134:135], s[6:7], v[132:133], v[16:17]
	s_mov_b32 s9, 0xbc7abc9e
	s_mov_b32 s8, 0x3b39803f
	;; [unrolled: 1-line block ×3, first 2 shown]
	v_fmac_f64_e32 v[134:135], s[8:9], v[132:133]
	v_mov_b32_e32 v144, 0xfca7ab0c
	v_mov_b32_e32 v145, 0x3e928af3
	s_mov_b32 s3, 0x3e5ade15
	v_fmac_f64_e32 v[144:145], s[2:3], v[134:135]
	v_mov_b32_e32 v146, 0x623fde64
	v_mov_b32_e32 v147, 0x3ec71dee
	v_fmac_f64_e32 v[146:147], v[134:135], v[144:145]
	v_mov_b32_e32 v144, 0x7c89e6b0
	v_mov_b32_e32 v145, 0x3efa0199
	v_fmac_f64_e32 v[144:145], v[134:135], v[146:147]
	v_mov_b32_e32 v146, 0x14761f6e
	v_mov_b32_e32 v147, 0x3f2a01a0
	v_fmac_f64_e32 v[146:147], v[134:135], v[144:145]
	v_mov_b32_e32 v144, 0x1852b7b0
	v_mov_b32_e32 v145, 0x3f56c16c
	v_fmac_f64_e32 v[144:145], v[134:135], v[146:147]
	v_mov_b32_e32 v146, 0x11122322
	v_mov_b32_e32 v147, 0x3f811111
	v_fmac_f64_e32 v[146:147], v[134:135], v[144:145]
	v_mov_b32_e32 v144, 0x555502a1
	v_mov_b32_e32 v145, 0x3fa55555
	v_fmac_f64_e32 v[144:145], v[134:135], v[146:147]
	v_mov_b32_e32 v146, 0x55555511
	v_mov_b32_e32 v147, 0x3fc55555
	v_fmac_f64_e32 v[146:147], v[134:135], v[144:145]
	v_mov_b32_e32 v144, 11
	v_mov_b32_e32 v145, 0x3fe00000
	s_mov_b32 s2, 0
	v_fmac_f64_e32 v[144:145], v[134:135], v[146:147]
	s_mov_b32 s3, 0x40900000
	v_fma_f64 v[144:145], v[134:135], v[144:145], 1.0
	v_cmp_nlt_f64_e32 vcc, s[2:3], v[16:17]
	s_mov_b32 s2, 0
	v_fma_f64 v[134:135], v[134:135], v[144:145], 1.0
	v_cvt_i32_f64_e32 v53, v[132:133]
	s_mov_b32 s3, 0xc090cc00
	v_ldexp_f64 v[132:133], v[134:135], v53
	v_mov_b32_e32 v53, 0x7ff00000
	v_cmp_ngt_f64_e64 s[2:3], s[2:3], v[16:17]
	v_cndmask_b32_e32 v53, v53, v133, vcc
	s_and_b64 vcc, s[2:3], vcc
	v_cndmask_b32_e64 v17, 0, v53, s[2:3]
	v_cndmask_b32_e32 v16, 0, v132, vcc
	v_add_f64 v[132:133], v[16:17], 1.0
	v_add_f64 v[134:135], v[132:133], -1.0
	v_add_f64 v[144:145], v[134:135], -v[132:133]
	v_add_f64 v[144:145], v[144:145], 1.0
	v_add_f64 v[134:135], v[16:17], -v[134:135]
	s_mov_b32 s2, 0x55555555
	v_add_f64 v[134:135], v[134:135], v[144:145]
	v_frexp_mant_f64_e32 v[144:145], v[132:133]
	s_mov_b32 s3, 0x3fe55555
	v_frexp_exp_i32_f64_e32 v53, v[132:133]
	v_cmp_gt_f64_e32 vcc, s[2:3], v[144:145]
	s_mov_b32 s2, 0xbf559e2b
	s_mov_b32 s3, 0x3fc3ab76
	v_subbrev_co_u32_e32 v53, vcc, 0, v53, vcc
	v_sub_u32_e32 v71, 0, v53
	v_ldexp_f64 v[132:133], v[132:133], v71
	v_add_f64 v[144:145], v[132:133], -1.0
	v_add_f64 v[150:151], v[132:133], 1.0
	v_add_f64 v[146:147], v[144:145], 1.0
	v_add_f64 v[160:161], v[150:151], -1.0
	v_ldexp_f64 v[134:135], v[134:135], v71
	v_add_f64 v[146:147], v[132:133], -v[146:147]
	v_add_f64 v[132:133], v[132:133], -v[160:161]
	v_add_f64 v[132:133], v[134:135], v[132:133]
	v_add_f64 v[146:147], v[134:135], v[146:147]
	;; [unrolled: 1-line block ×3, first 2 shown]
	v_rcp_f64_e32 v[160:161], v[134:135]
	v_add_f64 v[148:149], v[144:145], v[146:147]
	v_add_f64 v[144:145], v[148:149], -v[144:145]
	v_add_f64 v[144:145], v[146:147], -v[144:145]
	v_add_f64 v[146:147], v[134:135], -v[150:151]
	v_add_f64 v[132:133], v[132:133], -v[146:147]
	v_fma_f64 v[146:147], -v[134:135], v[160:161], 1.0
	v_fmac_f64_e32 v[160:161], v[146:147], v[160:161]
	v_fma_f64 v[146:147], -v[134:135], v[160:161], 1.0
	v_fmac_f64_e32 v[160:161], v[146:147], v[160:161]
	v_mul_f64 v[146:147], v[148:149], v[160:161]
	v_mul_f64 v[150:151], v[134:135], v[146:147]
	v_fma_f64 v[162:163], v[146:147], v[134:135], -v[150:151]
	v_fmac_f64_e32 v[162:163], v[146:147], v[132:133]
	v_add_f64 v[164:165], v[150:151], v[162:163]
	v_add_f64 v[166:167], v[148:149], -v[164:165]
	v_add_f64 v[148:149], v[148:149], -v[166:167]
	;; [unrolled: 1-line block ×4, first 2 shown]
	v_add_f64 v[144:145], v[144:145], v[148:149]
	v_add_f64 v[148:149], v[150:151], -v[162:163]
	v_add_f64 v[144:145], v[148:149], v[144:145]
	v_add_f64 v[148:149], v[166:167], v[144:145]
	v_add_f64 v[150:151], v[166:167], -v[148:149]
	v_add_f64 v[144:145], v[144:145], v[150:151]
	v_mul_f64 v[150:151], v[160:161], v[148:149]
	v_mul_f64 v[162:163], v[134:135], v[150:151]
	v_fma_f64 v[134:135], v[150:151], v[134:135], -v[162:163]
	v_fmac_f64_e32 v[134:135], v[150:151], v[132:133]
	v_add_f64 v[132:133], v[162:163], v[134:135]
	v_add_f64 v[164:165], v[148:149], -v[132:133]
	v_add_f64 v[148:149], v[148:149], -v[164:165]
	;; [unrolled: 1-line block ×4, first 2 shown]
	v_add_f64 v[132:133], v[144:145], v[132:133]
	v_add_f64 v[134:135], v[162:163], -v[134:135]
	v_add_f64 v[132:133], v[134:135], v[132:133]
	v_add_f64 v[134:135], v[146:147], v[150:151]
	;; [unrolled: 1-line block ×3, first 2 shown]
	v_add_f64 v[144:145], v[134:135], -v[146:147]
	v_mul_f64 v[132:133], v[160:161], v[132:133]
	v_add_f64 v[144:145], v[150:151], -v[144:145]
	v_add_f64 v[132:133], v[144:145], v[132:133]
	v_add_f64 v[144:145], v[134:135], v[132:133]
	v_add_f64 v[134:135], v[144:145], -v[134:135]
	v_add_f64 v[132:133], v[132:133], -v[134:135]
	v_mul_f64 v[134:135], v[144:145], v[144:145]
	v_mov_b32_e32 v146, 0x6b47b09a
	v_mov_b32_e32 v147, 0x3fc38538
	v_fmac_f64_e32 v[146:147], s[2:3], v[134:135]
	v_mov_b32_e32 v148, 0xd7f4df2e
	v_mov_b32_e32 v149, 0x3fc7474d
	v_fmac_f64_e32 v[148:149], v[134:135], v[146:147]
	;; [unrolled: 3-line block ×6, first 2 shown]
	v_cvt_f64_i32_e32 v[146:147], v53
	s_mov_b32 s7, 0x3fe62e42
	v_mul_f64 v[150:151], v[146:147], s[6:7]
	v_fma_f64 v[160:161], v[146:147], s[6:7], -v[150:151]
	s_mov_b32 s9, 0x3c7abc9e
	v_fmac_f64_e32 v[160:161], s[8:9], v[146:147]
	v_add_f64 v[146:147], v[150:151], v[160:161]
	v_add_f64 v[150:151], v[146:147], -v[150:151]
	v_mul_f64 v[134:135], v[144:145], v[134:135]
	v_add_f64 v[150:151], v[160:161], -v[150:151]
	v_ldexp_f64 v[160:161], v[144:145], 1
	v_mul_f64 v[134:135], v[134:135], v[148:149]
	v_add_f64 v[144:145], v[160:161], v[134:135]
	v_add_f64 v[148:149], v[144:145], -v[160:161]
	v_ldexp_f64 v[132:133], v[132:133], 1
	v_add_f64 v[134:135], v[134:135], -v[148:149]
	v_add_f64 v[132:133], v[132:133], v[134:135]
	v_add_f64 v[134:135], v[144:145], v[132:133]
	v_add_f64 v[144:145], v[134:135], -v[144:145]
	v_add_f64 v[132:133], v[132:133], -v[144:145]
	v_add_f64 v[144:145], v[146:147], v[134:135]
	v_add_f64 v[148:149], v[144:145], -v[146:147]
	v_add_f64 v[160:161], v[144:145], -v[148:149]
	;; [unrolled: 1-line block ×4, first 2 shown]
	v_add_f64 v[134:135], v[134:135], v[146:147]
	v_add_f64 v[146:147], v[150:151], v[132:133]
	v_add_f64 v[148:149], v[146:147], -v[150:151]
	v_add_f64 v[134:135], v[146:147], v[134:135]
	v_add_f64 v[160:161], v[146:147], -v[148:149]
	;; [unrolled: 2-line block ×3, first 2 shown]
	v_add_f64 v[132:133], v[132:133], -v[148:149]
	v_add_f64 v[144:145], v[146:147], -v[144:145]
	v_add_f64 v[132:133], v[132:133], v[150:151]
	v_add_f64 v[134:135], v[134:135], -v[144:145]
	s_mov_b32 s2, 0
	v_add_f64 v[132:133], v[132:133], v[134:135]
	s_mov_b32 s3, 0x7ff00000
	v_add_f64 v[132:133], v[146:147], v[132:133]
	v_cmp_eq_f64_e32 vcc, s[2:3], v[16:17]
	s_nop 1
	v_cndmask_b32_e32 v53, v132, v16, vcc
	v_cndmask_b32_e32 v71, v133, v17, vcc
	v_mov_b32_e32 v132, 0x7ff80000
	v_cmp_ngt_f64_e32 vcc, -1.0, v[16:17]
	s_nop 1
	v_cndmask_b32_e32 v71, v132, v71, vcc
	v_cmp_nge_f64_e32 vcc, -1.0, v[16:17]
	s_nop 1
	v_cndmask_b32_e32 v132, 0, v53, vcc
	v_mov_b32_e32 v53, 0xfff00000
	v_cmp_neq_f64_e32 vcc, -1.0, v[16:17]
	s_nop 1
	v_cndmask_b32_e32 v133, v53, v71, vcc
	v_add_f64 v[16:17], v[18:19], v[132:133]
.LBB2_241:
	s_or_b64 exec, exec, s[4:5]
	v_max_f64 v[18:19], v[16:17], v[16:17]
	v_min_f64 v[132:133], v[18:19], v[20:21]
	v_cmp_u_f64_e32 vcc, v[16:17], v[16:17]
	v_max_f64 v[18:19], v[18:19], v[20:21]
	s_nop 0
	v_cndmask_b32_e32 v53, v132, v16, vcc
	v_cndmask_b32_e32 v71, v133, v17, vcc
	;; [unrolled: 1-line block ×4, first 2 shown]
	v_cndmask_b32_e64 v133, v71, v99, s[14:15]
	v_cndmask_b32_e64 v132, v53, v98, s[14:15]
	;; [unrolled: 1-line block ×4, first 2 shown]
	v_cmp_neq_f64_e32 vcc, v[132:133], v[20:21]
	v_cmp_class_f64_e64 s[2:3], v[132:133], s10
	s_or_b64 s[2:3], vcc, s[2:3]
	v_mov_b64_e32 v[18:19], v[16:17]
	s_and_saveexec_b64 s[4:5], s[2:3]
	s_cbranch_execz .LBB2_243
; %bb.242:
	s_mov_b32 s2, 0x652b82fe
	v_add_f64 v[18:19], v[132:133], -v[20:21]
	s_mov_b32 s3, 0x3ff71547
	v_mul_f64 v[132:133], v[18:19], s[2:3]
	v_rndne_f64_e32 v[132:133], v[132:133]
	s_mov_b32 s7, 0xbfe62e42
	s_mov_b32 s6, 0xfefa39ef
	v_fma_f64 v[134:135], s[6:7], v[132:133], v[18:19]
	s_mov_b32 s9, 0xbc7abc9e
	s_mov_b32 s8, 0x3b39803f
	;; [unrolled: 1-line block ×3, first 2 shown]
	v_fmac_f64_e32 v[134:135], s[8:9], v[132:133]
	v_mov_b32_e32 v144, 0xfca7ab0c
	v_mov_b32_e32 v145, 0x3e928af3
	s_mov_b32 s3, 0x3e5ade15
	v_fmac_f64_e32 v[144:145], s[2:3], v[134:135]
	v_mov_b32_e32 v146, 0x623fde64
	v_mov_b32_e32 v147, 0x3ec71dee
	v_fmac_f64_e32 v[146:147], v[134:135], v[144:145]
	v_mov_b32_e32 v144, 0x7c89e6b0
	v_mov_b32_e32 v145, 0x3efa0199
	;; [unrolled: 3-line block ×8, first 2 shown]
	s_mov_b32 s2, 0
	v_fmac_f64_e32 v[144:145], v[134:135], v[146:147]
	s_mov_b32 s3, 0x40900000
	v_fma_f64 v[144:145], v[134:135], v[144:145], 1.0
	v_cmp_nlt_f64_e32 vcc, s[2:3], v[18:19]
	s_mov_b32 s2, 0
	v_fma_f64 v[134:135], v[134:135], v[144:145], 1.0
	v_cvt_i32_f64_e32 v53, v[132:133]
	s_mov_b32 s3, 0xc090cc00
	v_ldexp_f64 v[132:133], v[134:135], v53
	v_mov_b32_e32 v53, 0x7ff00000
	v_cmp_ngt_f64_e64 s[2:3], s[2:3], v[18:19]
	v_cndmask_b32_e32 v53, v53, v133, vcc
	s_and_b64 vcc, s[2:3], vcc
	v_cndmask_b32_e64 v19, 0, v53, s[2:3]
	v_cndmask_b32_e32 v18, 0, v132, vcc
	v_add_f64 v[132:133], v[18:19], 1.0
	v_add_f64 v[134:135], v[132:133], -1.0
	v_add_f64 v[144:145], v[134:135], -v[132:133]
	v_add_f64 v[144:145], v[144:145], 1.0
	v_add_f64 v[134:135], v[18:19], -v[134:135]
	s_mov_b32 s2, 0x55555555
	v_add_f64 v[134:135], v[134:135], v[144:145]
	v_frexp_mant_f64_e32 v[144:145], v[132:133]
	s_mov_b32 s3, 0x3fe55555
	v_frexp_exp_i32_f64_e32 v53, v[132:133]
	v_cmp_gt_f64_e32 vcc, s[2:3], v[144:145]
	s_mov_b32 s2, 0xbf559e2b
	s_mov_b32 s3, 0x3fc3ab76
	v_subbrev_co_u32_e32 v53, vcc, 0, v53, vcc
	v_sub_u32_e32 v71, 0, v53
	v_ldexp_f64 v[132:133], v[132:133], v71
	v_add_f64 v[144:145], v[132:133], -1.0
	v_add_f64 v[150:151], v[132:133], 1.0
	v_add_f64 v[146:147], v[144:145], 1.0
	v_add_f64 v[160:161], v[150:151], -1.0
	v_ldexp_f64 v[134:135], v[134:135], v71
	v_add_f64 v[146:147], v[132:133], -v[146:147]
	v_add_f64 v[132:133], v[132:133], -v[160:161]
	v_add_f64 v[132:133], v[134:135], v[132:133]
	v_add_f64 v[146:147], v[134:135], v[146:147]
	v_add_f64 v[134:135], v[150:151], v[132:133]
	v_rcp_f64_e32 v[160:161], v[134:135]
	v_add_f64 v[148:149], v[144:145], v[146:147]
	v_add_f64 v[144:145], v[148:149], -v[144:145]
	v_add_f64 v[144:145], v[146:147], -v[144:145]
	;; [unrolled: 1-line block ×4, first 2 shown]
	v_fma_f64 v[146:147], -v[134:135], v[160:161], 1.0
	v_fmac_f64_e32 v[160:161], v[146:147], v[160:161]
	v_fma_f64 v[146:147], -v[134:135], v[160:161], 1.0
	v_fmac_f64_e32 v[160:161], v[146:147], v[160:161]
	v_mul_f64 v[146:147], v[148:149], v[160:161]
	v_mul_f64 v[150:151], v[134:135], v[146:147]
	v_fma_f64 v[162:163], v[146:147], v[134:135], -v[150:151]
	v_fmac_f64_e32 v[162:163], v[146:147], v[132:133]
	v_add_f64 v[164:165], v[150:151], v[162:163]
	v_add_f64 v[166:167], v[148:149], -v[164:165]
	v_add_f64 v[148:149], v[148:149], -v[166:167]
	;; [unrolled: 1-line block ×4, first 2 shown]
	v_add_f64 v[144:145], v[144:145], v[148:149]
	v_add_f64 v[148:149], v[150:151], -v[162:163]
	v_add_f64 v[144:145], v[148:149], v[144:145]
	v_add_f64 v[148:149], v[166:167], v[144:145]
	v_add_f64 v[150:151], v[166:167], -v[148:149]
	v_add_f64 v[144:145], v[144:145], v[150:151]
	v_mul_f64 v[150:151], v[160:161], v[148:149]
	v_mul_f64 v[162:163], v[134:135], v[150:151]
	v_fma_f64 v[134:135], v[150:151], v[134:135], -v[162:163]
	v_fmac_f64_e32 v[134:135], v[150:151], v[132:133]
	v_add_f64 v[132:133], v[162:163], v[134:135]
	v_add_f64 v[164:165], v[148:149], -v[132:133]
	v_add_f64 v[148:149], v[148:149], -v[164:165]
	;; [unrolled: 1-line block ×4, first 2 shown]
	v_add_f64 v[132:133], v[144:145], v[132:133]
	v_add_f64 v[134:135], v[162:163], -v[134:135]
	v_add_f64 v[132:133], v[134:135], v[132:133]
	v_add_f64 v[134:135], v[146:147], v[150:151]
	;; [unrolled: 1-line block ×3, first 2 shown]
	v_add_f64 v[144:145], v[134:135], -v[146:147]
	v_mul_f64 v[132:133], v[160:161], v[132:133]
	v_add_f64 v[144:145], v[150:151], -v[144:145]
	v_add_f64 v[132:133], v[144:145], v[132:133]
	v_add_f64 v[144:145], v[134:135], v[132:133]
	v_add_f64 v[134:135], v[144:145], -v[134:135]
	v_add_f64 v[132:133], v[132:133], -v[134:135]
	v_mul_f64 v[134:135], v[144:145], v[144:145]
	v_mov_b32_e32 v146, 0x6b47b09a
	v_mov_b32_e32 v147, 0x3fc38538
	v_fmac_f64_e32 v[146:147], s[2:3], v[134:135]
	v_mov_b32_e32 v148, 0xd7f4df2e
	v_mov_b32_e32 v149, 0x3fc7474d
	v_fmac_f64_e32 v[148:149], v[134:135], v[146:147]
	;; [unrolled: 3-line block ×6, first 2 shown]
	v_cvt_f64_i32_e32 v[146:147], v53
	s_mov_b32 s7, 0x3fe62e42
	v_mul_f64 v[150:151], v[146:147], s[6:7]
	v_fma_f64 v[160:161], v[146:147], s[6:7], -v[150:151]
	s_mov_b32 s9, 0x3c7abc9e
	v_fmac_f64_e32 v[160:161], s[8:9], v[146:147]
	v_add_f64 v[146:147], v[150:151], v[160:161]
	v_add_f64 v[150:151], v[146:147], -v[150:151]
	v_mul_f64 v[134:135], v[144:145], v[134:135]
	v_add_f64 v[150:151], v[160:161], -v[150:151]
	v_ldexp_f64 v[160:161], v[144:145], 1
	v_mul_f64 v[134:135], v[134:135], v[148:149]
	v_add_f64 v[144:145], v[160:161], v[134:135]
	v_add_f64 v[148:149], v[144:145], -v[160:161]
	v_ldexp_f64 v[132:133], v[132:133], 1
	v_add_f64 v[134:135], v[134:135], -v[148:149]
	v_add_f64 v[132:133], v[132:133], v[134:135]
	v_add_f64 v[134:135], v[144:145], v[132:133]
	v_add_f64 v[144:145], v[134:135], -v[144:145]
	v_add_f64 v[132:133], v[132:133], -v[144:145]
	v_add_f64 v[144:145], v[146:147], v[134:135]
	v_add_f64 v[148:149], v[144:145], -v[146:147]
	v_add_f64 v[160:161], v[144:145], -v[148:149]
	v_add_f64 v[146:147], v[146:147], -v[160:161]
	v_add_f64 v[134:135], v[134:135], -v[148:149]
	v_add_f64 v[134:135], v[134:135], v[146:147]
	v_add_f64 v[146:147], v[150:151], v[132:133]
	v_add_f64 v[148:149], v[146:147], -v[150:151]
	v_add_f64 v[134:135], v[146:147], v[134:135]
	v_add_f64 v[160:161], v[146:147], -v[148:149]
	;; [unrolled: 2-line block ×3, first 2 shown]
	v_add_f64 v[132:133], v[132:133], -v[148:149]
	v_add_f64 v[144:145], v[146:147], -v[144:145]
	v_add_f64 v[132:133], v[132:133], v[150:151]
	v_add_f64 v[134:135], v[134:135], -v[144:145]
	s_mov_b32 s2, 0
	v_add_f64 v[132:133], v[132:133], v[134:135]
	s_mov_b32 s3, 0x7ff00000
	v_add_f64 v[132:133], v[146:147], v[132:133]
	v_cmp_eq_f64_e32 vcc, s[2:3], v[18:19]
	s_nop 1
	v_cndmask_b32_e32 v53, v132, v18, vcc
	v_cndmask_b32_e32 v71, v133, v19, vcc
	v_mov_b32_e32 v132, 0x7ff80000
	v_cmp_ngt_f64_e32 vcc, -1.0, v[18:19]
	s_nop 1
	v_cndmask_b32_e32 v71, v132, v71, vcc
	v_cmp_nge_f64_e32 vcc, -1.0, v[18:19]
	s_nop 1
	v_cndmask_b32_e32 v132, 0, v53, vcc
	v_mov_b32_e32 v53, 0xfff00000
	v_cmp_neq_f64_e32 vcc, -1.0, v[18:19]
	s_nop 1
	v_cndmask_b32_e32 v133, v53, v71, vcc
	v_add_f64 v[18:19], v[20:21], v[132:133]
.LBB2_243:
	s_or_b64 exec, exec, s[4:5]
	v_max_f64 v[20:21], v[18:19], v[18:19]
	v_min_f64 v[132:133], v[20:21], v[22:23]
	v_cmp_u_f64_e32 vcc, v[18:19], v[18:19]
	v_max_f64 v[20:21], v[20:21], v[22:23]
	s_nop 0
	v_cndmask_b32_e32 v53, v132, v18, vcc
	v_cndmask_b32_e32 v71, v133, v19, vcc
	;; [unrolled: 1-line block ×4, first 2 shown]
	v_cndmask_b32_e64 v133, v71, v85, s[16:17]
	v_cndmask_b32_e64 v132, v53, v84, s[16:17]
	;; [unrolled: 1-line block ×4, first 2 shown]
	v_cmp_neq_f64_e32 vcc, v[132:133], v[22:23]
	v_cmp_class_f64_e64 s[2:3], v[132:133], s10
	s_or_b64 s[2:3], vcc, s[2:3]
	v_mov_b64_e32 v[20:21], v[18:19]
	s_and_saveexec_b64 s[4:5], s[2:3]
	s_cbranch_execz .LBB2_245
; %bb.244:
	s_mov_b32 s2, 0x652b82fe
	v_add_f64 v[20:21], v[132:133], -v[22:23]
	s_mov_b32 s3, 0x3ff71547
	v_mul_f64 v[132:133], v[20:21], s[2:3]
	v_rndne_f64_e32 v[132:133], v[132:133]
	s_mov_b32 s7, 0xbfe62e42
	s_mov_b32 s6, 0xfefa39ef
	v_fma_f64 v[134:135], s[6:7], v[132:133], v[20:21]
	s_mov_b32 s9, 0xbc7abc9e
	s_mov_b32 s8, 0x3b39803f
	;; [unrolled: 1-line block ×3, first 2 shown]
	v_fmac_f64_e32 v[134:135], s[8:9], v[132:133]
	v_mov_b32_e32 v144, 0xfca7ab0c
	v_mov_b32_e32 v145, 0x3e928af3
	s_mov_b32 s3, 0x3e5ade15
	v_fmac_f64_e32 v[144:145], s[2:3], v[134:135]
	v_mov_b32_e32 v146, 0x623fde64
	v_mov_b32_e32 v147, 0x3ec71dee
	v_fmac_f64_e32 v[146:147], v[134:135], v[144:145]
	v_mov_b32_e32 v144, 0x7c89e6b0
	v_mov_b32_e32 v145, 0x3efa0199
	;; [unrolled: 3-line block ×8, first 2 shown]
	s_mov_b32 s2, 0
	v_fmac_f64_e32 v[144:145], v[134:135], v[146:147]
	s_mov_b32 s3, 0x40900000
	v_fma_f64 v[144:145], v[134:135], v[144:145], 1.0
	v_cmp_nlt_f64_e32 vcc, s[2:3], v[20:21]
	s_mov_b32 s2, 0
	v_fma_f64 v[134:135], v[134:135], v[144:145], 1.0
	v_cvt_i32_f64_e32 v53, v[132:133]
	s_mov_b32 s3, 0xc090cc00
	v_ldexp_f64 v[132:133], v[134:135], v53
	v_mov_b32_e32 v53, 0x7ff00000
	v_cmp_ngt_f64_e64 s[2:3], s[2:3], v[20:21]
	v_cndmask_b32_e32 v53, v53, v133, vcc
	s_and_b64 vcc, s[2:3], vcc
	v_cndmask_b32_e64 v21, 0, v53, s[2:3]
	v_cndmask_b32_e32 v20, 0, v132, vcc
	v_add_f64 v[132:133], v[20:21], 1.0
	v_add_f64 v[134:135], v[132:133], -1.0
	v_add_f64 v[144:145], v[134:135], -v[132:133]
	v_add_f64 v[144:145], v[144:145], 1.0
	v_add_f64 v[134:135], v[20:21], -v[134:135]
	s_mov_b32 s2, 0x55555555
	v_add_f64 v[134:135], v[134:135], v[144:145]
	v_frexp_mant_f64_e32 v[144:145], v[132:133]
	s_mov_b32 s3, 0x3fe55555
	v_frexp_exp_i32_f64_e32 v53, v[132:133]
	v_cmp_gt_f64_e32 vcc, s[2:3], v[144:145]
	s_mov_b32 s2, 0xbf559e2b
	s_mov_b32 s3, 0x3fc3ab76
	v_subbrev_co_u32_e32 v53, vcc, 0, v53, vcc
	v_sub_u32_e32 v71, 0, v53
	v_ldexp_f64 v[132:133], v[132:133], v71
	v_add_f64 v[144:145], v[132:133], -1.0
	v_add_f64 v[150:151], v[132:133], 1.0
	v_add_f64 v[146:147], v[144:145], 1.0
	v_add_f64 v[160:161], v[150:151], -1.0
	v_ldexp_f64 v[134:135], v[134:135], v71
	v_add_f64 v[146:147], v[132:133], -v[146:147]
	v_add_f64 v[132:133], v[132:133], -v[160:161]
	v_add_f64 v[132:133], v[134:135], v[132:133]
	v_add_f64 v[146:147], v[134:135], v[146:147]
	;; [unrolled: 1-line block ×3, first 2 shown]
	v_rcp_f64_e32 v[160:161], v[134:135]
	v_add_f64 v[148:149], v[144:145], v[146:147]
	v_add_f64 v[144:145], v[148:149], -v[144:145]
	v_add_f64 v[144:145], v[146:147], -v[144:145]
	;; [unrolled: 1-line block ×4, first 2 shown]
	v_fma_f64 v[146:147], -v[134:135], v[160:161], 1.0
	v_fmac_f64_e32 v[160:161], v[146:147], v[160:161]
	v_fma_f64 v[146:147], -v[134:135], v[160:161], 1.0
	v_fmac_f64_e32 v[160:161], v[146:147], v[160:161]
	v_mul_f64 v[146:147], v[148:149], v[160:161]
	v_mul_f64 v[150:151], v[134:135], v[146:147]
	v_fma_f64 v[162:163], v[146:147], v[134:135], -v[150:151]
	v_fmac_f64_e32 v[162:163], v[146:147], v[132:133]
	v_add_f64 v[164:165], v[150:151], v[162:163]
	v_add_f64 v[166:167], v[148:149], -v[164:165]
	v_add_f64 v[148:149], v[148:149], -v[166:167]
	;; [unrolled: 1-line block ×4, first 2 shown]
	v_add_f64 v[144:145], v[144:145], v[148:149]
	v_add_f64 v[148:149], v[150:151], -v[162:163]
	v_add_f64 v[144:145], v[148:149], v[144:145]
	v_add_f64 v[148:149], v[166:167], v[144:145]
	v_add_f64 v[150:151], v[166:167], -v[148:149]
	v_add_f64 v[144:145], v[144:145], v[150:151]
	v_mul_f64 v[150:151], v[160:161], v[148:149]
	v_mul_f64 v[162:163], v[134:135], v[150:151]
	v_fma_f64 v[134:135], v[150:151], v[134:135], -v[162:163]
	v_fmac_f64_e32 v[134:135], v[150:151], v[132:133]
	v_add_f64 v[132:133], v[162:163], v[134:135]
	v_add_f64 v[164:165], v[148:149], -v[132:133]
	v_add_f64 v[148:149], v[148:149], -v[164:165]
	;; [unrolled: 1-line block ×4, first 2 shown]
	v_add_f64 v[132:133], v[144:145], v[132:133]
	v_add_f64 v[134:135], v[162:163], -v[134:135]
	v_add_f64 v[132:133], v[134:135], v[132:133]
	v_add_f64 v[134:135], v[146:147], v[150:151]
	;; [unrolled: 1-line block ×3, first 2 shown]
	v_add_f64 v[144:145], v[134:135], -v[146:147]
	v_mul_f64 v[132:133], v[160:161], v[132:133]
	v_add_f64 v[144:145], v[150:151], -v[144:145]
	v_add_f64 v[132:133], v[144:145], v[132:133]
	v_add_f64 v[144:145], v[134:135], v[132:133]
	v_add_f64 v[134:135], v[144:145], -v[134:135]
	v_add_f64 v[132:133], v[132:133], -v[134:135]
	v_mul_f64 v[134:135], v[144:145], v[144:145]
	v_mov_b32_e32 v146, 0x6b47b09a
	v_mov_b32_e32 v147, 0x3fc38538
	v_fmac_f64_e32 v[146:147], s[2:3], v[134:135]
	v_mov_b32_e32 v148, 0xd7f4df2e
	v_mov_b32_e32 v149, 0x3fc7474d
	v_fmac_f64_e32 v[148:149], v[134:135], v[146:147]
	;; [unrolled: 3-line block ×6, first 2 shown]
	v_cvt_f64_i32_e32 v[146:147], v53
	s_mov_b32 s7, 0x3fe62e42
	v_mul_f64 v[150:151], v[146:147], s[6:7]
	v_fma_f64 v[160:161], v[146:147], s[6:7], -v[150:151]
	s_mov_b32 s9, 0x3c7abc9e
	v_fmac_f64_e32 v[160:161], s[8:9], v[146:147]
	v_add_f64 v[146:147], v[150:151], v[160:161]
	v_add_f64 v[150:151], v[146:147], -v[150:151]
	v_mul_f64 v[134:135], v[144:145], v[134:135]
	v_add_f64 v[150:151], v[160:161], -v[150:151]
	v_ldexp_f64 v[160:161], v[144:145], 1
	v_mul_f64 v[134:135], v[134:135], v[148:149]
	v_add_f64 v[144:145], v[160:161], v[134:135]
	v_add_f64 v[148:149], v[144:145], -v[160:161]
	v_ldexp_f64 v[132:133], v[132:133], 1
	v_add_f64 v[134:135], v[134:135], -v[148:149]
	v_add_f64 v[132:133], v[132:133], v[134:135]
	v_add_f64 v[134:135], v[144:145], v[132:133]
	v_add_f64 v[144:145], v[134:135], -v[144:145]
	v_add_f64 v[132:133], v[132:133], -v[144:145]
	v_add_f64 v[144:145], v[146:147], v[134:135]
	v_add_f64 v[148:149], v[144:145], -v[146:147]
	v_add_f64 v[160:161], v[144:145], -v[148:149]
	;; [unrolled: 1-line block ×4, first 2 shown]
	v_add_f64 v[134:135], v[134:135], v[146:147]
	v_add_f64 v[146:147], v[150:151], v[132:133]
	v_add_f64 v[148:149], v[146:147], -v[150:151]
	v_add_f64 v[134:135], v[146:147], v[134:135]
	v_add_f64 v[160:161], v[146:147], -v[148:149]
	;; [unrolled: 2-line block ×3, first 2 shown]
	v_add_f64 v[132:133], v[132:133], -v[148:149]
	v_add_f64 v[144:145], v[146:147], -v[144:145]
	v_add_f64 v[132:133], v[132:133], v[150:151]
	v_add_f64 v[134:135], v[134:135], -v[144:145]
	s_mov_b32 s2, 0
	v_add_f64 v[132:133], v[132:133], v[134:135]
	s_mov_b32 s3, 0x7ff00000
	v_add_f64 v[132:133], v[146:147], v[132:133]
	v_cmp_eq_f64_e32 vcc, s[2:3], v[20:21]
	s_nop 1
	v_cndmask_b32_e32 v53, v132, v20, vcc
	v_cndmask_b32_e32 v71, v133, v21, vcc
	v_mov_b32_e32 v132, 0x7ff80000
	v_cmp_ngt_f64_e32 vcc, -1.0, v[20:21]
	s_nop 1
	v_cndmask_b32_e32 v71, v132, v71, vcc
	v_cmp_nge_f64_e32 vcc, -1.0, v[20:21]
	s_nop 1
	v_cndmask_b32_e32 v132, 0, v53, vcc
	v_mov_b32_e32 v53, 0xfff00000
	v_cmp_neq_f64_e32 vcc, -1.0, v[20:21]
	s_nop 1
	v_cndmask_b32_e32 v133, v53, v71, vcc
	v_add_f64 v[20:21], v[22:23], v[132:133]
.LBB2_245:
	s_or_b64 exec, exec, s[4:5]
	v_max_f64 v[22:23], v[20:21], v[20:21]
	v_min_f64 v[132:133], v[22:23], v[24:25]
	v_cmp_u_f64_e32 vcc, v[20:21], v[20:21]
	v_max_f64 v[22:23], v[22:23], v[24:25]
	s_nop 0
	v_cndmask_b32_e32 v53, v132, v20, vcc
	v_cndmask_b32_e32 v71, v133, v21, vcc
	v_cndmask_b32_e32 v22, v22, v20, vcc
	v_cndmask_b32_e32 v23, v23, v21, vcc
	v_cndmask_b32_e64 v133, v71, v87, s[18:19]
	v_cndmask_b32_e64 v132, v53, v86, s[18:19]
	;; [unrolled: 1-line block ×4, first 2 shown]
	v_cmp_neq_f64_e32 vcc, v[132:133], v[24:25]
	v_cmp_class_f64_e64 s[2:3], v[132:133], s10
	s_or_b64 s[2:3], vcc, s[2:3]
	v_mov_b64_e32 v[22:23], v[20:21]
	s_and_saveexec_b64 s[4:5], s[2:3]
	s_cbranch_execz .LBB2_247
; %bb.246:
	s_mov_b32 s2, 0x652b82fe
	v_add_f64 v[22:23], v[132:133], -v[24:25]
	s_mov_b32 s3, 0x3ff71547
	v_mul_f64 v[132:133], v[22:23], s[2:3]
	v_rndne_f64_e32 v[132:133], v[132:133]
	s_mov_b32 s7, 0xbfe62e42
	s_mov_b32 s6, 0xfefa39ef
	v_fma_f64 v[134:135], s[6:7], v[132:133], v[22:23]
	s_mov_b32 s9, 0xbc7abc9e
	s_mov_b32 s8, 0x3b39803f
	s_mov_b32 s2, 0x6a5dcb37
	v_fmac_f64_e32 v[134:135], s[8:9], v[132:133]
	v_mov_b32_e32 v144, 0xfca7ab0c
	v_mov_b32_e32 v145, 0x3e928af3
	s_mov_b32 s3, 0x3e5ade15
	v_fmac_f64_e32 v[144:145], s[2:3], v[134:135]
	v_mov_b32_e32 v146, 0x623fde64
	v_mov_b32_e32 v147, 0x3ec71dee
	v_fmac_f64_e32 v[146:147], v[134:135], v[144:145]
	v_mov_b32_e32 v144, 0x7c89e6b0
	v_mov_b32_e32 v145, 0x3efa0199
	;; [unrolled: 3-line block ×8, first 2 shown]
	s_mov_b32 s2, 0
	v_fmac_f64_e32 v[144:145], v[134:135], v[146:147]
	s_mov_b32 s3, 0x40900000
	v_fma_f64 v[144:145], v[134:135], v[144:145], 1.0
	v_cmp_nlt_f64_e32 vcc, s[2:3], v[22:23]
	s_mov_b32 s2, 0
	v_fma_f64 v[134:135], v[134:135], v[144:145], 1.0
	v_cvt_i32_f64_e32 v53, v[132:133]
	s_mov_b32 s3, 0xc090cc00
	v_ldexp_f64 v[132:133], v[134:135], v53
	v_mov_b32_e32 v53, 0x7ff00000
	v_cmp_ngt_f64_e64 s[2:3], s[2:3], v[22:23]
	v_cndmask_b32_e32 v53, v53, v133, vcc
	s_and_b64 vcc, s[2:3], vcc
	v_cndmask_b32_e64 v23, 0, v53, s[2:3]
	v_cndmask_b32_e32 v22, 0, v132, vcc
	v_add_f64 v[132:133], v[22:23], 1.0
	v_add_f64 v[134:135], v[132:133], -1.0
	v_add_f64 v[144:145], v[134:135], -v[132:133]
	v_add_f64 v[144:145], v[144:145], 1.0
	v_add_f64 v[134:135], v[22:23], -v[134:135]
	s_mov_b32 s2, 0x55555555
	v_add_f64 v[134:135], v[134:135], v[144:145]
	v_frexp_mant_f64_e32 v[144:145], v[132:133]
	s_mov_b32 s3, 0x3fe55555
	v_frexp_exp_i32_f64_e32 v53, v[132:133]
	v_cmp_gt_f64_e32 vcc, s[2:3], v[144:145]
	s_mov_b32 s2, 0xbf559e2b
	s_mov_b32 s3, 0x3fc3ab76
	v_subbrev_co_u32_e32 v53, vcc, 0, v53, vcc
	v_sub_u32_e32 v71, 0, v53
	v_ldexp_f64 v[132:133], v[132:133], v71
	v_add_f64 v[144:145], v[132:133], -1.0
	v_add_f64 v[150:151], v[132:133], 1.0
	v_add_f64 v[146:147], v[144:145], 1.0
	v_add_f64 v[160:161], v[150:151], -1.0
	v_ldexp_f64 v[134:135], v[134:135], v71
	v_add_f64 v[146:147], v[132:133], -v[146:147]
	v_add_f64 v[132:133], v[132:133], -v[160:161]
	v_add_f64 v[132:133], v[134:135], v[132:133]
	v_add_f64 v[146:147], v[134:135], v[146:147]
	;; [unrolled: 1-line block ×3, first 2 shown]
	v_rcp_f64_e32 v[160:161], v[134:135]
	v_add_f64 v[148:149], v[144:145], v[146:147]
	v_add_f64 v[144:145], v[148:149], -v[144:145]
	v_add_f64 v[144:145], v[146:147], -v[144:145]
	;; [unrolled: 1-line block ×4, first 2 shown]
	v_fma_f64 v[146:147], -v[134:135], v[160:161], 1.0
	v_fmac_f64_e32 v[160:161], v[146:147], v[160:161]
	v_fma_f64 v[146:147], -v[134:135], v[160:161], 1.0
	v_fmac_f64_e32 v[160:161], v[146:147], v[160:161]
	v_mul_f64 v[146:147], v[148:149], v[160:161]
	v_mul_f64 v[150:151], v[134:135], v[146:147]
	v_fma_f64 v[162:163], v[146:147], v[134:135], -v[150:151]
	v_fmac_f64_e32 v[162:163], v[146:147], v[132:133]
	v_add_f64 v[164:165], v[150:151], v[162:163]
	v_add_f64 v[166:167], v[148:149], -v[164:165]
	v_add_f64 v[148:149], v[148:149], -v[166:167]
	v_add_f64 v[150:151], v[164:165], -v[150:151]
	v_add_f64 v[148:149], v[148:149], -v[164:165]
	v_add_f64 v[144:145], v[144:145], v[148:149]
	v_add_f64 v[148:149], v[150:151], -v[162:163]
	v_add_f64 v[144:145], v[148:149], v[144:145]
	v_add_f64 v[148:149], v[166:167], v[144:145]
	v_add_f64 v[150:151], v[166:167], -v[148:149]
	v_add_f64 v[144:145], v[144:145], v[150:151]
	v_mul_f64 v[150:151], v[160:161], v[148:149]
	v_mul_f64 v[162:163], v[134:135], v[150:151]
	v_fma_f64 v[134:135], v[150:151], v[134:135], -v[162:163]
	v_fmac_f64_e32 v[134:135], v[150:151], v[132:133]
	v_add_f64 v[132:133], v[162:163], v[134:135]
	v_add_f64 v[164:165], v[148:149], -v[132:133]
	v_add_f64 v[148:149], v[148:149], -v[164:165]
	;; [unrolled: 1-line block ×4, first 2 shown]
	v_add_f64 v[132:133], v[144:145], v[132:133]
	v_add_f64 v[134:135], v[162:163], -v[134:135]
	v_add_f64 v[132:133], v[134:135], v[132:133]
	v_add_f64 v[134:135], v[146:147], v[150:151]
	;; [unrolled: 1-line block ×3, first 2 shown]
	v_add_f64 v[144:145], v[134:135], -v[146:147]
	v_mul_f64 v[132:133], v[160:161], v[132:133]
	v_add_f64 v[144:145], v[150:151], -v[144:145]
	v_add_f64 v[132:133], v[144:145], v[132:133]
	v_add_f64 v[144:145], v[134:135], v[132:133]
	v_add_f64 v[134:135], v[144:145], -v[134:135]
	v_add_f64 v[132:133], v[132:133], -v[134:135]
	v_mul_f64 v[134:135], v[144:145], v[144:145]
	v_mov_b32_e32 v146, 0x6b47b09a
	v_mov_b32_e32 v147, 0x3fc38538
	v_fmac_f64_e32 v[146:147], s[2:3], v[134:135]
	v_mov_b32_e32 v148, 0xd7f4df2e
	v_mov_b32_e32 v149, 0x3fc7474d
	v_fmac_f64_e32 v[148:149], v[134:135], v[146:147]
	;; [unrolled: 3-line block ×6, first 2 shown]
	v_cvt_f64_i32_e32 v[146:147], v53
	s_mov_b32 s7, 0x3fe62e42
	v_mul_f64 v[150:151], v[146:147], s[6:7]
	v_fma_f64 v[160:161], v[146:147], s[6:7], -v[150:151]
	s_mov_b32 s9, 0x3c7abc9e
	v_fmac_f64_e32 v[160:161], s[8:9], v[146:147]
	v_add_f64 v[146:147], v[150:151], v[160:161]
	v_add_f64 v[150:151], v[146:147], -v[150:151]
	v_mul_f64 v[134:135], v[144:145], v[134:135]
	v_add_f64 v[150:151], v[160:161], -v[150:151]
	v_ldexp_f64 v[160:161], v[144:145], 1
	v_mul_f64 v[134:135], v[134:135], v[148:149]
	v_add_f64 v[144:145], v[160:161], v[134:135]
	v_add_f64 v[148:149], v[144:145], -v[160:161]
	v_ldexp_f64 v[132:133], v[132:133], 1
	v_add_f64 v[134:135], v[134:135], -v[148:149]
	v_add_f64 v[132:133], v[132:133], v[134:135]
	v_add_f64 v[134:135], v[144:145], v[132:133]
	v_add_f64 v[144:145], v[134:135], -v[144:145]
	v_add_f64 v[132:133], v[132:133], -v[144:145]
	v_add_f64 v[144:145], v[146:147], v[134:135]
	v_add_f64 v[148:149], v[144:145], -v[146:147]
	v_add_f64 v[160:161], v[144:145], -v[148:149]
	;; [unrolled: 1-line block ×4, first 2 shown]
	v_add_f64 v[134:135], v[134:135], v[146:147]
	v_add_f64 v[146:147], v[150:151], v[132:133]
	v_add_f64 v[148:149], v[146:147], -v[150:151]
	v_add_f64 v[134:135], v[146:147], v[134:135]
	v_add_f64 v[160:161], v[146:147], -v[148:149]
	;; [unrolled: 2-line block ×3, first 2 shown]
	v_add_f64 v[132:133], v[132:133], -v[148:149]
	v_add_f64 v[144:145], v[146:147], -v[144:145]
	v_add_f64 v[132:133], v[132:133], v[150:151]
	v_add_f64 v[134:135], v[134:135], -v[144:145]
	s_mov_b32 s2, 0
	v_add_f64 v[132:133], v[132:133], v[134:135]
	s_mov_b32 s3, 0x7ff00000
	v_add_f64 v[132:133], v[146:147], v[132:133]
	v_cmp_eq_f64_e32 vcc, s[2:3], v[22:23]
	s_nop 1
	v_cndmask_b32_e32 v53, v132, v22, vcc
	v_cndmask_b32_e32 v71, v133, v23, vcc
	v_mov_b32_e32 v132, 0x7ff80000
	v_cmp_ngt_f64_e32 vcc, -1.0, v[22:23]
	s_nop 1
	v_cndmask_b32_e32 v71, v132, v71, vcc
	v_cmp_nge_f64_e32 vcc, -1.0, v[22:23]
	s_nop 1
	v_cndmask_b32_e32 v132, 0, v53, vcc
	v_mov_b32_e32 v53, 0xfff00000
	v_cmp_neq_f64_e32 vcc, -1.0, v[22:23]
	s_nop 1
	v_cndmask_b32_e32 v133, v53, v71, vcc
	v_add_f64 v[22:23], v[24:25], v[132:133]
.LBB2_247:
	s_or_b64 exec, exec, s[4:5]
	v_max_f64 v[24:25], v[22:23], v[22:23]
	v_min_f64 v[132:133], v[24:25], v[26:27]
	v_cmp_u_f64_e32 vcc, v[22:23], v[22:23]
	v_max_f64 v[24:25], v[24:25], v[26:27]
	s_nop 0
	v_cndmask_b32_e32 v53, v132, v22, vcc
	v_cndmask_b32_e32 v71, v133, v23, vcc
	;; [unrolled: 1-line block ×4, first 2 shown]
	v_cndmask_b32_e64 v133, v71, v81, s[20:21]
	v_cndmask_b32_e64 v132, v53, v80, s[20:21]
	;; [unrolled: 1-line block ×4, first 2 shown]
	v_cmp_neq_f64_e32 vcc, v[132:133], v[26:27]
	v_cmp_class_f64_e64 s[2:3], v[132:133], s10
	s_or_b64 s[2:3], vcc, s[2:3]
	v_mov_b64_e32 v[24:25], v[22:23]
	s_and_saveexec_b64 s[4:5], s[2:3]
	s_cbranch_execz .LBB2_249
; %bb.248:
	s_mov_b32 s2, 0x652b82fe
	v_add_f64 v[24:25], v[132:133], -v[26:27]
	s_mov_b32 s3, 0x3ff71547
	v_mul_f64 v[132:133], v[24:25], s[2:3]
	v_rndne_f64_e32 v[132:133], v[132:133]
	s_mov_b32 s7, 0xbfe62e42
	s_mov_b32 s6, 0xfefa39ef
	v_fma_f64 v[134:135], s[6:7], v[132:133], v[24:25]
	s_mov_b32 s9, 0xbc7abc9e
	s_mov_b32 s8, 0x3b39803f
	;; [unrolled: 1-line block ×3, first 2 shown]
	v_fmac_f64_e32 v[134:135], s[8:9], v[132:133]
	v_mov_b32_e32 v144, 0xfca7ab0c
	v_mov_b32_e32 v145, 0x3e928af3
	s_mov_b32 s3, 0x3e5ade15
	v_fmac_f64_e32 v[144:145], s[2:3], v[134:135]
	v_mov_b32_e32 v146, 0x623fde64
	v_mov_b32_e32 v147, 0x3ec71dee
	v_fmac_f64_e32 v[146:147], v[134:135], v[144:145]
	v_mov_b32_e32 v144, 0x7c89e6b0
	v_mov_b32_e32 v145, 0x3efa0199
	;; [unrolled: 3-line block ×8, first 2 shown]
	s_mov_b32 s2, 0
	v_fmac_f64_e32 v[144:145], v[134:135], v[146:147]
	s_mov_b32 s3, 0x40900000
	v_fma_f64 v[144:145], v[134:135], v[144:145], 1.0
	v_cmp_nlt_f64_e32 vcc, s[2:3], v[24:25]
	s_mov_b32 s2, 0
	v_fma_f64 v[134:135], v[134:135], v[144:145], 1.0
	v_cvt_i32_f64_e32 v53, v[132:133]
	s_mov_b32 s3, 0xc090cc00
	v_ldexp_f64 v[132:133], v[134:135], v53
	v_mov_b32_e32 v53, 0x7ff00000
	v_cmp_ngt_f64_e64 s[2:3], s[2:3], v[24:25]
	v_cndmask_b32_e32 v53, v53, v133, vcc
	s_and_b64 vcc, s[2:3], vcc
	v_cndmask_b32_e64 v25, 0, v53, s[2:3]
	v_cndmask_b32_e32 v24, 0, v132, vcc
	v_add_f64 v[132:133], v[24:25], 1.0
	v_add_f64 v[134:135], v[132:133], -1.0
	v_add_f64 v[144:145], v[134:135], -v[132:133]
	v_add_f64 v[144:145], v[144:145], 1.0
	v_add_f64 v[134:135], v[24:25], -v[134:135]
	s_mov_b32 s2, 0x55555555
	v_add_f64 v[134:135], v[134:135], v[144:145]
	v_frexp_mant_f64_e32 v[144:145], v[132:133]
	s_mov_b32 s3, 0x3fe55555
	v_frexp_exp_i32_f64_e32 v53, v[132:133]
	v_cmp_gt_f64_e32 vcc, s[2:3], v[144:145]
	s_mov_b32 s2, 0xbf559e2b
	s_mov_b32 s3, 0x3fc3ab76
	v_subbrev_co_u32_e32 v53, vcc, 0, v53, vcc
	v_sub_u32_e32 v71, 0, v53
	v_ldexp_f64 v[132:133], v[132:133], v71
	v_add_f64 v[144:145], v[132:133], -1.0
	v_add_f64 v[150:151], v[132:133], 1.0
	v_add_f64 v[146:147], v[144:145], 1.0
	v_add_f64 v[160:161], v[150:151], -1.0
	v_ldexp_f64 v[134:135], v[134:135], v71
	v_add_f64 v[146:147], v[132:133], -v[146:147]
	v_add_f64 v[132:133], v[132:133], -v[160:161]
	v_add_f64 v[132:133], v[134:135], v[132:133]
	v_add_f64 v[146:147], v[134:135], v[146:147]
	;; [unrolled: 1-line block ×3, first 2 shown]
	v_rcp_f64_e32 v[160:161], v[134:135]
	v_add_f64 v[148:149], v[144:145], v[146:147]
	v_add_f64 v[144:145], v[148:149], -v[144:145]
	v_add_f64 v[144:145], v[146:147], -v[144:145]
	v_add_f64 v[146:147], v[134:135], -v[150:151]
	v_add_f64 v[132:133], v[132:133], -v[146:147]
	v_fma_f64 v[146:147], -v[134:135], v[160:161], 1.0
	v_fmac_f64_e32 v[160:161], v[146:147], v[160:161]
	v_fma_f64 v[146:147], -v[134:135], v[160:161], 1.0
	v_fmac_f64_e32 v[160:161], v[146:147], v[160:161]
	v_mul_f64 v[146:147], v[148:149], v[160:161]
	v_mul_f64 v[150:151], v[134:135], v[146:147]
	v_fma_f64 v[162:163], v[146:147], v[134:135], -v[150:151]
	v_fmac_f64_e32 v[162:163], v[146:147], v[132:133]
	v_add_f64 v[164:165], v[150:151], v[162:163]
	v_add_f64 v[166:167], v[148:149], -v[164:165]
	v_add_f64 v[148:149], v[148:149], -v[166:167]
	;; [unrolled: 1-line block ×4, first 2 shown]
	v_add_f64 v[144:145], v[144:145], v[148:149]
	v_add_f64 v[148:149], v[150:151], -v[162:163]
	v_add_f64 v[144:145], v[148:149], v[144:145]
	v_add_f64 v[148:149], v[166:167], v[144:145]
	v_add_f64 v[150:151], v[166:167], -v[148:149]
	v_add_f64 v[144:145], v[144:145], v[150:151]
	v_mul_f64 v[150:151], v[160:161], v[148:149]
	v_mul_f64 v[162:163], v[134:135], v[150:151]
	v_fma_f64 v[134:135], v[150:151], v[134:135], -v[162:163]
	v_fmac_f64_e32 v[134:135], v[150:151], v[132:133]
	v_add_f64 v[132:133], v[162:163], v[134:135]
	v_add_f64 v[164:165], v[148:149], -v[132:133]
	v_add_f64 v[148:149], v[148:149], -v[164:165]
	;; [unrolled: 1-line block ×4, first 2 shown]
	v_add_f64 v[132:133], v[144:145], v[132:133]
	v_add_f64 v[134:135], v[162:163], -v[134:135]
	v_add_f64 v[132:133], v[134:135], v[132:133]
	v_add_f64 v[134:135], v[146:147], v[150:151]
	;; [unrolled: 1-line block ×3, first 2 shown]
	v_add_f64 v[144:145], v[134:135], -v[146:147]
	v_mul_f64 v[132:133], v[160:161], v[132:133]
	v_add_f64 v[144:145], v[150:151], -v[144:145]
	v_add_f64 v[132:133], v[144:145], v[132:133]
	v_add_f64 v[144:145], v[134:135], v[132:133]
	v_add_f64 v[134:135], v[144:145], -v[134:135]
	v_add_f64 v[132:133], v[132:133], -v[134:135]
	v_mul_f64 v[134:135], v[144:145], v[144:145]
	v_mov_b32_e32 v146, 0x6b47b09a
	v_mov_b32_e32 v147, 0x3fc38538
	v_fmac_f64_e32 v[146:147], s[2:3], v[134:135]
	v_mov_b32_e32 v148, 0xd7f4df2e
	v_mov_b32_e32 v149, 0x3fc7474d
	v_fmac_f64_e32 v[148:149], v[134:135], v[146:147]
	;; [unrolled: 3-line block ×6, first 2 shown]
	v_cvt_f64_i32_e32 v[146:147], v53
	s_mov_b32 s7, 0x3fe62e42
	v_mul_f64 v[150:151], v[146:147], s[6:7]
	v_fma_f64 v[160:161], v[146:147], s[6:7], -v[150:151]
	s_mov_b32 s9, 0x3c7abc9e
	v_fmac_f64_e32 v[160:161], s[8:9], v[146:147]
	v_add_f64 v[146:147], v[150:151], v[160:161]
	v_add_f64 v[150:151], v[146:147], -v[150:151]
	v_mul_f64 v[134:135], v[144:145], v[134:135]
	v_add_f64 v[150:151], v[160:161], -v[150:151]
	v_ldexp_f64 v[160:161], v[144:145], 1
	v_mul_f64 v[134:135], v[134:135], v[148:149]
	v_add_f64 v[144:145], v[160:161], v[134:135]
	v_add_f64 v[148:149], v[144:145], -v[160:161]
	v_ldexp_f64 v[132:133], v[132:133], 1
	v_add_f64 v[134:135], v[134:135], -v[148:149]
	v_add_f64 v[132:133], v[132:133], v[134:135]
	v_add_f64 v[134:135], v[144:145], v[132:133]
	v_add_f64 v[144:145], v[134:135], -v[144:145]
	v_add_f64 v[132:133], v[132:133], -v[144:145]
	v_add_f64 v[144:145], v[146:147], v[134:135]
	v_add_f64 v[148:149], v[144:145], -v[146:147]
	v_add_f64 v[160:161], v[144:145], -v[148:149]
	;; [unrolled: 1-line block ×4, first 2 shown]
	v_add_f64 v[134:135], v[134:135], v[146:147]
	v_add_f64 v[146:147], v[150:151], v[132:133]
	v_add_f64 v[148:149], v[146:147], -v[150:151]
	v_add_f64 v[134:135], v[146:147], v[134:135]
	v_add_f64 v[160:161], v[146:147], -v[148:149]
	;; [unrolled: 2-line block ×3, first 2 shown]
	v_add_f64 v[132:133], v[132:133], -v[148:149]
	v_add_f64 v[144:145], v[146:147], -v[144:145]
	v_add_f64 v[132:133], v[132:133], v[150:151]
	v_add_f64 v[134:135], v[134:135], -v[144:145]
	s_mov_b32 s2, 0
	v_add_f64 v[132:133], v[132:133], v[134:135]
	s_mov_b32 s3, 0x7ff00000
	v_add_f64 v[132:133], v[146:147], v[132:133]
	v_cmp_eq_f64_e32 vcc, s[2:3], v[24:25]
	s_nop 1
	v_cndmask_b32_e32 v53, v132, v24, vcc
	v_cndmask_b32_e32 v71, v133, v25, vcc
	v_mov_b32_e32 v132, 0x7ff80000
	v_cmp_ngt_f64_e32 vcc, -1.0, v[24:25]
	s_nop 1
	v_cndmask_b32_e32 v71, v132, v71, vcc
	v_cmp_nge_f64_e32 vcc, -1.0, v[24:25]
	s_nop 1
	v_cndmask_b32_e32 v132, 0, v53, vcc
	v_mov_b32_e32 v53, 0xfff00000
	v_cmp_neq_f64_e32 vcc, -1.0, v[24:25]
	s_nop 1
	v_cndmask_b32_e32 v133, v53, v71, vcc
	v_add_f64 v[24:25], v[26:27], v[132:133]
.LBB2_249:
	s_or_b64 exec, exec, s[4:5]
	v_max_f64 v[26:27], v[24:25], v[24:25]
	v_min_f64 v[132:133], v[26:27], v[28:29]
	v_cmp_u_f64_e32 vcc, v[24:25], v[24:25]
	v_max_f64 v[26:27], v[26:27], v[28:29]
	s_nop 0
	v_cndmask_b32_e32 v53, v132, v24, vcc
	v_cndmask_b32_e32 v71, v133, v25, vcc
	;; [unrolled: 1-line block ×4, first 2 shown]
	v_cndmask_b32_e64 v133, v71, v83, s[22:23]
	v_cndmask_b32_e64 v132, v53, v82, s[22:23]
	;; [unrolled: 1-line block ×4, first 2 shown]
	v_cmp_neq_f64_e32 vcc, v[132:133], v[28:29]
	v_cmp_class_f64_e64 s[2:3], v[132:133], s10
	s_or_b64 s[2:3], vcc, s[2:3]
	v_mov_b64_e32 v[26:27], v[24:25]
	s_and_saveexec_b64 s[4:5], s[2:3]
	s_cbranch_execz .LBB2_251
; %bb.250:
	s_mov_b32 s2, 0x652b82fe
	v_add_f64 v[26:27], v[132:133], -v[28:29]
	s_mov_b32 s3, 0x3ff71547
	v_mul_f64 v[132:133], v[26:27], s[2:3]
	v_rndne_f64_e32 v[132:133], v[132:133]
	s_mov_b32 s7, 0xbfe62e42
	s_mov_b32 s6, 0xfefa39ef
	v_fma_f64 v[134:135], s[6:7], v[132:133], v[26:27]
	s_mov_b32 s9, 0xbc7abc9e
	s_mov_b32 s8, 0x3b39803f
	s_mov_b32 s2, 0x6a5dcb37
	v_fmac_f64_e32 v[134:135], s[8:9], v[132:133]
	v_mov_b32_e32 v144, 0xfca7ab0c
	v_mov_b32_e32 v145, 0x3e928af3
	s_mov_b32 s3, 0x3e5ade15
	v_fmac_f64_e32 v[144:145], s[2:3], v[134:135]
	v_mov_b32_e32 v146, 0x623fde64
	v_mov_b32_e32 v147, 0x3ec71dee
	v_fmac_f64_e32 v[146:147], v[134:135], v[144:145]
	v_mov_b32_e32 v144, 0x7c89e6b0
	v_mov_b32_e32 v145, 0x3efa0199
	;; [unrolled: 3-line block ×8, first 2 shown]
	s_mov_b32 s2, 0
	v_fmac_f64_e32 v[144:145], v[134:135], v[146:147]
	s_mov_b32 s3, 0x40900000
	v_fma_f64 v[144:145], v[134:135], v[144:145], 1.0
	v_cmp_nlt_f64_e32 vcc, s[2:3], v[26:27]
	s_mov_b32 s2, 0
	v_fma_f64 v[134:135], v[134:135], v[144:145], 1.0
	v_cvt_i32_f64_e32 v53, v[132:133]
	s_mov_b32 s3, 0xc090cc00
	v_ldexp_f64 v[132:133], v[134:135], v53
	v_mov_b32_e32 v53, 0x7ff00000
	v_cmp_ngt_f64_e64 s[2:3], s[2:3], v[26:27]
	v_cndmask_b32_e32 v53, v53, v133, vcc
	s_and_b64 vcc, s[2:3], vcc
	v_cndmask_b32_e64 v27, 0, v53, s[2:3]
	v_cndmask_b32_e32 v26, 0, v132, vcc
	v_add_f64 v[132:133], v[26:27], 1.0
	v_add_f64 v[134:135], v[132:133], -1.0
	v_add_f64 v[144:145], v[134:135], -v[132:133]
	v_add_f64 v[144:145], v[144:145], 1.0
	v_add_f64 v[134:135], v[26:27], -v[134:135]
	s_mov_b32 s2, 0x55555555
	v_add_f64 v[134:135], v[134:135], v[144:145]
	v_frexp_mant_f64_e32 v[144:145], v[132:133]
	s_mov_b32 s3, 0x3fe55555
	v_frexp_exp_i32_f64_e32 v53, v[132:133]
	v_cmp_gt_f64_e32 vcc, s[2:3], v[144:145]
	s_mov_b32 s2, 0xbf559e2b
	s_mov_b32 s3, 0x3fc3ab76
	v_subbrev_co_u32_e32 v53, vcc, 0, v53, vcc
	v_sub_u32_e32 v71, 0, v53
	v_ldexp_f64 v[132:133], v[132:133], v71
	v_add_f64 v[144:145], v[132:133], -1.0
	v_add_f64 v[150:151], v[132:133], 1.0
	v_add_f64 v[146:147], v[144:145], 1.0
	v_add_f64 v[160:161], v[150:151], -1.0
	v_ldexp_f64 v[134:135], v[134:135], v71
	v_add_f64 v[146:147], v[132:133], -v[146:147]
	v_add_f64 v[132:133], v[132:133], -v[160:161]
	v_add_f64 v[132:133], v[134:135], v[132:133]
	v_add_f64 v[146:147], v[134:135], v[146:147]
	;; [unrolled: 1-line block ×3, first 2 shown]
	v_rcp_f64_e32 v[160:161], v[134:135]
	v_add_f64 v[148:149], v[144:145], v[146:147]
	v_add_f64 v[144:145], v[148:149], -v[144:145]
	v_add_f64 v[144:145], v[146:147], -v[144:145]
	;; [unrolled: 1-line block ×4, first 2 shown]
	v_fma_f64 v[146:147], -v[134:135], v[160:161], 1.0
	v_fmac_f64_e32 v[160:161], v[146:147], v[160:161]
	v_fma_f64 v[146:147], -v[134:135], v[160:161], 1.0
	v_fmac_f64_e32 v[160:161], v[146:147], v[160:161]
	v_mul_f64 v[146:147], v[148:149], v[160:161]
	v_mul_f64 v[150:151], v[134:135], v[146:147]
	v_fma_f64 v[162:163], v[146:147], v[134:135], -v[150:151]
	v_fmac_f64_e32 v[162:163], v[146:147], v[132:133]
	v_add_f64 v[164:165], v[150:151], v[162:163]
	v_add_f64 v[166:167], v[148:149], -v[164:165]
	v_add_f64 v[148:149], v[148:149], -v[166:167]
	v_add_f64 v[150:151], v[164:165], -v[150:151]
	v_add_f64 v[148:149], v[148:149], -v[164:165]
	v_add_f64 v[144:145], v[144:145], v[148:149]
	v_add_f64 v[148:149], v[150:151], -v[162:163]
	v_add_f64 v[144:145], v[148:149], v[144:145]
	v_add_f64 v[148:149], v[166:167], v[144:145]
	v_add_f64 v[150:151], v[166:167], -v[148:149]
	v_add_f64 v[144:145], v[144:145], v[150:151]
	v_mul_f64 v[150:151], v[160:161], v[148:149]
	v_mul_f64 v[162:163], v[134:135], v[150:151]
	v_fma_f64 v[134:135], v[150:151], v[134:135], -v[162:163]
	v_fmac_f64_e32 v[134:135], v[150:151], v[132:133]
	v_add_f64 v[132:133], v[162:163], v[134:135]
	v_add_f64 v[164:165], v[148:149], -v[132:133]
	v_add_f64 v[148:149], v[148:149], -v[164:165]
	;; [unrolled: 1-line block ×4, first 2 shown]
	v_add_f64 v[132:133], v[144:145], v[132:133]
	v_add_f64 v[134:135], v[162:163], -v[134:135]
	v_add_f64 v[132:133], v[134:135], v[132:133]
	v_add_f64 v[134:135], v[146:147], v[150:151]
	;; [unrolled: 1-line block ×3, first 2 shown]
	v_add_f64 v[144:145], v[134:135], -v[146:147]
	v_mul_f64 v[132:133], v[160:161], v[132:133]
	v_add_f64 v[144:145], v[150:151], -v[144:145]
	v_add_f64 v[132:133], v[144:145], v[132:133]
	v_add_f64 v[144:145], v[134:135], v[132:133]
	v_add_f64 v[134:135], v[144:145], -v[134:135]
	v_add_f64 v[132:133], v[132:133], -v[134:135]
	v_mul_f64 v[134:135], v[144:145], v[144:145]
	v_mov_b32_e32 v146, 0x6b47b09a
	v_mov_b32_e32 v147, 0x3fc38538
	v_fmac_f64_e32 v[146:147], s[2:3], v[134:135]
	v_mov_b32_e32 v148, 0xd7f4df2e
	v_mov_b32_e32 v149, 0x3fc7474d
	v_fmac_f64_e32 v[148:149], v[134:135], v[146:147]
	;; [unrolled: 3-line block ×6, first 2 shown]
	v_cvt_f64_i32_e32 v[146:147], v53
	s_mov_b32 s7, 0x3fe62e42
	v_mul_f64 v[150:151], v[146:147], s[6:7]
	v_fma_f64 v[160:161], v[146:147], s[6:7], -v[150:151]
	s_mov_b32 s9, 0x3c7abc9e
	v_fmac_f64_e32 v[160:161], s[8:9], v[146:147]
	v_add_f64 v[146:147], v[150:151], v[160:161]
	v_add_f64 v[150:151], v[146:147], -v[150:151]
	v_mul_f64 v[134:135], v[144:145], v[134:135]
	v_add_f64 v[150:151], v[160:161], -v[150:151]
	v_ldexp_f64 v[160:161], v[144:145], 1
	v_mul_f64 v[134:135], v[134:135], v[148:149]
	v_add_f64 v[144:145], v[160:161], v[134:135]
	v_add_f64 v[148:149], v[144:145], -v[160:161]
	v_ldexp_f64 v[132:133], v[132:133], 1
	v_add_f64 v[134:135], v[134:135], -v[148:149]
	v_add_f64 v[132:133], v[132:133], v[134:135]
	v_add_f64 v[134:135], v[144:145], v[132:133]
	v_add_f64 v[144:145], v[134:135], -v[144:145]
	v_add_f64 v[132:133], v[132:133], -v[144:145]
	v_add_f64 v[144:145], v[146:147], v[134:135]
	v_add_f64 v[148:149], v[144:145], -v[146:147]
	v_add_f64 v[160:161], v[144:145], -v[148:149]
	;; [unrolled: 1-line block ×4, first 2 shown]
	v_add_f64 v[134:135], v[134:135], v[146:147]
	v_add_f64 v[146:147], v[150:151], v[132:133]
	v_add_f64 v[148:149], v[146:147], -v[150:151]
	v_add_f64 v[134:135], v[146:147], v[134:135]
	v_add_f64 v[160:161], v[146:147], -v[148:149]
	v_add_f64 v[146:147], v[144:145], v[134:135]
	v_add_f64 v[150:151], v[150:151], -v[160:161]
	v_add_f64 v[132:133], v[132:133], -v[148:149]
	v_add_f64 v[144:145], v[146:147], -v[144:145]
	v_add_f64 v[132:133], v[132:133], v[150:151]
	v_add_f64 v[134:135], v[134:135], -v[144:145]
	s_mov_b32 s2, 0
	v_add_f64 v[132:133], v[132:133], v[134:135]
	s_mov_b32 s3, 0x7ff00000
	v_add_f64 v[132:133], v[146:147], v[132:133]
	v_cmp_eq_f64_e32 vcc, s[2:3], v[26:27]
	s_nop 1
	v_cndmask_b32_e32 v53, v132, v26, vcc
	v_cndmask_b32_e32 v71, v133, v27, vcc
	v_mov_b32_e32 v132, 0x7ff80000
	v_cmp_ngt_f64_e32 vcc, -1.0, v[26:27]
	s_nop 1
	v_cndmask_b32_e32 v71, v132, v71, vcc
	v_cmp_nge_f64_e32 vcc, -1.0, v[26:27]
	s_nop 1
	v_cndmask_b32_e32 v132, 0, v53, vcc
	v_mov_b32_e32 v53, 0xfff00000
	v_cmp_neq_f64_e32 vcc, -1.0, v[26:27]
	s_nop 1
	v_cndmask_b32_e32 v133, v53, v71, vcc
	v_add_f64 v[26:27], v[28:29], v[132:133]
.LBB2_251:
	s_or_b64 exec, exec, s[4:5]
	v_max_f64 v[28:29], v[26:27], v[26:27]
	v_min_f64 v[132:133], v[28:29], v[30:31]
	v_cmp_u_f64_e32 vcc, v[26:27], v[26:27]
	v_max_f64 v[28:29], v[28:29], v[30:31]
	s_nop 0
	v_cndmask_b32_e32 v53, v132, v26, vcc
	v_cndmask_b32_e32 v71, v133, v27, vcc
	;; [unrolled: 1-line block ×4, first 2 shown]
	v_cndmask_b32_e64 v133, v71, v67, s[24:25]
	v_cndmask_b32_e64 v132, v53, v66, s[24:25]
	;; [unrolled: 1-line block ×4, first 2 shown]
	v_cmp_neq_f64_e32 vcc, v[132:133], v[30:31]
	v_cmp_class_f64_e64 s[2:3], v[132:133], s10
	s_or_b64 s[2:3], vcc, s[2:3]
	v_mov_b64_e32 v[28:29], v[26:27]
	s_and_saveexec_b64 s[4:5], s[2:3]
	s_cbranch_execz .LBB2_253
; %bb.252:
	s_mov_b32 s2, 0x652b82fe
	v_add_f64 v[28:29], v[132:133], -v[30:31]
	s_mov_b32 s3, 0x3ff71547
	v_mul_f64 v[132:133], v[28:29], s[2:3]
	v_rndne_f64_e32 v[132:133], v[132:133]
	s_mov_b32 s7, 0xbfe62e42
	s_mov_b32 s6, 0xfefa39ef
	v_fma_f64 v[134:135], s[6:7], v[132:133], v[28:29]
	s_mov_b32 s9, 0xbc7abc9e
	s_mov_b32 s8, 0x3b39803f
	;; [unrolled: 1-line block ×3, first 2 shown]
	v_fmac_f64_e32 v[134:135], s[8:9], v[132:133]
	v_mov_b32_e32 v144, 0xfca7ab0c
	v_mov_b32_e32 v145, 0x3e928af3
	s_mov_b32 s3, 0x3e5ade15
	v_fmac_f64_e32 v[144:145], s[2:3], v[134:135]
	v_mov_b32_e32 v146, 0x623fde64
	v_mov_b32_e32 v147, 0x3ec71dee
	v_fmac_f64_e32 v[146:147], v[134:135], v[144:145]
	v_mov_b32_e32 v144, 0x7c89e6b0
	v_mov_b32_e32 v145, 0x3efa0199
	;; [unrolled: 3-line block ×8, first 2 shown]
	s_mov_b32 s2, 0
	v_fmac_f64_e32 v[144:145], v[134:135], v[146:147]
	s_mov_b32 s3, 0x40900000
	v_fma_f64 v[144:145], v[134:135], v[144:145], 1.0
	v_cmp_nlt_f64_e32 vcc, s[2:3], v[28:29]
	s_mov_b32 s2, 0
	v_fma_f64 v[134:135], v[134:135], v[144:145], 1.0
	v_cvt_i32_f64_e32 v53, v[132:133]
	s_mov_b32 s3, 0xc090cc00
	v_ldexp_f64 v[132:133], v[134:135], v53
	v_mov_b32_e32 v53, 0x7ff00000
	v_cmp_ngt_f64_e64 s[2:3], s[2:3], v[28:29]
	v_cndmask_b32_e32 v53, v53, v133, vcc
	s_and_b64 vcc, s[2:3], vcc
	v_cndmask_b32_e64 v29, 0, v53, s[2:3]
	v_cndmask_b32_e32 v28, 0, v132, vcc
	v_add_f64 v[132:133], v[28:29], 1.0
	v_add_f64 v[134:135], v[132:133], -1.0
	v_add_f64 v[144:145], v[134:135], -v[132:133]
	v_add_f64 v[144:145], v[144:145], 1.0
	v_add_f64 v[134:135], v[28:29], -v[134:135]
	s_mov_b32 s2, 0x55555555
	v_add_f64 v[134:135], v[134:135], v[144:145]
	v_frexp_mant_f64_e32 v[144:145], v[132:133]
	s_mov_b32 s3, 0x3fe55555
	v_frexp_exp_i32_f64_e32 v53, v[132:133]
	v_cmp_gt_f64_e32 vcc, s[2:3], v[144:145]
	s_mov_b32 s2, 0xbf559e2b
	s_mov_b32 s3, 0x3fc3ab76
	v_subbrev_co_u32_e32 v53, vcc, 0, v53, vcc
	v_sub_u32_e32 v71, 0, v53
	v_ldexp_f64 v[132:133], v[132:133], v71
	v_add_f64 v[144:145], v[132:133], -1.0
	v_add_f64 v[150:151], v[132:133], 1.0
	v_add_f64 v[146:147], v[144:145], 1.0
	v_add_f64 v[160:161], v[150:151], -1.0
	v_ldexp_f64 v[134:135], v[134:135], v71
	v_add_f64 v[146:147], v[132:133], -v[146:147]
	v_add_f64 v[132:133], v[132:133], -v[160:161]
	v_add_f64 v[132:133], v[134:135], v[132:133]
	v_add_f64 v[146:147], v[134:135], v[146:147]
	;; [unrolled: 1-line block ×3, first 2 shown]
	v_rcp_f64_e32 v[160:161], v[134:135]
	v_add_f64 v[148:149], v[144:145], v[146:147]
	v_add_f64 v[144:145], v[148:149], -v[144:145]
	v_add_f64 v[144:145], v[146:147], -v[144:145]
	;; [unrolled: 1-line block ×4, first 2 shown]
	v_fma_f64 v[146:147], -v[134:135], v[160:161], 1.0
	v_fmac_f64_e32 v[160:161], v[146:147], v[160:161]
	v_fma_f64 v[146:147], -v[134:135], v[160:161], 1.0
	v_fmac_f64_e32 v[160:161], v[146:147], v[160:161]
	v_mul_f64 v[146:147], v[148:149], v[160:161]
	v_mul_f64 v[150:151], v[134:135], v[146:147]
	v_fma_f64 v[162:163], v[146:147], v[134:135], -v[150:151]
	v_fmac_f64_e32 v[162:163], v[146:147], v[132:133]
	v_add_f64 v[164:165], v[150:151], v[162:163]
	v_add_f64 v[166:167], v[148:149], -v[164:165]
	v_add_f64 v[148:149], v[148:149], -v[166:167]
	v_add_f64 v[150:151], v[164:165], -v[150:151]
	v_add_f64 v[148:149], v[148:149], -v[164:165]
	v_add_f64 v[144:145], v[144:145], v[148:149]
	v_add_f64 v[148:149], v[150:151], -v[162:163]
	v_add_f64 v[144:145], v[148:149], v[144:145]
	v_add_f64 v[148:149], v[166:167], v[144:145]
	v_add_f64 v[150:151], v[166:167], -v[148:149]
	v_add_f64 v[144:145], v[144:145], v[150:151]
	v_mul_f64 v[150:151], v[160:161], v[148:149]
	v_mul_f64 v[162:163], v[134:135], v[150:151]
	v_fma_f64 v[134:135], v[150:151], v[134:135], -v[162:163]
	v_fmac_f64_e32 v[134:135], v[150:151], v[132:133]
	v_add_f64 v[132:133], v[162:163], v[134:135]
	v_add_f64 v[164:165], v[148:149], -v[132:133]
	v_add_f64 v[148:149], v[148:149], -v[164:165]
	;; [unrolled: 1-line block ×4, first 2 shown]
	v_add_f64 v[132:133], v[144:145], v[132:133]
	v_add_f64 v[134:135], v[162:163], -v[134:135]
	v_add_f64 v[132:133], v[134:135], v[132:133]
	v_add_f64 v[134:135], v[146:147], v[150:151]
	;; [unrolled: 1-line block ×3, first 2 shown]
	v_add_f64 v[144:145], v[134:135], -v[146:147]
	v_mul_f64 v[132:133], v[160:161], v[132:133]
	v_add_f64 v[144:145], v[150:151], -v[144:145]
	v_add_f64 v[132:133], v[144:145], v[132:133]
	v_add_f64 v[144:145], v[134:135], v[132:133]
	v_add_f64 v[134:135], v[144:145], -v[134:135]
	v_add_f64 v[132:133], v[132:133], -v[134:135]
	v_mul_f64 v[134:135], v[144:145], v[144:145]
	v_mov_b32_e32 v146, 0x6b47b09a
	v_mov_b32_e32 v147, 0x3fc38538
	v_fmac_f64_e32 v[146:147], s[2:3], v[134:135]
	v_mov_b32_e32 v148, 0xd7f4df2e
	v_mov_b32_e32 v149, 0x3fc7474d
	v_fmac_f64_e32 v[148:149], v[134:135], v[146:147]
	;; [unrolled: 3-line block ×6, first 2 shown]
	v_cvt_f64_i32_e32 v[146:147], v53
	s_mov_b32 s7, 0x3fe62e42
	v_mul_f64 v[150:151], v[146:147], s[6:7]
	v_fma_f64 v[160:161], v[146:147], s[6:7], -v[150:151]
	s_mov_b32 s9, 0x3c7abc9e
	v_fmac_f64_e32 v[160:161], s[8:9], v[146:147]
	v_add_f64 v[146:147], v[150:151], v[160:161]
	v_add_f64 v[150:151], v[146:147], -v[150:151]
	v_mul_f64 v[134:135], v[144:145], v[134:135]
	v_add_f64 v[150:151], v[160:161], -v[150:151]
	v_ldexp_f64 v[160:161], v[144:145], 1
	v_mul_f64 v[134:135], v[134:135], v[148:149]
	v_add_f64 v[144:145], v[160:161], v[134:135]
	v_add_f64 v[148:149], v[144:145], -v[160:161]
	v_ldexp_f64 v[132:133], v[132:133], 1
	v_add_f64 v[134:135], v[134:135], -v[148:149]
	v_add_f64 v[132:133], v[132:133], v[134:135]
	v_add_f64 v[134:135], v[144:145], v[132:133]
	v_add_f64 v[144:145], v[134:135], -v[144:145]
	v_add_f64 v[132:133], v[132:133], -v[144:145]
	v_add_f64 v[144:145], v[146:147], v[134:135]
	v_add_f64 v[148:149], v[144:145], -v[146:147]
	v_add_f64 v[160:161], v[144:145], -v[148:149]
	;; [unrolled: 1-line block ×4, first 2 shown]
	v_add_f64 v[134:135], v[134:135], v[146:147]
	v_add_f64 v[146:147], v[150:151], v[132:133]
	v_add_f64 v[148:149], v[146:147], -v[150:151]
	v_add_f64 v[134:135], v[146:147], v[134:135]
	v_add_f64 v[160:161], v[146:147], -v[148:149]
	;; [unrolled: 2-line block ×3, first 2 shown]
	v_add_f64 v[132:133], v[132:133], -v[148:149]
	v_add_f64 v[144:145], v[146:147], -v[144:145]
	v_add_f64 v[132:133], v[132:133], v[150:151]
	v_add_f64 v[134:135], v[134:135], -v[144:145]
	s_mov_b32 s2, 0
	v_add_f64 v[132:133], v[132:133], v[134:135]
	s_mov_b32 s3, 0x7ff00000
	v_add_f64 v[132:133], v[146:147], v[132:133]
	v_cmp_eq_f64_e32 vcc, s[2:3], v[28:29]
	s_nop 1
	v_cndmask_b32_e32 v53, v132, v28, vcc
	v_cndmask_b32_e32 v71, v133, v29, vcc
	v_mov_b32_e32 v132, 0x7ff80000
	v_cmp_ngt_f64_e32 vcc, -1.0, v[28:29]
	s_nop 1
	v_cndmask_b32_e32 v71, v132, v71, vcc
	v_cmp_nge_f64_e32 vcc, -1.0, v[28:29]
	s_nop 1
	v_cndmask_b32_e32 v132, 0, v53, vcc
	v_mov_b32_e32 v53, 0xfff00000
	v_cmp_neq_f64_e32 vcc, -1.0, v[28:29]
	s_nop 1
	v_cndmask_b32_e32 v133, v53, v71, vcc
	v_add_f64 v[28:29], v[30:31], v[132:133]
.LBB2_253:
	s_or_b64 exec, exec, s[4:5]
	v_max_f64 v[30:31], v[28:29], v[28:29]
	v_min_f64 v[132:133], v[30:31], v[32:33]
	v_cmp_u_f64_e32 vcc, v[28:29], v[28:29]
	v_max_f64 v[30:31], v[30:31], v[32:33]
	s_nop 0
	v_cndmask_b32_e32 v53, v132, v28, vcc
	v_cndmask_b32_e32 v71, v133, v29, vcc
	;; [unrolled: 1-line block ×4, first 2 shown]
	v_cndmask_b32_e64 v133, v71, v69, s[26:27]
	v_cndmask_b32_e64 v132, v53, v68, s[26:27]
	;; [unrolled: 1-line block ×4, first 2 shown]
	v_cmp_neq_f64_e32 vcc, v[132:133], v[32:33]
	v_cmp_class_f64_e64 s[2:3], v[132:133], s10
	s_or_b64 s[2:3], vcc, s[2:3]
	v_mov_b64_e32 v[30:31], v[28:29]
	s_and_saveexec_b64 s[4:5], s[2:3]
	s_cbranch_execz .LBB2_255
; %bb.254:
	s_mov_b32 s2, 0x652b82fe
	v_add_f64 v[30:31], v[132:133], -v[32:33]
	s_mov_b32 s3, 0x3ff71547
	v_mul_f64 v[132:133], v[30:31], s[2:3]
	v_rndne_f64_e32 v[132:133], v[132:133]
	s_mov_b32 s7, 0xbfe62e42
	s_mov_b32 s6, 0xfefa39ef
	v_fma_f64 v[134:135], s[6:7], v[132:133], v[30:31]
	s_mov_b32 s9, 0xbc7abc9e
	s_mov_b32 s8, 0x3b39803f
	s_mov_b32 s2, 0x6a5dcb37
	v_fmac_f64_e32 v[134:135], s[8:9], v[132:133]
	v_mov_b32_e32 v144, 0xfca7ab0c
	v_mov_b32_e32 v145, 0x3e928af3
	s_mov_b32 s3, 0x3e5ade15
	v_fmac_f64_e32 v[144:145], s[2:3], v[134:135]
	v_mov_b32_e32 v146, 0x623fde64
	v_mov_b32_e32 v147, 0x3ec71dee
	v_fmac_f64_e32 v[146:147], v[134:135], v[144:145]
	v_mov_b32_e32 v144, 0x7c89e6b0
	v_mov_b32_e32 v145, 0x3efa0199
	v_fmac_f64_e32 v[144:145], v[134:135], v[146:147]
	v_mov_b32_e32 v146, 0x14761f6e
	v_mov_b32_e32 v147, 0x3f2a01a0
	v_fmac_f64_e32 v[146:147], v[134:135], v[144:145]
	v_mov_b32_e32 v144, 0x1852b7b0
	v_mov_b32_e32 v145, 0x3f56c16c
	v_fmac_f64_e32 v[144:145], v[134:135], v[146:147]
	v_mov_b32_e32 v146, 0x11122322
	v_mov_b32_e32 v147, 0x3f811111
	v_fmac_f64_e32 v[146:147], v[134:135], v[144:145]
	v_mov_b32_e32 v144, 0x555502a1
	v_mov_b32_e32 v145, 0x3fa55555
	v_fmac_f64_e32 v[144:145], v[134:135], v[146:147]
	v_mov_b32_e32 v146, 0x55555511
	v_mov_b32_e32 v147, 0x3fc55555
	v_fmac_f64_e32 v[146:147], v[134:135], v[144:145]
	v_mov_b32_e32 v144, 11
	v_mov_b32_e32 v145, 0x3fe00000
	s_mov_b32 s2, 0
	v_fmac_f64_e32 v[144:145], v[134:135], v[146:147]
	s_mov_b32 s3, 0x40900000
	v_fma_f64 v[144:145], v[134:135], v[144:145], 1.0
	v_cmp_nlt_f64_e32 vcc, s[2:3], v[30:31]
	s_mov_b32 s2, 0
	v_fma_f64 v[134:135], v[134:135], v[144:145], 1.0
	v_cvt_i32_f64_e32 v53, v[132:133]
	s_mov_b32 s3, 0xc090cc00
	v_ldexp_f64 v[132:133], v[134:135], v53
	v_mov_b32_e32 v53, 0x7ff00000
	v_cmp_ngt_f64_e64 s[2:3], s[2:3], v[30:31]
	v_cndmask_b32_e32 v53, v53, v133, vcc
	s_and_b64 vcc, s[2:3], vcc
	v_cndmask_b32_e64 v31, 0, v53, s[2:3]
	v_cndmask_b32_e32 v30, 0, v132, vcc
	v_add_f64 v[132:133], v[30:31], 1.0
	v_add_f64 v[134:135], v[132:133], -1.0
	v_add_f64 v[144:145], v[134:135], -v[132:133]
	v_add_f64 v[144:145], v[144:145], 1.0
	v_add_f64 v[134:135], v[30:31], -v[134:135]
	s_mov_b32 s2, 0x55555555
	v_add_f64 v[134:135], v[134:135], v[144:145]
	v_frexp_mant_f64_e32 v[144:145], v[132:133]
	s_mov_b32 s3, 0x3fe55555
	v_frexp_exp_i32_f64_e32 v53, v[132:133]
	v_cmp_gt_f64_e32 vcc, s[2:3], v[144:145]
	s_mov_b32 s2, 0xbf559e2b
	s_mov_b32 s3, 0x3fc3ab76
	v_subbrev_co_u32_e32 v53, vcc, 0, v53, vcc
	v_sub_u32_e32 v71, 0, v53
	v_ldexp_f64 v[132:133], v[132:133], v71
	v_add_f64 v[144:145], v[132:133], -1.0
	v_add_f64 v[150:151], v[132:133], 1.0
	v_add_f64 v[146:147], v[144:145], 1.0
	v_add_f64 v[160:161], v[150:151], -1.0
	v_ldexp_f64 v[134:135], v[134:135], v71
	v_add_f64 v[146:147], v[132:133], -v[146:147]
	v_add_f64 v[132:133], v[132:133], -v[160:161]
	v_add_f64 v[132:133], v[134:135], v[132:133]
	v_add_f64 v[146:147], v[134:135], v[146:147]
	;; [unrolled: 1-line block ×3, first 2 shown]
	v_rcp_f64_e32 v[160:161], v[134:135]
	v_add_f64 v[148:149], v[144:145], v[146:147]
	v_add_f64 v[144:145], v[148:149], -v[144:145]
	v_add_f64 v[144:145], v[146:147], -v[144:145]
	v_add_f64 v[146:147], v[134:135], -v[150:151]
	v_add_f64 v[132:133], v[132:133], -v[146:147]
	v_fma_f64 v[146:147], -v[134:135], v[160:161], 1.0
	v_fmac_f64_e32 v[160:161], v[146:147], v[160:161]
	v_fma_f64 v[146:147], -v[134:135], v[160:161], 1.0
	v_fmac_f64_e32 v[160:161], v[146:147], v[160:161]
	v_mul_f64 v[146:147], v[148:149], v[160:161]
	v_mul_f64 v[150:151], v[134:135], v[146:147]
	v_fma_f64 v[162:163], v[146:147], v[134:135], -v[150:151]
	v_fmac_f64_e32 v[162:163], v[146:147], v[132:133]
	v_add_f64 v[164:165], v[150:151], v[162:163]
	v_add_f64 v[166:167], v[148:149], -v[164:165]
	v_add_f64 v[148:149], v[148:149], -v[166:167]
	;; [unrolled: 1-line block ×4, first 2 shown]
	v_add_f64 v[144:145], v[144:145], v[148:149]
	v_add_f64 v[148:149], v[150:151], -v[162:163]
	v_add_f64 v[144:145], v[148:149], v[144:145]
	v_add_f64 v[148:149], v[166:167], v[144:145]
	v_add_f64 v[150:151], v[166:167], -v[148:149]
	v_add_f64 v[144:145], v[144:145], v[150:151]
	v_mul_f64 v[150:151], v[160:161], v[148:149]
	v_mul_f64 v[162:163], v[134:135], v[150:151]
	v_fma_f64 v[134:135], v[150:151], v[134:135], -v[162:163]
	v_fmac_f64_e32 v[134:135], v[150:151], v[132:133]
	v_add_f64 v[132:133], v[162:163], v[134:135]
	v_add_f64 v[164:165], v[148:149], -v[132:133]
	v_add_f64 v[148:149], v[148:149], -v[164:165]
	;; [unrolled: 1-line block ×4, first 2 shown]
	v_add_f64 v[132:133], v[144:145], v[132:133]
	v_add_f64 v[134:135], v[162:163], -v[134:135]
	v_add_f64 v[132:133], v[134:135], v[132:133]
	v_add_f64 v[134:135], v[146:147], v[150:151]
	v_add_f64 v[132:133], v[164:165], v[132:133]
	v_add_f64 v[144:145], v[134:135], -v[146:147]
	v_mul_f64 v[132:133], v[160:161], v[132:133]
	v_add_f64 v[144:145], v[150:151], -v[144:145]
	v_add_f64 v[132:133], v[144:145], v[132:133]
	v_add_f64 v[144:145], v[134:135], v[132:133]
	v_add_f64 v[134:135], v[144:145], -v[134:135]
	v_add_f64 v[132:133], v[132:133], -v[134:135]
	v_mul_f64 v[134:135], v[144:145], v[144:145]
	v_mov_b32_e32 v146, 0x6b47b09a
	v_mov_b32_e32 v147, 0x3fc38538
	v_fmac_f64_e32 v[146:147], s[2:3], v[134:135]
	v_mov_b32_e32 v148, 0xd7f4df2e
	v_mov_b32_e32 v149, 0x3fc7474d
	v_fmac_f64_e32 v[148:149], v[134:135], v[146:147]
	;; [unrolled: 3-line block ×6, first 2 shown]
	v_cvt_f64_i32_e32 v[146:147], v53
	s_mov_b32 s7, 0x3fe62e42
	v_mul_f64 v[150:151], v[146:147], s[6:7]
	v_fma_f64 v[160:161], v[146:147], s[6:7], -v[150:151]
	s_mov_b32 s9, 0x3c7abc9e
	v_fmac_f64_e32 v[160:161], s[8:9], v[146:147]
	v_add_f64 v[146:147], v[150:151], v[160:161]
	v_add_f64 v[150:151], v[146:147], -v[150:151]
	v_mul_f64 v[134:135], v[144:145], v[134:135]
	v_add_f64 v[150:151], v[160:161], -v[150:151]
	v_ldexp_f64 v[160:161], v[144:145], 1
	v_mul_f64 v[134:135], v[134:135], v[148:149]
	v_add_f64 v[144:145], v[160:161], v[134:135]
	v_add_f64 v[148:149], v[144:145], -v[160:161]
	v_ldexp_f64 v[132:133], v[132:133], 1
	v_add_f64 v[134:135], v[134:135], -v[148:149]
	v_add_f64 v[132:133], v[132:133], v[134:135]
	v_add_f64 v[134:135], v[144:145], v[132:133]
	v_add_f64 v[144:145], v[134:135], -v[144:145]
	v_add_f64 v[132:133], v[132:133], -v[144:145]
	v_add_f64 v[144:145], v[146:147], v[134:135]
	v_add_f64 v[148:149], v[144:145], -v[146:147]
	v_add_f64 v[160:161], v[144:145], -v[148:149]
	;; [unrolled: 1-line block ×4, first 2 shown]
	v_add_f64 v[134:135], v[134:135], v[146:147]
	v_add_f64 v[146:147], v[150:151], v[132:133]
	v_add_f64 v[148:149], v[146:147], -v[150:151]
	v_add_f64 v[134:135], v[146:147], v[134:135]
	v_add_f64 v[160:161], v[146:147], -v[148:149]
	;; [unrolled: 2-line block ×3, first 2 shown]
	v_add_f64 v[132:133], v[132:133], -v[148:149]
	v_add_f64 v[144:145], v[146:147], -v[144:145]
	v_add_f64 v[132:133], v[132:133], v[150:151]
	v_add_f64 v[134:135], v[134:135], -v[144:145]
	s_mov_b32 s2, 0
	v_add_f64 v[132:133], v[132:133], v[134:135]
	s_mov_b32 s3, 0x7ff00000
	v_add_f64 v[132:133], v[146:147], v[132:133]
	v_cmp_eq_f64_e32 vcc, s[2:3], v[30:31]
	s_nop 1
	v_cndmask_b32_e32 v53, v132, v30, vcc
	v_cndmask_b32_e32 v71, v133, v31, vcc
	v_mov_b32_e32 v132, 0x7ff80000
	v_cmp_ngt_f64_e32 vcc, -1.0, v[30:31]
	s_nop 1
	v_cndmask_b32_e32 v71, v132, v71, vcc
	v_cmp_nge_f64_e32 vcc, -1.0, v[30:31]
	s_nop 1
	v_cndmask_b32_e32 v132, 0, v53, vcc
	v_mov_b32_e32 v53, 0xfff00000
	v_cmp_neq_f64_e32 vcc, -1.0, v[30:31]
	s_nop 1
	v_cndmask_b32_e32 v133, v53, v71, vcc
	v_add_f64 v[30:31], v[32:33], v[132:133]
.LBB2_255:
	s_or_b64 exec, exec, s[4:5]
	v_max_f64 v[32:33], v[30:31], v[30:31]
	v_min_f64 v[132:133], v[32:33], v[34:35]
	v_cmp_u_f64_e32 vcc, v[30:31], v[30:31]
	v_max_f64 v[32:33], v[32:33], v[34:35]
	s_movk_i32 s2, 0x1f8
	v_cndmask_b32_e32 v53, v132, v30, vcc
	v_cndmask_b32_e32 v71, v133, v31, vcc
	;; [unrolled: 1-line block ×4, first 2 shown]
	v_cndmask_b32_e64 v133, v71, v129, s[28:29]
	v_cndmask_b32_e64 v132, v53, v128, s[28:29]
	;; [unrolled: 1-line block ×4, first 2 shown]
	v_cmp_neq_f64_e32 vcc, v[132:133], v[34:35]
	v_cmp_class_f64_e64 s[2:3], v[132:133], s2
	s_or_b64 s[2:3], vcc, s[2:3]
	v_mov_b64_e32 v[32:33], v[30:31]
	s_and_saveexec_b64 s[4:5], s[2:3]
	s_cbranch_execz .LBB2_257
; %bb.256:
	s_mov_b32 s2, 0x652b82fe
	v_add_f64 v[32:33], v[132:133], -v[34:35]
	s_mov_b32 s3, 0x3ff71547
	v_mul_f64 v[132:133], v[32:33], s[2:3]
	v_rndne_f64_e32 v[132:133], v[132:133]
	s_mov_b32 s7, 0xbfe62e42
	s_mov_b32 s6, 0xfefa39ef
	v_fma_f64 v[134:135], s[6:7], v[132:133], v[32:33]
	s_mov_b32 s9, 0xbc7abc9e
	s_mov_b32 s8, 0x3b39803f
	;; [unrolled: 1-line block ×3, first 2 shown]
	v_fmac_f64_e32 v[134:135], s[8:9], v[132:133]
	v_mov_b32_e32 v144, 0xfca7ab0c
	v_mov_b32_e32 v145, 0x3e928af3
	s_mov_b32 s3, 0x3e5ade15
	v_fmac_f64_e32 v[144:145], s[2:3], v[134:135]
	v_mov_b32_e32 v146, 0x623fde64
	v_mov_b32_e32 v147, 0x3ec71dee
	v_fmac_f64_e32 v[146:147], v[134:135], v[144:145]
	v_mov_b32_e32 v144, 0x7c89e6b0
	v_mov_b32_e32 v145, 0x3efa0199
	;; [unrolled: 3-line block ×8, first 2 shown]
	s_mov_b32 s2, 0
	v_fmac_f64_e32 v[144:145], v[134:135], v[146:147]
	s_mov_b32 s3, 0x40900000
	v_fma_f64 v[144:145], v[134:135], v[144:145], 1.0
	v_cmp_nlt_f64_e32 vcc, s[2:3], v[32:33]
	s_mov_b32 s2, 0
	v_fma_f64 v[134:135], v[134:135], v[144:145], 1.0
	v_cvt_i32_f64_e32 v53, v[132:133]
	s_mov_b32 s3, 0xc090cc00
	v_ldexp_f64 v[132:133], v[134:135], v53
	v_mov_b32_e32 v53, 0x7ff00000
	v_cmp_ngt_f64_e64 s[2:3], s[2:3], v[32:33]
	v_cndmask_b32_e32 v53, v53, v133, vcc
	s_and_b64 vcc, s[2:3], vcc
	v_cndmask_b32_e64 v33, 0, v53, s[2:3]
	v_cndmask_b32_e32 v32, 0, v132, vcc
	v_add_f64 v[132:133], v[32:33], 1.0
	v_add_f64 v[134:135], v[132:133], -1.0
	v_add_f64 v[144:145], v[134:135], -v[132:133]
	v_add_f64 v[144:145], v[144:145], 1.0
	v_add_f64 v[134:135], v[32:33], -v[134:135]
	s_mov_b32 s2, 0x55555555
	v_add_f64 v[134:135], v[134:135], v[144:145]
	v_frexp_mant_f64_e32 v[144:145], v[132:133]
	s_mov_b32 s3, 0x3fe55555
	v_frexp_exp_i32_f64_e32 v53, v[132:133]
	v_cmp_gt_f64_e32 vcc, s[2:3], v[144:145]
	s_mov_b32 s2, 0xbf559e2b
	s_mov_b32 s3, 0x3fc3ab76
	v_subbrev_co_u32_e32 v53, vcc, 0, v53, vcc
	v_sub_u32_e32 v71, 0, v53
	v_ldexp_f64 v[132:133], v[132:133], v71
	v_add_f64 v[144:145], v[132:133], -1.0
	v_add_f64 v[150:151], v[132:133], 1.0
	v_add_f64 v[146:147], v[144:145], 1.0
	v_add_f64 v[160:161], v[150:151], -1.0
	v_ldexp_f64 v[134:135], v[134:135], v71
	v_add_f64 v[146:147], v[132:133], -v[146:147]
	v_add_f64 v[132:133], v[132:133], -v[160:161]
	v_add_f64 v[132:133], v[134:135], v[132:133]
	v_add_f64 v[146:147], v[134:135], v[146:147]
	;; [unrolled: 1-line block ×3, first 2 shown]
	v_rcp_f64_e32 v[160:161], v[134:135]
	v_add_f64 v[148:149], v[144:145], v[146:147]
	v_add_f64 v[144:145], v[148:149], -v[144:145]
	v_add_f64 v[144:145], v[146:147], -v[144:145]
	;; [unrolled: 1-line block ×4, first 2 shown]
	v_fma_f64 v[146:147], -v[134:135], v[160:161], 1.0
	v_fmac_f64_e32 v[160:161], v[146:147], v[160:161]
	v_fma_f64 v[146:147], -v[134:135], v[160:161], 1.0
	v_fmac_f64_e32 v[160:161], v[146:147], v[160:161]
	v_mul_f64 v[146:147], v[148:149], v[160:161]
	v_mul_f64 v[150:151], v[134:135], v[146:147]
	v_fma_f64 v[162:163], v[146:147], v[134:135], -v[150:151]
	v_fmac_f64_e32 v[162:163], v[146:147], v[132:133]
	v_add_f64 v[164:165], v[150:151], v[162:163]
	v_add_f64 v[166:167], v[148:149], -v[164:165]
	v_add_f64 v[148:149], v[148:149], -v[166:167]
	;; [unrolled: 1-line block ×4, first 2 shown]
	v_add_f64 v[144:145], v[144:145], v[148:149]
	v_add_f64 v[148:149], v[150:151], -v[162:163]
	v_add_f64 v[144:145], v[148:149], v[144:145]
	v_add_f64 v[148:149], v[166:167], v[144:145]
	v_add_f64 v[150:151], v[166:167], -v[148:149]
	v_add_f64 v[144:145], v[144:145], v[150:151]
	v_mul_f64 v[150:151], v[160:161], v[148:149]
	v_mul_f64 v[162:163], v[134:135], v[150:151]
	v_fma_f64 v[134:135], v[150:151], v[134:135], -v[162:163]
	v_fmac_f64_e32 v[134:135], v[150:151], v[132:133]
	v_add_f64 v[132:133], v[162:163], v[134:135]
	v_add_f64 v[164:165], v[148:149], -v[132:133]
	v_add_f64 v[148:149], v[148:149], -v[164:165]
	;; [unrolled: 1-line block ×4, first 2 shown]
	v_add_f64 v[132:133], v[144:145], v[132:133]
	v_add_f64 v[134:135], v[162:163], -v[134:135]
	v_add_f64 v[132:133], v[134:135], v[132:133]
	v_add_f64 v[134:135], v[146:147], v[150:151]
	;; [unrolled: 1-line block ×3, first 2 shown]
	v_add_f64 v[144:145], v[134:135], -v[146:147]
	v_mul_f64 v[132:133], v[160:161], v[132:133]
	v_add_f64 v[144:145], v[150:151], -v[144:145]
	v_add_f64 v[132:133], v[144:145], v[132:133]
	v_add_f64 v[144:145], v[134:135], v[132:133]
	v_add_f64 v[134:135], v[144:145], -v[134:135]
	v_add_f64 v[132:133], v[132:133], -v[134:135]
	v_mul_f64 v[134:135], v[144:145], v[144:145]
	v_mov_b32_e32 v146, 0x6b47b09a
	v_mov_b32_e32 v147, 0x3fc38538
	v_fmac_f64_e32 v[146:147], s[2:3], v[134:135]
	v_mov_b32_e32 v148, 0xd7f4df2e
	v_mov_b32_e32 v149, 0x3fc7474d
	v_fmac_f64_e32 v[148:149], v[134:135], v[146:147]
	;; [unrolled: 3-line block ×6, first 2 shown]
	v_cvt_f64_i32_e32 v[146:147], v53
	s_mov_b32 s7, 0x3fe62e42
	v_mul_f64 v[150:151], v[146:147], s[6:7]
	v_fma_f64 v[160:161], v[146:147], s[6:7], -v[150:151]
	s_mov_b32 s9, 0x3c7abc9e
	v_fmac_f64_e32 v[160:161], s[8:9], v[146:147]
	v_add_f64 v[146:147], v[150:151], v[160:161]
	v_add_f64 v[150:151], v[146:147], -v[150:151]
	v_mul_f64 v[134:135], v[144:145], v[134:135]
	v_add_f64 v[150:151], v[160:161], -v[150:151]
	v_ldexp_f64 v[160:161], v[144:145], 1
	v_mul_f64 v[134:135], v[134:135], v[148:149]
	v_add_f64 v[144:145], v[160:161], v[134:135]
	v_add_f64 v[148:149], v[144:145], -v[160:161]
	v_ldexp_f64 v[132:133], v[132:133], 1
	v_add_f64 v[134:135], v[134:135], -v[148:149]
	v_add_f64 v[132:133], v[132:133], v[134:135]
	v_add_f64 v[134:135], v[144:145], v[132:133]
	v_add_f64 v[144:145], v[134:135], -v[144:145]
	v_add_f64 v[132:133], v[132:133], -v[144:145]
	v_add_f64 v[144:145], v[146:147], v[134:135]
	v_add_f64 v[148:149], v[144:145], -v[146:147]
	v_add_f64 v[160:161], v[144:145], -v[148:149]
	v_add_f64 v[146:147], v[146:147], -v[160:161]
	v_add_f64 v[134:135], v[134:135], -v[148:149]
	v_add_f64 v[134:135], v[134:135], v[146:147]
	v_add_f64 v[146:147], v[150:151], v[132:133]
	v_add_f64 v[148:149], v[146:147], -v[150:151]
	v_add_f64 v[134:135], v[146:147], v[134:135]
	v_add_f64 v[160:161], v[146:147], -v[148:149]
	;; [unrolled: 2-line block ×3, first 2 shown]
	v_add_f64 v[132:133], v[132:133], -v[148:149]
	v_add_f64 v[144:145], v[146:147], -v[144:145]
	v_add_f64 v[132:133], v[132:133], v[150:151]
	v_add_f64 v[134:135], v[134:135], -v[144:145]
	s_mov_b32 s2, 0
	v_add_f64 v[132:133], v[132:133], v[134:135]
	s_mov_b32 s3, 0x7ff00000
	v_add_f64 v[132:133], v[146:147], v[132:133]
	v_cmp_eq_f64_e32 vcc, s[2:3], v[32:33]
	s_nop 1
	v_cndmask_b32_e32 v53, v132, v32, vcc
	v_cndmask_b32_e32 v71, v133, v33, vcc
	v_mov_b32_e32 v132, 0x7ff80000
	v_cmp_ngt_f64_e32 vcc, -1.0, v[32:33]
	s_nop 1
	v_cndmask_b32_e32 v71, v132, v71, vcc
	v_cmp_nge_f64_e32 vcc, -1.0, v[32:33]
	s_nop 1
	v_cndmask_b32_e32 v132, 0, v53, vcc
	v_mov_b32_e32 v53, 0xfff00000
	v_cmp_neq_f64_e32 vcc, -1.0, v[32:33]
	s_nop 1
	v_cndmask_b32_e32 v133, v53, v71, vcc
	v_add_f64 v[32:33], v[34:35], v[132:133]
.LBB2_257:
	s_or_b64 exec, exec, s[4:5]
	s_branch .LBB2_375
.LBB2_258:
	v_cmp_ne_u64_e64 s[2:3], 0, v[48:49]
	v_cmp_eq_u32_e64 s[34:35], 0, v70
	v_cmp_ne_u32_e32 vcc, 0, v70
	s_and_b64 s[2:3], s[34:35], s[2:3]
	s_and_saveexec_b64 s[6:7], s[2:3]
	s_cbranch_execz .LBB2_262
; %bb.259:
	flat_load_dwordx2 v[4:5], v[36:37]
	v_max_f64 v[6:7], v[0:1], v[0:1]
	s_movk_i32 s4, 0x1f8
	s_waitcnt vmcnt(0) lgkmcnt(0)
	v_max_f64 v[8:9], v[4:5], v[4:5]
	v_min_f64 v[10:11], v[8:9], v[6:7]
	v_max_f64 v[6:7], v[8:9], v[6:7]
	v_cmp_u_f64_e64 s[2:3], v[4:5], v[4:5]
	s_nop 1
	v_cndmask_b32_e64 v8, v10, v4, s[2:3]
	v_cndmask_b32_e64 v9, v11, v5, s[2:3]
	;; [unrolled: 1-line block ×4, first 2 shown]
	v_cmp_u_f64_e64 s[2:3], v[0:1], v[0:1]
	s_nop 1
	v_cndmask_b32_e64 v7, v9, v1, s[2:3]
	v_cndmask_b32_e64 v6, v8, v0, s[2:3]
	;; [unrolled: 1-line block ×4, first 2 shown]
	v_cmp_neq_f64_e64 s[2:3], v[6:7], v[0:1]
	v_cmp_class_f64_e64 s[4:5], v[6:7], s4
	s_or_b64 s[2:3], s[2:3], s[4:5]
	s_and_saveexec_b64 s[8:9], s[2:3]
	s_cbranch_execz .LBB2_261
; %bb.260:
	s_mov_b32 s2, 0x652b82fe
	v_add_f64 v[4:5], v[6:7], -v[0:1]
	s_mov_b32 s3, 0x3ff71547
	v_mul_f64 v[6:7], v[4:5], s[2:3]
	v_rndne_f64_e32 v[6:7], v[6:7]
	s_mov_b32 s11, 0xbfe62e42
	s_mov_b32 s10, 0xfefa39ef
	v_fma_f64 v[8:9], s[10:11], v[6:7], v[4:5]
	s_mov_b32 s13, 0xbc7abc9e
	s_mov_b32 s12, 0x3b39803f
	;; [unrolled: 1-line block ×3, first 2 shown]
	v_fmac_f64_e32 v[8:9], s[12:13], v[6:7]
	v_mov_b32_e32 v10, 0xfca7ab0c
	v_mov_b32_e32 v11, 0x3e928af3
	s_mov_b32 s3, 0x3e5ade15
	v_fmac_f64_e32 v[10:11], s[2:3], v[8:9]
	v_mov_b32_e32 v12, 0x623fde64
	v_mov_b32_e32 v13, 0x3ec71dee
	v_fmac_f64_e32 v[12:13], v[8:9], v[10:11]
	v_mov_b32_e32 v10, 0x7c89e6b0
	v_mov_b32_e32 v11, 0x3efa0199
	;; [unrolled: 3-line block ×8, first 2 shown]
	v_fmac_f64_e32 v[10:11], v[8:9], v[12:13]
	v_fma_f64 v[10:11], v[8:9], v[10:11], 1.0
	s_mov_b32 s2, 0
	s_mov_b32 s4, 0
	v_fma_f64 v[8:9], v[8:9], v[10:11], 1.0
	v_cvt_i32_f64_e32 v6, v[6:7]
	s_mov_b32 s3, 0x40900000
	s_mov_b32 s5, 0xc090cc00
	v_ldexp_f64 v[6:7], v[8:9], v6
	v_mov_b32_e32 v8, 0x7ff00000
	v_cmp_nlt_f64_e64 s[2:3], s[2:3], v[4:5]
	v_cmp_ngt_f64_e64 s[4:5], s[4:5], v[4:5]
	s_mov_b32 s11, 0x3fe62e42
	v_cndmask_b32_e64 v7, v8, v7, s[2:3]
	s_and_b64 s[2:3], s[4:5], s[2:3]
	v_cndmask_b32_e64 v5, 0, v7, s[4:5]
	v_cndmask_b32_e64 v4, 0, v6, s[2:3]
	v_add_f64 v[6:7], v[4:5], 1.0
	v_add_f64 v[8:9], v[6:7], -1.0
	v_add_f64 v[10:11], v[8:9], -v[6:7]
	v_add_f64 v[10:11], v[10:11], 1.0
	v_add_f64 v[8:9], v[4:5], -v[8:9]
	s_mov_b32 s2, 0x55555555
	v_add_f64 v[8:9], v[8:9], v[10:11]
	v_frexp_mant_f64_e32 v[10:11], v[6:7]
	s_mov_b32 s3, 0x3fe55555
	v_frexp_exp_i32_f64_e32 v12, v[6:7]
	v_cmp_gt_f64_e64 s[2:3], s[2:3], v[10:11]
	s_mov_b32 s13, 0x3c7abc9e
	s_nop 0
	v_subbrev_co_u32_e64 v26, s[2:3], 0, v12, s[2:3]
	v_sub_u32_e32 v10, 0, v26
	v_ldexp_f64 v[6:7], v[6:7], v10
	v_ldexp_f64 v[8:9], v[8:9], v10
	v_add_f64 v[10:11], v[6:7], -1.0
	v_add_f64 v[16:17], v[6:7], 1.0
	v_add_f64 v[12:13], v[10:11], 1.0
	v_add_f64 v[18:19], v[16:17], -1.0
	v_add_f64 v[12:13], v[6:7], -v[12:13]
	v_add_f64 v[6:7], v[6:7], -v[18:19]
	v_add_f64 v[6:7], v[8:9], v[6:7]
	v_add_f64 v[12:13], v[8:9], v[12:13]
	v_add_f64 v[8:9], v[16:17], v[6:7]
	v_rcp_f64_e32 v[18:19], v[8:9]
	v_add_f64 v[14:15], v[10:11], v[12:13]
	v_add_f64 v[10:11], v[14:15], -v[10:11]
	v_add_f64 v[10:11], v[12:13], -v[10:11]
	v_add_f64 v[12:13], v[8:9], -v[16:17]
	v_add_f64 v[6:7], v[6:7], -v[12:13]
	v_fma_f64 v[12:13], -v[8:9], v[18:19], 1.0
	v_fmac_f64_e32 v[18:19], v[12:13], v[18:19]
	v_fma_f64 v[12:13], -v[8:9], v[18:19], 1.0
	v_fmac_f64_e32 v[18:19], v[12:13], v[18:19]
	v_mul_f64 v[12:13], v[14:15], v[18:19]
	v_mul_f64 v[16:17], v[8:9], v[12:13]
	v_fma_f64 v[20:21], v[12:13], v[8:9], -v[16:17]
	v_fmac_f64_e32 v[20:21], v[12:13], v[6:7]
	v_add_f64 v[22:23], v[16:17], v[20:21]
	v_add_f64 v[24:25], v[14:15], -v[22:23]
	v_add_f64 v[14:15], v[14:15], -v[24:25]
	;; [unrolled: 1-line block ×4, first 2 shown]
	v_add_f64 v[10:11], v[10:11], v[14:15]
	v_add_f64 v[14:15], v[16:17], -v[20:21]
	v_add_f64 v[10:11], v[14:15], v[10:11]
	v_add_f64 v[14:15], v[24:25], v[10:11]
	v_add_f64 v[16:17], v[24:25], -v[14:15]
	v_add_f64 v[10:11], v[10:11], v[16:17]
	v_mul_f64 v[16:17], v[18:19], v[14:15]
	v_mul_f64 v[20:21], v[8:9], v[16:17]
	v_fma_f64 v[8:9], v[16:17], v[8:9], -v[20:21]
	v_fmac_f64_e32 v[8:9], v[16:17], v[6:7]
	v_add_f64 v[6:7], v[20:21], v[8:9]
	v_add_f64 v[22:23], v[14:15], -v[6:7]
	v_add_f64 v[14:15], v[14:15], -v[22:23]
	;; [unrolled: 1-line block ×4, first 2 shown]
	v_add_f64 v[6:7], v[10:11], v[6:7]
	v_add_f64 v[8:9], v[20:21], -v[8:9]
	v_add_f64 v[6:7], v[8:9], v[6:7]
	v_add_f64 v[8:9], v[12:13], v[16:17]
	;; [unrolled: 1-line block ×3, first 2 shown]
	v_add_f64 v[10:11], v[8:9], -v[12:13]
	v_mul_f64 v[6:7], v[18:19], v[6:7]
	v_add_f64 v[10:11], v[16:17], -v[10:11]
	v_add_f64 v[6:7], v[10:11], v[6:7]
	v_add_f64 v[10:11], v[8:9], v[6:7]
	v_add_f64 v[8:9], v[10:11], -v[8:9]
	s_mov_b32 s2, 0xbf559e2b
	v_add_f64 v[6:7], v[6:7], -v[8:9]
	v_mul_f64 v[8:9], v[10:11], v[10:11]
	v_mov_b32_e32 v12, 0x6b47b09a
	v_mov_b32_e32 v13, 0x3fc38538
	s_mov_b32 s3, 0x3fc3ab76
	v_fmac_f64_e32 v[12:13], s[2:3], v[8:9]
	v_mov_b32_e32 v14, 0xd7f4df2e
	v_mov_b32_e32 v15, 0x3fc7474d
	v_fmac_f64_e32 v[14:15], v[8:9], v[12:13]
	v_mov_b32_e32 v12, 0x16291751
	v_mov_b32_e32 v13, 0x3fcc71c0
	;; [unrolled: 3-line block ×5, first 2 shown]
	v_fmac_f64_e32 v[14:15], v[8:9], v[12:13]
	v_cvt_f64_i32_e32 v[12:13], v26
	v_mul_f64 v[16:17], v[12:13], s[10:11]
	v_fma_f64 v[18:19], v[12:13], s[10:11], -v[16:17]
	v_fmac_f64_e32 v[18:19], s[12:13], v[12:13]
	v_add_f64 v[12:13], v[16:17], v[18:19]
	v_add_f64 v[16:17], v[12:13], -v[16:17]
	v_mul_f64 v[8:9], v[10:11], v[8:9]
	v_add_f64 v[16:17], v[18:19], -v[16:17]
	v_ldexp_f64 v[18:19], v[10:11], 1
	v_mul_f64 v[8:9], v[8:9], v[14:15]
	v_add_f64 v[10:11], v[18:19], v[8:9]
	v_add_f64 v[14:15], v[10:11], -v[18:19]
	v_ldexp_f64 v[6:7], v[6:7], 1
	v_add_f64 v[8:9], v[8:9], -v[14:15]
	v_add_f64 v[6:7], v[6:7], v[8:9]
	v_add_f64 v[8:9], v[10:11], v[6:7]
	v_add_f64 v[10:11], v[8:9], -v[10:11]
	v_add_f64 v[6:7], v[6:7], -v[10:11]
	v_add_f64 v[10:11], v[12:13], v[8:9]
	v_add_f64 v[14:15], v[10:11], -v[12:13]
	v_add_f64 v[18:19], v[10:11], -v[14:15]
	;; [unrolled: 1-line block ×4, first 2 shown]
	v_add_f64 v[8:9], v[8:9], v[12:13]
	v_add_f64 v[12:13], v[16:17], v[6:7]
	v_add_f64 v[14:15], v[12:13], -v[16:17]
	v_add_f64 v[8:9], v[12:13], v[8:9]
	v_add_f64 v[18:19], v[12:13], -v[14:15]
	v_add_f64 v[12:13], v[10:11], v[8:9]
	v_add_f64 v[16:17], v[16:17], -v[18:19]
	v_add_f64 v[6:7], v[6:7], -v[14:15]
	v_add_f64 v[10:11], v[12:13], -v[10:11]
	v_add_f64 v[6:7], v[6:7], v[16:17]
	v_add_f64 v[8:9], v[8:9], -v[10:11]
	s_mov_b32 s2, 0
	v_add_f64 v[6:7], v[6:7], v[8:9]
	s_mov_b32 s3, 0x7ff00000
	v_add_f64 v[6:7], v[12:13], v[6:7]
	v_cmp_eq_f64_e64 s[2:3], s[2:3], v[4:5]
	v_mov_b32_e32 v8, 0x7ff80000
	s_nop 0
	v_cndmask_b32_e64 v6, v6, v4, s[2:3]
	v_cndmask_b32_e64 v7, v7, v5, s[2:3]
	v_cmp_ngt_f64_e64 s[2:3], -1.0, v[4:5]
	s_nop 1
	v_cndmask_b32_e64 v7, v8, v7, s[2:3]
	v_cmp_nge_f64_e64 s[2:3], -1.0, v[4:5]
	v_mov_b32_e32 v8, 0xfff00000
	s_nop 0
	v_cndmask_b32_e64 v6, 0, v6, s[2:3]
	v_cmp_neq_f64_e64 s[2:3], -1.0, v[4:5]
	s_nop 1
	v_cndmask_b32_e64 v7, v8, v7, s[2:3]
	v_add_f64 v[4:5], v[0:1], v[6:7]
.LBB2_261:
	s_or_b64 exec, exec, s[8:9]
	v_mov_b64_e32 v[0:1], v[4:5]
.LBB2_262:
	s_or_b64 exec, exec, s[6:7]
	v_max_f64 v[34:35], v[0:1], v[0:1]
	v_min_f64 v[36:37], v[34:35], v[130:131]
	v_cmp_u_f64_e64 s[30:31], v[0:1], v[0:1]
	v_cmp_u_f64_e64 s[2:3], v[2:3], v[2:3]
	v_max_f64 v[48:49], v[34:35], v[130:131]
	v_cndmask_b32_e64 v4, v36, v0, s[30:31]
	v_cndmask_b32_e64 v5, v37, v1, s[30:31]
	;; [unrolled: 1-line block ×8, first 2 shown]
	s_movk_i32 s14, 0x1f8
	v_cmp_neq_f64_e64 s[4:5], v[6:7], v[4:5]
	v_cmp_class_f64_e64 s[6:7], v[6:7], s14
	s_or_b64 s[4:5], s[4:5], s[6:7]
	v_mov_b64_e32 v[132:133], v[0:1]
	s_and_saveexec_b64 s[8:9], s[4:5]
	s_cbranch_execz .LBB2_264
; %bb.263:
	s_mov_b32 s4, 0x652b82fe
	v_add_f64 v[6:7], v[6:7], -v[4:5]
	s_mov_b32 s5, 0x3ff71547
	v_mul_f64 v[8:9], v[6:7], s[4:5]
	v_rndne_f64_e32 v[8:9], v[8:9]
	s_mov_b32 s11, 0xbfe62e42
	s_mov_b32 s10, 0xfefa39ef
	v_fma_f64 v[10:11], s[10:11], v[8:9], v[6:7]
	s_mov_b32 s13, 0xbc7abc9e
	s_mov_b32 s12, 0x3b39803f
	;; [unrolled: 1-line block ×3, first 2 shown]
	v_fmac_f64_e32 v[10:11], s[12:13], v[8:9]
	v_mov_b32_e32 v12, 0xfca7ab0c
	v_mov_b32_e32 v13, 0x3e928af3
	s_mov_b32 s5, 0x3e5ade15
	v_fmac_f64_e32 v[12:13], s[4:5], v[10:11]
	v_mov_b32_e32 v14, 0x623fde64
	v_mov_b32_e32 v15, 0x3ec71dee
	v_fmac_f64_e32 v[14:15], v[10:11], v[12:13]
	v_mov_b32_e32 v12, 0x7c89e6b0
	v_mov_b32_e32 v13, 0x3efa0199
	;; [unrolled: 3-line block ×8, first 2 shown]
	v_fmac_f64_e32 v[12:13], v[10:11], v[14:15]
	v_fma_f64 v[12:13], v[10:11], v[12:13], 1.0
	s_mov_b32 s4, 0
	s_mov_b32 s6, 0
	v_fma_f64 v[10:11], v[10:11], v[12:13], 1.0
	v_cvt_i32_f64_e32 v8, v[8:9]
	s_mov_b32 s5, 0x40900000
	s_mov_b32 s7, 0xc090cc00
	v_ldexp_f64 v[8:9], v[10:11], v8
	v_mov_b32_e32 v10, 0x7ff00000
	v_cmp_nlt_f64_e64 s[4:5], s[4:5], v[6:7]
	v_cmp_ngt_f64_e64 s[6:7], s[6:7], v[6:7]
	s_mov_b32 s11, 0x3fe62e42
	v_cndmask_b32_e64 v9, v10, v9, s[4:5]
	s_and_b64 s[4:5], s[6:7], s[4:5]
	v_cndmask_b32_e64 v7, 0, v9, s[6:7]
	v_cndmask_b32_e64 v6, 0, v8, s[4:5]
	v_add_f64 v[8:9], v[6:7], 1.0
	v_add_f64 v[10:11], v[8:9], -1.0
	v_add_f64 v[12:13], v[10:11], -v[8:9]
	v_add_f64 v[12:13], v[12:13], 1.0
	v_add_f64 v[10:11], v[6:7], -v[10:11]
	s_mov_b32 s4, 0x55555555
	v_add_f64 v[10:11], v[10:11], v[12:13]
	v_frexp_mant_f64_e32 v[12:13], v[8:9]
	s_mov_b32 s5, 0x3fe55555
	v_frexp_exp_i32_f64_e32 v14, v[8:9]
	v_cmp_gt_f64_e64 s[4:5], s[4:5], v[12:13]
	s_mov_b32 s13, 0x3c7abc9e
	s_nop 0
	v_subbrev_co_u32_e64 v28, s[4:5], 0, v14, s[4:5]
	v_sub_u32_e32 v12, 0, v28
	v_ldexp_f64 v[8:9], v[8:9], v12
	v_ldexp_f64 v[10:11], v[10:11], v12
	v_add_f64 v[12:13], v[8:9], -1.0
	v_add_f64 v[18:19], v[8:9], 1.0
	v_add_f64 v[14:15], v[12:13], 1.0
	v_add_f64 v[20:21], v[18:19], -1.0
	v_add_f64 v[14:15], v[8:9], -v[14:15]
	v_add_f64 v[8:9], v[8:9], -v[20:21]
	v_add_f64 v[8:9], v[10:11], v[8:9]
	v_add_f64 v[14:15], v[10:11], v[14:15]
	;; [unrolled: 1-line block ×3, first 2 shown]
	v_rcp_f64_e32 v[20:21], v[10:11]
	v_add_f64 v[16:17], v[12:13], v[14:15]
	v_add_f64 v[12:13], v[16:17], -v[12:13]
	v_add_f64 v[12:13], v[14:15], -v[12:13]
	;; [unrolled: 1-line block ×4, first 2 shown]
	v_fma_f64 v[14:15], -v[10:11], v[20:21], 1.0
	v_fmac_f64_e32 v[20:21], v[14:15], v[20:21]
	v_fma_f64 v[14:15], -v[10:11], v[20:21], 1.0
	v_fmac_f64_e32 v[20:21], v[14:15], v[20:21]
	v_mul_f64 v[14:15], v[16:17], v[20:21]
	v_mul_f64 v[18:19], v[10:11], v[14:15]
	v_fma_f64 v[22:23], v[14:15], v[10:11], -v[18:19]
	v_fmac_f64_e32 v[22:23], v[14:15], v[8:9]
	v_add_f64 v[24:25], v[18:19], v[22:23]
	v_add_f64 v[26:27], v[16:17], -v[24:25]
	v_add_f64 v[16:17], v[16:17], -v[26:27]
	;; [unrolled: 1-line block ×4, first 2 shown]
	v_add_f64 v[12:13], v[12:13], v[16:17]
	v_add_f64 v[16:17], v[18:19], -v[22:23]
	v_add_f64 v[12:13], v[16:17], v[12:13]
	v_add_f64 v[16:17], v[26:27], v[12:13]
	v_add_f64 v[18:19], v[26:27], -v[16:17]
	v_add_f64 v[12:13], v[12:13], v[18:19]
	v_mul_f64 v[18:19], v[20:21], v[16:17]
	v_mul_f64 v[22:23], v[10:11], v[18:19]
	v_fma_f64 v[10:11], v[18:19], v[10:11], -v[22:23]
	v_fmac_f64_e32 v[10:11], v[18:19], v[8:9]
	v_add_f64 v[8:9], v[22:23], v[10:11]
	v_add_f64 v[24:25], v[16:17], -v[8:9]
	v_add_f64 v[16:17], v[16:17], -v[24:25]
	;; [unrolled: 1-line block ×4, first 2 shown]
	v_add_f64 v[8:9], v[12:13], v[8:9]
	v_add_f64 v[10:11], v[22:23], -v[10:11]
	v_add_f64 v[8:9], v[10:11], v[8:9]
	v_add_f64 v[10:11], v[14:15], v[18:19]
	;; [unrolled: 1-line block ×3, first 2 shown]
	v_add_f64 v[12:13], v[10:11], -v[14:15]
	v_mul_f64 v[8:9], v[20:21], v[8:9]
	v_add_f64 v[12:13], v[18:19], -v[12:13]
	v_add_f64 v[8:9], v[12:13], v[8:9]
	v_add_f64 v[12:13], v[10:11], v[8:9]
	v_add_f64 v[10:11], v[12:13], -v[10:11]
	s_mov_b32 s4, 0xbf559e2b
	v_add_f64 v[8:9], v[8:9], -v[10:11]
	v_mul_f64 v[10:11], v[12:13], v[12:13]
	v_mov_b32_e32 v14, 0x6b47b09a
	v_mov_b32_e32 v15, 0x3fc38538
	s_mov_b32 s5, 0x3fc3ab76
	v_fmac_f64_e32 v[14:15], s[4:5], v[10:11]
	v_mov_b32_e32 v16, 0xd7f4df2e
	v_mov_b32_e32 v17, 0x3fc7474d
	v_fmac_f64_e32 v[16:17], v[10:11], v[14:15]
	v_mov_b32_e32 v14, 0x16291751
	v_mov_b32_e32 v15, 0x3fcc71c0
	;; [unrolled: 3-line block ×5, first 2 shown]
	v_fmac_f64_e32 v[16:17], v[10:11], v[14:15]
	v_cvt_f64_i32_e32 v[14:15], v28
	v_mul_f64 v[18:19], v[14:15], s[10:11]
	v_fma_f64 v[20:21], v[14:15], s[10:11], -v[18:19]
	v_fmac_f64_e32 v[20:21], s[12:13], v[14:15]
	v_add_f64 v[14:15], v[18:19], v[20:21]
	v_add_f64 v[18:19], v[14:15], -v[18:19]
	v_mul_f64 v[10:11], v[12:13], v[10:11]
	v_add_f64 v[18:19], v[20:21], -v[18:19]
	v_ldexp_f64 v[20:21], v[12:13], 1
	v_mul_f64 v[10:11], v[10:11], v[16:17]
	v_add_f64 v[12:13], v[20:21], v[10:11]
	v_add_f64 v[16:17], v[12:13], -v[20:21]
	v_ldexp_f64 v[8:9], v[8:9], 1
	v_add_f64 v[10:11], v[10:11], -v[16:17]
	v_add_f64 v[8:9], v[8:9], v[10:11]
	v_add_f64 v[10:11], v[12:13], v[8:9]
	v_add_f64 v[12:13], v[10:11], -v[12:13]
	v_add_f64 v[8:9], v[8:9], -v[12:13]
	v_add_f64 v[12:13], v[14:15], v[10:11]
	v_add_f64 v[16:17], v[12:13], -v[14:15]
	v_add_f64 v[20:21], v[12:13], -v[16:17]
	;; [unrolled: 1-line block ×4, first 2 shown]
	v_add_f64 v[10:11], v[10:11], v[14:15]
	v_add_f64 v[14:15], v[18:19], v[8:9]
	v_add_f64 v[16:17], v[14:15], -v[18:19]
	v_add_f64 v[10:11], v[14:15], v[10:11]
	v_add_f64 v[20:21], v[14:15], -v[16:17]
	;; [unrolled: 2-line block ×3, first 2 shown]
	v_add_f64 v[8:9], v[8:9], -v[16:17]
	v_add_f64 v[12:13], v[14:15], -v[12:13]
	v_add_f64 v[8:9], v[8:9], v[18:19]
	v_add_f64 v[10:11], v[10:11], -v[12:13]
	s_mov_b32 s4, 0
	v_add_f64 v[8:9], v[8:9], v[10:11]
	s_mov_b32 s5, 0x7ff00000
	v_add_f64 v[8:9], v[14:15], v[8:9]
	v_cmp_eq_f64_e64 s[4:5], s[4:5], v[6:7]
	v_mov_b32_e32 v10, 0x7ff80000
	s_nop 0
	v_cndmask_b32_e64 v8, v8, v6, s[4:5]
	v_cndmask_b32_e64 v9, v9, v7, s[4:5]
	v_cmp_ngt_f64_e64 s[4:5], -1.0, v[6:7]
	s_nop 1
	v_cndmask_b32_e64 v9, v10, v9, s[4:5]
	v_cmp_nge_f64_e64 s[4:5], -1.0, v[6:7]
	v_mov_b32_e32 v10, 0xfff00000
	s_nop 0
	v_cndmask_b32_e64 v8, 0, v8, s[4:5]
	v_cmp_neq_f64_e64 s[4:5], -1.0, v[6:7]
	s_nop 1
	v_cndmask_b32_e64 v9, v10, v9, s[4:5]
	v_add_f64 v[132:133], v[4:5], v[8:9]
.LBB2_264:
	s_or_b64 exec, exec, s[8:9]
	v_max_f64 v[8:9], v[112:113], v[112:113]
	v_max_f64 v[4:5], v[132:133], v[132:133]
	v_min_f64 v[6:7], v[4:5], v[8:9]
	v_cmp_u_f64_e64 s[6:7], v[132:133], v[132:133]
	v_max_f64 v[4:5], v[4:5], v[8:9]
	v_cmp_u_f64_e64 s[4:5], v[112:113], v[112:113]
	v_cndmask_b32_e64 v6, v6, v132, s[6:7]
	v_cndmask_b32_e64 v7, v7, v133, s[6:7]
	;; [unrolled: 1-line block ×8, first 2 shown]
	v_cmp_neq_f64_e64 s[6:7], v[6:7], v[4:5]
	v_cmp_class_f64_e64 s[8:9], v[6:7], s14
	s_or_b64 s[6:7], s[6:7], s[8:9]
	s_and_saveexec_b64 s[10:11], s[6:7]
	s_cbranch_execz .LBB2_266
; %bb.265:
	s_mov_b32 s6, 0x652b82fe
	v_add_f64 v[6:7], v[6:7], -v[4:5]
	s_mov_b32 s7, 0x3ff71547
	v_mul_f64 v[10:11], v[6:7], s[6:7]
	v_rndne_f64_e32 v[10:11], v[10:11]
	s_mov_b32 s13, 0xbfe62e42
	s_mov_b32 s12, 0xfefa39ef
	v_fma_f64 v[12:13], s[12:13], v[10:11], v[6:7]
	s_mov_b32 s15, 0xbc7abc9e
	s_mov_b32 s14, 0x3b39803f
	;; [unrolled: 1-line block ×3, first 2 shown]
	v_fmac_f64_e32 v[12:13], s[14:15], v[10:11]
	v_mov_b32_e32 v14, 0xfca7ab0c
	v_mov_b32_e32 v15, 0x3e928af3
	s_mov_b32 s7, 0x3e5ade15
	v_fmac_f64_e32 v[14:15], s[6:7], v[12:13]
	v_mov_b32_e32 v16, 0x623fde64
	v_mov_b32_e32 v17, 0x3ec71dee
	v_fmac_f64_e32 v[16:17], v[12:13], v[14:15]
	v_mov_b32_e32 v14, 0x7c89e6b0
	v_mov_b32_e32 v15, 0x3efa0199
	;; [unrolled: 3-line block ×8, first 2 shown]
	v_fmac_f64_e32 v[14:15], v[12:13], v[16:17]
	v_fma_f64 v[14:15], v[12:13], v[14:15], 1.0
	s_mov_b32 s6, 0
	s_mov_b32 s8, 0
	v_fma_f64 v[12:13], v[12:13], v[14:15], 1.0
	v_cvt_i32_f64_e32 v10, v[10:11]
	s_mov_b32 s7, 0x40900000
	s_mov_b32 s9, 0xc090cc00
	v_ldexp_f64 v[10:11], v[12:13], v10
	v_mov_b32_e32 v12, 0x7ff00000
	v_cmp_nlt_f64_e64 s[6:7], s[6:7], v[6:7]
	v_cmp_ngt_f64_e64 s[8:9], s[8:9], v[6:7]
	s_mov_b32 s13, 0x3fe62e42
	v_cndmask_b32_e64 v11, v12, v11, s[6:7]
	s_and_b64 s[6:7], s[8:9], s[6:7]
	v_cndmask_b32_e64 v7, 0, v11, s[8:9]
	v_cndmask_b32_e64 v6, 0, v10, s[6:7]
	v_add_f64 v[10:11], v[6:7], 1.0
	v_add_f64 v[12:13], v[10:11], -1.0
	v_add_f64 v[14:15], v[12:13], -v[10:11]
	v_add_f64 v[14:15], v[14:15], 1.0
	v_add_f64 v[12:13], v[6:7], -v[12:13]
	s_mov_b32 s6, 0x55555555
	v_add_f64 v[12:13], v[12:13], v[14:15]
	v_frexp_mant_f64_e32 v[14:15], v[10:11]
	s_mov_b32 s7, 0x3fe55555
	v_frexp_exp_i32_f64_e32 v16, v[10:11]
	v_cmp_gt_f64_e64 s[6:7], s[6:7], v[14:15]
	s_mov_b32 s15, 0x3c7abc9e
	s_nop 0
	v_subbrev_co_u32_e64 v30, s[6:7], 0, v16, s[6:7]
	v_sub_u32_e32 v14, 0, v30
	v_ldexp_f64 v[10:11], v[10:11], v14
	v_ldexp_f64 v[12:13], v[12:13], v14
	v_add_f64 v[14:15], v[10:11], -1.0
	v_add_f64 v[20:21], v[10:11], 1.0
	v_add_f64 v[16:17], v[14:15], 1.0
	v_add_f64 v[22:23], v[20:21], -1.0
	v_add_f64 v[16:17], v[10:11], -v[16:17]
	v_add_f64 v[10:11], v[10:11], -v[22:23]
	v_add_f64 v[10:11], v[12:13], v[10:11]
	v_add_f64 v[16:17], v[12:13], v[16:17]
	v_add_f64 v[12:13], v[20:21], v[10:11]
	v_rcp_f64_e32 v[22:23], v[12:13]
	v_add_f64 v[18:19], v[14:15], v[16:17]
	v_add_f64 v[14:15], v[18:19], -v[14:15]
	v_add_f64 v[14:15], v[16:17], -v[14:15]
	;; [unrolled: 1-line block ×4, first 2 shown]
	v_fma_f64 v[16:17], -v[12:13], v[22:23], 1.0
	v_fmac_f64_e32 v[22:23], v[16:17], v[22:23]
	v_fma_f64 v[16:17], -v[12:13], v[22:23], 1.0
	v_fmac_f64_e32 v[22:23], v[16:17], v[22:23]
	v_mul_f64 v[16:17], v[18:19], v[22:23]
	v_mul_f64 v[20:21], v[12:13], v[16:17]
	v_fma_f64 v[24:25], v[16:17], v[12:13], -v[20:21]
	v_fmac_f64_e32 v[24:25], v[16:17], v[10:11]
	v_add_f64 v[26:27], v[20:21], v[24:25]
	v_add_f64 v[28:29], v[18:19], -v[26:27]
	v_add_f64 v[18:19], v[18:19], -v[28:29]
	;; [unrolled: 1-line block ×4, first 2 shown]
	v_add_f64 v[14:15], v[14:15], v[18:19]
	v_add_f64 v[18:19], v[20:21], -v[24:25]
	v_add_f64 v[14:15], v[18:19], v[14:15]
	v_add_f64 v[18:19], v[28:29], v[14:15]
	v_add_f64 v[20:21], v[28:29], -v[18:19]
	v_add_f64 v[14:15], v[14:15], v[20:21]
	v_mul_f64 v[20:21], v[22:23], v[18:19]
	v_mul_f64 v[24:25], v[12:13], v[20:21]
	v_fma_f64 v[12:13], v[20:21], v[12:13], -v[24:25]
	v_fmac_f64_e32 v[12:13], v[20:21], v[10:11]
	v_add_f64 v[10:11], v[24:25], v[12:13]
	v_add_f64 v[26:27], v[18:19], -v[10:11]
	v_add_f64 v[18:19], v[18:19], -v[26:27]
	;; [unrolled: 1-line block ×4, first 2 shown]
	v_add_f64 v[10:11], v[14:15], v[10:11]
	v_add_f64 v[12:13], v[24:25], -v[12:13]
	v_add_f64 v[10:11], v[12:13], v[10:11]
	v_add_f64 v[12:13], v[16:17], v[20:21]
	;; [unrolled: 1-line block ×3, first 2 shown]
	v_add_f64 v[14:15], v[12:13], -v[16:17]
	v_mul_f64 v[10:11], v[22:23], v[10:11]
	v_add_f64 v[14:15], v[20:21], -v[14:15]
	v_add_f64 v[10:11], v[14:15], v[10:11]
	v_add_f64 v[14:15], v[12:13], v[10:11]
	v_add_f64 v[12:13], v[14:15], -v[12:13]
	s_mov_b32 s6, 0xbf559e2b
	v_add_f64 v[10:11], v[10:11], -v[12:13]
	v_mul_f64 v[12:13], v[14:15], v[14:15]
	v_mov_b32_e32 v16, 0x6b47b09a
	v_mov_b32_e32 v17, 0x3fc38538
	s_mov_b32 s7, 0x3fc3ab76
	v_fmac_f64_e32 v[16:17], s[6:7], v[12:13]
	v_mov_b32_e32 v18, 0xd7f4df2e
	v_mov_b32_e32 v19, 0x3fc7474d
	v_fmac_f64_e32 v[18:19], v[12:13], v[16:17]
	v_mov_b32_e32 v16, 0x16291751
	v_mov_b32_e32 v17, 0x3fcc71c0
	;; [unrolled: 3-line block ×5, first 2 shown]
	v_fmac_f64_e32 v[18:19], v[12:13], v[16:17]
	v_cvt_f64_i32_e32 v[16:17], v30
	v_mul_f64 v[20:21], v[16:17], s[12:13]
	v_fma_f64 v[22:23], v[16:17], s[12:13], -v[20:21]
	v_fmac_f64_e32 v[22:23], s[14:15], v[16:17]
	v_add_f64 v[16:17], v[20:21], v[22:23]
	v_add_f64 v[20:21], v[16:17], -v[20:21]
	v_mul_f64 v[12:13], v[14:15], v[12:13]
	v_add_f64 v[20:21], v[22:23], -v[20:21]
	v_ldexp_f64 v[22:23], v[14:15], 1
	v_mul_f64 v[12:13], v[12:13], v[18:19]
	v_add_f64 v[14:15], v[22:23], v[12:13]
	v_add_f64 v[18:19], v[14:15], -v[22:23]
	v_ldexp_f64 v[10:11], v[10:11], 1
	v_add_f64 v[12:13], v[12:13], -v[18:19]
	v_add_f64 v[10:11], v[10:11], v[12:13]
	v_add_f64 v[12:13], v[14:15], v[10:11]
	v_add_f64 v[14:15], v[12:13], -v[14:15]
	v_add_f64 v[10:11], v[10:11], -v[14:15]
	v_add_f64 v[14:15], v[16:17], v[12:13]
	v_add_f64 v[18:19], v[14:15], -v[16:17]
	v_add_f64 v[22:23], v[14:15], -v[18:19]
	;; [unrolled: 1-line block ×4, first 2 shown]
	v_add_f64 v[12:13], v[12:13], v[16:17]
	v_add_f64 v[16:17], v[20:21], v[10:11]
	v_add_f64 v[18:19], v[16:17], -v[20:21]
	v_add_f64 v[12:13], v[16:17], v[12:13]
	v_add_f64 v[22:23], v[16:17], -v[18:19]
	;; [unrolled: 2-line block ×3, first 2 shown]
	v_add_f64 v[10:11], v[10:11], -v[18:19]
	v_add_f64 v[14:15], v[16:17], -v[14:15]
	v_add_f64 v[10:11], v[10:11], v[20:21]
	v_add_f64 v[12:13], v[12:13], -v[14:15]
	s_mov_b32 s6, 0
	v_add_f64 v[10:11], v[10:11], v[12:13]
	s_mov_b32 s7, 0x7ff00000
	v_add_f64 v[10:11], v[16:17], v[10:11]
	v_cmp_eq_f64_e64 s[6:7], s[6:7], v[6:7]
	v_mov_b32_e32 v12, 0x7ff80000
	s_nop 0
	v_cndmask_b32_e64 v10, v10, v6, s[6:7]
	v_cndmask_b32_e64 v11, v11, v7, s[6:7]
	v_cmp_ngt_f64_e64 s[6:7], -1.0, v[6:7]
	s_nop 1
	v_cndmask_b32_e64 v11, v12, v11, s[6:7]
	v_cmp_nge_f64_e64 s[6:7], -1.0, v[6:7]
	v_mov_b32_e32 v12, 0xfff00000
	s_nop 0
	v_cndmask_b32_e64 v10, 0, v10, s[6:7]
	v_cmp_neq_f64_e64 s[6:7], -1.0, v[6:7]
	s_nop 1
	v_cndmask_b32_e64 v11, v12, v11, s[6:7]
	v_add_f64 v[132:133], v[4:5], v[10:11]
.LBB2_266:
	s_or_b64 exec, exec, s[10:11]
	v_max_f64 v[10:11], v[114:115], v[114:115]
	v_max_f64 v[4:5], v[132:133], v[132:133]
	v_min_f64 v[6:7], v[4:5], v[10:11]
	v_cmp_u_f64_e64 s[8:9], v[132:133], v[132:133]
	v_max_f64 v[4:5], v[4:5], v[10:11]
	v_cmp_u_f64_e64 s[6:7], v[114:115], v[114:115]
	v_cndmask_b32_e64 v6, v6, v132, s[8:9]
	v_cndmask_b32_e64 v7, v7, v133, s[8:9]
	;; [unrolled: 1-line block ×8, first 2 shown]
	s_movk_i32 s18, 0x1f8
	v_cmp_neq_f64_e64 s[8:9], v[6:7], v[4:5]
	v_cmp_class_f64_e64 s[10:11], v[6:7], s18
	s_or_b64 s[8:9], s[8:9], s[10:11]
	s_and_saveexec_b64 s[12:13], s[8:9]
	s_cbranch_execz .LBB2_268
; %bb.267:
	s_mov_b32 s8, 0x652b82fe
	v_add_f64 v[6:7], v[6:7], -v[4:5]
	s_mov_b32 s9, 0x3ff71547
	v_mul_f64 v[12:13], v[6:7], s[8:9]
	v_rndne_f64_e32 v[12:13], v[12:13]
	s_mov_b32 s15, 0xbfe62e42
	s_mov_b32 s14, 0xfefa39ef
	v_fma_f64 v[14:15], s[14:15], v[12:13], v[6:7]
	s_mov_b32 s17, 0xbc7abc9e
	s_mov_b32 s16, 0x3b39803f
	;; [unrolled: 1-line block ×3, first 2 shown]
	v_fmac_f64_e32 v[14:15], s[16:17], v[12:13]
	v_mov_b32_e32 v16, 0xfca7ab0c
	v_mov_b32_e32 v17, 0x3e928af3
	s_mov_b32 s9, 0x3e5ade15
	v_fmac_f64_e32 v[16:17], s[8:9], v[14:15]
	v_mov_b32_e32 v18, 0x623fde64
	v_mov_b32_e32 v19, 0x3ec71dee
	v_fmac_f64_e32 v[18:19], v[14:15], v[16:17]
	v_mov_b32_e32 v16, 0x7c89e6b0
	v_mov_b32_e32 v17, 0x3efa0199
	;; [unrolled: 3-line block ×8, first 2 shown]
	v_fmac_f64_e32 v[16:17], v[14:15], v[18:19]
	v_fma_f64 v[16:17], v[14:15], v[16:17], 1.0
	s_mov_b32 s8, 0
	s_mov_b32 s10, 0
	v_fma_f64 v[14:15], v[14:15], v[16:17], 1.0
	v_cvt_i32_f64_e32 v12, v[12:13]
	s_mov_b32 s9, 0x40900000
	s_mov_b32 s11, 0xc090cc00
	v_ldexp_f64 v[12:13], v[14:15], v12
	v_mov_b32_e32 v14, 0x7ff00000
	v_cmp_nlt_f64_e64 s[8:9], s[8:9], v[6:7]
	v_cmp_ngt_f64_e64 s[10:11], s[10:11], v[6:7]
	s_mov_b32 s15, 0x3fe62e42
	v_cndmask_b32_e64 v13, v14, v13, s[8:9]
	s_and_b64 s[8:9], s[10:11], s[8:9]
	v_cndmask_b32_e64 v7, 0, v13, s[10:11]
	v_cndmask_b32_e64 v6, 0, v12, s[8:9]
	v_add_f64 v[12:13], v[6:7], 1.0
	v_add_f64 v[14:15], v[12:13], -1.0
	v_add_f64 v[16:17], v[14:15], -v[12:13]
	v_add_f64 v[16:17], v[16:17], 1.0
	v_add_f64 v[14:15], v[6:7], -v[14:15]
	s_mov_b32 s8, 0x55555555
	v_add_f64 v[14:15], v[14:15], v[16:17]
	v_frexp_mant_f64_e32 v[16:17], v[12:13]
	s_mov_b32 s9, 0x3fe55555
	v_frexp_exp_i32_f64_e32 v18, v[12:13]
	v_cmp_gt_f64_e64 s[8:9], s[8:9], v[16:17]
	s_mov_b32 s17, 0x3c7abc9e
	s_nop 0
	v_subbrev_co_u32_e64 v32, s[8:9], 0, v18, s[8:9]
	v_sub_u32_e32 v16, 0, v32
	v_ldexp_f64 v[12:13], v[12:13], v16
	v_ldexp_f64 v[14:15], v[14:15], v16
	v_add_f64 v[16:17], v[12:13], -1.0
	v_add_f64 v[22:23], v[12:13], 1.0
	v_add_f64 v[18:19], v[16:17], 1.0
	v_add_f64 v[24:25], v[22:23], -1.0
	v_add_f64 v[18:19], v[12:13], -v[18:19]
	v_add_f64 v[12:13], v[12:13], -v[24:25]
	v_add_f64 v[12:13], v[14:15], v[12:13]
	v_add_f64 v[18:19], v[14:15], v[18:19]
	;; [unrolled: 1-line block ×3, first 2 shown]
	v_rcp_f64_e32 v[24:25], v[14:15]
	v_add_f64 v[20:21], v[16:17], v[18:19]
	v_add_f64 v[16:17], v[20:21], -v[16:17]
	v_add_f64 v[16:17], v[18:19], -v[16:17]
	;; [unrolled: 1-line block ×4, first 2 shown]
	v_fma_f64 v[18:19], -v[14:15], v[24:25], 1.0
	v_fmac_f64_e32 v[24:25], v[18:19], v[24:25]
	v_fma_f64 v[18:19], -v[14:15], v[24:25], 1.0
	v_fmac_f64_e32 v[24:25], v[18:19], v[24:25]
	v_mul_f64 v[18:19], v[20:21], v[24:25]
	v_mul_f64 v[22:23], v[14:15], v[18:19]
	v_fma_f64 v[26:27], v[18:19], v[14:15], -v[22:23]
	v_fmac_f64_e32 v[26:27], v[18:19], v[12:13]
	v_add_f64 v[28:29], v[22:23], v[26:27]
	v_add_f64 v[30:31], v[20:21], -v[28:29]
	v_add_f64 v[20:21], v[20:21], -v[30:31]
	v_add_f64 v[22:23], v[28:29], -v[22:23]
	v_add_f64 v[20:21], v[20:21], -v[28:29]
	v_add_f64 v[16:17], v[16:17], v[20:21]
	v_add_f64 v[20:21], v[22:23], -v[26:27]
	v_add_f64 v[16:17], v[20:21], v[16:17]
	v_add_f64 v[20:21], v[30:31], v[16:17]
	v_add_f64 v[22:23], v[30:31], -v[20:21]
	v_add_f64 v[16:17], v[16:17], v[22:23]
	v_mul_f64 v[22:23], v[24:25], v[20:21]
	v_mul_f64 v[26:27], v[14:15], v[22:23]
	v_fma_f64 v[14:15], v[22:23], v[14:15], -v[26:27]
	v_fmac_f64_e32 v[14:15], v[22:23], v[12:13]
	v_add_f64 v[12:13], v[26:27], v[14:15]
	v_add_f64 v[28:29], v[20:21], -v[12:13]
	v_add_f64 v[20:21], v[20:21], -v[28:29]
	;; [unrolled: 1-line block ×4, first 2 shown]
	v_add_f64 v[12:13], v[16:17], v[12:13]
	v_add_f64 v[14:15], v[26:27], -v[14:15]
	v_add_f64 v[12:13], v[14:15], v[12:13]
	v_add_f64 v[14:15], v[18:19], v[22:23]
	;; [unrolled: 1-line block ×3, first 2 shown]
	v_add_f64 v[16:17], v[14:15], -v[18:19]
	v_mul_f64 v[12:13], v[24:25], v[12:13]
	v_add_f64 v[16:17], v[22:23], -v[16:17]
	v_add_f64 v[12:13], v[16:17], v[12:13]
	v_add_f64 v[16:17], v[14:15], v[12:13]
	v_add_f64 v[14:15], v[16:17], -v[14:15]
	s_mov_b32 s8, 0xbf559e2b
	v_add_f64 v[12:13], v[12:13], -v[14:15]
	v_mul_f64 v[14:15], v[16:17], v[16:17]
	v_mov_b32_e32 v18, 0x6b47b09a
	v_mov_b32_e32 v19, 0x3fc38538
	s_mov_b32 s9, 0x3fc3ab76
	v_fmac_f64_e32 v[18:19], s[8:9], v[14:15]
	v_mov_b32_e32 v20, 0xd7f4df2e
	v_mov_b32_e32 v21, 0x3fc7474d
	v_fmac_f64_e32 v[20:21], v[14:15], v[18:19]
	v_mov_b32_e32 v18, 0x16291751
	v_mov_b32_e32 v19, 0x3fcc71c0
	v_fmac_f64_e32 v[18:19], v[14:15], v[20:21]
	v_mov_b32_e32 v20, 0x9b27acf1
	v_mov_b32_e32 v21, 0x3fd24924
	v_fmac_f64_e32 v[20:21], v[14:15], v[18:19]
	v_mov_b32_e32 v18, 0x998ef7b6
	v_mov_b32_e32 v19, 0x3fd99999
	v_fmac_f64_e32 v[18:19], v[14:15], v[20:21]
	v_mov_b32_e32 v20, 0x55555780
	v_mov_b32_e32 v21, 0x3fe55555
	v_fmac_f64_e32 v[20:21], v[14:15], v[18:19]
	v_cvt_f64_i32_e32 v[18:19], v32
	v_mul_f64 v[22:23], v[18:19], s[14:15]
	v_fma_f64 v[24:25], v[18:19], s[14:15], -v[22:23]
	v_fmac_f64_e32 v[24:25], s[16:17], v[18:19]
	v_add_f64 v[18:19], v[22:23], v[24:25]
	v_add_f64 v[22:23], v[18:19], -v[22:23]
	v_mul_f64 v[14:15], v[16:17], v[14:15]
	v_add_f64 v[22:23], v[24:25], -v[22:23]
	v_ldexp_f64 v[24:25], v[16:17], 1
	v_mul_f64 v[14:15], v[14:15], v[20:21]
	v_add_f64 v[16:17], v[24:25], v[14:15]
	v_add_f64 v[20:21], v[16:17], -v[24:25]
	v_ldexp_f64 v[12:13], v[12:13], 1
	v_add_f64 v[14:15], v[14:15], -v[20:21]
	v_add_f64 v[12:13], v[12:13], v[14:15]
	v_add_f64 v[14:15], v[16:17], v[12:13]
	v_add_f64 v[16:17], v[14:15], -v[16:17]
	v_add_f64 v[12:13], v[12:13], -v[16:17]
	v_add_f64 v[16:17], v[18:19], v[14:15]
	v_add_f64 v[20:21], v[16:17], -v[18:19]
	v_add_f64 v[24:25], v[16:17], -v[20:21]
	;; [unrolled: 1-line block ×4, first 2 shown]
	v_add_f64 v[14:15], v[14:15], v[18:19]
	v_add_f64 v[18:19], v[22:23], v[12:13]
	v_add_f64 v[20:21], v[18:19], -v[22:23]
	v_add_f64 v[14:15], v[18:19], v[14:15]
	v_add_f64 v[24:25], v[18:19], -v[20:21]
	v_add_f64 v[18:19], v[16:17], v[14:15]
	v_add_f64 v[22:23], v[22:23], -v[24:25]
	v_add_f64 v[12:13], v[12:13], -v[20:21]
	v_add_f64 v[16:17], v[18:19], -v[16:17]
	v_add_f64 v[12:13], v[12:13], v[22:23]
	v_add_f64 v[14:15], v[14:15], -v[16:17]
	s_mov_b32 s8, 0
	v_add_f64 v[12:13], v[12:13], v[14:15]
	s_mov_b32 s9, 0x7ff00000
	v_add_f64 v[12:13], v[18:19], v[12:13]
	v_cmp_eq_f64_e64 s[8:9], s[8:9], v[6:7]
	v_mov_b32_e32 v14, 0x7ff80000
	s_nop 0
	v_cndmask_b32_e64 v12, v12, v6, s[8:9]
	v_cndmask_b32_e64 v13, v13, v7, s[8:9]
	v_cmp_ngt_f64_e64 s[8:9], -1.0, v[6:7]
	s_nop 1
	v_cndmask_b32_e64 v13, v14, v13, s[8:9]
	v_cmp_nge_f64_e64 s[8:9], -1.0, v[6:7]
	v_mov_b32_e32 v14, 0xfff00000
	s_nop 0
	v_cndmask_b32_e64 v12, 0, v12, s[8:9]
	v_cmp_neq_f64_e64 s[8:9], -1.0, v[6:7]
	s_nop 1
	v_cndmask_b32_e64 v13, v14, v13, s[8:9]
	v_add_f64 v[132:133], v[4:5], v[12:13]
.LBB2_268:
	s_or_b64 exec, exec, s[12:13]
	v_max_f64 v[12:13], v[100:101], v[100:101]
	v_max_f64 v[4:5], v[132:133], v[132:133]
	v_min_f64 v[6:7], v[4:5], v[12:13]
	v_cmp_u_f64_e64 s[10:11], v[132:133], v[132:133]
	v_max_f64 v[4:5], v[4:5], v[12:13]
	v_cmp_u_f64_e64 s[8:9], v[100:101], v[100:101]
	v_cndmask_b32_e64 v6, v6, v132, s[10:11]
	v_cndmask_b32_e64 v7, v7, v133, s[10:11]
	;; [unrolled: 1-line block ×8, first 2 shown]
	v_cmp_neq_f64_e64 s[10:11], v[6:7], v[4:5]
	v_cmp_class_f64_e64 s[12:13], v[6:7], s18
	s_or_b64 s[10:11], s[10:11], s[12:13]
	s_and_saveexec_b64 s[14:15], s[10:11]
	s_cbranch_execz .LBB2_270
; %bb.269:
	s_mov_b32 s10, 0x652b82fe
	v_add_f64 v[6:7], v[6:7], -v[4:5]
	s_mov_b32 s11, 0x3ff71547
	v_mul_f64 v[14:15], v[6:7], s[10:11]
	v_rndne_f64_e32 v[14:15], v[14:15]
	s_mov_b32 s17, 0xbfe62e42
	s_mov_b32 s16, 0xfefa39ef
	v_fma_f64 v[16:17], s[16:17], v[14:15], v[6:7]
	s_mov_b32 s19, 0xbc7abc9e
	s_mov_b32 s18, 0x3b39803f
	;; [unrolled: 1-line block ×3, first 2 shown]
	v_fmac_f64_e32 v[16:17], s[18:19], v[14:15]
	v_mov_b32_e32 v18, 0xfca7ab0c
	v_mov_b32_e32 v19, 0x3e928af3
	s_mov_b32 s11, 0x3e5ade15
	v_fmac_f64_e32 v[18:19], s[10:11], v[16:17]
	v_mov_b32_e32 v20, 0x623fde64
	v_mov_b32_e32 v21, 0x3ec71dee
	v_fmac_f64_e32 v[20:21], v[16:17], v[18:19]
	v_mov_b32_e32 v18, 0x7c89e6b0
	v_mov_b32_e32 v19, 0x3efa0199
	;; [unrolled: 3-line block ×8, first 2 shown]
	v_fmac_f64_e32 v[18:19], v[16:17], v[20:21]
	v_fma_f64 v[18:19], v[16:17], v[18:19], 1.0
	s_mov_b32 s10, 0
	s_mov_b32 s12, 0
	v_fma_f64 v[16:17], v[16:17], v[18:19], 1.0
	v_cvt_i32_f64_e32 v14, v[14:15]
	s_mov_b32 s11, 0x40900000
	s_mov_b32 s13, 0xc090cc00
	v_ldexp_f64 v[14:15], v[16:17], v14
	v_mov_b32_e32 v16, 0x7ff00000
	v_cmp_nlt_f64_e64 s[10:11], s[10:11], v[6:7]
	v_cmp_ngt_f64_e64 s[12:13], s[12:13], v[6:7]
	s_mov_b32 s17, 0x3fe62e42
	v_cndmask_b32_e64 v15, v16, v15, s[10:11]
	s_and_b64 s[10:11], s[12:13], s[10:11]
	v_cndmask_b32_e64 v7, 0, v15, s[12:13]
	v_cndmask_b32_e64 v6, 0, v14, s[10:11]
	v_add_f64 v[14:15], v[6:7], 1.0
	v_add_f64 v[16:17], v[14:15], -1.0
	v_add_f64 v[18:19], v[16:17], -v[14:15]
	v_add_f64 v[18:19], v[18:19], 1.0
	v_add_f64 v[16:17], v[6:7], -v[16:17]
	s_mov_b32 s10, 0x55555555
	v_add_f64 v[16:17], v[16:17], v[18:19]
	v_frexp_mant_f64_e32 v[18:19], v[14:15]
	s_mov_b32 s11, 0x3fe55555
	v_frexp_exp_i32_f64_e32 v20, v[14:15]
	v_cmp_gt_f64_e64 s[10:11], s[10:11], v[18:19]
	s_mov_b32 s19, 0x3c7abc9e
	s_nop 0
	v_subbrev_co_u32_e64 v53, s[10:11], 0, v20, s[10:11]
	v_sub_u32_e32 v18, 0, v53
	v_ldexp_f64 v[14:15], v[14:15], v18
	v_ldexp_f64 v[16:17], v[16:17], v18
	v_add_f64 v[18:19], v[14:15], -1.0
	v_add_f64 v[24:25], v[14:15], 1.0
	v_add_f64 v[20:21], v[18:19], 1.0
	v_add_f64 v[26:27], v[24:25], -1.0
	v_add_f64 v[20:21], v[14:15], -v[20:21]
	v_add_f64 v[14:15], v[14:15], -v[26:27]
	v_add_f64 v[14:15], v[16:17], v[14:15]
	v_add_f64 v[20:21], v[16:17], v[20:21]
	;; [unrolled: 1-line block ×3, first 2 shown]
	v_rcp_f64_e32 v[26:27], v[16:17]
	v_add_f64 v[22:23], v[18:19], v[20:21]
	v_add_f64 v[18:19], v[22:23], -v[18:19]
	v_add_f64 v[18:19], v[20:21], -v[18:19]
	;; [unrolled: 1-line block ×4, first 2 shown]
	v_fma_f64 v[20:21], -v[16:17], v[26:27], 1.0
	v_fmac_f64_e32 v[26:27], v[20:21], v[26:27]
	v_fma_f64 v[20:21], -v[16:17], v[26:27], 1.0
	v_fmac_f64_e32 v[26:27], v[20:21], v[26:27]
	v_mul_f64 v[20:21], v[22:23], v[26:27]
	v_mul_f64 v[24:25], v[16:17], v[20:21]
	v_fma_f64 v[28:29], v[20:21], v[16:17], -v[24:25]
	v_fmac_f64_e32 v[28:29], v[20:21], v[14:15]
	v_add_f64 v[30:31], v[24:25], v[28:29]
	v_add_f64 v[32:33], v[22:23], -v[30:31]
	v_add_f64 v[22:23], v[22:23], -v[32:33]
	;; [unrolled: 1-line block ×4, first 2 shown]
	v_add_f64 v[18:19], v[18:19], v[22:23]
	v_add_f64 v[22:23], v[24:25], -v[28:29]
	v_add_f64 v[18:19], v[22:23], v[18:19]
	v_add_f64 v[22:23], v[32:33], v[18:19]
	v_add_f64 v[24:25], v[32:33], -v[22:23]
	v_add_f64 v[18:19], v[18:19], v[24:25]
	v_mul_f64 v[24:25], v[26:27], v[22:23]
	v_mul_f64 v[28:29], v[16:17], v[24:25]
	v_fma_f64 v[16:17], v[24:25], v[16:17], -v[28:29]
	v_fmac_f64_e32 v[16:17], v[24:25], v[14:15]
	v_add_f64 v[14:15], v[28:29], v[16:17]
	v_add_f64 v[30:31], v[22:23], -v[14:15]
	v_add_f64 v[22:23], v[22:23], -v[30:31]
	;; [unrolled: 1-line block ×4, first 2 shown]
	v_add_f64 v[14:15], v[18:19], v[14:15]
	v_add_f64 v[16:17], v[28:29], -v[16:17]
	v_add_f64 v[14:15], v[16:17], v[14:15]
	v_add_f64 v[16:17], v[20:21], v[24:25]
	;; [unrolled: 1-line block ×3, first 2 shown]
	v_add_f64 v[18:19], v[16:17], -v[20:21]
	v_mul_f64 v[14:15], v[26:27], v[14:15]
	v_add_f64 v[18:19], v[24:25], -v[18:19]
	v_add_f64 v[14:15], v[18:19], v[14:15]
	v_add_f64 v[18:19], v[16:17], v[14:15]
	v_add_f64 v[16:17], v[18:19], -v[16:17]
	s_mov_b32 s10, 0xbf559e2b
	v_add_f64 v[14:15], v[14:15], -v[16:17]
	v_mul_f64 v[16:17], v[18:19], v[18:19]
	v_mov_b32_e32 v20, 0x6b47b09a
	v_mov_b32_e32 v21, 0x3fc38538
	s_mov_b32 s11, 0x3fc3ab76
	v_fmac_f64_e32 v[20:21], s[10:11], v[16:17]
	v_mov_b32_e32 v22, 0xd7f4df2e
	v_mov_b32_e32 v23, 0x3fc7474d
	v_fmac_f64_e32 v[22:23], v[16:17], v[20:21]
	v_mov_b32_e32 v20, 0x16291751
	v_mov_b32_e32 v21, 0x3fcc71c0
	;; [unrolled: 3-line block ×5, first 2 shown]
	v_fmac_f64_e32 v[22:23], v[16:17], v[20:21]
	v_cvt_f64_i32_e32 v[20:21], v53
	v_mul_f64 v[24:25], v[20:21], s[16:17]
	v_fma_f64 v[26:27], v[20:21], s[16:17], -v[24:25]
	v_fmac_f64_e32 v[26:27], s[18:19], v[20:21]
	v_add_f64 v[20:21], v[24:25], v[26:27]
	v_add_f64 v[24:25], v[20:21], -v[24:25]
	v_mul_f64 v[16:17], v[18:19], v[16:17]
	v_add_f64 v[24:25], v[26:27], -v[24:25]
	v_ldexp_f64 v[26:27], v[18:19], 1
	v_mul_f64 v[16:17], v[16:17], v[22:23]
	v_add_f64 v[18:19], v[26:27], v[16:17]
	v_add_f64 v[22:23], v[18:19], -v[26:27]
	v_ldexp_f64 v[14:15], v[14:15], 1
	v_add_f64 v[16:17], v[16:17], -v[22:23]
	v_add_f64 v[14:15], v[14:15], v[16:17]
	v_add_f64 v[16:17], v[18:19], v[14:15]
	v_add_f64 v[18:19], v[16:17], -v[18:19]
	v_add_f64 v[14:15], v[14:15], -v[18:19]
	v_add_f64 v[18:19], v[20:21], v[16:17]
	v_add_f64 v[22:23], v[18:19], -v[20:21]
	v_add_f64 v[26:27], v[18:19], -v[22:23]
	;; [unrolled: 1-line block ×4, first 2 shown]
	v_add_f64 v[16:17], v[16:17], v[20:21]
	v_add_f64 v[20:21], v[24:25], v[14:15]
	v_add_f64 v[22:23], v[20:21], -v[24:25]
	v_add_f64 v[16:17], v[20:21], v[16:17]
	v_add_f64 v[26:27], v[20:21], -v[22:23]
	;; [unrolled: 2-line block ×3, first 2 shown]
	v_add_f64 v[14:15], v[14:15], -v[22:23]
	v_add_f64 v[18:19], v[20:21], -v[18:19]
	v_add_f64 v[14:15], v[14:15], v[24:25]
	v_add_f64 v[16:17], v[16:17], -v[18:19]
	s_mov_b32 s10, 0
	v_add_f64 v[14:15], v[14:15], v[16:17]
	s_mov_b32 s11, 0x7ff00000
	v_add_f64 v[14:15], v[20:21], v[14:15]
	v_cmp_eq_f64_e64 s[10:11], s[10:11], v[6:7]
	v_mov_b32_e32 v16, 0x7ff80000
	s_nop 0
	v_cndmask_b32_e64 v14, v14, v6, s[10:11]
	v_cndmask_b32_e64 v15, v15, v7, s[10:11]
	v_cmp_ngt_f64_e64 s[10:11], -1.0, v[6:7]
	s_nop 1
	v_cndmask_b32_e64 v15, v16, v15, s[10:11]
	v_cmp_nge_f64_e64 s[10:11], -1.0, v[6:7]
	v_mov_b32_e32 v16, 0xfff00000
	s_nop 0
	v_cndmask_b32_e64 v14, 0, v14, s[10:11]
	v_cmp_neq_f64_e64 s[10:11], -1.0, v[6:7]
	s_nop 1
	v_cndmask_b32_e64 v15, v16, v15, s[10:11]
	v_add_f64 v[132:133], v[4:5], v[14:15]
.LBB2_270:
	s_or_b64 exec, exec, s[14:15]
	v_max_f64 v[14:15], v[102:103], v[102:103]
	v_max_f64 v[4:5], v[132:133], v[132:133]
	v_min_f64 v[6:7], v[4:5], v[14:15]
	v_cmp_u_f64_e64 s[12:13], v[132:133], v[132:133]
	v_max_f64 v[4:5], v[4:5], v[14:15]
	v_cmp_u_f64_e64 s[10:11], v[102:103], v[102:103]
	v_cndmask_b32_e64 v6, v6, v132, s[12:13]
	v_cndmask_b32_e64 v7, v7, v133, s[12:13]
	;; [unrolled: 1-line block ×8, first 2 shown]
	s_movk_i32 s22, 0x1f8
	v_cmp_neq_f64_e64 s[12:13], v[6:7], v[4:5]
	v_cmp_class_f64_e64 s[14:15], v[6:7], s22
	s_or_b64 s[12:13], s[12:13], s[14:15]
	s_and_saveexec_b64 s[16:17], s[12:13]
	s_cbranch_execz .LBB2_272
; %bb.271:
	s_mov_b32 s12, 0x652b82fe
	v_add_f64 v[6:7], v[6:7], -v[4:5]
	s_mov_b32 s13, 0x3ff71547
	v_mul_f64 v[16:17], v[6:7], s[12:13]
	v_rndne_f64_e32 v[16:17], v[16:17]
	s_mov_b32 s19, 0xbfe62e42
	s_mov_b32 s18, 0xfefa39ef
	v_fma_f64 v[18:19], s[18:19], v[16:17], v[6:7]
	s_mov_b32 s21, 0xbc7abc9e
	s_mov_b32 s20, 0x3b39803f
	s_mov_b32 s12, 0x6a5dcb37
	v_fmac_f64_e32 v[18:19], s[20:21], v[16:17]
	v_mov_b32_e32 v20, 0xfca7ab0c
	v_mov_b32_e32 v21, 0x3e928af3
	s_mov_b32 s13, 0x3e5ade15
	v_fmac_f64_e32 v[20:21], s[12:13], v[18:19]
	v_mov_b32_e32 v22, 0x623fde64
	v_mov_b32_e32 v23, 0x3ec71dee
	v_fmac_f64_e32 v[22:23], v[18:19], v[20:21]
	v_mov_b32_e32 v20, 0x7c89e6b0
	v_mov_b32_e32 v21, 0x3efa0199
	;; [unrolled: 3-line block ×8, first 2 shown]
	v_fmac_f64_e32 v[20:21], v[18:19], v[22:23]
	v_fma_f64 v[20:21], v[18:19], v[20:21], 1.0
	s_mov_b32 s12, 0
	s_mov_b32 s14, 0
	v_fma_f64 v[18:19], v[18:19], v[20:21], 1.0
	v_cvt_i32_f64_e32 v16, v[16:17]
	s_mov_b32 s13, 0x40900000
	s_mov_b32 s15, 0xc090cc00
	v_ldexp_f64 v[16:17], v[18:19], v16
	v_mov_b32_e32 v18, 0x7ff00000
	v_cmp_nlt_f64_e64 s[12:13], s[12:13], v[6:7]
	v_cmp_ngt_f64_e64 s[14:15], s[14:15], v[6:7]
	s_mov_b32 s19, 0x3fe62e42
	v_cndmask_b32_e64 v17, v18, v17, s[12:13]
	s_and_b64 s[12:13], s[14:15], s[12:13]
	v_cndmask_b32_e64 v7, 0, v17, s[14:15]
	v_cndmask_b32_e64 v6, 0, v16, s[12:13]
	v_add_f64 v[16:17], v[6:7], 1.0
	v_add_f64 v[18:19], v[16:17], -1.0
	v_add_f64 v[20:21], v[18:19], -v[16:17]
	v_add_f64 v[20:21], v[20:21], 1.0
	v_add_f64 v[18:19], v[6:7], -v[18:19]
	s_mov_b32 s12, 0x55555555
	v_add_f64 v[18:19], v[18:19], v[20:21]
	v_frexp_mant_f64_e32 v[20:21], v[16:17]
	s_mov_b32 s13, 0x3fe55555
	v_frexp_exp_i32_f64_e32 v22, v[16:17]
	v_cmp_gt_f64_e64 s[12:13], s[12:13], v[20:21]
	s_mov_b32 s21, 0x3c7abc9e
	s_nop 0
	v_subbrev_co_u32_e64 v53, s[12:13], 0, v22, s[12:13]
	v_sub_u32_e32 v20, 0, v53
	v_ldexp_f64 v[16:17], v[16:17], v20
	v_ldexp_f64 v[18:19], v[18:19], v20
	v_add_f64 v[20:21], v[16:17], -1.0
	v_add_f64 v[26:27], v[16:17], 1.0
	v_add_f64 v[22:23], v[20:21], 1.0
	v_add_f64 v[28:29], v[26:27], -1.0
	v_add_f64 v[22:23], v[16:17], -v[22:23]
	v_add_f64 v[16:17], v[16:17], -v[28:29]
	v_add_f64 v[16:17], v[18:19], v[16:17]
	v_add_f64 v[22:23], v[18:19], v[22:23]
	;; [unrolled: 1-line block ×3, first 2 shown]
	v_rcp_f64_e32 v[28:29], v[18:19]
	v_add_f64 v[24:25], v[20:21], v[22:23]
	v_add_f64 v[20:21], v[24:25], -v[20:21]
	v_add_f64 v[20:21], v[22:23], -v[20:21]
	;; [unrolled: 1-line block ×4, first 2 shown]
	v_fma_f64 v[22:23], -v[18:19], v[28:29], 1.0
	v_fmac_f64_e32 v[28:29], v[22:23], v[28:29]
	v_fma_f64 v[22:23], -v[18:19], v[28:29], 1.0
	v_fmac_f64_e32 v[28:29], v[22:23], v[28:29]
	v_mul_f64 v[22:23], v[24:25], v[28:29]
	v_mul_f64 v[26:27], v[18:19], v[22:23]
	v_fma_f64 v[30:31], v[22:23], v[18:19], -v[26:27]
	v_fmac_f64_e32 v[30:31], v[22:23], v[16:17]
	v_add_f64 v[32:33], v[26:27], v[30:31]
	v_add_f64 v[132:133], v[24:25], -v[32:33]
	v_add_f64 v[24:25], v[24:25], -v[132:133]
	;; [unrolled: 1-line block ×4, first 2 shown]
	v_add_f64 v[20:21], v[20:21], v[24:25]
	v_add_f64 v[24:25], v[26:27], -v[30:31]
	v_add_f64 v[20:21], v[24:25], v[20:21]
	v_add_f64 v[24:25], v[132:133], v[20:21]
	v_add_f64 v[26:27], v[132:133], -v[24:25]
	v_add_f64 v[20:21], v[20:21], v[26:27]
	v_mul_f64 v[26:27], v[28:29], v[24:25]
	v_mul_f64 v[30:31], v[18:19], v[26:27]
	v_fma_f64 v[18:19], v[26:27], v[18:19], -v[30:31]
	v_fmac_f64_e32 v[18:19], v[26:27], v[16:17]
	v_add_f64 v[16:17], v[30:31], v[18:19]
	v_add_f64 v[32:33], v[24:25], -v[16:17]
	v_add_f64 v[24:25], v[24:25], -v[32:33]
	;; [unrolled: 1-line block ×4, first 2 shown]
	v_add_f64 v[16:17], v[20:21], v[16:17]
	v_add_f64 v[18:19], v[30:31], -v[18:19]
	v_add_f64 v[16:17], v[18:19], v[16:17]
	v_add_f64 v[18:19], v[22:23], v[26:27]
	;; [unrolled: 1-line block ×3, first 2 shown]
	v_add_f64 v[20:21], v[18:19], -v[22:23]
	v_mul_f64 v[16:17], v[28:29], v[16:17]
	v_add_f64 v[20:21], v[26:27], -v[20:21]
	v_add_f64 v[16:17], v[20:21], v[16:17]
	v_add_f64 v[20:21], v[18:19], v[16:17]
	v_add_f64 v[18:19], v[20:21], -v[18:19]
	s_mov_b32 s12, 0xbf559e2b
	v_add_f64 v[16:17], v[16:17], -v[18:19]
	v_mul_f64 v[18:19], v[20:21], v[20:21]
	v_mov_b32_e32 v22, 0x6b47b09a
	v_mov_b32_e32 v23, 0x3fc38538
	s_mov_b32 s13, 0x3fc3ab76
	v_fmac_f64_e32 v[22:23], s[12:13], v[18:19]
	v_mov_b32_e32 v24, 0xd7f4df2e
	v_mov_b32_e32 v25, 0x3fc7474d
	v_fmac_f64_e32 v[24:25], v[18:19], v[22:23]
	v_mov_b32_e32 v22, 0x16291751
	v_mov_b32_e32 v23, 0x3fcc71c0
	;; [unrolled: 3-line block ×5, first 2 shown]
	v_fmac_f64_e32 v[24:25], v[18:19], v[22:23]
	v_cvt_f64_i32_e32 v[22:23], v53
	v_mul_f64 v[26:27], v[22:23], s[18:19]
	v_fma_f64 v[28:29], v[22:23], s[18:19], -v[26:27]
	v_fmac_f64_e32 v[28:29], s[20:21], v[22:23]
	v_add_f64 v[22:23], v[26:27], v[28:29]
	v_add_f64 v[26:27], v[22:23], -v[26:27]
	v_mul_f64 v[18:19], v[20:21], v[18:19]
	v_add_f64 v[26:27], v[28:29], -v[26:27]
	v_ldexp_f64 v[28:29], v[20:21], 1
	v_mul_f64 v[18:19], v[18:19], v[24:25]
	v_add_f64 v[20:21], v[28:29], v[18:19]
	v_add_f64 v[24:25], v[20:21], -v[28:29]
	v_ldexp_f64 v[16:17], v[16:17], 1
	v_add_f64 v[18:19], v[18:19], -v[24:25]
	v_add_f64 v[16:17], v[16:17], v[18:19]
	v_add_f64 v[18:19], v[20:21], v[16:17]
	v_add_f64 v[20:21], v[18:19], -v[20:21]
	v_add_f64 v[16:17], v[16:17], -v[20:21]
	v_add_f64 v[20:21], v[22:23], v[18:19]
	v_add_f64 v[24:25], v[20:21], -v[22:23]
	v_add_f64 v[28:29], v[20:21], -v[24:25]
	;; [unrolled: 1-line block ×4, first 2 shown]
	v_add_f64 v[18:19], v[18:19], v[22:23]
	v_add_f64 v[22:23], v[26:27], v[16:17]
	v_add_f64 v[24:25], v[22:23], -v[26:27]
	v_add_f64 v[18:19], v[22:23], v[18:19]
	v_add_f64 v[28:29], v[22:23], -v[24:25]
	;; [unrolled: 2-line block ×3, first 2 shown]
	v_add_f64 v[16:17], v[16:17], -v[24:25]
	v_add_f64 v[20:21], v[22:23], -v[20:21]
	v_add_f64 v[16:17], v[16:17], v[26:27]
	v_add_f64 v[18:19], v[18:19], -v[20:21]
	s_mov_b32 s12, 0
	v_add_f64 v[16:17], v[16:17], v[18:19]
	s_mov_b32 s13, 0x7ff00000
	v_add_f64 v[16:17], v[22:23], v[16:17]
	v_cmp_eq_f64_e64 s[12:13], s[12:13], v[6:7]
	v_mov_b32_e32 v18, 0x7ff80000
	s_nop 0
	v_cndmask_b32_e64 v16, v16, v6, s[12:13]
	v_cndmask_b32_e64 v17, v17, v7, s[12:13]
	v_cmp_ngt_f64_e64 s[12:13], -1.0, v[6:7]
	s_nop 1
	v_cndmask_b32_e64 v17, v18, v17, s[12:13]
	v_cmp_nge_f64_e64 s[12:13], -1.0, v[6:7]
	v_mov_b32_e32 v18, 0xfff00000
	s_nop 0
	v_cndmask_b32_e64 v16, 0, v16, s[12:13]
	v_cmp_neq_f64_e64 s[12:13], -1.0, v[6:7]
	s_nop 1
	v_cndmask_b32_e64 v17, v18, v17, s[12:13]
	v_add_f64 v[132:133], v[4:5], v[16:17]
.LBB2_272:
	s_or_b64 exec, exec, s[16:17]
	v_max_f64 v[16:17], v[96:97], v[96:97]
	v_max_f64 v[4:5], v[132:133], v[132:133]
	v_min_f64 v[6:7], v[4:5], v[16:17]
	v_cmp_u_f64_e64 s[14:15], v[132:133], v[132:133]
	v_max_f64 v[4:5], v[4:5], v[16:17]
	v_cmp_u_f64_e64 s[12:13], v[96:97], v[96:97]
	v_cndmask_b32_e64 v6, v6, v132, s[14:15]
	v_cndmask_b32_e64 v7, v7, v133, s[14:15]
	;; [unrolled: 1-line block ×8, first 2 shown]
	v_cmp_neq_f64_e64 s[14:15], v[6:7], v[4:5]
	v_cmp_class_f64_e64 s[16:17], v[6:7], s22
	s_or_b64 s[14:15], s[14:15], s[16:17]
	s_and_saveexec_b64 s[18:19], s[14:15]
	s_cbranch_execz .LBB2_274
; %bb.273:
	s_mov_b32 s14, 0x652b82fe
	v_add_f64 v[6:7], v[6:7], -v[4:5]
	s_mov_b32 s15, 0x3ff71547
	v_mul_f64 v[18:19], v[6:7], s[14:15]
	v_rndne_f64_e32 v[18:19], v[18:19]
	s_mov_b32 s21, 0xbfe62e42
	s_mov_b32 s20, 0xfefa39ef
	v_fma_f64 v[20:21], s[20:21], v[18:19], v[6:7]
	s_mov_b32 s23, 0xbc7abc9e
	s_mov_b32 s22, 0x3b39803f
	;; [unrolled: 1-line block ×3, first 2 shown]
	v_fmac_f64_e32 v[20:21], s[22:23], v[18:19]
	v_mov_b32_e32 v22, 0xfca7ab0c
	v_mov_b32_e32 v23, 0x3e928af3
	s_mov_b32 s15, 0x3e5ade15
	v_fmac_f64_e32 v[22:23], s[14:15], v[20:21]
	v_mov_b32_e32 v24, 0x623fde64
	v_mov_b32_e32 v25, 0x3ec71dee
	v_fmac_f64_e32 v[24:25], v[20:21], v[22:23]
	v_mov_b32_e32 v22, 0x7c89e6b0
	v_mov_b32_e32 v23, 0x3efa0199
	;; [unrolled: 3-line block ×8, first 2 shown]
	v_fmac_f64_e32 v[22:23], v[20:21], v[24:25]
	v_fma_f64 v[22:23], v[20:21], v[22:23], 1.0
	s_mov_b32 s14, 0
	s_mov_b32 s16, 0
	v_fma_f64 v[20:21], v[20:21], v[22:23], 1.0
	v_cvt_i32_f64_e32 v18, v[18:19]
	s_mov_b32 s15, 0x40900000
	s_mov_b32 s17, 0xc090cc00
	v_ldexp_f64 v[18:19], v[20:21], v18
	v_mov_b32_e32 v20, 0x7ff00000
	v_cmp_nlt_f64_e64 s[14:15], s[14:15], v[6:7]
	v_cmp_ngt_f64_e64 s[16:17], s[16:17], v[6:7]
	s_mov_b32 s21, 0x3fe62e42
	v_cndmask_b32_e64 v19, v20, v19, s[14:15]
	s_and_b64 s[14:15], s[16:17], s[14:15]
	v_cndmask_b32_e64 v7, 0, v19, s[16:17]
	v_cndmask_b32_e64 v6, 0, v18, s[14:15]
	v_add_f64 v[18:19], v[6:7], 1.0
	v_add_f64 v[20:21], v[18:19], -1.0
	v_add_f64 v[22:23], v[20:21], -v[18:19]
	v_add_f64 v[22:23], v[22:23], 1.0
	v_add_f64 v[20:21], v[6:7], -v[20:21]
	s_mov_b32 s14, 0x55555555
	v_add_f64 v[20:21], v[20:21], v[22:23]
	v_frexp_mant_f64_e32 v[22:23], v[18:19]
	s_mov_b32 s15, 0x3fe55555
	v_frexp_exp_i32_f64_e32 v24, v[18:19]
	v_cmp_gt_f64_e64 s[14:15], s[14:15], v[22:23]
	s_mov_b32 s23, 0x3c7abc9e
	s_nop 0
	v_subbrev_co_u32_e64 v53, s[14:15], 0, v24, s[14:15]
	v_sub_u32_e32 v22, 0, v53
	v_ldexp_f64 v[18:19], v[18:19], v22
	v_ldexp_f64 v[20:21], v[20:21], v22
	v_add_f64 v[22:23], v[18:19], -1.0
	v_add_f64 v[28:29], v[18:19], 1.0
	v_add_f64 v[24:25], v[22:23], 1.0
	v_add_f64 v[30:31], v[28:29], -1.0
	v_add_f64 v[24:25], v[18:19], -v[24:25]
	v_add_f64 v[18:19], v[18:19], -v[30:31]
	v_add_f64 v[18:19], v[20:21], v[18:19]
	v_add_f64 v[24:25], v[20:21], v[24:25]
	;; [unrolled: 1-line block ×3, first 2 shown]
	v_rcp_f64_e32 v[30:31], v[20:21]
	v_add_f64 v[26:27], v[22:23], v[24:25]
	v_add_f64 v[22:23], v[26:27], -v[22:23]
	v_add_f64 v[22:23], v[24:25], -v[22:23]
	;; [unrolled: 1-line block ×4, first 2 shown]
	v_fma_f64 v[24:25], -v[20:21], v[30:31], 1.0
	v_fmac_f64_e32 v[30:31], v[24:25], v[30:31]
	v_fma_f64 v[24:25], -v[20:21], v[30:31], 1.0
	v_fmac_f64_e32 v[30:31], v[24:25], v[30:31]
	v_mul_f64 v[24:25], v[26:27], v[30:31]
	v_mul_f64 v[28:29], v[20:21], v[24:25]
	v_fma_f64 v[32:33], v[24:25], v[20:21], -v[28:29]
	v_fmac_f64_e32 v[32:33], v[24:25], v[18:19]
	v_add_f64 v[132:133], v[28:29], v[32:33]
	v_add_f64 v[134:135], v[26:27], -v[132:133]
	v_add_f64 v[26:27], v[26:27], -v[134:135]
	;; [unrolled: 1-line block ×4, first 2 shown]
	v_add_f64 v[22:23], v[22:23], v[26:27]
	v_add_f64 v[26:27], v[28:29], -v[32:33]
	v_add_f64 v[22:23], v[26:27], v[22:23]
	v_add_f64 v[26:27], v[134:135], v[22:23]
	v_add_f64 v[28:29], v[134:135], -v[26:27]
	v_add_f64 v[22:23], v[22:23], v[28:29]
	v_mul_f64 v[28:29], v[30:31], v[26:27]
	v_mul_f64 v[32:33], v[20:21], v[28:29]
	v_fma_f64 v[20:21], v[28:29], v[20:21], -v[32:33]
	v_fmac_f64_e32 v[20:21], v[28:29], v[18:19]
	v_add_f64 v[18:19], v[32:33], v[20:21]
	v_add_f64 v[132:133], v[26:27], -v[18:19]
	v_add_f64 v[26:27], v[26:27], -v[132:133]
	;; [unrolled: 1-line block ×4, first 2 shown]
	v_add_f64 v[18:19], v[22:23], v[18:19]
	v_add_f64 v[20:21], v[32:33], -v[20:21]
	v_add_f64 v[18:19], v[20:21], v[18:19]
	v_add_f64 v[20:21], v[24:25], v[28:29]
	;; [unrolled: 1-line block ×3, first 2 shown]
	v_add_f64 v[22:23], v[20:21], -v[24:25]
	v_mul_f64 v[18:19], v[30:31], v[18:19]
	v_add_f64 v[22:23], v[28:29], -v[22:23]
	v_add_f64 v[18:19], v[22:23], v[18:19]
	v_add_f64 v[22:23], v[20:21], v[18:19]
	v_add_f64 v[20:21], v[22:23], -v[20:21]
	s_mov_b32 s14, 0xbf559e2b
	v_add_f64 v[18:19], v[18:19], -v[20:21]
	v_mul_f64 v[20:21], v[22:23], v[22:23]
	v_mov_b32_e32 v24, 0x6b47b09a
	v_mov_b32_e32 v25, 0x3fc38538
	s_mov_b32 s15, 0x3fc3ab76
	v_fmac_f64_e32 v[24:25], s[14:15], v[20:21]
	v_mov_b32_e32 v26, 0xd7f4df2e
	v_mov_b32_e32 v27, 0x3fc7474d
	v_fmac_f64_e32 v[26:27], v[20:21], v[24:25]
	v_mov_b32_e32 v24, 0x16291751
	v_mov_b32_e32 v25, 0x3fcc71c0
	;; [unrolled: 3-line block ×5, first 2 shown]
	v_fmac_f64_e32 v[26:27], v[20:21], v[24:25]
	v_cvt_f64_i32_e32 v[24:25], v53
	v_mul_f64 v[28:29], v[24:25], s[20:21]
	v_fma_f64 v[30:31], v[24:25], s[20:21], -v[28:29]
	v_fmac_f64_e32 v[30:31], s[22:23], v[24:25]
	v_add_f64 v[24:25], v[28:29], v[30:31]
	v_add_f64 v[28:29], v[24:25], -v[28:29]
	v_mul_f64 v[20:21], v[22:23], v[20:21]
	v_add_f64 v[28:29], v[30:31], -v[28:29]
	v_ldexp_f64 v[30:31], v[22:23], 1
	v_mul_f64 v[20:21], v[20:21], v[26:27]
	v_add_f64 v[22:23], v[30:31], v[20:21]
	v_add_f64 v[26:27], v[22:23], -v[30:31]
	v_ldexp_f64 v[18:19], v[18:19], 1
	v_add_f64 v[20:21], v[20:21], -v[26:27]
	v_add_f64 v[18:19], v[18:19], v[20:21]
	v_add_f64 v[20:21], v[22:23], v[18:19]
	v_add_f64 v[22:23], v[20:21], -v[22:23]
	v_add_f64 v[18:19], v[18:19], -v[22:23]
	v_add_f64 v[22:23], v[24:25], v[20:21]
	v_add_f64 v[26:27], v[22:23], -v[24:25]
	v_add_f64 v[30:31], v[22:23], -v[26:27]
	;; [unrolled: 1-line block ×4, first 2 shown]
	v_add_f64 v[20:21], v[20:21], v[24:25]
	v_add_f64 v[24:25], v[28:29], v[18:19]
	v_add_f64 v[26:27], v[24:25], -v[28:29]
	v_add_f64 v[20:21], v[24:25], v[20:21]
	v_add_f64 v[30:31], v[24:25], -v[26:27]
	;; [unrolled: 2-line block ×3, first 2 shown]
	v_add_f64 v[18:19], v[18:19], -v[26:27]
	v_add_f64 v[22:23], v[24:25], -v[22:23]
	v_add_f64 v[18:19], v[18:19], v[28:29]
	v_add_f64 v[20:21], v[20:21], -v[22:23]
	s_mov_b32 s14, 0
	v_add_f64 v[18:19], v[18:19], v[20:21]
	s_mov_b32 s15, 0x7ff00000
	v_add_f64 v[18:19], v[24:25], v[18:19]
	v_cmp_eq_f64_e64 s[14:15], s[14:15], v[6:7]
	v_mov_b32_e32 v20, 0x7ff80000
	s_nop 0
	v_cndmask_b32_e64 v18, v18, v6, s[14:15]
	v_cndmask_b32_e64 v19, v19, v7, s[14:15]
	v_cmp_ngt_f64_e64 s[14:15], -1.0, v[6:7]
	s_nop 1
	v_cndmask_b32_e64 v19, v20, v19, s[14:15]
	v_cmp_nge_f64_e64 s[14:15], -1.0, v[6:7]
	v_mov_b32_e32 v20, 0xfff00000
	s_nop 0
	v_cndmask_b32_e64 v18, 0, v18, s[14:15]
	v_cmp_neq_f64_e64 s[14:15], -1.0, v[6:7]
	s_nop 1
	v_cndmask_b32_e64 v19, v20, v19, s[14:15]
	v_add_f64 v[132:133], v[4:5], v[18:19]
.LBB2_274:
	s_or_b64 exec, exec, s[18:19]
	v_max_f64 v[18:19], v[98:99], v[98:99]
	v_max_f64 v[4:5], v[132:133], v[132:133]
	v_min_f64 v[6:7], v[4:5], v[18:19]
	v_cmp_u_f64_e64 s[16:17], v[132:133], v[132:133]
	v_max_f64 v[4:5], v[4:5], v[18:19]
	v_cmp_u_f64_e64 s[14:15], v[98:99], v[98:99]
	v_cndmask_b32_e64 v6, v6, v132, s[16:17]
	v_cndmask_b32_e64 v7, v7, v133, s[16:17]
	;; [unrolled: 1-line block ×8, first 2 shown]
	s_movk_i32 s26, 0x1f8
	v_cmp_neq_f64_e64 s[16:17], v[6:7], v[4:5]
	v_cmp_class_f64_e64 s[18:19], v[6:7], s26
	s_or_b64 s[16:17], s[16:17], s[18:19]
	s_and_saveexec_b64 s[20:21], s[16:17]
	s_cbranch_execz .LBB2_276
; %bb.275:
	s_mov_b32 s16, 0x652b82fe
	v_add_f64 v[6:7], v[6:7], -v[4:5]
	s_mov_b32 s17, 0x3ff71547
	v_mul_f64 v[20:21], v[6:7], s[16:17]
	v_rndne_f64_e32 v[20:21], v[20:21]
	s_mov_b32 s23, 0xbfe62e42
	s_mov_b32 s22, 0xfefa39ef
	v_fma_f64 v[22:23], s[22:23], v[20:21], v[6:7]
	s_mov_b32 s25, 0xbc7abc9e
	s_mov_b32 s24, 0x3b39803f
	;; [unrolled: 1-line block ×3, first 2 shown]
	v_fmac_f64_e32 v[22:23], s[24:25], v[20:21]
	v_mov_b32_e32 v24, 0xfca7ab0c
	v_mov_b32_e32 v25, 0x3e928af3
	s_mov_b32 s17, 0x3e5ade15
	v_fmac_f64_e32 v[24:25], s[16:17], v[22:23]
	v_mov_b32_e32 v26, 0x623fde64
	v_mov_b32_e32 v27, 0x3ec71dee
	v_fmac_f64_e32 v[26:27], v[22:23], v[24:25]
	v_mov_b32_e32 v24, 0x7c89e6b0
	v_mov_b32_e32 v25, 0x3efa0199
	;; [unrolled: 3-line block ×8, first 2 shown]
	v_fmac_f64_e32 v[24:25], v[22:23], v[26:27]
	v_fma_f64 v[24:25], v[22:23], v[24:25], 1.0
	s_mov_b32 s16, 0
	s_mov_b32 s18, 0
	v_fma_f64 v[22:23], v[22:23], v[24:25], 1.0
	v_cvt_i32_f64_e32 v20, v[20:21]
	s_mov_b32 s17, 0x40900000
	s_mov_b32 s19, 0xc090cc00
	v_ldexp_f64 v[20:21], v[22:23], v20
	v_mov_b32_e32 v22, 0x7ff00000
	v_cmp_nlt_f64_e64 s[16:17], s[16:17], v[6:7]
	v_cmp_ngt_f64_e64 s[18:19], s[18:19], v[6:7]
	s_mov_b32 s23, 0x3fe62e42
	v_cndmask_b32_e64 v21, v22, v21, s[16:17]
	s_and_b64 s[16:17], s[18:19], s[16:17]
	v_cndmask_b32_e64 v7, 0, v21, s[18:19]
	v_cndmask_b32_e64 v6, 0, v20, s[16:17]
	v_add_f64 v[20:21], v[6:7], 1.0
	v_add_f64 v[22:23], v[20:21], -1.0
	v_add_f64 v[24:25], v[22:23], -v[20:21]
	v_add_f64 v[24:25], v[24:25], 1.0
	v_add_f64 v[22:23], v[6:7], -v[22:23]
	s_mov_b32 s16, 0x55555555
	v_add_f64 v[22:23], v[22:23], v[24:25]
	v_frexp_mant_f64_e32 v[24:25], v[20:21]
	s_mov_b32 s17, 0x3fe55555
	v_frexp_exp_i32_f64_e32 v26, v[20:21]
	v_cmp_gt_f64_e64 s[16:17], s[16:17], v[24:25]
	s_mov_b32 s25, 0x3c7abc9e
	s_nop 0
	v_subbrev_co_u32_e64 v53, s[16:17], 0, v26, s[16:17]
	v_sub_u32_e32 v24, 0, v53
	v_ldexp_f64 v[20:21], v[20:21], v24
	v_ldexp_f64 v[22:23], v[22:23], v24
	v_add_f64 v[24:25], v[20:21], -1.0
	v_add_f64 v[30:31], v[20:21], 1.0
	v_add_f64 v[26:27], v[24:25], 1.0
	v_add_f64 v[32:33], v[30:31], -1.0
	v_add_f64 v[26:27], v[20:21], -v[26:27]
	v_add_f64 v[20:21], v[20:21], -v[32:33]
	v_add_f64 v[20:21], v[22:23], v[20:21]
	v_add_f64 v[26:27], v[22:23], v[26:27]
	;; [unrolled: 1-line block ×3, first 2 shown]
	v_rcp_f64_e32 v[32:33], v[22:23]
	v_add_f64 v[28:29], v[24:25], v[26:27]
	v_add_f64 v[24:25], v[28:29], -v[24:25]
	v_add_f64 v[24:25], v[26:27], -v[24:25]
	;; [unrolled: 1-line block ×4, first 2 shown]
	v_fma_f64 v[26:27], -v[22:23], v[32:33], 1.0
	v_fmac_f64_e32 v[32:33], v[26:27], v[32:33]
	v_fma_f64 v[26:27], -v[22:23], v[32:33], 1.0
	v_fmac_f64_e32 v[32:33], v[26:27], v[32:33]
	v_mul_f64 v[26:27], v[28:29], v[32:33]
	v_mul_f64 v[30:31], v[22:23], v[26:27]
	v_fma_f64 v[132:133], v[26:27], v[22:23], -v[30:31]
	v_fmac_f64_e32 v[132:133], v[26:27], v[20:21]
	v_add_f64 v[134:135], v[30:31], v[132:133]
	v_add_f64 v[144:145], v[28:29], -v[134:135]
	v_add_f64 v[28:29], v[28:29], -v[144:145]
	;; [unrolled: 1-line block ×4, first 2 shown]
	v_add_f64 v[24:25], v[24:25], v[28:29]
	v_add_f64 v[28:29], v[30:31], -v[132:133]
	v_add_f64 v[24:25], v[28:29], v[24:25]
	v_add_f64 v[28:29], v[144:145], v[24:25]
	v_add_f64 v[30:31], v[144:145], -v[28:29]
	v_add_f64 v[24:25], v[24:25], v[30:31]
	v_mul_f64 v[30:31], v[32:33], v[28:29]
	v_mul_f64 v[132:133], v[22:23], v[30:31]
	v_fma_f64 v[22:23], v[30:31], v[22:23], -v[132:133]
	v_fmac_f64_e32 v[22:23], v[30:31], v[20:21]
	v_add_f64 v[20:21], v[132:133], v[22:23]
	v_add_f64 v[134:135], v[28:29], -v[20:21]
	v_add_f64 v[28:29], v[28:29], -v[134:135]
	;; [unrolled: 1-line block ×4, first 2 shown]
	v_add_f64 v[20:21], v[24:25], v[20:21]
	v_add_f64 v[22:23], v[132:133], -v[22:23]
	v_add_f64 v[20:21], v[22:23], v[20:21]
	v_add_f64 v[22:23], v[26:27], v[30:31]
	;; [unrolled: 1-line block ×3, first 2 shown]
	v_add_f64 v[24:25], v[22:23], -v[26:27]
	v_mul_f64 v[20:21], v[32:33], v[20:21]
	v_add_f64 v[24:25], v[30:31], -v[24:25]
	v_add_f64 v[20:21], v[24:25], v[20:21]
	v_add_f64 v[24:25], v[22:23], v[20:21]
	v_add_f64 v[22:23], v[24:25], -v[22:23]
	s_mov_b32 s16, 0xbf559e2b
	v_add_f64 v[20:21], v[20:21], -v[22:23]
	v_mul_f64 v[22:23], v[24:25], v[24:25]
	v_mov_b32_e32 v26, 0x6b47b09a
	v_mov_b32_e32 v27, 0x3fc38538
	s_mov_b32 s17, 0x3fc3ab76
	v_fmac_f64_e32 v[26:27], s[16:17], v[22:23]
	v_mov_b32_e32 v28, 0xd7f4df2e
	v_mov_b32_e32 v29, 0x3fc7474d
	v_fmac_f64_e32 v[28:29], v[22:23], v[26:27]
	v_mov_b32_e32 v26, 0x16291751
	v_mov_b32_e32 v27, 0x3fcc71c0
	;; [unrolled: 3-line block ×5, first 2 shown]
	v_fmac_f64_e32 v[28:29], v[22:23], v[26:27]
	v_cvt_f64_i32_e32 v[26:27], v53
	v_mul_f64 v[30:31], v[26:27], s[22:23]
	v_fma_f64 v[32:33], v[26:27], s[22:23], -v[30:31]
	v_fmac_f64_e32 v[32:33], s[24:25], v[26:27]
	v_add_f64 v[26:27], v[30:31], v[32:33]
	v_add_f64 v[30:31], v[26:27], -v[30:31]
	v_mul_f64 v[22:23], v[24:25], v[22:23]
	v_add_f64 v[30:31], v[32:33], -v[30:31]
	v_ldexp_f64 v[32:33], v[24:25], 1
	v_mul_f64 v[22:23], v[22:23], v[28:29]
	v_add_f64 v[24:25], v[32:33], v[22:23]
	v_add_f64 v[28:29], v[24:25], -v[32:33]
	v_ldexp_f64 v[20:21], v[20:21], 1
	v_add_f64 v[22:23], v[22:23], -v[28:29]
	v_add_f64 v[20:21], v[20:21], v[22:23]
	v_add_f64 v[22:23], v[24:25], v[20:21]
	v_add_f64 v[24:25], v[22:23], -v[24:25]
	v_add_f64 v[20:21], v[20:21], -v[24:25]
	v_add_f64 v[24:25], v[26:27], v[22:23]
	v_add_f64 v[28:29], v[24:25], -v[26:27]
	v_add_f64 v[32:33], v[24:25], -v[28:29]
	;; [unrolled: 1-line block ×4, first 2 shown]
	v_add_f64 v[22:23], v[22:23], v[26:27]
	v_add_f64 v[26:27], v[30:31], v[20:21]
	v_add_f64 v[28:29], v[26:27], -v[30:31]
	v_add_f64 v[22:23], v[26:27], v[22:23]
	v_add_f64 v[32:33], v[26:27], -v[28:29]
	v_add_f64 v[26:27], v[24:25], v[22:23]
	v_add_f64 v[30:31], v[30:31], -v[32:33]
	v_add_f64 v[20:21], v[20:21], -v[28:29]
	v_add_f64 v[24:25], v[26:27], -v[24:25]
	v_add_f64 v[20:21], v[20:21], v[30:31]
	v_add_f64 v[22:23], v[22:23], -v[24:25]
	s_mov_b32 s16, 0
	v_add_f64 v[20:21], v[20:21], v[22:23]
	s_mov_b32 s17, 0x7ff00000
	v_add_f64 v[20:21], v[26:27], v[20:21]
	v_cmp_eq_f64_e64 s[16:17], s[16:17], v[6:7]
	v_mov_b32_e32 v22, 0x7ff80000
	s_nop 0
	v_cndmask_b32_e64 v20, v20, v6, s[16:17]
	v_cndmask_b32_e64 v21, v21, v7, s[16:17]
	v_cmp_ngt_f64_e64 s[16:17], -1.0, v[6:7]
	s_nop 1
	v_cndmask_b32_e64 v21, v22, v21, s[16:17]
	v_cmp_nge_f64_e64 s[16:17], -1.0, v[6:7]
	v_mov_b32_e32 v22, 0xfff00000
	s_nop 0
	v_cndmask_b32_e64 v20, 0, v20, s[16:17]
	v_cmp_neq_f64_e64 s[16:17], -1.0, v[6:7]
	s_nop 1
	v_cndmask_b32_e64 v21, v22, v21, s[16:17]
	v_add_f64 v[132:133], v[4:5], v[20:21]
.LBB2_276:
	s_or_b64 exec, exec, s[20:21]
	v_max_f64 v[20:21], v[84:85], v[84:85]
	v_max_f64 v[4:5], v[132:133], v[132:133]
	v_min_f64 v[6:7], v[4:5], v[20:21]
	v_cmp_u_f64_e64 s[18:19], v[132:133], v[132:133]
	v_max_f64 v[4:5], v[4:5], v[20:21]
	v_cmp_u_f64_e64 s[16:17], v[84:85], v[84:85]
	v_cndmask_b32_e64 v6, v6, v132, s[18:19]
	v_cndmask_b32_e64 v7, v7, v133, s[18:19]
	;; [unrolled: 1-line block ×8, first 2 shown]
	v_cmp_neq_f64_e64 s[18:19], v[6:7], v[4:5]
	v_cmp_class_f64_e64 s[20:21], v[6:7], s26
	s_or_b64 s[18:19], s[18:19], s[20:21]
	s_and_saveexec_b64 s[22:23], s[18:19]
	s_cbranch_execz .LBB2_278
; %bb.277:
	s_mov_b32 s18, 0x652b82fe
	v_add_f64 v[6:7], v[6:7], -v[4:5]
	s_mov_b32 s19, 0x3ff71547
	v_mul_f64 v[22:23], v[6:7], s[18:19]
	v_rndne_f64_e32 v[22:23], v[22:23]
	s_mov_b32 s25, 0xbfe62e42
	s_mov_b32 s24, 0xfefa39ef
	v_fma_f64 v[24:25], s[24:25], v[22:23], v[6:7]
	s_mov_b32 s27, 0xbc7abc9e
	s_mov_b32 s26, 0x3b39803f
	;; [unrolled: 1-line block ×3, first 2 shown]
	v_fmac_f64_e32 v[24:25], s[26:27], v[22:23]
	v_mov_b32_e32 v26, 0xfca7ab0c
	v_mov_b32_e32 v27, 0x3e928af3
	s_mov_b32 s19, 0x3e5ade15
	v_fmac_f64_e32 v[26:27], s[18:19], v[24:25]
	v_mov_b32_e32 v28, 0x623fde64
	v_mov_b32_e32 v29, 0x3ec71dee
	v_fmac_f64_e32 v[28:29], v[24:25], v[26:27]
	v_mov_b32_e32 v26, 0x7c89e6b0
	v_mov_b32_e32 v27, 0x3efa0199
	;; [unrolled: 3-line block ×8, first 2 shown]
	v_fmac_f64_e32 v[26:27], v[24:25], v[28:29]
	v_fma_f64 v[26:27], v[24:25], v[26:27], 1.0
	s_mov_b32 s18, 0
	s_mov_b32 s20, 0
	v_fma_f64 v[24:25], v[24:25], v[26:27], 1.0
	v_cvt_i32_f64_e32 v22, v[22:23]
	s_mov_b32 s19, 0x40900000
	s_mov_b32 s21, 0xc090cc00
	v_ldexp_f64 v[22:23], v[24:25], v22
	v_mov_b32_e32 v24, 0x7ff00000
	v_cmp_nlt_f64_e64 s[18:19], s[18:19], v[6:7]
	v_cmp_ngt_f64_e64 s[20:21], s[20:21], v[6:7]
	s_mov_b32 s25, 0x3fe62e42
	v_cndmask_b32_e64 v23, v24, v23, s[18:19]
	s_and_b64 s[18:19], s[20:21], s[18:19]
	v_cndmask_b32_e64 v7, 0, v23, s[20:21]
	v_cndmask_b32_e64 v6, 0, v22, s[18:19]
	v_add_f64 v[22:23], v[6:7], 1.0
	v_add_f64 v[24:25], v[22:23], -1.0
	v_add_f64 v[26:27], v[24:25], -v[22:23]
	v_add_f64 v[26:27], v[26:27], 1.0
	v_add_f64 v[24:25], v[6:7], -v[24:25]
	s_mov_b32 s18, 0x55555555
	v_add_f64 v[24:25], v[24:25], v[26:27]
	v_frexp_mant_f64_e32 v[26:27], v[22:23]
	s_mov_b32 s19, 0x3fe55555
	v_frexp_exp_i32_f64_e32 v28, v[22:23]
	v_cmp_gt_f64_e64 s[18:19], s[18:19], v[26:27]
	s_mov_b32 s27, 0x3c7abc9e
	s_nop 0
	v_subbrev_co_u32_e64 v53, s[18:19], 0, v28, s[18:19]
	v_sub_u32_e32 v26, 0, v53
	v_ldexp_f64 v[22:23], v[22:23], v26
	v_ldexp_f64 v[24:25], v[24:25], v26
	v_add_f64 v[26:27], v[22:23], -1.0
	v_add_f64 v[32:33], v[22:23], 1.0
	v_add_f64 v[28:29], v[26:27], 1.0
	v_add_f64 v[132:133], v[32:33], -1.0
	v_add_f64 v[28:29], v[22:23], -v[28:29]
	v_add_f64 v[22:23], v[22:23], -v[132:133]
	v_add_f64 v[22:23], v[24:25], v[22:23]
	v_add_f64 v[28:29], v[24:25], v[28:29]
	;; [unrolled: 1-line block ×3, first 2 shown]
	v_rcp_f64_e32 v[132:133], v[24:25]
	v_add_f64 v[30:31], v[26:27], v[28:29]
	v_add_f64 v[26:27], v[30:31], -v[26:27]
	v_add_f64 v[26:27], v[28:29], -v[26:27]
	;; [unrolled: 1-line block ×4, first 2 shown]
	v_fma_f64 v[28:29], -v[24:25], v[132:133], 1.0
	v_fmac_f64_e32 v[132:133], v[28:29], v[132:133]
	v_fma_f64 v[28:29], -v[24:25], v[132:133], 1.0
	v_fmac_f64_e32 v[132:133], v[28:29], v[132:133]
	v_mul_f64 v[28:29], v[30:31], v[132:133]
	v_mul_f64 v[32:33], v[24:25], v[28:29]
	v_fma_f64 v[134:135], v[28:29], v[24:25], -v[32:33]
	v_fmac_f64_e32 v[134:135], v[28:29], v[22:23]
	v_add_f64 v[144:145], v[32:33], v[134:135]
	v_add_f64 v[146:147], v[30:31], -v[144:145]
	v_add_f64 v[30:31], v[30:31], -v[146:147]
	;; [unrolled: 1-line block ×4, first 2 shown]
	v_add_f64 v[26:27], v[26:27], v[30:31]
	v_add_f64 v[30:31], v[32:33], -v[134:135]
	v_add_f64 v[26:27], v[30:31], v[26:27]
	v_add_f64 v[30:31], v[146:147], v[26:27]
	v_add_f64 v[32:33], v[146:147], -v[30:31]
	v_add_f64 v[26:27], v[26:27], v[32:33]
	v_mul_f64 v[32:33], v[132:133], v[30:31]
	v_mul_f64 v[134:135], v[24:25], v[32:33]
	v_fma_f64 v[24:25], v[32:33], v[24:25], -v[134:135]
	v_fmac_f64_e32 v[24:25], v[32:33], v[22:23]
	v_add_f64 v[22:23], v[134:135], v[24:25]
	v_add_f64 v[144:145], v[30:31], -v[22:23]
	v_add_f64 v[30:31], v[30:31], -v[144:145]
	v_add_f64 v[134:135], v[22:23], -v[134:135]
	v_add_f64 v[22:23], v[30:31], -v[22:23]
	v_add_f64 v[22:23], v[26:27], v[22:23]
	v_add_f64 v[24:25], v[134:135], -v[24:25]
	v_add_f64 v[22:23], v[24:25], v[22:23]
	v_add_f64 v[24:25], v[28:29], v[32:33]
	;; [unrolled: 1-line block ×3, first 2 shown]
	v_add_f64 v[26:27], v[24:25], -v[28:29]
	v_mul_f64 v[22:23], v[132:133], v[22:23]
	v_add_f64 v[26:27], v[32:33], -v[26:27]
	v_add_f64 v[22:23], v[26:27], v[22:23]
	v_add_f64 v[26:27], v[24:25], v[22:23]
	v_add_f64 v[24:25], v[26:27], -v[24:25]
	s_mov_b32 s18, 0xbf559e2b
	v_add_f64 v[22:23], v[22:23], -v[24:25]
	v_mul_f64 v[24:25], v[26:27], v[26:27]
	v_mov_b32_e32 v28, 0x6b47b09a
	v_mov_b32_e32 v29, 0x3fc38538
	s_mov_b32 s19, 0x3fc3ab76
	v_fmac_f64_e32 v[28:29], s[18:19], v[24:25]
	v_mov_b32_e32 v30, 0xd7f4df2e
	v_mov_b32_e32 v31, 0x3fc7474d
	v_fmac_f64_e32 v[30:31], v[24:25], v[28:29]
	v_mov_b32_e32 v28, 0x16291751
	v_mov_b32_e32 v29, 0x3fcc71c0
	;; [unrolled: 3-line block ×5, first 2 shown]
	v_fmac_f64_e32 v[30:31], v[24:25], v[28:29]
	v_cvt_f64_i32_e32 v[28:29], v53
	v_mul_f64 v[32:33], v[28:29], s[24:25]
	v_fma_f64 v[132:133], v[28:29], s[24:25], -v[32:33]
	v_fmac_f64_e32 v[132:133], s[26:27], v[28:29]
	v_add_f64 v[28:29], v[32:33], v[132:133]
	v_add_f64 v[32:33], v[28:29], -v[32:33]
	v_mul_f64 v[24:25], v[26:27], v[24:25]
	v_add_f64 v[32:33], v[132:133], -v[32:33]
	v_ldexp_f64 v[132:133], v[26:27], 1
	v_mul_f64 v[24:25], v[24:25], v[30:31]
	v_add_f64 v[26:27], v[132:133], v[24:25]
	v_add_f64 v[30:31], v[26:27], -v[132:133]
	v_ldexp_f64 v[22:23], v[22:23], 1
	v_add_f64 v[24:25], v[24:25], -v[30:31]
	v_add_f64 v[22:23], v[22:23], v[24:25]
	v_add_f64 v[24:25], v[26:27], v[22:23]
	v_add_f64 v[26:27], v[24:25], -v[26:27]
	v_add_f64 v[22:23], v[22:23], -v[26:27]
	v_add_f64 v[26:27], v[28:29], v[24:25]
	v_add_f64 v[30:31], v[26:27], -v[28:29]
	v_add_f64 v[132:133], v[26:27], -v[30:31]
	;; [unrolled: 1-line block ×4, first 2 shown]
	v_add_f64 v[24:25], v[24:25], v[28:29]
	v_add_f64 v[28:29], v[32:33], v[22:23]
	v_add_f64 v[30:31], v[28:29], -v[32:33]
	v_add_f64 v[24:25], v[28:29], v[24:25]
	v_add_f64 v[132:133], v[28:29], -v[30:31]
	;; [unrolled: 2-line block ×3, first 2 shown]
	v_add_f64 v[22:23], v[22:23], -v[30:31]
	v_add_f64 v[26:27], v[28:29], -v[26:27]
	v_add_f64 v[22:23], v[22:23], v[32:33]
	v_add_f64 v[24:25], v[24:25], -v[26:27]
	s_mov_b32 s18, 0
	v_add_f64 v[22:23], v[22:23], v[24:25]
	s_mov_b32 s19, 0x7ff00000
	v_add_f64 v[22:23], v[28:29], v[22:23]
	v_cmp_eq_f64_e64 s[18:19], s[18:19], v[6:7]
	v_mov_b32_e32 v24, 0x7ff80000
	s_nop 0
	v_cndmask_b32_e64 v22, v22, v6, s[18:19]
	v_cndmask_b32_e64 v23, v23, v7, s[18:19]
	v_cmp_ngt_f64_e64 s[18:19], -1.0, v[6:7]
	s_nop 1
	v_cndmask_b32_e64 v23, v24, v23, s[18:19]
	v_cmp_nge_f64_e64 s[18:19], -1.0, v[6:7]
	v_mov_b32_e32 v24, 0xfff00000
	s_nop 0
	v_cndmask_b32_e64 v22, 0, v22, s[18:19]
	v_cmp_neq_f64_e64 s[18:19], -1.0, v[6:7]
	s_nop 1
	v_cndmask_b32_e64 v23, v24, v23, s[18:19]
	v_add_f64 v[132:133], v[4:5], v[22:23]
.LBB2_278:
	s_or_b64 exec, exec, s[22:23]
	v_max_f64 v[22:23], v[86:87], v[86:87]
	v_max_f64 v[4:5], v[132:133], v[132:133]
	v_min_f64 v[6:7], v[4:5], v[22:23]
	v_cmp_u_f64_e64 s[20:21], v[132:133], v[132:133]
	v_max_f64 v[4:5], v[4:5], v[22:23]
	v_cmp_u_f64_e64 s[18:19], v[86:87], v[86:87]
	v_cndmask_b32_e64 v6, v6, v132, s[20:21]
	v_cndmask_b32_e64 v7, v7, v133, s[20:21]
	;; [unrolled: 1-line block ×8, first 2 shown]
	s_movk_i32 s36, 0x1f8
	v_cmp_neq_f64_e64 s[20:21], v[6:7], v[4:5]
	v_cmp_class_f64_e64 s[22:23], v[6:7], s36
	s_or_b64 s[20:21], s[20:21], s[22:23]
	s_and_saveexec_b64 s[24:25], s[20:21]
	s_cbranch_execz .LBB2_280
; %bb.279:
	s_mov_b32 s20, 0x652b82fe
	v_add_f64 v[6:7], v[6:7], -v[4:5]
	s_mov_b32 s21, 0x3ff71547
	v_mul_f64 v[24:25], v[6:7], s[20:21]
	v_rndne_f64_e32 v[24:25], v[24:25]
	s_mov_b32 s27, 0xbfe62e42
	s_mov_b32 s26, 0xfefa39ef
	v_fma_f64 v[26:27], s[26:27], v[24:25], v[6:7]
	s_mov_b32 s29, 0xbc7abc9e
	s_mov_b32 s28, 0x3b39803f
	;; [unrolled: 1-line block ×3, first 2 shown]
	v_fmac_f64_e32 v[26:27], s[28:29], v[24:25]
	v_mov_b32_e32 v28, 0xfca7ab0c
	v_mov_b32_e32 v29, 0x3e928af3
	s_mov_b32 s21, 0x3e5ade15
	v_fmac_f64_e32 v[28:29], s[20:21], v[26:27]
	v_mov_b32_e32 v30, 0x623fde64
	v_mov_b32_e32 v31, 0x3ec71dee
	v_fmac_f64_e32 v[30:31], v[26:27], v[28:29]
	v_mov_b32_e32 v28, 0x7c89e6b0
	v_mov_b32_e32 v29, 0x3efa0199
	;; [unrolled: 3-line block ×8, first 2 shown]
	v_fmac_f64_e32 v[28:29], v[26:27], v[30:31]
	v_fma_f64 v[28:29], v[26:27], v[28:29], 1.0
	s_mov_b32 s20, 0
	s_mov_b32 s22, 0
	v_fma_f64 v[26:27], v[26:27], v[28:29], 1.0
	v_cvt_i32_f64_e32 v24, v[24:25]
	s_mov_b32 s21, 0x40900000
	s_mov_b32 s23, 0xc090cc00
	v_ldexp_f64 v[24:25], v[26:27], v24
	v_mov_b32_e32 v26, 0x7ff00000
	v_cmp_nlt_f64_e64 s[20:21], s[20:21], v[6:7]
	v_cmp_ngt_f64_e64 s[22:23], s[22:23], v[6:7]
	s_mov_b32 s27, 0x3fe62e42
	v_cndmask_b32_e64 v25, v26, v25, s[20:21]
	s_and_b64 s[20:21], s[22:23], s[20:21]
	v_cndmask_b32_e64 v7, 0, v25, s[22:23]
	v_cndmask_b32_e64 v6, 0, v24, s[20:21]
	v_add_f64 v[24:25], v[6:7], 1.0
	v_add_f64 v[26:27], v[24:25], -1.0
	v_add_f64 v[28:29], v[26:27], -v[24:25]
	v_add_f64 v[28:29], v[28:29], 1.0
	v_add_f64 v[26:27], v[6:7], -v[26:27]
	s_mov_b32 s20, 0x55555555
	v_add_f64 v[26:27], v[26:27], v[28:29]
	v_frexp_mant_f64_e32 v[28:29], v[24:25]
	s_mov_b32 s21, 0x3fe55555
	v_frexp_exp_i32_f64_e32 v30, v[24:25]
	v_cmp_gt_f64_e64 s[20:21], s[20:21], v[28:29]
	s_mov_b32 s29, 0x3c7abc9e
	s_nop 0
	v_subbrev_co_u32_e64 v53, s[20:21], 0, v30, s[20:21]
	v_sub_u32_e32 v28, 0, v53
	v_ldexp_f64 v[24:25], v[24:25], v28
	v_ldexp_f64 v[26:27], v[26:27], v28
	v_add_f64 v[28:29], v[24:25], -1.0
	v_add_f64 v[132:133], v[24:25], 1.0
	v_add_f64 v[30:31], v[28:29], 1.0
	v_add_f64 v[134:135], v[132:133], -1.0
	v_add_f64 v[30:31], v[24:25], -v[30:31]
	v_add_f64 v[24:25], v[24:25], -v[134:135]
	v_add_f64 v[24:25], v[26:27], v[24:25]
	v_add_f64 v[30:31], v[26:27], v[30:31]
	;; [unrolled: 1-line block ×3, first 2 shown]
	v_rcp_f64_e32 v[134:135], v[26:27]
	v_add_f64 v[32:33], v[28:29], v[30:31]
	v_add_f64 v[28:29], v[32:33], -v[28:29]
	v_add_f64 v[28:29], v[30:31], -v[28:29]
	;; [unrolled: 1-line block ×4, first 2 shown]
	v_fma_f64 v[30:31], -v[26:27], v[134:135], 1.0
	v_fmac_f64_e32 v[134:135], v[30:31], v[134:135]
	v_fma_f64 v[30:31], -v[26:27], v[134:135], 1.0
	v_fmac_f64_e32 v[134:135], v[30:31], v[134:135]
	v_mul_f64 v[30:31], v[32:33], v[134:135]
	v_mul_f64 v[132:133], v[26:27], v[30:31]
	v_fma_f64 v[144:145], v[30:31], v[26:27], -v[132:133]
	v_fmac_f64_e32 v[144:145], v[30:31], v[24:25]
	v_add_f64 v[146:147], v[132:133], v[144:145]
	v_add_f64 v[148:149], v[32:33], -v[146:147]
	v_add_f64 v[32:33], v[32:33], -v[148:149]
	;; [unrolled: 1-line block ×4, first 2 shown]
	v_add_f64 v[28:29], v[28:29], v[32:33]
	v_add_f64 v[32:33], v[132:133], -v[144:145]
	v_add_f64 v[28:29], v[32:33], v[28:29]
	v_add_f64 v[32:33], v[148:149], v[28:29]
	v_add_f64 v[132:133], v[148:149], -v[32:33]
	v_add_f64 v[28:29], v[28:29], v[132:133]
	v_mul_f64 v[132:133], v[134:135], v[32:33]
	v_mul_f64 v[144:145], v[26:27], v[132:133]
	v_fma_f64 v[26:27], v[132:133], v[26:27], -v[144:145]
	v_fmac_f64_e32 v[26:27], v[132:133], v[24:25]
	v_add_f64 v[24:25], v[144:145], v[26:27]
	v_add_f64 v[146:147], v[32:33], -v[24:25]
	v_add_f64 v[32:33], v[32:33], -v[146:147]
	;; [unrolled: 1-line block ×4, first 2 shown]
	v_add_f64 v[24:25], v[28:29], v[24:25]
	v_add_f64 v[26:27], v[144:145], -v[26:27]
	v_add_f64 v[24:25], v[26:27], v[24:25]
	v_add_f64 v[26:27], v[30:31], v[132:133]
	;; [unrolled: 1-line block ×3, first 2 shown]
	v_add_f64 v[28:29], v[26:27], -v[30:31]
	v_mul_f64 v[24:25], v[134:135], v[24:25]
	v_add_f64 v[28:29], v[132:133], -v[28:29]
	v_add_f64 v[24:25], v[28:29], v[24:25]
	v_add_f64 v[28:29], v[26:27], v[24:25]
	v_add_f64 v[26:27], v[28:29], -v[26:27]
	s_mov_b32 s20, 0xbf559e2b
	v_add_f64 v[24:25], v[24:25], -v[26:27]
	v_mul_f64 v[26:27], v[28:29], v[28:29]
	v_mov_b32_e32 v30, 0x6b47b09a
	v_mov_b32_e32 v31, 0x3fc38538
	s_mov_b32 s21, 0x3fc3ab76
	v_fmac_f64_e32 v[30:31], s[20:21], v[26:27]
	v_mov_b32_e32 v32, 0xd7f4df2e
	v_mov_b32_e32 v33, 0x3fc7474d
	v_fmac_f64_e32 v[32:33], v[26:27], v[30:31]
	v_mov_b32_e32 v30, 0x16291751
	v_mov_b32_e32 v31, 0x3fcc71c0
	;; [unrolled: 3-line block ×5, first 2 shown]
	v_fmac_f64_e32 v[32:33], v[26:27], v[30:31]
	v_cvt_f64_i32_e32 v[30:31], v53
	v_mul_f64 v[132:133], v[30:31], s[26:27]
	v_fma_f64 v[134:135], v[30:31], s[26:27], -v[132:133]
	v_fmac_f64_e32 v[134:135], s[28:29], v[30:31]
	v_add_f64 v[30:31], v[132:133], v[134:135]
	v_add_f64 v[132:133], v[30:31], -v[132:133]
	v_mul_f64 v[26:27], v[28:29], v[26:27]
	v_add_f64 v[132:133], v[134:135], -v[132:133]
	v_ldexp_f64 v[134:135], v[28:29], 1
	v_mul_f64 v[26:27], v[26:27], v[32:33]
	v_add_f64 v[28:29], v[134:135], v[26:27]
	v_add_f64 v[32:33], v[28:29], -v[134:135]
	v_ldexp_f64 v[24:25], v[24:25], 1
	v_add_f64 v[26:27], v[26:27], -v[32:33]
	v_add_f64 v[24:25], v[24:25], v[26:27]
	v_add_f64 v[26:27], v[28:29], v[24:25]
	v_add_f64 v[28:29], v[26:27], -v[28:29]
	v_add_f64 v[24:25], v[24:25], -v[28:29]
	v_add_f64 v[28:29], v[30:31], v[26:27]
	v_add_f64 v[32:33], v[28:29], -v[30:31]
	v_add_f64 v[134:135], v[28:29], -v[32:33]
	;; [unrolled: 1-line block ×4, first 2 shown]
	v_add_f64 v[26:27], v[26:27], v[30:31]
	v_add_f64 v[30:31], v[132:133], v[24:25]
	v_add_f64 v[32:33], v[30:31], -v[132:133]
	v_add_f64 v[26:27], v[30:31], v[26:27]
	v_add_f64 v[134:135], v[30:31], -v[32:33]
	v_add_f64 v[30:31], v[28:29], v[26:27]
	v_add_f64 v[132:133], v[132:133], -v[134:135]
	v_add_f64 v[24:25], v[24:25], -v[32:33]
	v_add_f64 v[28:29], v[30:31], -v[28:29]
	v_add_f64 v[24:25], v[24:25], v[132:133]
	v_add_f64 v[26:27], v[26:27], -v[28:29]
	s_mov_b32 s20, 0
	v_add_f64 v[24:25], v[24:25], v[26:27]
	s_mov_b32 s21, 0x7ff00000
	v_add_f64 v[24:25], v[30:31], v[24:25]
	v_cmp_eq_f64_e64 s[20:21], s[20:21], v[6:7]
	v_mov_b32_e32 v26, 0x7ff80000
	s_nop 0
	v_cndmask_b32_e64 v24, v24, v6, s[20:21]
	v_cndmask_b32_e64 v25, v25, v7, s[20:21]
	v_cmp_ngt_f64_e64 s[20:21], -1.0, v[6:7]
	s_nop 1
	v_cndmask_b32_e64 v25, v26, v25, s[20:21]
	v_cmp_nge_f64_e64 s[20:21], -1.0, v[6:7]
	v_mov_b32_e32 v26, 0xfff00000
	s_nop 0
	v_cndmask_b32_e64 v24, 0, v24, s[20:21]
	v_cmp_neq_f64_e64 s[20:21], -1.0, v[6:7]
	s_nop 1
	v_cndmask_b32_e64 v25, v26, v25, s[20:21]
	v_add_f64 v[132:133], v[4:5], v[24:25]
.LBB2_280:
	s_or_b64 exec, exec, s[24:25]
	v_max_f64 v[24:25], v[80:81], v[80:81]
	v_max_f64 v[4:5], v[132:133], v[132:133]
	v_min_f64 v[6:7], v[4:5], v[24:25]
	v_cmp_u_f64_e64 s[22:23], v[132:133], v[132:133]
	v_max_f64 v[4:5], v[4:5], v[24:25]
	v_cmp_u_f64_e64 s[20:21], v[80:81], v[80:81]
	v_cndmask_b32_e64 v6, v6, v132, s[22:23]
	v_cndmask_b32_e64 v7, v7, v133, s[22:23]
	;; [unrolled: 1-line block ×8, first 2 shown]
	v_cmp_neq_f64_e64 s[22:23], v[6:7], v[4:5]
	v_cmp_class_f64_e64 s[24:25], v[6:7], s36
	s_or_b64 s[22:23], s[22:23], s[24:25]
	s_and_saveexec_b64 s[26:27], s[22:23]
	s_cbranch_execz .LBB2_282
; %bb.281:
	s_mov_b32 s22, 0x652b82fe
	v_add_f64 v[6:7], v[6:7], -v[4:5]
	s_mov_b32 s23, 0x3ff71547
	v_mul_f64 v[26:27], v[6:7], s[22:23]
	v_rndne_f64_e32 v[26:27], v[26:27]
	s_mov_b32 s29, 0xbfe62e42
	s_mov_b32 s28, 0xfefa39ef
	v_fma_f64 v[28:29], s[28:29], v[26:27], v[6:7]
	s_mov_b32 s37, 0xbc7abc9e
	s_mov_b32 s36, 0x3b39803f
	;; [unrolled: 1-line block ×3, first 2 shown]
	v_fmac_f64_e32 v[28:29], s[36:37], v[26:27]
	v_mov_b32_e32 v30, 0xfca7ab0c
	v_mov_b32_e32 v31, 0x3e928af3
	s_mov_b32 s23, 0x3e5ade15
	v_fmac_f64_e32 v[30:31], s[22:23], v[28:29]
	v_mov_b32_e32 v32, 0x623fde64
	v_mov_b32_e32 v33, 0x3ec71dee
	v_fmac_f64_e32 v[32:33], v[28:29], v[30:31]
	v_mov_b32_e32 v30, 0x7c89e6b0
	v_mov_b32_e32 v31, 0x3efa0199
	;; [unrolled: 3-line block ×8, first 2 shown]
	v_fmac_f64_e32 v[30:31], v[28:29], v[32:33]
	v_fma_f64 v[30:31], v[28:29], v[30:31], 1.0
	s_mov_b32 s22, 0
	s_mov_b32 s24, 0
	v_fma_f64 v[28:29], v[28:29], v[30:31], 1.0
	v_cvt_i32_f64_e32 v26, v[26:27]
	s_mov_b32 s23, 0x40900000
	s_mov_b32 s25, 0xc090cc00
	v_ldexp_f64 v[26:27], v[28:29], v26
	v_mov_b32_e32 v28, 0x7ff00000
	v_cmp_nlt_f64_e64 s[22:23], s[22:23], v[6:7]
	v_cmp_ngt_f64_e64 s[24:25], s[24:25], v[6:7]
	s_mov_b32 s29, 0x3fe62e42
	v_cndmask_b32_e64 v27, v28, v27, s[22:23]
	s_and_b64 s[22:23], s[24:25], s[22:23]
	v_cndmask_b32_e64 v7, 0, v27, s[24:25]
	v_cndmask_b32_e64 v6, 0, v26, s[22:23]
	v_add_f64 v[26:27], v[6:7], 1.0
	v_add_f64 v[28:29], v[26:27], -1.0
	v_add_f64 v[30:31], v[28:29], -v[26:27]
	v_add_f64 v[30:31], v[30:31], 1.0
	v_add_f64 v[28:29], v[6:7], -v[28:29]
	s_mov_b32 s22, 0x55555555
	v_add_f64 v[28:29], v[28:29], v[30:31]
	v_frexp_mant_f64_e32 v[30:31], v[26:27]
	s_mov_b32 s23, 0x3fe55555
	v_frexp_exp_i32_f64_e32 v32, v[26:27]
	v_cmp_gt_f64_e64 s[22:23], s[22:23], v[30:31]
	s_mov_b32 s37, 0x3c7abc9e
	s_nop 0
	v_subbrev_co_u32_e64 v53, s[22:23], 0, v32, s[22:23]
	v_sub_u32_e32 v30, 0, v53
	v_ldexp_f64 v[26:27], v[26:27], v30
	v_ldexp_f64 v[28:29], v[28:29], v30
	v_add_f64 v[30:31], v[26:27], -1.0
	v_add_f64 v[134:135], v[26:27], 1.0
	v_add_f64 v[32:33], v[30:31], 1.0
	v_add_f64 v[144:145], v[134:135], -1.0
	v_add_f64 v[32:33], v[26:27], -v[32:33]
	v_add_f64 v[26:27], v[26:27], -v[144:145]
	v_add_f64 v[26:27], v[28:29], v[26:27]
	v_add_f64 v[32:33], v[28:29], v[32:33]
	;; [unrolled: 1-line block ×3, first 2 shown]
	v_rcp_f64_e32 v[144:145], v[28:29]
	v_add_f64 v[132:133], v[30:31], v[32:33]
	v_add_f64 v[30:31], v[132:133], -v[30:31]
	v_add_f64 v[30:31], v[32:33], -v[30:31]
	v_add_f64 v[32:33], v[28:29], -v[134:135]
	v_add_f64 v[26:27], v[26:27], -v[32:33]
	v_fma_f64 v[32:33], -v[28:29], v[144:145], 1.0
	v_fmac_f64_e32 v[144:145], v[32:33], v[144:145]
	v_fma_f64 v[32:33], -v[28:29], v[144:145], 1.0
	v_fmac_f64_e32 v[144:145], v[32:33], v[144:145]
	v_mul_f64 v[32:33], v[132:133], v[144:145]
	v_mul_f64 v[134:135], v[28:29], v[32:33]
	v_fma_f64 v[146:147], v[32:33], v[28:29], -v[134:135]
	v_fmac_f64_e32 v[146:147], v[32:33], v[26:27]
	v_add_f64 v[148:149], v[134:135], v[146:147]
	v_add_f64 v[150:151], v[132:133], -v[148:149]
	v_add_f64 v[132:133], v[132:133], -v[150:151]
	;; [unrolled: 1-line block ×4, first 2 shown]
	v_add_f64 v[30:31], v[30:31], v[132:133]
	v_add_f64 v[132:133], v[134:135], -v[146:147]
	v_add_f64 v[30:31], v[132:133], v[30:31]
	v_add_f64 v[132:133], v[150:151], v[30:31]
	v_add_f64 v[134:135], v[150:151], -v[132:133]
	v_add_f64 v[30:31], v[30:31], v[134:135]
	v_mul_f64 v[134:135], v[144:145], v[132:133]
	v_mul_f64 v[146:147], v[28:29], v[134:135]
	v_fma_f64 v[28:29], v[134:135], v[28:29], -v[146:147]
	v_fmac_f64_e32 v[28:29], v[134:135], v[26:27]
	v_add_f64 v[26:27], v[146:147], v[28:29]
	v_add_f64 v[148:149], v[132:133], -v[26:27]
	v_add_f64 v[132:133], v[132:133], -v[148:149]
	v_add_f64 v[146:147], v[26:27], -v[146:147]
	v_add_f64 v[26:27], v[132:133], -v[26:27]
	v_add_f64 v[26:27], v[30:31], v[26:27]
	v_add_f64 v[28:29], v[146:147], -v[28:29]
	v_add_f64 v[26:27], v[28:29], v[26:27]
	v_add_f64 v[28:29], v[32:33], v[134:135]
	;; [unrolled: 1-line block ×3, first 2 shown]
	v_add_f64 v[30:31], v[28:29], -v[32:33]
	v_mul_f64 v[26:27], v[144:145], v[26:27]
	v_add_f64 v[30:31], v[134:135], -v[30:31]
	v_add_f64 v[26:27], v[30:31], v[26:27]
	v_add_f64 v[30:31], v[28:29], v[26:27]
	v_add_f64 v[28:29], v[30:31], -v[28:29]
	s_mov_b32 s22, 0xbf559e2b
	v_add_f64 v[26:27], v[26:27], -v[28:29]
	v_mul_f64 v[28:29], v[30:31], v[30:31]
	v_mov_b32_e32 v32, 0x6b47b09a
	v_mov_b32_e32 v33, 0x3fc38538
	s_mov_b32 s23, 0x3fc3ab76
	v_fmac_f64_e32 v[32:33], s[22:23], v[28:29]
	v_mov_b32_e32 v132, 0xd7f4df2e
	v_mov_b32_e32 v133, 0x3fc7474d
	v_fmac_f64_e32 v[132:133], v[28:29], v[32:33]
	v_mov_b32_e32 v32, 0x16291751
	v_mov_b32_e32 v33, 0x3fcc71c0
	;; [unrolled: 3-line block ×5, first 2 shown]
	v_fmac_f64_e32 v[132:133], v[28:29], v[32:33]
	v_cvt_f64_i32_e32 v[32:33], v53
	v_mul_f64 v[134:135], v[32:33], s[28:29]
	v_fma_f64 v[144:145], v[32:33], s[28:29], -v[134:135]
	v_fmac_f64_e32 v[144:145], s[36:37], v[32:33]
	v_add_f64 v[32:33], v[134:135], v[144:145]
	v_add_f64 v[134:135], v[32:33], -v[134:135]
	v_mul_f64 v[28:29], v[30:31], v[28:29]
	v_add_f64 v[134:135], v[144:145], -v[134:135]
	v_ldexp_f64 v[144:145], v[30:31], 1
	v_mul_f64 v[28:29], v[28:29], v[132:133]
	v_add_f64 v[30:31], v[144:145], v[28:29]
	v_add_f64 v[132:133], v[30:31], -v[144:145]
	v_ldexp_f64 v[26:27], v[26:27], 1
	v_add_f64 v[28:29], v[28:29], -v[132:133]
	v_add_f64 v[26:27], v[26:27], v[28:29]
	v_add_f64 v[28:29], v[30:31], v[26:27]
	v_add_f64 v[30:31], v[28:29], -v[30:31]
	v_add_f64 v[26:27], v[26:27], -v[30:31]
	v_add_f64 v[30:31], v[32:33], v[28:29]
	v_add_f64 v[132:133], v[30:31], -v[32:33]
	v_add_f64 v[144:145], v[30:31], -v[132:133]
	v_add_f64 v[32:33], v[32:33], -v[144:145]
	v_add_f64 v[28:29], v[28:29], -v[132:133]
	v_add_f64 v[28:29], v[28:29], v[32:33]
	v_add_f64 v[32:33], v[134:135], v[26:27]
	v_add_f64 v[132:133], v[32:33], -v[134:135]
	v_add_f64 v[28:29], v[32:33], v[28:29]
	v_add_f64 v[144:145], v[32:33], -v[132:133]
	;; [unrolled: 2-line block ×3, first 2 shown]
	v_add_f64 v[26:27], v[26:27], -v[132:133]
	v_add_f64 v[30:31], v[32:33], -v[30:31]
	v_add_f64 v[26:27], v[26:27], v[134:135]
	v_add_f64 v[28:29], v[28:29], -v[30:31]
	s_mov_b32 s22, 0
	v_add_f64 v[26:27], v[26:27], v[28:29]
	s_mov_b32 s23, 0x7ff00000
	v_add_f64 v[26:27], v[32:33], v[26:27]
	v_cmp_eq_f64_e64 s[22:23], s[22:23], v[6:7]
	v_mov_b32_e32 v28, 0x7ff80000
	s_nop 0
	v_cndmask_b32_e64 v26, v26, v6, s[22:23]
	v_cndmask_b32_e64 v27, v27, v7, s[22:23]
	v_cmp_ngt_f64_e64 s[22:23], -1.0, v[6:7]
	s_nop 1
	v_cndmask_b32_e64 v27, v28, v27, s[22:23]
	v_cmp_nge_f64_e64 s[22:23], -1.0, v[6:7]
	v_mov_b32_e32 v28, 0xfff00000
	s_nop 0
	v_cndmask_b32_e64 v26, 0, v26, s[22:23]
	v_cmp_neq_f64_e64 s[22:23], -1.0, v[6:7]
	s_nop 1
	v_cndmask_b32_e64 v27, v28, v27, s[22:23]
	v_add_f64 v[132:133], v[4:5], v[26:27]
.LBB2_282:
	s_or_b64 exec, exec, s[26:27]
	v_max_f64 v[26:27], v[82:83], v[82:83]
	v_max_f64 v[4:5], v[132:133], v[132:133]
	v_min_f64 v[6:7], v[4:5], v[26:27]
	v_cmp_u_f64_e64 s[24:25], v[132:133], v[132:133]
	v_max_f64 v[4:5], v[4:5], v[26:27]
	v_cmp_u_f64_e64 s[22:23], v[82:83], v[82:83]
	v_cndmask_b32_e64 v6, v6, v132, s[24:25]
	v_cndmask_b32_e64 v7, v7, v133, s[24:25]
	;; [unrolled: 1-line block ×8, first 2 shown]
	s_movk_i32 s40, 0x1f8
	v_cmp_neq_f64_e64 s[24:25], v[6:7], v[4:5]
	v_cmp_class_f64_e64 s[26:27], v[6:7], s40
	s_or_b64 s[24:25], s[24:25], s[26:27]
	s_and_saveexec_b64 s[28:29], s[24:25]
	s_cbranch_execz .LBB2_284
; %bb.283:
	s_mov_b32 s24, 0x652b82fe
	v_add_f64 v[6:7], v[6:7], -v[4:5]
	s_mov_b32 s25, 0x3ff71547
	v_mul_f64 v[28:29], v[6:7], s[24:25]
	v_rndne_f64_e32 v[28:29], v[28:29]
	s_mov_b32 s37, 0xbfe62e42
	s_mov_b32 s36, 0xfefa39ef
	v_fma_f64 v[30:31], s[36:37], v[28:29], v[6:7]
	s_mov_b32 s39, 0xbc7abc9e
	s_mov_b32 s38, 0x3b39803f
	;; [unrolled: 1-line block ×3, first 2 shown]
	v_fmac_f64_e32 v[30:31], s[38:39], v[28:29]
	v_mov_b32_e32 v32, 0xfca7ab0c
	v_mov_b32_e32 v33, 0x3e928af3
	s_mov_b32 s25, 0x3e5ade15
	v_fmac_f64_e32 v[32:33], s[24:25], v[30:31]
	v_mov_b32_e32 v132, 0x623fde64
	v_mov_b32_e32 v133, 0x3ec71dee
	v_fmac_f64_e32 v[132:133], v[30:31], v[32:33]
	v_mov_b32_e32 v32, 0x7c89e6b0
	v_mov_b32_e32 v33, 0x3efa0199
	;; [unrolled: 3-line block ×8, first 2 shown]
	v_fmac_f64_e32 v[32:33], v[30:31], v[132:133]
	v_fma_f64 v[32:33], v[30:31], v[32:33], 1.0
	s_mov_b32 s24, 0
	s_mov_b32 s26, 0
	v_fma_f64 v[30:31], v[30:31], v[32:33], 1.0
	v_cvt_i32_f64_e32 v28, v[28:29]
	s_mov_b32 s25, 0x40900000
	s_mov_b32 s27, 0xc090cc00
	v_ldexp_f64 v[28:29], v[30:31], v28
	v_mov_b32_e32 v30, 0x7ff00000
	v_cmp_nlt_f64_e64 s[24:25], s[24:25], v[6:7]
	v_cmp_ngt_f64_e64 s[26:27], s[26:27], v[6:7]
	s_mov_b32 s37, 0x3fe62e42
	v_cndmask_b32_e64 v29, v30, v29, s[24:25]
	s_and_b64 s[24:25], s[26:27], s[24:25]
	v_cndmask_b32_e64 v7, 0, v29, s[26:27]
	v_cndmask_b32_e64 v6, 0, v28, s[24:25]
	v_add_f64 v[28:29], v[6:7], 1.0
	v_add_f64 v[30:31], v[28:29], -1.0
	v_add_f64 v[32:33], v[30:31], -v[28:29]
	v_add_f64 v[32:33], v[32:33], 1.0
	v_add_f64 v[30:31], v[6:7], -v[30:31]
	s_mov_b32 s24, 0x55555555
	v_add_f64 v[30:31], v[30:31], v[32:33]
	v_frexp_mant_f64_e32 v[32:33], v[28:29]
	s_mov_b32 s25, 0x3fe55555
	v_frexp_exp_i32_f64_e32 v53, v[28:29]
	v_cmp_gt_f64_e64 s[24:25], s[24:25], v[32:33]
	s_mov_b32 s39, 0x3c7abc9e
	s_nop 0
	v_subbrev_co_u32_e64 v53, s[24:25], 0, v53, s[24:25]
	v_sub_u32_e32 v32, 0, v53
	v_ldexp_f64 v[28:29], v[28:29], v32
	v_ldexp_f64 v[30:31], v[30:31], v32
	v_add_f64 v[32:33], v[28:29], -1.0
	v_add_f64 v[144:145], v[28:29], 1.0
	v_add_f64 v[132:133], v[32:33], 1.0
	v_add_f64 v[146:147], v[144:145], -1.0
	v_add_f64 v[132:133], v[28:29], -v[132:133]
	v_add_f64 v[28:29], v[28:29], -v[146:147]
	v_add_f64 v[28:29], v[30:31], v[28:29]
	v_add_f64 v[132:133], v[30:31], v[132:133]
	;; [unrolled: 1-line block ×3, first 2 shown]
	v_rcp_f64_e32 v[146:147], v[30:31]
	v_add_f64 v[134:135], v[32:33], v[132:133]
	v_add_f64 v[32:33], v[134:135], -v[32:33]
	v_add_f64 v[32:33], v[132:133], -v[32:33]
	;; [unrolled: 1-line block ×4, first 2 shown]
	v_fma_f64 v[132:133], -v[30:31], v[146:147], 1.0
	v_fmac_f64_e32 v[146:147], v[132:133], v[146:147]
	v_fma_f64 v[132:133], -v[30:31], v[146:147], 1.0
	v_fmac_f64_e32 v[146:147], v[132:133], v[146:147]
	v_mul_f64 v[132:133], v[134:135], v[146:147]
	v_mul_f64 v[144:145], v[30:31], v[132:133]
	v_fma_f64 v[148:149], v[132:133], v[30:31], -v[144:145]
	v_fmac_f64_e32 v[148:149], v[132:133], v[28:29]
	v_add_f64 v[150:151], v[144:145], v[148:149]
	v_add_f64 v[160:161], v[134:135], -v[150:151]
	v_add_f64 v[134:135], v[134:135], -v[160:161]
	;; [unrolled: 1-line block ×4, first 2 shown]
	v_add_f64 v[32:33], v[32:33], v[134:135]
	v_add_f64 v[134:135], v[144:145], -v[148:149]
	v_add_f64 v[32:33], v[134:135], v[32:33]
	v_add_f64 v[134:135], v[160:161], v[32:33]
	v_add_f64 v[144:145], v[160:161], -v[134:135]
	v_add_f64 v[32:33], v[32:33], v[144:145]
	v_mul_f64 v[144:145], v[146:147], v[134:135]
	v_mul_f64 v[148:149], v[30:31], v[144:145]
	v_fma_f64 v[30:31], v[144:145], v[30:31], -v[148:149]
	v_fmac_f64_e32 v[30:31], v[144:145], v[28:29]
	v_add_f64 v[28:29], v[148:149], v[30:31]
	v_add_f64 v[150:151], v[134:135], -v[28:29]
	v_add_f64 v[134:135], v[134:135], -v[150:151]
	;; [unrolled: 1-line block ×4, first 2 shown]
	v_add_f64 v[28:29], v[32:33], v[28:29]
	v_add_f64 v[30:31], v[148:149], -v[30:31]
	v_add_f64 v[28:29], v[30:31], v[28:29]
	v_add_f64 v[30:31], v[132:133], v[144:145]
	;; [unrolled: 1-line block ×3, first 2 shown]
	v_add_f64 v[32:33], v[30:31], -v[132:133]
	v_mul_f64 v[28:29], v[146:147], v[28:29]
	v_add_f64 v[32:33], v[144:145], -v[32:33]
	v_add_f64 v[28:29], v[32:33], v[28:29]
	v_add_f64 v[32:33], v[30:31], v[28:29]
	v_add_f64 v[30:31], v[32:33], -v[30:31]
	s_mov_b32 s24, 0xbf559e2b
	v_add_f64 v[28:29], v[28:29], -v[30:31]
	v_mul_f64 v[30:31], v[32:33], v[32:33]
	v_mov_b32_e32 v132, 0x6b47b09a
	v_mov_b32_e32 v133, 0x3fc38538
	s_mov_b32 s25, 0x3fc3ab76
	v_fmac_f64_e32 v[132:133], s[24:25], v[30:31]
	v_mov_b32_e32 v134, 0xd7f4df2e
	v_mov_b32_e32 v135, 0x3fc7474d
	v_fmac_f64_e32 v[134:135], v[30:31], v[132:133]
	v_mov_b32_e32 v132, 0x16291751
	v_mov_b32_e32 v133, 0x3fcc71c0
	;; [unrolled: 3-line block ×5, first 2 shown]
	v_fmac_f64_e32 v[134:135], v[30:31], v[132:133]
	v_cvt_f64_i32_e32 v[132:133], v53
	v_mul_f64 v[144:145], v[132:133], s[36:37]
	v_fma_f64 v[146:147], v[132:133], s[36:37], -v[144:145]
	v_fmac_f64_e32 v[146:147], s[38:39], v[132:133]
	v_add_f64 v[132:133], v[144:145], v[146:147]
	v_add_f64 v[144:145], v[132:133], -v[144:145]
	v_mul_f64 v[30:31], v[32:33], v[30:31]
	v_add_f64 v[144:145], v[146:147], -v[144:145]
	v_ldexp_f64 v[146:147], v[32:33], 1
	v_mul_f64 v[30:31], v[30:31], v[134:135]
	v_add_f64 v[32:33], v[146:147], v[30:31]
	v_add_f64 v[134:135], v[32:33], -v[146:147]
	v_ldexp_f64 v[28:29], v[28:29], 1
	v_add_f64 v[30:31], v[30:31], -v[134:135]
	v_add_f64 v[28:29], v[28:29], v[30:31]
	v_add_f64 v[30:31], v[32:33], v[28:29]
	v_add_f64 v[32:33], v[30:31], -v[32:33]
	v_add_f64 v[28:29], v[28:29], -v[32:33]
	v_add_f64 v[32:33], v[132:133], v[30:31]
	v_add_f64 v[134:135], v[32:33], -v[132:133]
	v_add_f64 v[146:147], v[32:33], -v[134:135]
	;; [unrolled: 1-line block ×4, first 2 shown]
	v_add_f64 v[30:31], v[30:31], v[132:133]
	v_add_f64 v[132:133], v[144:145], v[28:29]
	v_add_f64 v[134:135], v[132:133], -v[144:145]
	v_add_f64 v[30:31], v[132:133], v[30:31]
	v_add_f64 v[146:147], v[132:133], -v[134:135]
	;; [unrolled: 2-line block ×3, first 2 shown]
	v_add_f64 v[28:29], v[28:29], -v[134:135]
	v_add_f64 v[32:33], v[132:133], -v[32:33]
	v_add_f64 v[28:29], v[28:29], v[144:145]
	v_add_f64 v[30:31], v[30:31], -v[32:33]
	s_mov_b32 s24, 0
	v_add_f64 v[28:29], v[28:29], v[30:31]
	s_mov_b32 s25, 0x7ff00000
	v_add_f64 v[28:29], v[132:133], v[28:29]
	v_cmp_eq_f64_e64 s[24:25], s[24:25], v[6:7]
	v_mov_b32_e32 v30, 0x7ff80000
	s_nop 0
	v_cndmask_b32_e64 v28, v28, v6, s[24:25]
	v_cndmask_b32_e64 v29, v29, v7, s[24:25]
	v_cmp_ngt_f64_e64 s[24:25], -1.0, v[6:7]
	s_nop 1
	v_cndmask_b32_e64 v29, v30, v29, s[24:25]
	v_cmp_nge_f64_e64 s[24:25], -1.0, v[6:7]
	v_mov_b32_e32 v30, 0xfff00000
	s_nop 0
	v_cndmask_b32_e64 v28, 0, v28, s[24:25]
	v_cmp_neq_f64_e64 s[24:25], -1.0, v[6:7]
	s_nop 1
	v_cndmask_b32_e64 v29, v30, v29, s[24:25]
	v_add_f64 v[132:133], v[4:5], v[28:29]
.LBB2_284:
	s_or_b64 exec, exec, s[28:29]
	v_max_f64 v[28:29], v[66:67], v[66:67]
	v_max_f64 v[4:5], v[132:133], v[132:133]
	v_min_f64 v[6:7], v[4:5], v[28:29]
	v_cmp_u_f64_e64 s[26:27], v[132:133], v[132:133]
	v_max_f64 v[4:5], v[4:5], v[28:29]
	v_cmp_u_f64_e64 s[24:25], v[66:67], v[66:67]
	v_cndmask_b32_e64 v6, v6, v132, s[26:27]
	v_cndmask_b32_e64 v7, v7, v133, s[26:27]
	;; [unrolled: 1-line block ×8, first 2 shown]
	v_cmp_neq_f64_e64 s[26:27], v[6:7], v[4:5]
	v_cmp_class_f64_e64 s[28:29], v[6:7], s40
	s_or_b64 s[26:27], s[26:27], s[28:29]
	s_and_saveexec_b64 s[36:37], s[26:27]
	s_cbranch_execz .LBB2_286
; %bb.285:
	s_mov_b32 s26, 0x652b82fe
	v_add_f64 v[6:7], v[6:7], -v[4:5]
	s_mov_b32 s27, 0x3ff71547
	v_mul_f64 v[30:31], v[6:7], s[26:27]
	v_rndne_f64_e32 v[30:31], v[30:31]
	s_mov_b32 s39, 0xbfe62e42
	s_mov_b32 s38, 0xfefa39ef
	v_fma_f64 v[32:33], s[38:39], v[30:31], v[6:7]
	s_mov_b32 s41, 0xbc7abc9e
	s_mov_b32 s40, 0x3b39803f
	s_mov_b32 s26, 0x6a5dcb37
	v_fmac_f64_e32 v[32:33], s[40:41], v[30:31]
	v_mov_b32_e32 v132, 0xfca7ab0c
	v_mov_b32_e32 v133, 0x3e928af3
	s_mov_b32 s27, 0x3e5ade15
	v_fmac_f64_e32 v[132:133], s[26:27], v[32:33]
	v_mov_b32_e32 v134, 0x623fde64
	v_mov_b32_e32 v135, 0x3ec71dee
	v_fmac_f64_e32 v[134:135], v[32:33], v[132:133]
	v_mov_b32_e32 v132, 0x7c89e6b0
	v_mov_b32_e32 v133, 0x3efa0199
	;; [unrolled: 3-line block ×8, first 2 shown]
	v_fmac_f64_e32 v[132:133], v[32:33], v[134:135]
	v_fma_f64 v[132:133], v[32:33], v[132:133], 1.0
	s_mov_b32 s26, 0
	s_mov_b32 s28, 0
	v_fma_f64 v[32:33], v[32:33], v[132:133], 1.0
	v_cvt_i32_f64_e32 v30, v[30:31]
	s_mov_b32 s27, 0x40900000
	s_mov_b32 s29, 0xc090cc00
	v_ldexp_f64 v[30:31], v[32:33], v30
	v_mov_b32_e32 v32, 0x7ff00000
	v_cmp_nlt_f64_e64 s[26:27], s[26:27], v[6:7]
	v_cmp_ngt_f64_e64 s[28:29], s[28:29], v[6:7]
	s_mov_b32 s39, 0x3fe62e42
	v_cndmask_b32_e64 v31, v32, v31, s[26:27]
	s_and_b64 s[26:27], s[28:29], s[26:27]
	v_cndmask_b32_e64 v7, 0, v31, s[28:29]
	v_cndmask_b32_e64 v6, 0, v30, s[26:27]
	v_add_f64 v[30:31], v[6:7], 1.0
	v_add_f64 v[32:33], v[30:31], -1.0
	v_add_f64 v[132:133], v[32:33], -v[30:31]
	v_add_f64 v[132:133], v[132:133], 1.0
	v_add_f64 v[32:33], v[6:7], -v[32:33]
	s_mov_b32 s26, 0x55555555
	v_add_f64 v[32:33], v[32:33], v[132:133]
	v_frexp_mant_f64_e32 v[132:133], v[30:31]
	s_mov_b32 s27, 0x3fe55555
	v_frexp_exp_i32_f64_e32 v53, v[30:31]
	v_cmp_gt_f64_e64 s[26:27], s[26:27], v[132:133]
	s_mov_b32 s41, 0x3c7abc9e
	s_nop 0
	v_subbrev_co_u32_e64 v53, s[26:27], 0, v53, s[26:27]
	v_sub_u32_e32 v71, 0, v53
	v_ldexp_f64 v[30:31], v[30:31], v71
	v_add_f64 v[132:133], v[30:31], -1.0
	v_add_f64 v[146:147], v[30:31], 1.0
	v_add_f64 v[134:135], v[132:133], 1.0
	v_add_f64 v[148:149], v[146:147], -1.0
	v_ldexp_f64 v[32:33], v[32:33], v71
	v_add_f64 v[134:135], v[30:31], -v[134:135]
	v_add_f64 v[30:31], v[30:31], -v[148:149]
	v_add_f64 v[30:31], v[32:33], v[30:31]
	v_add_f64 v[134:135], v[32:33], v[134:135]
	;; [unrolled: 1-line block ×3, first 2 shown]
	v_rcp_f64_e32 v[148:149], v[32:33]
	v_add_f64 v[144:145], v[132:133], v[134:135]
	v_add_f64 v[132:133], v[144:145], -v[132:133]
	v_add_f64 v[132:133], v[134:135], -v[132:133]
	;; [unrolled: 1-line block ×4, first 2 shown]
	v_fma_f64 v[134:135], -v[32:33], v[148:149], 1.0
	v_fmac_f64_e32 v[148:149], v[134:135], v[148:149]
	v_fma_f64 v[134:135], -v[32:33], v[148:149], 1.0
	v_fmac_f64_e32 v[148:149], v[134:135], v[148:149]
	v_mul_f64 v[134:135], v[144:145], v[148:149]
	v_mul_f64 v[146:147], v[32:33], v[134:135]
	v_fma_f64 v[150:151], v[134:135], v[32:33], -v[146:147]
	v_fmac_f64_e32 v[150:151], v[134:135], v[30:31]
	v_add_f64 v[160:161], v[146:147], v[150:151]
	v_add_f64 v[162:163], v[144:145], -v[160:161]
	v_add_f64 v[144:145], v[144:145], -v[162:163]
	;; [unrolled: 1-line block ×4, first 2 shown]
	v_add_f64 v[132:133], v[132:133], v[144:145]
	v_add_f64 v[144:145], v[146:147], -v[150:151]
	v_add_f64 v[132:133], v[144:145], v[132:133]
	v_add_f64 v[144:145], v[162:163], v[132:133]
	v_add_f64 v[146:147], v[162:163], -v[144:145]
	v_add_f64 v[132:133], v[132:133], v[146:147]
	v_mul_f64 v[146:147], v[148:149], v[144:145]
	v_mul_f64 v[150:151], v[32:33], v[146:147]
	v_fma_f64 v[32:33], v[146:147], v[32:33], -v[150:151]
	v_fmac_f64_e32 v[32:33], v[146:147], v[30:31]
	v_add_f64 v[30:31], v[150:151], v[32:33]
	v_add_f64 v[160:161], v[144:145], -v[30:31]
	v_add_f64 v[144:145], v[144:145], -v[160:161]
	;; [unrolled: 1-line block ×4, first 2 shown]
	v_add_f64 v[30:31], v[132:133], v[30:31]
	v_add_f64 v[32:33], v[150:151], -v[32:33]
	v_add_f64 v[30:31], v[32:33], v[30:31]
	v_add_f64 v[32:33], v[134:135], v[146:147]
	v_add_f64 v[30:31], v[160:161], v[30:31]
	v_add_f64 v[132:133], v[32:33], -v[134:135]
	v_mul_f64 v[30:31], v[148:149], v[30:31]
	v_add_f64 v[132:133], v[146:147], -v[132:133]
	v_add_f64 v[30:31], v[132:133], v[30:31]
	v_add_f64 v[132:133], v[32:33], v[30:31]
	v_add_f64 v[32:33], v[132:133], -v[32:33]
	s_mov_b32 s26, 0xbf559e2b
	v_add_f64 v[30:31], v[30:31], -v[32:33]
	v_mul_f64 v[32:33], v[132:133], v[132:133]
	v_mov_b32_e32 v134, 0x6b47b09a
	v_mov_b32_e32 v135, 0x3fc38538
	s_mov_b32 s27, 0x3fc3ab76
	v_fmac_f64_e32 v[134:135], s[26:27], v[32:33]
	v_mov_b32_e32 v144, 0xd7f4df2e
	v_mov_b32_e32 v145, 0x3fc7474d
	v_fmac_f64_e32 v[144:145], v[32:33], v[134:135]
	v_mov_b32_e32 v134, 0x16291751
	v_mov_b32_e32 v135, 0x3fcc71c0
	;; [unrolled: 3-line block ×5, first 2 shown]
	v_fmac_f64_e32 v[144:145], v[32:33], v[134:135]
	v_cvt_f64_i32_e32 v[134:135], v53
	v_mul_f64 v[146:147], v[134:135], s[38:39]
	v_fma_f64 v[148:149], v[134:135], s[38:39], -v[146:147]
	v_fmac_f64_e32 v[148:149], s[40:41], v[134:135]
	v_add_f64 v[134:135], v[146:147], v[148:149]
	v_add_f64 v[146:147], v[134:135], -v[146:147]
	v_mul_f64 v[32:33], v[132:133], v[32:33]
	v_add_f64 v[146:147], v[148:149], -v[146:147]
	v_ldexp_f64 v[148:149], v[132:133], 1
	v_mul_f64 v[32:33], v[32:33], v[144:145]
	v_add_f64 v[132:133], v[148:149], v[32:33]
	v_add_f64 v[144:145], v[132:133], -v[148:149]
	v_ldexp_f64 v[30:31], v[30:31], 1
	v_add_f64 v[32:33], v[32:33], -v[144:145]
	v_add_f64 v[30:31], v[30:31], v[32:33]
	v_add_f64 v[32:33], v[132:133], v[30:31]
	v_add_f64 v[132:133], v[32:33], -v[132:133]
	v_add_f64 v[30:31], v[30:31], -v[132:133]
	v_add_f64 v[132:133], v[134:135], v[32:33]
	v_add_f64 v[144:145], v[132:133], -v[134:135]
	v_add_f64 v[148:149], v[132:133], -v[144:145]
	v_add_f64 v[134:135], v[134:135], -v[148:149]
	v_add_f64 v[32:33], v[32:33], -v[144:145]
	v_add_f64 v[32:33], v[32:33], v[134:135]
	v_add_f64 v[134:135], v[146:147], v[30:31]
	v_add_f64 v[144:145], v[134:135], -v[146:147]
	v_add_f64 v[32:33], v[134:135], v[32:33]
	v_add_f64 v[148:149], v[134:135], -v[144:145]
	v_add_f64 v[134:135], v[132:133], v[32:33]
	v_add_f64 v[146:147], v[146:147], -v[148:149]
	v_add_f64 v[30:31], v[30:31], -v[144:145]
	v_add_f64 v[132:133], v[134:135], -v[132:133]
	v_add_f64 v[30:31], v[30:31], v[146:147]
	v_add_f64 v[32:33], v[32:33], -v[132:133]
	s_mov_b32 s26, 0
	v_add_f64 v[30:31], v[30:31], v[32:33]
	s_mov_b32 s27, 0x7ff00000
	v_add_f64 v[30:31], v[134:135], v[30:31]
	v_cmp_eq_f64_e64 s[26:27], s[26:27], v[6:7]
	v_mov_b32_e32 v32, 0x7ff80000
	s_nop 0
	v_cndmask_b32_e64 v30, v30, v6, s[26:27]
	v_cndmask_b32_e64 v31, v31, v7, s[26:27]
	v_cmp_ngt_f64_e64 s[26:27], -1.0, v[6:7]
	s_nop 1
	v_cndmask_b32_e64 v31, v32, v31, s[26:27]
	v_cmp_nge_f64_e64 s[26:27], -1.0, v[6:7]
	v_mov_b32_e32 v32, 0xfff00000
	s_nop 0
	v_cndmask_b32_e64 v30, 0, v30, s[26:27]
	v_cmp_neq_f64_e64 s[26:27], -1.0, v[6:7]
	s_nop 1
	v_cndmask_b32_e64 v31, v32, v31, s[26:27]
	v_add_f64 v[132:133], v[4:5], v[30:31]
.LBB2_286:
	s_or_b64 exec, exec, s[36:37]
	v_max_f64 v[30:31], v[68:69], v[68:69]
	v_max_f64 v[4:5], v[132:133], v[132:133]
	v_min_f64 v[6:7], v[4:5], v[30:31]
	v_cmp_u_f64_e64 s[28:29], v[132:133], v[132:133]
	v_max_f64 v[4:5], v[4:5], v[30:31]
	v_cmp_u_f64_e64 s[26:27], v[68:69], v[68:69]
	v_cndmask_b32_e64 v6, v6, v132, s[28:29]
	v_cndmask_b32_e64 v7, v7, v133, s[28:29]
	;; [unrolled: 1-line block ×8, first 2 shown]
	s_movk_i32 s44, 0x1f8
	v_cmp_neq_f64_e64 s[28:29], v[6:7], v[4:5]
	v_cmp_class_f64_e64 s[36:37], v[6:7], s44
	s_or_b64 s[28:29], s[28:29], s[36:37]
	s_and_saveexec_b64 s[38:39], s[28:29]
	s_cbranch_execz .LBB2_288
; %bb.287:
	s_mov_b32 s28, 0x652b82fe
	v_add_f64 v[6:7], v[6:7], -v[4:5]
	s_mov_b32 s29, 0x3ff71547
	v_mul_f64 v[32:33], v[6:7], s[28:29]
	v_rndne_f64_e32 v[32:33], v[32:33]
	s_mov_b32 s41, 0xbfe62e42
	s_mov_b32 s40, 0xfefa39ef
	v_fma_f64 v[132:133], s[40:41], v[32:33], v[6:7]
	s_mov_b32 s43, 0xbc7abc9e
	s_mov_b32 s42, 0x3b39803f
	;; [unrolled: 1-line block ×3, first 2 shown]
	v_fmac_f64_e32 v[132:133], s[42:43], v[32:33]
	v_mov_b32_e32 v134, 0xfca7ab0c
	v_mov_b32_e32 v135, 0x3e928af3
	s_mov_b32 s29, 0x3e5ade15
	v_fmac_f64_e32 v[134:135], s[28:29], v[132:133]
	v_mov_b32_e32 v144, 0x623fde64
	v_mov_b32_e32 v145, 0x3ec71dee
	v_fmac_f64_e32 v[144:145], v[132:133], v[134:135]
	v_mov_b32_e32 v134, 0x7c89e6b0
	v_mov_b32_e32 v135, 0x3efa0199
	;; [unrolled: 3-line block ×8, first 2 shown]
	v_fmac_f64_e32 v[134:135], v[132:133], v[144:145]
	v_fma_f64 v[134:135], v[132:133], v[134:135], 1.0
	s_mov_b32 s28, 0
	s_mov_b32 s36, 0
	v_fma_f64 v[132:133], v[132:133], v[134:135], 1.0
	v_cvt_i32_f64_e32 v32, v[32:33]
	s_mov_b32 s29, 0x40900000
	s_mov_b32 s37, 0xc090cc00
	v_ldexp_f64 v[32:33], v[132:133], v32
	v_mov_b32_e32 v53, 0x7ff00000
	v_cmp_nlt_f64_e64 s[28:29], s[28:29], v[6:7]
	v_cmp_ngt_f64_e64 s[36:37], s[36:37], v[6:7]
	s_mov_b32 s41, 0x3fe62e42
	v_cndmask_b32_e64 v33, v53, v33, s[28:29]
	s_and_b64 s[28:29], s[36:37], s[28:29]
	v_cndmask_b32_e64 v7, 0, v33, s[36:37]
	v_cndmask_b32_e64 v6, 0, v32, s[28:29]
	v_add_f64 v[32:33], v[6:7], 1.0
	v_add_f64 v[132:133], v[32:33], -1.0
	v_add_f64 v[134:135], v[132:133], -v[32:33]
	v_add_f64 v[134:135], v[134:135], 1.0
	v_add_f64 v[132:133], v[6:7], -v[132:133]
	s_mov_b32 s28, 0x55555555
	v_add_f64 v[132:133], v[132:133], v[134:135]
	v_frexp_mant_f64_e32 v[134:135], v[32:33]
	s_mov_b32 s29, 0x3fe55555
	v_frexp_exp_i32_f64_e32 v53, v[32:33]
	v_cmp_gt_f64_e64 s[28:29], s[28:29], v[134:135]
	s_mov_b32 s43, 0x3c7abc9e
	s_nop 0
	v_subbrev_co_u32_e64 v53, s[28:29], 0, v53, s[28:29]
	v_sub_u32_e32 v71, 0, v53
	v_ldexp_f64 v[32:33], v[32:33], v71
	v_add_f64 v[134:135], v[32:33], -1.0
	v_add_f64 v[148:149], v[32:33], 1.0
	v_add_f64 v[144:145], v[134:135], 1.0
	v_add_f64 v[150:151], v[148:149], -1.0
	v_ldexp_f64 v[132:133], v[132:133], v71
	v_add_f64 v[144:145], v[32:33], -v[144:145]
	v_add_f64 v[32:33], v[32:33], -v[150:151]
	v_add_f64 v[32:33], v[132:133], v[32:33]
	v_add_f64 v[144:145], v[132:133], v[144:145]
	;; [unrolled: 1-line block ×3, first 2 shown]
	v_rcp_f64_e32 v[150:151], v[132:133]
	v_add_f64 v[146:147], v[134:135], v[144:145]
	v_add_f64 v[134:135], v[146:147], -v[134:135]
	v_add_f64 v[134:135], v[144:145], -v[134:135]
	;; [unrolled: 1-line block ×4, first 2 shown]
	v_fma_f64 v[144:145], -v[132:133], v[150:151], 1.0
	v_fmac_f64_e32 v[150:151], v[144:145], v[150:151]
	v_fma_f64 v[144:145], -v[132:133], v[150:151], 1.0
	v_fmac_f64_e32 v[150:151], v[144:145], v[150:151]
	v_mul_f64 v[144:145], v[146:147], v[150:151]
	v_mul_f64 v[148:149], v[132:133], v[144:145]
	v_fma_f64 v[160:161], v[144:145], v[132:133], -v[148:149]
	v_fmac_f64_e32 v[160:161], v[144:145], v[32:33]
	v_add_f64 v[162:163], v[148:149], v[160:161]
	v_add_f64 v[164:165], v[146:147], -v[162:163]
	v_add_f64 v[146:147], v[146:147], -v[164:165]
	;; [unrolled: 1-line block ×4, first 2 shown]
	v_add_f64 v[134:135], v[134:135], v[146:147]
	v_add_f64 v[146:147], v[148:149], -v[160:161]
	v_add_f64 v[134:135], v[146:147], v[134:135]
	v_add_f64 v[146:147], v[164:165], v[134:135]
	v_add_f64 v[148:149], v[164:165], -v[146:147]
	v_add_f64 v[134:135], v[134:135], v[148:149]
	v_mul_f64 v[148:149], v[150:151], v[146:147]
	v_mul_f64 v[160:161], v[132:133], v[148:149]
	v_fma_f64 v[132:133], v[148:149], v[132:133], -v[160:161]
	v_fmac_f64_e32 v[132:133], v[148:149], v[32:33]
	v_add_f64 v[32:33], v[160:161], v[132:133]
	v_add_f64 v[162:163], v[146:147], -v[32:33]
	v_add_f64 v[146:147], v[146:147], -v[162:163]
	;; [unrolled: 1-line block ×4, first 2 shown]
	v_add_f64 v[32:33], v[134:135], v[32:33]
	v_add_f64 v[132:133], v[160:161], -v[132:133]
	v_add_f64 v[32:33], v[132:133], v[32:33]
	v_add_f64 v[132:133], v[144:145], v[148:149]
	;; [unrolled: 1-line block ×3, first 2 shown]
	v_add_f64 v[134:135], v[132:133], -v[144:145]
	v_mul_f64 v[32:33], v[150:151], v[32:33]
	v_add_f64 v[134:135], v[148:149], -v[134:135]
	v_add_f64 v[32:33], v[134:135], v[32:33]
	v_add_f64 v[134:135], v[132:133], v[32:33]
	v_add_f64 v[132:133], v[134:135], -v[132:133]
	s_mov_b32 s28, 0xbf559e2b
	v_add_f64 v[32:33], v[32:33], -v[132:133]
	v_mul_f64 v[132:133], v[134:135], v[134:135]
	v_mov_b32_e32 v144, 0x6b47b09a
	v_mov_b32_e32 v145, 0x3fc38538
	s_mov_b32 s29, 0x3fc3ab76
	v_fmac_f64_e32 v[144:145], s[28:29], v[132:133]
	v_mov_b32_e32 v146, 0xd7f4df2e
	v_mov_b32_e32 v147, 0x3fc7474d
	v_fmac_f64_e32 v[146:147], v[132:133], v[144:145]
	v_mov_b32_e32 v144, 0x16291751
	v_mov_b32_e32 v145, 0x3fcc71c0
	;; [unrolled: 3-line block ×5, first 2 shown]
	v_fmac_f64_e32 v[146:147], v[132:133], v[144:145]
	v_cvt_f64_i32_e32 v[144:145], v53
	v_mul_f64 v[148:149], v[144:145], s[40:41]
	v_fma_f64 v[150:151], v[144:145], s[40:41], -v[148:149]
	v_fmac_f64_e32 v[150:151], s[42:43], v[144:145]
	v_add_f64 v[144:145], v[148:149], v[150:151]
	v_add_f64 v[148:149], v[144:145], -v[148:149]
	v_mul_f64 v[132:133], v[134:135], v[132:133]
	v_add_f64 v[148:149], v[150:151], -v[148:149]
	v_ldexp_f64 v[150:151], v[134:135], 1
	v_mul_f64 v[132:133], v[132:133], v[146:147]
	v_add_f64 v[134:135], v[150:151], v[132:133]
	v_add_f64 v[146:147], v[134:135], -v[150:151]
	v_ldexp_f64 v[32:33], v[32:33], 1
	v_add_f64 v[132:133], v[132:133], -v[146:147]
	v_add_f64 v[32:33], v[32:33], v[132:133]
	v_add_f64 v[132:133], v[134:135], v[32:33]
	v_add_f64 v[134:135], v[132:133], -v[134:135]
	v_add_f64 v[32:33], v[32:33], -v[134:135]
	v_add_f64 v[134:135], v[144:145], v[132:133]
	v_add_f64 v[146:147], v[134:135], -v[144:145]
	v_add_f64 v[150:151], v[134:135], -v[146:147]
	;; [unrolled: 1-line block ×4, first 2 shown]
	v_add_f64 v[132:133], v[132:133], v[144:145]
	v_add_f64 v[144:145], v[148:149], v[32:33]
	v_add_f64 v[146:147], v[144:145], -v[148:149]
	v_add_f64 v[132:133], v[144:145], v[132:133]
	v_add_f64 v[150:151], v[144:145], -v[146:147]
	;; [unrolled: 2-line block ×3, first 2 shown]
	v_add_f64 v[32:33], v[32:33], -v[146:147]
	v_add_f64 v[134:135], v[144:145], -v[134:135]
	v_add_f64 v[32:33], v[32:33], v[148:149]
	v_add_f64 v[132:133], v[132:133], -v[134:135]
	s_mov_b32 s28, 0
	v_add_f64 v[32:33], v[32:33], v[132:133]
	s_mov_b32 s29, 0x7ff00000
	v_add_f64 v[32:33], v[144:145], v[32:33]
	v_cmp_eq_f64_e64 s[28:29], s[28:29], v[6:7]
	v_mov_b32_e32 v53, 0x7ff80000
	s_nop 0
	v_cndmask_b32_e64 v32, v32, v6, s[28:29]
	v_cndmask_b32_e64 v33, v33, v7, s[28:29]
	v_cmp_ngt_f64_e64 s[28:29], -1.0, v[6:7]
	s_nop 1
	v_cndmask_b32_e64 v33, v53, v33, s[28:29]
	v_cmp_nge_f64_e64 s[28:29], -1.0, v[6:7]
	v_mov_b32_e32 v53, 0xfff00000
	s_nop 0
	v_cndmask_b32_e64 v32, 0, v32, s[28:29]
	v_cmp_neq_f64_e64 s[28:29], -1.0, v[6:7]
	s_nop 1
	v_cndmask_b32_e64 v33, v53, v33, s[28:29]
	v_add_f64 v[132:133], v[4:5], v[32:33]
.LBB2_288:
	s_or_b64 exec, exec, s[38:39]
	v_max_f64 v[32:33], v[128:129], v[128:129]
	v_max_f64 v[4:5], v[132:133], v[132:133]
	v_min_f64 v[6:7], v[4:5], v[32:33]
	v_cmp_u_f64_e64 s[36:37], v[132:133], v[132:133]
	v_max_f64 v[4:5], v[4:5], v[32:33]
	v_cmp_u_f64_e64 s[28:29], v[128:129], v[128:129]
	v_cndmask_b32_e64 v6, v6, v132, s[36:37]
	v_cndmask_b32_e64 v7, v7, v133, s[36:37]
	;; [unrolled: 1-line block ×8, first 2 shown]
	v_cmp_neq_f64_e64 s[36:37], v[6:7], v[4:5]
	v_cmp_class_f64_e64 s[38:39], v[6:7], s44
	s_or_b64 s[36:37], s[36:37], s[38:39]
	s_and_saveexec_b64 s[40:41], s[36:37]
	s_cbranch_execz .LBB2_290
; %bb.289:
	s_mov_b32 s36, 0x652b82fe
	v_add_f64 v[6:7], v[6:7], -v[4:5]
	s_mov_b32 s37, 0x3ff71547
	v_mul_f64 v[132:133], v[6:7], s[36:37]
	v_rndne_f64_e32 v[132:133], v[132:133]
	s_mov_b32 s43, 0xbfe62e42
	s_mov_b32 s42, 0xfefa39ef
	v_fma_f64 v[134:135], s[42:43], v[132:133], v[6:7]
	s_mov_b32 s45, 0xbc7abc9e
	s_mov_b32 s44, 0x3b39803f
	;; [unrolled: 1-line block ×3, first 2 shown]
	v_fmac_f64_e32 v[134:135], s[44:45], v[132:133]
	v_mov_b32_e32 v144, 0xfca7ab0c
	v_mov_b32_e32 v145, 0x3e928af3
	s_mov_b32 s37, 0x3e5ade15
	v_fmac_f64_e32 v[144:145], s[36:37], v[134:135]
	v_mov_b32_e32 v146, 0x623fde64
	v_mov_b32_e32 v147, 0x3ec71dee
	v_fmac_f64_e32 v[146:147], v[134:135], v[144:145]
	v_mov_b32_e32 v144, 0x7c89e6b0
	v_mov_b32_e32 v145, 0x3efa0199
	;; [unrolled: 3-line block ×8, first 2 shown]
	v_fmac_f64_e32 v[144:145], v[134:135], v[146:147]
	v_fma_f64 v[144:145], v[134:135], v[144:145], 1.0
	s_mov_b32 s36, 0
	s_mov_b32 s38, 0
	v_fma_f64 v[134:135], v[134:135], v[144:145], 1.0
	v_cvt_i32_f64_e32 v53, v[132:133]
	s_mov_b32 s37, 0x40900000
	s_mov_b32 s39, 0xc090cc00
	v_ldexp_f64 v[132:133], v[134:135], v53
	v_mov_b32_e32 v53, 0x7ff00000
	v_cmp_nlt_f64_e64 s[36:37], s[36:37], v[6:7]
	v_cmp_ngt_f64_e64 s[38:39], s[38:39], v[6:7]
	s_mov_b32 s43, 0x3fe62e42
	v_cndmask_b32_e64 v53, v53, v133, s[36:37]
	s_and_b64 s[36:37], s[38:39], s[36:37]
	v_cndmask_b32_e64 v7, 0, v53, s[38:39]
	v_cndmask_b32_e64 v6, 0, v132, s[36:37]
	v_add_f64 v[132:133], v[6:7], 1.0
	v_add_f64 v[134:135], v[132:133], -1.0
	v_add_f64 v[144:145], v[134:135], -v[132:133]
	v_add_f64 v[144:145], v[144:145], 1.0
	v_add_f64 v[134:135], v[6:7], -v[134:135]
	s_mov_b32 s36, 0x55555555
	v_add_f64 v[134:135], v[134:135], v[144:145]
	v_frexp_mant_f64_e32 v[144:145], v[132:133]
	s_mov_b32 s37, 0x3fe55555
	v_frexp_exp_i32_f64_e32 v53, v[132:133]
	v_cmp_gt_f64_e64 s[36:37], s[36:37], v[144:145]
	s_mov_b32 s45, 0x3c7abc9e
	s_nop 0
	v_subbrev_co_u32_e64 v53, s[36:37], 0, v53, s[36:37]
	v_sub_u32_e32 v71, 0, v53
	v_ldexp_f64 v[132:133], v[132:133], v71
	v_add_f64 v[144:145], v[132:133], -1.0
	v_add_f64 v[150:151], v[132:133], 1.0
	v_add_f64 v[146:147], v[144:145], 1.0
	v_add_f64 v[160:161], v[150:151], -1.0
	v_ldexp_f64 v[134:135], v[134:135], v71
	v_add_f64 v[146:147], v[132:133], -v[146:147]
	v_add_f64 v[132:133], v[132:133], -v[160:161]
	v_add_f64 v[132:133], v[134:135], v[132:133]
	v_add_f64 v[146:147], v[134:135], v[146:147]
	v_add_f64 v[134:135], v[150:151], v[132:133]
	v_rcp_f64_e32 v[160:161], v[134:135]
	v_add_f64 v[148:149], v[144:145], v[146:147]
	v_add_f64 v[144:145], v[148:149], -v[144:145]
	v_add_f64 v[144:145], v[146:147], -v[144:145]
	;; [unrolled: 1-line block ×4, first 2 shown]
	v_fma_f64 v[146:147], -v[134:135], v[160:161], 1.0
	v_fmac_f64_e32 v[160:161], v[146:147], v[160:161]
	v_fma_f64 v[146:147], -v[134:135], v[160:161], 1.0
	v_fmac_f64_e32 v[160:161], v[146:147], v[160:161]
	v_mul_f64 v[146:147], v[148:149], v[160:161]
	v_mul_f64 v[150:151], v[134:135], v[146:147]
	v_fma_f64 v[162:163], v[146:147], v[134:135], -v[150:151]
	v_fmac_f64_e32 v[162:163], v[146:147], v[132:133]
	v_add_f64 v[164:165], v[150:151], v[162:163]
	v_add_f64 v[166:167], v[148:149], -v[164:165]
	v_add_f64 v[148:149], v[148:149], -v[166:167]
	;; [unrolled: 1-line block ×4, first 2 shown]
	v_add_f64 v[144:145], v[144:145], v[148:149]
	v_add_f64 v[148:149], v[150:151], -v[162:163]
	v_add_f64 v[144:145], v[148:149], v[144:145]
	v_add_f64 v[148:149], v[166:167], v[144:145]
	v_add_f64 v[150:151], v[166:167], -v[148:149]
	v_add_f64 v[144:145], v[144:145], v[150:151]
	v_mul_f64 v[150:151], v[160:161], v[148:149]
	v_mul_f64 v[162:163], v[134:135], v[150:151]
	v_fma_f64 v[134:135], v[150:151], v[134:135], -v[162:163]
	v_fmac_f64_e32 v[134:135], v[150:151], v[132:133]
	v_add_f64 v[132:133], v[162:163], v[134:135]
	v_add_f64 v[164:165], v[148:149], -v[132:133]
	v_add_f64 v[148:149], v[148:149], -v[164:165]
	v_add_f64 v[162:163], v[132:133], -v[162:163]
	v_add_f64 v[132:133], v[148:149], -v[132:133]
	v_add_f64 v[132:133], v[144:145], v[132:133]
	v_add_f64 v[134:135], v[162:163], -v[134:135]
	v_add_f64 v[132:133], v[134:135], v[132:133]
	v_add_f64 v[134:135], v[146:147], v[150:151]
	;; [unrolled: 1-line block ×3, first 2 shown]
	v_add_f64 v[144:145], v[134:135], -v[146:147]
	v_mul_f64 v[132:133], v[160:161], v[132:133]
	v_add_f64 v[144:145], v[150:151], -v[144:145]
	v_add_f64 v[132:133], v[144:145], v[132:133]
	v_add_f64 v[144:145], v[134:135], v[132:133]
	v_add_f64 v[134:135], v[144:145], -v[134:135]
	s_mov_b32 s36, 0xbf559e2b
	v_add_f64 v[132:133], v[132:133], -v[134:135]
	v_mul_f64 v[134:135], v[144:145], v[144:145]
	v_mov_b32_e32 v146, 0x6b47b09a
	v_mov_b32_e32 v147, 0x3fc38538
	s_mov_b32 s37, 0x3fc3ab76
	v_fmac_f64_e32 v[146:147], s[36:37], v[134:135]
	v_mov_b32_e32 v148, 0xd7f4df2e
	v_mov_b32_e32 v149, 0x3fc7474d
	v_fmac_f64_e32 v[148:149], v[134:135], v[146:147]
	v_mov_b32_e32 v146, 0x16291751
	v_mov_b32_e32 v147, 0x3fcc71c0
	;; [unrolled: 3-line block ×5, first 2 shown]
	v_fmac_f64_e32 v[148:149], v[134:135], v[146:147]
	v_cvt_f64_i32_e32 v[146:147], v53
	v_mul_f64 v[150:151], v[146:147], s[42:43]
	v_fma_f64 v[160:161], v[146:147], s[42:43], -v[150:151]
	v_fmac_f64_e32 v[160:161], s[44:45], v[146:147]
	v_add_f64 v[146:147], v[150:151], v[160:161]
	v_add_f64 v[150:151], v[146:147], -v[150:151]
	v_mul_f64 v[134:135], v[144:145], v[134:135]
	v_add_f64 v[150:151], v[160:161], -v[150:151]
	v_ldexp_f64 v[160:161], v[144:145], 1
	v_mul_f64 v[134:135], v[134:135], v[148:149]
	v_add_f64 v[144:145], v[160:161], v[134:135]
	v_add_f64 v[148:149], v[144:145], -v[160:161]
	v_ldexp_f64 v[132:133], v[132:133], 1
	v_add_f64 v[134:135], v[134:135], -v[148:149]
	v_add_f64 v[132:133], v[132:133], v[134:135]
	v_add_f64 v[134:135], v[144:145], v[132:133]
	v_add_f64 v[144:145], v[134:135], -v[144:145]
	v_add_f64 v[132:133], v[132:133], -v[144:145]
	v_add_f64 v[144:145], v[146:147], v[134:135]
	v_add_f64 v[148:149], v[144:145], -v[146:147]
	v_add_f64 v[160:161], v[144:145], -v[148:149]
	v_add_f64 v[146:147], v[146:147], -v[160:161]
	v_add_f64 v[134:135], v[134:135], -v[148:149]
	v_add_f64 v[134:135], v[134:135], v[146:147]
	v_add_f64 v[146:147], v[150:151], v[132:133]
	v_add_f64 v[148:149], v[146:147], -v[150:151]
	v_add_f64 v[134:135], v[146:147], v[134:135]
	v_add_f64 v[160:161], v[146:147], -v[148:149]
	;; [unrolled: 2-line block ×3, first 2 shown]
	v_add_f64 v[132:133], v[132:133], -v[148:149]
	v_add_f64 v[144:145], v[146:147], -v[144:145]
	v_add_f64 v[132:133], v[132:133], v[150:151]
	v_add_f64 v[134:135], v[134:135], -v[144:145]
	s_mov_b32 s36, 0
	v_add_f64 v[132:133], v[132:133], v[134:135]
	s_mov_b32 s37, 0x7ff00000
	v_add_f64 v[132:133], v[146:147], v[132:133]
	v_cmp_eq_f64_e64 s[36:37], s[36:37], v[6:7]
	s_nop 1
	v_cndmask_b32_e64 v53, v132, v6, s[36:37]
	v_cndmask_b32_e64 v71, v133, v7, s[36:37]
	v_mov_b32_e32 v132, 0x7ff80000
	v_cmp_ngt_f64_e64 s[36:37], -1.0, v[6:7]
	s_nop 1
	v_cndmask_b32_e64 v71, v132, v71, s[36:37]
	v_cmp_nge_f64_e64 s[36:37], -1.0, v[6:7]
	s_nop 1
	v_cndmask_b32_e64 v132, 0, v53, s[36:37]
	v_mov_b32_e32 v53, 0xfff00000
	v_cmp_neq_f64_e64 s[36:37], -1.0, v[6:7]
	s_nop 1
	v_cndmask_b32_e64 v133, v53, v71, s[36:37]
	v_add_f64 v[132:133], v[4:5], v[132:133]
.LBB2_290:
	s_or_b64 exec, exec, s[40:41]
	v_lshrrev_b32_e32 v4, 5, v70
	v_add_lshl_u32 v4, v4, v70, 3
	v_cmp_gt_u32_e64 s[36:37], 64, v70
	ds_write_b64 v4, v[132:133]
	s_waitcnt lgkmcnt(0)
	s_barrier
	s_and_saveexec_b64 s[42:43], s[36:37]
	s_cbranch_execz .LBB2_330
; %bb.291:
	v_lshlrev_b32_e32 v4, 2, v70
	v_lshrrev_b32_e32 v5, 3, v70
	v_add_lshl_u32 v53, v5, v4, 3
	ds_read2_b64 v[4:7], v53 offset1:1
	s_movk_i32 s52, 0x1f8
	s_waitcnt lgkmcnt(0)
	v_max_f64 v[144:145], v[6:7], v[6:7]
	v_max_f64 v[134:135], v[4:5], v[4:5]
	v_min_f64 v[146:147], v[134:135], v[144:145]
	v_cmp_u_f64_e64 s[36:37], v[4:5], v[4:5]
	v_cmp_u_f64_e64 s[38:39], v[6:7], v[6:7]
	v_max_f64 v[144:145], v[134:135], v[144:145]
	v_cndmask_b32_e64 v71, v146, v4, s[36:37]
	v_cndmask_b32_e64 v146, v147, v5, s[36:37]
	;; [unrolled: 1-line block ×8, first 2 shown]
	v_cmp_neq_f64_e64 s[38:39], v[146:147], v[144:145]
	v_cmp_class_f64_e64 s[40:41], v[146:147], s52
	s_or_b64 s[38:39], s[38:39], s[40:41]
	v_mov_b64_e32 v[6:7], v[4:5]
	s_and_saveexec_b64 s[44:45], s[38:39]
	s_cbranch_execz .LBB2_293
; %bb.292:
	s_mov_b32 s38, 0x652b82fe
	v_add_f64 v[6:7], v[146:147], -v[144:145]
	s_mov_b32 s39, 0x3ff71547
	v_mul_f64 v[146:147], v[6:7], s[38:39]
	v_rndne_f64_e32 v[146:147], v[146:147]
	s_mov_b32 s49, 0xbfe62e42
	s_mov_b32 s48, 0xfefa39ef
	v_fma_f64 v[148:149], s[48:49], v[146:147], v[6:7]
	s_mov_b32 s51, 0xbc7abc9e
	s_mov_b32 s50, 0x3b39803f
	;; [unrolled: 1-line block ×3, first 2 shown]
	v_fmac_f64_e32 v[148:149], s[50:51], v[146:147]
	v_mov_b32_e32 v150, 0xfca7ab0c
	v_mov_b32_e32 v151, 0x3e928af3
	s_mov_b32 s39, 0x3e5ade15
	v_fmac_f64_e32 v[150:151], s[38:39], v[148:149]
	v_mov_b32_e32 v160, 0x623fde64
	v_mov_b32_e32 v161, 0x3ec71dee
	v_fmac_f64_e32 v[160:161], v[148:149], v[150:151]
	v_mov_b32_e32 v150, 0x7c89e6b0
	v_mov_b32_e32 v151, 0x3efa0199
	;; [unrolled: 3-line block ×8, first 2 shown]
	v_fmac_f64_e32 v[150:151], v[148:149], v[160:161]
	v_fma_f64 v[150:151], v[148:149], v[150:151], 1.0
	s_mov_b32 s38, 0
	s_mov_b32 s40, 0
	v_fma_f64 v[148:149], v[148:149], v[150:151], 1.0
	v_cvt_i32_f64_e32 v71, v[146:147]
	s_mov_b32 s39, 0x40900000
	s_mov_b32 s41, 0xc090cc00
	v_ldexp_f64 v[146:147], v[148:149], v71
	v_mov_b32_e32 v71, 0x7ff00000
	v_cmp_nlt_f64_e64 s[38:39], s[38:39], v[6:7]
	v_cmp_ngt_f64_e64 s[40:41], s[40:41], v[6:7]
	s_mov_b32 s49, 0x3fe62e42
	v_cndmask_b32_e64 v71, v71, v147, s[38:39]
	s_and_b64 s[38:39], s[40:41], s[38:39]
	v_cndmask_b32_e64 v7, 0, v71, s[40:41]
	v_cndmask_b32_e64 v6, 0, v146, s[38:39]
	v_add_f64 v[146:147], v[6:7], 1.0
	v_add_f64 v[148:149], v[146:147], -1.0
	v_add_f64 v[150:151], v[148:149], -v[146:147]
	v_add_f64 v[150:151], v[150:151], 1.0
	v_add_f64 v[148:149], v[6:7], -v[148:149]
	s_mov_b32 s38, 0x55555555
	v_add_f64 v[148:149], v[148:149], v[150:151]
	v_frexp_mant_f64_e32 v[150:151], v[146:147]
	s_mov_b32 s39, 0x3fe55555
	v_frexp_exp_i32_f64_e32 v71, v[146:147]
	v_cmp_gt_f64_e64 s[38:39], s[38:39], v[150:151]
	s_mov_b32 s51, 0x3c7abc9e
	s_nop 0
	v_subbrev_co_u32_e64 v71, s[38:39], 0, v71, s[38:39]
	v_sub_u32_e32 v150, 0, v71
	v_ldexp_f64 v[146:147], v[146:147], v150
	v_ldexp_f64 v[148:149], v[148:149], v150
	v_add_f64 v[150:151], v[146:147], -1.0
	v_add_f64 v[164:165], v[146:147], 1.0
	v_add_f64 v[160:161], v[150:151], 1.0
	v_add_f64 v[166:167], v[164:165], -1.0
	v_add_f64 v[160:161], v[146:147], -v[160:161]
	v_add_f64 v[146:147], v[146:147], -v[166:167]
	v_add_f64 v[146:147], v[148:149], v[146:147]
	v_add_f64 v[160:161], v[148:149], v[160:161]
	;; [unrolled: 1-line block ×3, first 2 shown]
	v_rcp_f64_e32 v[166:167], v[148:149]
	v_add_f64 v[162:163], v[150:151], v[160:161]
	v_add_f64 v[150:151], v[162:163], -v[150:151]
	v_add_f64 v[150:151], v[160:161], -v[150:151]
	;; [unrolled: 1-line block ×4, first 2 shown]
	v_fma_f64 v[160:161], -v[148:149], v[166:167], 1.0
	v_fmac_f64_e32 v[166:167], v[160:161], v[166:167]
	v_fma_f64 v[160:161], -v[148:149], v[166:167], 1.0
	v_fmac_f64_e32 v[166:167], v[160:161], v[166:167]
	v_mul_f64 v[160:161], v[162:163], v[166:167]
	v_mul_f64 v[164:165], v[148:149], v[160:161]
	v_fma_f64 v[176:177], v[160:161], v[148:149], -v[164:165]
	v_fmac_f64_e32 v[176:177], v[160:161], v[146:147]
	v_add_f64 v[178:179], v[164:165], v[176:177]
	v_add_f64 v[180:181], v[162:163], -v[178:179]
	v_add_f64 v[162:163], v[162:163], -v[180:181]
	;; [unrolled: 1-line block ×4, first 2 shown]
	v_add_f64 v[150:151], v[150:151], v[162:163]
	v_add_f64 v[162:163], v[164:165], -v[176:177]
	v_add_f64 v[150:151], v[162:163], v[150:151]
	v_add_f64 v[162:163], v[180:181], v[150:151]
	v_add_f64 v[164:165], v[180:181], -v[162:163]
	v_add_f64 v[150:151], v[150:151], v[164:165]
	v_mul_f64 v[164:165], v[166:167], v[162:163]
	v_mul_f64 v[176:177], v[148:149], v[164:165]
	v_fma_f64 v[148:149], v[164:165], v[148:149], -v[176:177]
	v_fmac_f64_e32 v[148:149], v[164:165], v[146:147]
	v_add_f64 v[146:147], v[176:177], v[148:149]
	v_add_f64 v[178:179], v[162:163], -v[146:147]
	v_add_f64 v[162:163], v[162:163], -v[178:179]
	;; [unrolled: 1-line block ×4, first 2 shown]
	v_add_f64 v[146:147], v[150:151], v[146:147]
	v_add_f64 v[148:149], v[176:177], -v[148:149]
	v_add_f64 v[146:147], v[148:149], v[146:147]
	v_add_f64 v[148:149], v[160:161], v[164:165]
	;; [unrolled: 1-line block ×3, first 2 shown]
	v_add_f64 v[150:151], v[148:149], -v[160:161]
	v_mul_f64 v[146:147], v[166:167], v[146:147]
	v_add_f64 v[150:151], v[164:165], -v[150:151]
	v_add_f64 v[146:147], v[150:151], v[146:147]
	v_add_f64 v[150:151], v[148:149], v[146:147]
	v_add_f64 v[148:149], v[150:151], -v[148:149]
	s_mov_b32 s38, 0xbf559e2b
	v_add_f64 v[146:147], v[146:147], -v[148:149]
	v_mul_f64 v[148:149], v[150:151], v[150:151]
	v_mov_b32_e32 v160, 0x6b47b09a
	v_mov_b32_e32 v161, 0x3fc38538
	s_mov_b32 s39, 0x3fc3ab76
	v_fmac_f64_e32 v[160:161], s[38:39], v[148:149]
	v_mov_b32_e32 v162, 0xd7f4df2e
	v_mov_b32_e32 v163, 0x3fc7474d
	v_fmac_f64_e32 v[162:163], v[148:149], v[160:161]
	v_mov_b32_e32 v160, 0x16291751
	v_mov_b32_e32 v161, 0x3fcc71c0
	v_fmac_f64_e32 v[160:161], v[148:149], v[162:163]
	v_mov_b32_e32 v162, 0x9b27acf1
	v_mov_b32_e32 v163, 0x3fd24924
	v_fmac_f64_e32 v[162:163], v[148:149], v[160:161]
	v_mov_b32_e32 v160, 0x998ef7b6
	v_mov_b32_e32 v161, 0x3fd99999
	v_fmac_f64_e32 v[160:161], v[148:149], v[162:163]
	v_mov_b32_e32 v162, 0x55555780
	v_mov_b32_e32 v163, 0x3fe55555
	v_fmac_f64_e32 v[162:163], v[148:149], v[160:161]
	v_cvt_f64_i32_e32 v[160:161], v71
	v_mul_f64 v[164:165], v[160:161], s[48:49]
	v_fma_f64 v[166:167], v[160:161], s[48:49], -v[164:165]
	v_fmac_f64_e32 v[166:167], s[50:51], v[160:161]
	v_add_f64 v[160:161], v[164:165], v[166:167]
	v_add_f64 v[164:165], v[160:161], -v[164:165]
	v_mul_f64 v[148:149], v[150:151], v[148:149]
	v_add_f64 v[164:165], v[166:167], -v[164:165]
	v_ldexp_f64 v[166:167], v[150:151], 1
	v_mul_f64 v[148:149], v[148:149], v[162:163]
	v_add_f64 v[150:151], v[166:167], v[148:149]
	v_add_f64 v[162:163], v[150:151], -v[166:167]
	v_ldexp_f64 v[146:147], v[146:147], 1
	v_add_f64 v[148:149], v[148:149], -v[162:163]
	v_add_f64 v[146:147], v[146:147], v[148:149]
	v_add_f64 v[148:149], v[150:151], v[146:147]
	v_add_f64 v[150:151], v[148:149], -v[150:151]
	v_add_f64 v[146:147], v[146:147], -v[150:151]
	v_add_f64 v[150:151], v[160:161], v[148:149]
	v_add_f64 v[162:163], v[150:151], -v[160:161]
	v_add_f64 v[166:167], v[150:151], -v[162:163]
	;; [unrolled: 1-line block ×4, first 2 shown]
	v_add_f64 v[148:149], v[148:149], v[160:161]
	v_add_f64 v[160:161], v[164:165], v[146:147]
	v_add_f64 v[162:163], v[160:161], -v[164:165]
	v_add_f64 v[148:149], v[160:161], v[148:149]
	v_add_f64 v[166:167], v[160:161], -v[162:163]
	;; [unrolled: 2-line block ×3, first 2 shown]
	v_add_f64 v[146:147], v[146:147], -v[162:163]
	v_add_f64 v[150:151], v[160:161], -v[150:151]
	v_add_f64 v[146:147], v[146:147], v[164:165]
	v_add_f64 v[148:149], v[148:149], -v[150:151]
	s_mov_b32 s38, 0
	v_add_f64 v[146:147], v[146:147], v[148:149]
	s_mov_b32 s39, 0x7ff00000
	v_add_f64 v[146:147], v[160:161], v[146:147]
	v_cmp_eq_f64_e64 s[38:39], s[38:39], v[6:7]
	s_nop 1
	v_cndmask_b32_e64 v71, v146, v6, s[38:39]
	v_cndmask_b32_e64 v146, v147, v7, s[38:39]
	v_mov_b32_e32 v147, 0x7ff80000
	v_cmp_ngt_f64_e64 s[38:39], -1.0, v[6:7]
	s_nop 1
	v_cndmask_b32_e64 v147, v147, v146, s[38:39]
	v_cmp_nge_f64_e64 s[38:39], -1.0, v[6:7]
	s_nop 1
	v_cndmask_b32_e64 v146, 0, v71, s[38:39]
	v_mov_b32_e32 v71, 0xfff00000
	v_cmp_neq_f64_e64 s[38:39], -1.0, v[6:7]
	s_nop 1
	v_cndmask_b32_e64 v147, v71, v147, s[38:39]
	v_add_f64 v[6:7], v[144:145], v[146:147]
.LBB2_293:
	s_or_b64 exec, exec, s[44:45]
	ds_read_b64 v[144:145], v53 offset:16
	v_max_f64 v[148:149], v[6:7], v[6:7]
	v_cmp_u_f64_e64 s[38:39], v[6:7], v[6:7]
	s_waitcnt lgkmcnt(0)
	v_max_f64 v[150:151], v[144:145], v[144:145]
	v_min_f64 v[146:147], v[148:149], v[150:151]
	v_cndmask_b32_e64 v71, v146, v6, s[38:39]
	v_cndmask_b32_e64 v146, v147, v7, s[38:39]
	v_cmp_u_f64_e64 s[40:41], v[144:145], v[144:145]
	v_max_f64 v[148:149], v[148:149], v[150:151]
	s_nop 0
	v_cndmask_b32_e64 v147, v146, v145, s[40:41]
	v_cndmask_b32_e64 v146, v71, v144, s[40:41]
	v_cndmask_b32_e64 v71, v148, v6, s[38:39]
	v_cndmask_b32_e64 v148, v149, v7, s[38:39]
	v_cndmask_b32_e64 v145, v148, v145, s[40:41]
	v_cndmask_b32_e64 v144, v71, v144, s[40:41]
	v_cmp_neq_f64_e64 s[38:39], v[146:147], v[144:145]
	v_cmp_class_f64_e64 s[40:41], v[146:147], s52
	s_or_b64 s[38:39], s[38:39], s[40:41]
	s_and_saveexec_b64 s[44:45], s[38:39]
	s_cbranch_execz .LBB2_295
; %bb.294:
	s_mov_b32 s38, 0x652b82fe
	v_add_f64 v[6:7], v[146:147], -v[144:145]
	s_mov_b32 s39, 0x3ff71547
	v_mul_f64 v[146:147], v[6:7], s[38:39]
	v_rndne_f64_e32 v[146:147], v[146:147]
	s_mov_b32 s49, 0xbfe62e42
	s_mov_b32 s48, 0xfefa39ef
	v_fma_f64 v[148:149], s[48:49], v[146:147], v[6:7]
	s_mov_b32 s51, 0xbc7abc9e
	s_mov_b32 s50, 0x3b39803f
	;; [unrolled: 1-line block ×3, first 2 shown]
	v_fmac_f64_e32 v[148:149], s[50:51], v[146:147]
	v_mov_b32_e32 v150, 0xfca7ab0c
	v_mov_b32_e32 v151, 0x3e928af3
	s_mov_b32 s39, 0x3e5ade15
	v_fmac_f64_e32 v[150:151], s[38:39], v[148:149]
	v_mov_b32_e32 v160, 0x623fde64
	v_mov_b32_e32 v161, 0x3ec71dee
	v_fmac_f64_e32 v[160:161], v[148:149], v[150:151]
	v_mov_b32_e32 v150, 0x7c89e6b0
	v_mov_b32_e32 v151, 0x3efa0199
	v_fmac_f64_e32 v[150:151], v[148:149], v[160:161]
	v_mov_b32_e32 v160, 0x14761f6e
	v_mov_b32_e32 v161, 0x3f2a01a0
	v_fmac_f64_e32 v[160:161], v[148:149], v[150:151]
	v_mov_b32_e32 v150, 0x1852b7b0
	v_mov_b32_e32 v151, 0x3f56c16c
	v_fmac_f64_e32 v[150:151], v[148:149], v[160:161]
	v_mov_b32_e32 v160, 0x11122322
	v_mov_b32_e32 v161, 0x3f811111
	v_fmac_f64_e32 v[160:161], v[148:149], v[150:151]
	v_mov_b32_e32 v150, 0x555502a1
	v_mov_b32_e32 v151, 0x3fa55555
	v_fmac_f64_e32 v[150:151], v[148:149], v[160:161]
	v_mov_b32_e32 v160, 0x55555511
	v_mov_b32_e32 v161, 0x3fc55555
	v_fmac_f64_e32 v[160:161], v[148:149], v[150:151]
	v_mov_b32_e32 v150, 11
	v_mov_b32_e32 v151, 0x3fe00000
	v_fmac_f64_e32 v[150:151], v[148:149], v[160:161]
	v_fma_f64 v[150:151], v[148:149], v[150:151], 1.0
	s_mov_b32 s38, 0
	s_mov_b32 s40, 0
	v_fma_f64 v[148:149], v[148:149], v[150:151], 1.0
	v_cvt_i32_f64_e32 v71, v[146:147]
	s_mov_b32 s39, 0x40900000
	s_mov_b32 s41, 0xc090cc00
	v_ldexp_f64 v[146:147], v[148:149], v71
	v_mov_b32_e32 v71, 0x7ff00000
	v_cmp_nlt_f64_e64 s[38:39], s[38:39], v[6:7]
	v_cmp_ngt_f64_e64 s[40:41], s[40:41], v[6:7]
	s_mov_b32 s49, 0x3fe62e42
	v_cndmask_b32_e64 v71, v71, v147, s[38:39]
	s_and_b64 s[38:39], s[40:41], s[38:39]
	v_cndmask_b32_e64 v7, 0, v71, s[40:41]
	v_cndmask_b32_e64 v6, 0, v146, s[38:39]
	v_add_f64 v[146:147], v[6:7], 1.0
	v_add_f64 v[148:149], v[146:147], -1.0
	v_add_f64 v[150:151], v[148:149], -v[146:147]
	v_add_f64 v[150:151], v[150:151], 1.0
	v_add_f64 v[148:149], v[6:7], -v[148:149]
	s_mov_b32 s38, 0x55555555
	v_add_f64 v[148:149], v[148:149], v[150:151]
	v_frexp_mant_f64_e32 v[150:151], v[146:147]
	s_mov_b32 s39, 0x3fe55555
	v_frexp_exp_i32_f64_e32 v71, v[146:147]
	v_cmp_gt_f64_e64 s[38:39], s[38:39], v[150:151]
	s_mov_b32 s51, 0x3c7abc9e
	s_nop 0
	v_subbrev_co_u32_e64 v71, s[38:39], 0, v71, s[38:39]
	v_sub_u32_e32 v150, 0, v71
	v_ldexp_f64 v[146:147], v[146:147], v150
	v_ldexp_f64 v[148:149], v[148:149], v150
	v_add_f64 v[150:151], v[146:147], -1.0
	v_add_f64 v[164:165], v[146:147], 1.0
	v_add_f64 v[160:161], v[150:151], 1.0
	v_add_f64 v[166:167], v[164:165], -1.0
	v_add_f64 v[160:161], v[146:147], -v[160:161]
	v_add_f64 v[146:147], v[146:147], -v[166:167]
	v_add_f64 v[146:147], v[148:149], v[146:147]
	v_add_f64 v[160:161], v[148:149], v[160:161]
	v_add_f64 v[148:149], v[164:165], v[146:147]
	v_rcp_f64_e32 v[166:167], v[148:149]
	v_add_f64 v[162:163], v[150:151], v[160:161]
	v_add_f64 v[150:151], v[162:163], -v[150:151]
	v_add_f64 v[150:151], v[160:161], -v[150:151]
	;; [unrolled: 1-line block ×4, first 2 shown]
	v_fma_f64 v[160:161], -v[148:149], v[166:167], 1.0
	v_fmac_f64_e32 v[166:167], v[160:161], v[166:167]
	v_fma_f64 v[160:161], -v[148:149], v[166:167], 1.0
	v_fmac_f64_e32 v[166:167], v[160:161], v[166:167]
	v_mul_f64 v[160:161], v[162:163], v[166:167]
	v_mul_f64 v[164:165], v[148:149], v[160:161]
	v_fma_f64 v[176:177], v[160:161], v[148:149], -v[164:165]
	v_fmac_f64_e32 v[176:177], v[160:161], v[146:147]
	v_add_f64 v[178:179], v[164:165], v[176:177]
	v_add_f64 v[180:181], v[162:163], -v[178:179]
	v_add_f64 v[162:163], v[162:163], -v[180:181]
	;; [unrolled: 1-line block ×4, first 2 shown]
	v_add_f64 v[150:151], v[150:151], v[162:163]
	v_add_f64 v[162:163], v[164:165], -v[176:177]
	v_add_f64 v[150:151], v[162:163], v[150:151]
	v_add_f64 v[162:163], v[180:181], v[150:151]
	v_add_f64 v[164:165], v[180:181], -v[162:163]
	v_add_f64 v[150:151], v[150:151], v[164:165]
	v_mul_f64 v[164:165], v[166:167], v[162:163]
	v_mul_f64 v[176:177], v[148:149], v[164:165]
	v_fma_f64 v[148:149], v[164:165], v[148:149], -v[176:177]
	v_fmac_f64_e32 v[148:149], v[164:165], v[146:147]
	v_add_f64 v[146:147], v[176:177], v[148:149]
	v_add_f64 v[178:179], v[162:163], -v[146:147]
	v_add_f64 v[162:163], v[162:163], -v[178:179]
	;; [unrolled: 1-line block ×4, first 2 shown]
	v_add_f64 v[146:147], v[150:151], v[146:147]
	v_add_f64 v[148:149], v[176:177], -v[148:149]
	v_add_f64 v[146:147], v[148:149], v[146:147]
	v_add_f64 v[148:149], v[160:161], v[164:165]
	;; [unrolled: 1-line block ×3, first 2 shown]
	v_add_f64 v[150:151], v[148:149], -v[160:161]
	v_mul_f64 v[146:147], v[166:167], v[146:147]
	v_add_f64 v[150:151], v[164:165], -v[150:151]
	v_add_f64 v[146:147], v[150:151], v[146:147]
	v_add_f64 v[150:151], v[148:149], v[146:147]
	v_add_f64 v[148:149], v[150:151], -v[148:149]
	s_mov_b32 s38, 0xbf559e2b
	v_add_f64 v[146:147], v[146:147], -v[148:149]
	v_mul_f64 v[148:149], v[150:151], v[150:151]
	v_mov_b32_e32 v160, 0x6b47b09a
	v_mov_b32_e32 v161, 0x3fc38538
	s_mov_b32 s39, 0x3fc3ab76
	v_fmac_f64_e32 v[160:161], s[38:39], v[148:149]
	v_mov_b32_e32 v162, 0xd7f4df2e
	v_mov_b32_e32 v163, 0x3fc7474d
	v_fmac_f64_e32 v[162:163], v[148:149], v[160:161]
	v_mov_b32_e32 v160, 0x16291751
	v_mov_b32_e32 v161, 0x3fcc71c0
	;; [unrolled: 3-line block ×5, first 2 shown]
	v_fmac_f64_e32 v[162:163], v[148:149], v[160:161]
	v_cvt_f64_i32_e32 v[160:161], v71
	v_mul_f64 v[164:165], v[160:161], s[48:49]
	v_fma_f64 v[166:167], v[160:161], s[48:49], -v[164:165]
	v_fmac_f64_e32 v[166:167], s[50:51], v[160:161]
	v_add_f64 v[160:161], v[164:165], v[166:167]
	v_add_f64 v[164:165], v[160:161], -v[164:165]
	v_mul_f64 v[148:149], v[150:151], v[148:149]
	v_add_f64 v[164:165], v[166:167], -v[164:165]
	v_ldexp_f64 v[166:167], v[150:151], 1
	v_mul_f64 v[148:149], v[148:149], v[162:163]
	v_add_f64 v[150:151], v[166:167], v[148:149]
	v_add_f64 v[162:163], v[150:151], -v[166:167]
	v_ldexp_f64 v[146:147], v[146:147], 1
	v_add_f64 v[148:149], v[148:149], -v[162:163]
	v_add_f64 v[146:147], v[146:147], v[148:149]
	v_add_f64 v[148:149], v[150:151], v[146:147]
	v_add_f64 v[150:151], v[148:149], -v[150:151]
	v_add_f64 v[146:147], v[146:147], -v[150:151]
	v_add_f64 v[150:151], v[160:161], v[148:149]
	v_add_f64 v[162:163], v[150:151], -v[160:161]
	v_add_f64 v[166:167], v[150:151], -v[162:163]
	v_add_f64 v[160:161], v[160:161], -v[166:167]
	v_add_f64 v[148:149], v[148:149], -v[162:163]
	v_add_f64 v[148:149], v[148:149], v[160:161]
	v_add_f64 v[160:161], v[164:165], v[146:147]
	v_add_f64 v[162:163], v[160:161], -v[164:165]
	v_add_f64 v[148:149], v[160:161], v[148:149]
	v_add_f64 v[166:167], v[160:161], -v[162:163]
	;; [unrolled: 2-line block ×3, first 2 shown]
	v_add_f64 v[146:147], v[146:147], -v[162:163]
	v_add_f64 v[150:151], v[160:161], -v[150:151]
	v_add_f64 v[146:147], v[146:147], v[164:165]
	v_add_f64 v[148:149], v[148:149], -v[150:151]
	s_mov_b32 s38, 0
	v_add_f64 v[146:147], v[146:147], v[148:149]
	s_mov_b32 s39, 0x7ff00000
	v_add_f64 v[146:147], v[160:161], v[146:147]
	v_cmp_eq_f64_e64 s[38:39], s[38:39], v[6:7]
	s_nop 1
	v_cndmask_b32_e64 v71, v146, v6, s[38:39]
	v_cndmask_b32_e64 v146, v147, v7, s[38:39]
	v_mov_b32_e32 v147, 0x7ff80000
	v_cmp_ngt_f64_e64 s[38:39], -1.0, v[6:7]
	s_nop 1
	v_cndmask_b32_e64 v147, v147, v146, s[38:39]
	v_cmp_nge_f64_e64 s[38:39], -1.0, v[6:7]
	s_nop 1
	v_cndmask_b32_e64 v146, 0, v71, s[38:39]
	v_mov_b32_e32 v71, 0xfff00000
	v_cmp_neq_f64_e64 s[38:39], -1.0, v[6:7]
	s_nop 1
	v_cndmask_b32_e64 v147, v71, v147, s[38:39]
	v_add_f64 v[6:7], v[144:145], v[146:147]
.LBB2_295:
	s_or_b64 exec, exec, s[44:45]
	ds_read_b64 v[144:145], v53 offset:24
	v_max_f64 v[148:149], v[6:7], v[6:7]
	v_cmp_u_f64_e64 s[38:39], v[6:7], v[6:7]
	s_waitcnt lgkmcnt(0)
	v_max_f64 v[150:151], v[144:145], v[144:145]
	v_min_f64 v[146:147], v[148:149], v[150:151]
	v_cndmask_b32_e64 v71, v146, v6, s[38:39]
	v_cndmask_b32_e64 v146, v147, v7, s[38:39]
	v_cmp_u_f64_e64 s[40:41], v[144:145], v[144:145]
	v_max_f64 v[148:149], v[148:149], v[150:151]
	s_nop 0
	v_cndmask_b32_e64 v147, v146, v145, s[40:41]
	v_cndmask_b32_e64 v146, v71, v144, s[40:41]
	;; [unrolled: 1-line block ×6, first 2 shown]
	s_movk_i32 s40, 0x1f8
	v_cmp_neq_f64_e64 s[38:39], v[146:147], v[144:145]
	v_cmp_class_f64_e64 s[40:41], v[146:147], s40
	s_or_b64 s[38:39], s[38:39], s[40:41]
	s_and_saveexec_b64 s[44:45], s[38:39]
	s_cbranch_execz .LBB2_297
; %bb.296:
	s_mov_b32 s38, 0x652b82fe
	v_add_f64 v[6:7], v[146:147], -v[144:145]
	s_mov_b32 s39, 0x3ff71547
	v_mul_f64 v[146:147], v[6:7], s[38:39]
	v_rndne_f64_e32 v[146:147], v[146:147]
	s_mov_b32 s49, 0xbfe62e42
	s_mov_b32 s48, 0xfefa39ef
	v_fma_f64 v[148:149], s[48:49], v[146:147], v[6:7]
	s_mov_b32 s51, 0xbc7abc9e
	s_mov_b32 s50, 0x3b39803f
	;; [unrolled: 1-line block ×3, first 2 shown]
	v_fmac_f64_e32 v[148:149], s[50:51], v[146:147]
	v_mov_b32_e32 v150, 0xfca7ab0c
	v_mov_b32_e32 v151, 0x3e928af3
	s_mov_b32 s39, 0x3e5ade15
	v_fmac_f64_e32 v[150:151], s[38:39], v[148:149]
	v_mov_b32_e32 v160, 0x623fde64
	v_mov_b32_e32 v161, 0x3ec71dee
	v_fmac_f64_e32 v[160:161], v[148:149], v[150:151]
	v_mov_b32_e32 v150, 0x7c89e6b0
	v_mov_b32_e32 v151, 0x3efa0199
	;; [unrolled: 3-line block ×8, first 2 shown]
	v_fmac_f64_e32 v[150:151], v[148:149], v[160:161]
	v_fma_f64 v[150:151], v[148:149], v[150:151], 1.0
	s_mov_b32 s38, 0
	s_mov_b32 s40, 0
	v_fma_f64 v[148:149], v[148:149], v[150:151], 1.0
	v_cvt_i32_f64_e32 v71, v[146:147]
	s_mov_b32 s39, 0x40900000
	s_mov_b32 s41, 0xc090cc00
	v_ldexp_f64 v[146:147], v[148:149], v71
	v_mov_b32_e32 v71, 0x7ff00000
	v_cmp_nlt_f64_e64 s[38:39], s[38:39], v[6:7]
	v_cmp_ngt_f64_e64 s[40:41], s[40:41], v[6:7]
	s_mov_b32 s49, 0x3fe62e42
	v_cndmask_b32_e64 v71, v71, v147, s[38:39]
	s_and_b64 s[38:39], s[40:41], s[38:39]
	v_cndmask_b32_e64 v7, 0, v71, s[40:41]
	v_cndmask_b32_e64 v6, 0, v146, s[38:39]
	v_add_f64 v[146:147], v[6:7], 1.0
	v_add_f64 v[148:149], v[146:147], -1.0
	v_add_f64 v[150:151], v[148:149], -v[146:147]
	v_add_f64 v[150:151], v[150:151], 1.0
	v_add_f64 v[148:149], v[6:7], -v[148:149]
	s_mov_b32 s38, 0x55555555
	v_add_f64 v[148:149], v[148:149], v[150:151]
	v_frexp_mant_f64_e32 v[150:151], v[146:147]
	s_mov_b32 s39, 0x3fe55555
	v_frexp_exp_i32_f64_e32 v71, v[146:147]
	v_cmp_gt_f64_e64 s[38:39], s[38:39], v[150:151]
	s_mov_b32 s51, 0x3c7abc9e
	s_nop 0
	v_subbrev_co_u32_e64 v71, s[38:39], 0, v71, s[38:39]
	v_sub_u32_e32 v150, 0, v71
	v_ldexp_f64 v[146:147], v[146:147], v150
	v_ldexp_f64 v[148:149], v[148:149], v150
	v_add_f64 v[150:151], v[146:147], -1.0
	v_add_f64 v[164:165], v[146:147], 1.0
	v_add_f64 v[160:161], v[150:151], 1.0
	v_add_f64 v[166:167], v[164:165], -1.0
	v_add_f64 v[160:161], v[146:147], -v[160:161]
	v_add_f64 v[146:147], v[146:147], -v[166:167]
	v_add_f64 v[146:147], v[148:149], v[146:147]
	v_add_f64 v[160:161], v[148:149], v[160:161]
	;; [unrolled: 1-line block ×3, first 2 shown]
	v_rcp_f64_e32 v[166:167], v[148:149]
	v_add_f64 v[162:163], v[150:151], v[160:161]
	v_add_f64 v[150:151], v[162:163], -v[150:151]
	v_add_f64 v[150:151], v[160:161], -v[150:151]
	;; [unrolled: 1-line block ×4, first 2 shown]
	v_fma_f64 v[160:161], -v[148:149], v[166:167], 1.0
	v_fmac_f64_e32 v[166:167], v[160:161], v[166:167]
	v_fma_f64 v[160:161], -v[148:149], v[166:167], 1.0
	v_fmac_f64_e32 v[166:167], v[160:161], v[166:167]
	v_mul_f64 v[160:161], v[162:163], v[166:167]
	v_mul_f64 v[164:165], v[148:149], v[160:161]
	v_fma_f64 v[176:177], v[160:161], v[148:149], -v[164:165]
	v_fmac_f64_e32 v[176:177], v[160:161], v[146:147]
	v_add_f64 v[178:179], v[164:165], v[176:177]
	v_add_f64 v[180:181], v[162:163], -v[178:179]
	v_add_f64 v[162:163], v[162:163], -v[180:181]
	;; [unrolled: 1-line block ×4, first 2 shown]
	v_add_f64 v[150:151], v[150:151], v[162:163]
	v_add_f64 v[162:163], v[164:165], -v[176:177]
	v_add_f64 v[150:151], v[162:163], v[150:151]
	v_add_f64 v[162:163], v[180:181], v[150:151]
	v_add_f64 v[164:165], v[180:181], -v[162:163]
	v_add_f64 v[150:151], v[150:151], v[164:165]
	v_mul_f64 v[164:165], v[166:167], v[162:163]
	v_mul_f64 v[176:177], v[148:149], v[164:165]
	v_fma_f64 v[148:149], v[164:165], v[148:149], -v[176:177]
	v_fmac_f64_e32 v[148:149], v[164:165], v[146:147]
	v_add_f64 v[146:147], v[176:177], v[148:149]
	v_add_f64 v[178:179], v[162:163], -v[146:147]
	v_add_f64 v[162:163], v[162:163], -v[178:179]
	;; [unrolled: 1-line block ×4, first 2 shown]
	v_add_f64 v[146:147], v[150:151], v[146:147]
	v_add_f64 v[148:149], v[176:177], -v[148:149]
	v_add_f64 v[146:147], v[148:149], v[146:147]
	v_add_f64 v[148:149], v[160:161], v[164:165]
	;; [unrolled: 1-line block ×3, first 2 shown]
	v_add_f64 v[150:151], v[148:149], -v[160:161]
	v_mul_f64 v[146:147], v[166:167], v[146:147]
	v_add_f64 v[150:151], v[164:165], -v[150:151]
	v_add_f64 v[146:147], v[150:151], v[146:147]
	v_add_f64 v[150:151], v[148:149], v[146:147]
	v_add_f64 v[148:149], v[150:151], -v[148:149]
	s_mov_b32 s38, 0xbf559e2b
	v_add_f64 v[146:147], v[146:147], -v[148:149]
	v_mul_f64 v[148:149], v[150:151], v[150:151]
	v_mov_b32_e32 v160, 0x6b47b09a
	v_mov_b32_e32 v161, 0x3fc38538
	s_mov_b32 s39, 0x3fc3ab76
	v_fmac_f64_e32 v[160:161], s[38:39], v[148:149]
	v_mov_b32_e32 v162, 0xd7f4df2e
	v_mov_b32_e32 v163, 0x3fc7474d
	v_fmac_f64_e32 v[162:163], v[148:149], v[160:161]
	v_mov_b32_e32 v160, 0x16291751
	v_mov_b32_e32 v161, 0x3fcc71c0
	;; [unrolled: 3-line block ×5, first 2 shown]
	v_fmac_f64_e32 v[162:163], v[148:149], v[160:161]
	v_cvt_f64_i32_e32 v[160:161], v71
	v_mul_f64 v[164:165], v[160:161], s[48:49]
	v_fma_f64 v[166:167], v[160:161], s[48:49], -v[164:165]
	v_fmac_f64_e32 v[166:167], s[50:51], v[160:161]
	v_add_f64 v[160:161], v[164:165], v[166:167]
	v_add_f64 v[164:165], v[160:161], -v[164:165]
	v_mul_f64 v[148:149], v[150:151], v[148:149]
	v_add_f64 v[164:165], v[166:167], -v[164:165]
	v_ldexp_f64 v[166:167], v[150:151], 1
	v_mul_f64 v[148:149], v[148:149], v[162:163]
	v_add_f64 v[150:151], v[166:167], v[148:149]
	v_add_f64 v[162:163], v[150:151], -v[166:167]
	v_ldexp_f64 v[146:147], v[146:147], 1
	v_add_f64 v[148:149], v[148:149], -v[162:163]
	v_add_f64 v[146:147], v[146:147], v[148:149]
	v_add_f64 v[148:149], v[150:151], v[146:147]
	v_add_f64 v[150:151], v[148:149], -v[150:151]
	v_add_f64 v[146:147], v[146:147], -v[150:151]
	v_add_f64 v[150:151], v[160:161], v[148:149]
	v_add_f64 v[162:163], v[150:151], -v[160:161]
	v_add_f64 v[166:167], v[150:151], -v[162:163]
	;; [unrolled: 1-line block ×4, first 2 shown]
	v_add_f64 v[148:149], v[148:149], v[160:161]
	v_add_f64 v[160:161], v[164:165], v[146:147]
	v_add_f64 v[162:163], v[160:161], -v[164:165]
	v_add_f64 v[148:149], v[160:161], v[148:149]
	v_add_f64 v[166:167], v[160:161], -v[162:163]
	;; [unrolled: 2-line block ×3, first 2 shown]
	v_add_f64 v[146:147], v[146:147], -v[162:163]
	v_add_f64 v[150:151], v[160:161], -v[150:151]
	v_add_f64 v[146:147], v[146:147], v[164:165]
	v_add_f64 v[148:149], v[148:149], -v[150:151]
	s_mov_b32 s38, 0
	v_add_f64 v[146:147], v[146:147], v[148:149]
	s_mov_b32 s39, 0x7ff00000
	v_add_f64 v[146:147], v[160:161], v[146:147]
	v_cmp_eq_f64_e64 s[38:39], s[38:39], v[6:7]
	s_nop 1
	v_cndmask_b32_e64 v71, v146, v6, s[38:39]
	v_cndmask_b32_e64 v146, v147, v7, s[38:39]
	v_mov_b32_e32 v147, 0x7ff80000
	v_cmp_ngt_f64_e64 s[38:39], -1.0, v[6:7]
	s_nop 1
	v_cndmask_b32_e64 v147, v147, v146, s[38:39]
	v_cmp_nge_f64_e64 s[38:39], -1.0, v[6:7]
	s_nop 1
	v_cndmask_b32_e64 v146, 0, v71, s[38:39]
	v_mov_b32_e32 v71, 0xfff00000
	v_cmp_neq_f64_e64 s[38:39], -1.0, v[6:7]
	s_nop 1
	v_cndmask_b32_e64 v147, v71, v147, s[38:39]
	v_add_f64 v[6:7], v[144:145], v[146:147]
.LBB2_297:
	s_or_b64 exec, exec, s[44:45]
	v_mbcnt_lo_u32_b32 v71, -1, 0
	v_mbcnt_hi_u32_b32 v71, -1, v71
	v_and_b32_e32 v148, 15, v71
	v_mov_b32_dpp v144, v6 row_shr:1 row_mask:0xf bank_mask:0xf
	v_mov_b32_dpp v145, v7 row_shr:1 row_mask:0xf bank_mask:0xf
	v_cmp_ne_u32_e64 s[38:39], 0, v148
	v_mov_b32_e32 v146, v6
	v_mov_b32_e32 v147, v7
	s_and_saveexec_b64 s[40:41], s[38:39]
	s_xor_b64 s[44:45], exec, s[40:41]
	s_cbranch_execz .LBB2_301
; %bb.298:
	v_max_f64 v[150:151], v[144:145], v[144:145]
	v_max_f64 v[160:161], v[6:7], v[6:7]
	v_min_f64 v[146:147], v[150:151], v[160:161]
	v_cmp_u_f64_e64 s[38:39], v[144:145], v[144:145]
	v_max_f64 v[150:151], v[150:151], v[160:161]
	v_cmp_u_f64_e64 s[40:41], v[6:7], v[6:7]
	v_cndmask_b32_e64 v146, v146, v144, s[38:39]
	v_cndmask_b32_e64 v147, v147, v145, s[38:39]
	;; [unrolled: 1-line block ×8, first 2 shown]
	s_movk_i32 s40, 0x1f8
	v_cmp_neq_f64_e64 s[38:39], v[146:147], v[6:7]
	v_cmp_class_f64_e64 s[40:41], v[146:147], s40
	s_or_b64 s[38:39], s[38:39], s[40:41]
	s_and_saveexec_b64 s[48:49], s[38:39]
	s_cbranch_execz .LBB2_300
; %bb.299:
	s_mov_b32 s38, 0x652b82fe
	v_add_f64 v[144:145], v[146:147], -v[6:7]
	s_mov_b32 s39, 0x3ff71547
	v_mul_f64 v[146:147], v[144:145], s[38:39]
	v_rndne_f64_e32 v[146:147], v[146:147]
	s_mov_b32 s51, 0xbfe62e42
	s_mov_b32 s50, 0xfefa39ef
	v_fma_f64 v[150:151], s[50:51], v[146:147], v[144:145]
	s_mov_b32 s53, 0xbc7abc9e
	s_mov_b32 s52, 0x3b39803f
	;; [unrolled: 1-line block ×3, first 2 shown]
	v_fmac_f64_e32 v[150:151], s[52:53], v[146:147]
	v_mov_b32_e32 v160, 0xfca7ab0c
	v_mov_b32_e32 v161, 0x3e928af3
	s_mov_b32 s39, 0x3e5ade15
	v_fmac_f64_e32 v[160:161], s[38:39], v[150:151]
	v_mov_b32_e32 v162, 0x623fde64
	v_mov_b32_e32 v163, 0x3ec71dee
	v_fmac_f64_e32 v[162:163], v[150:151], v[160:161]
	v_mov_b32_e32 v160, 0x7c89e6b0
	v_mov_b32_e32 v161, 0x3efa0199
	;; [unrolled: 3-line block ×8, first 2 shown]
	v_fmac_f64_e32 v[160:161], v[150:151], v[162:163]
	v_fma_f64 v[160:161], v[150:151], v[160:161], 1.0
	s_mov_b32 s38, 0
	s_mov_b32 s40, 0
	v_fma_f64 v[150:151], v[150:151], v[160:161], 1.0
	v_cvt_i32_f64_e32 v146, v[146:147]
	s_mov_b32 s39, 0x40900000
	s_mov_b32 s41, 0xc090cc00
	v_ldexp_f64 v[146:147], v[150:151], v146
	v_mov_b32_e32 v149, 0x7ff00000
	v_cmp_nlt_f64_e64 s[38:39], s[38:39], v[144:145]
	v_cmp_ngt_f64_e64 s[40:41], s[40:41], v[144:145]
	s_mov_b32 s51, 0x3fe62e42
	v_cndmask_b32_e64 v147, v149, v147, s[38:39]
	s_and_b64 s[38:39], s[40:41], s[38:39]
	v_cndmask_b32_e64 v145, 0, v147, s[40:41]
	v_cndmask_b32_e64 v144, 0, v146, s[38:39]
	v_add_f64 v[146:147], v[144:145], 1.0
	v_add_f64 v[150:151], v[146:147], -1.0
	v_add_f64 v[160:161], v[150:151], -v[146:147]
	v_add_f64 v[160:161], v[160:161], 1.0
	v_add_f64 v[150:151], v[144:145], -v[150:151]
	s_mov_b32 s38, 0x55555555
	v_add_f64 v[150:151], v[150:151], v[160:161]
	v_frexp_mant_f64_e32 v[160:161], v[146:147]
	s_mov_b32 s39, 0x3fe55555
	v_frexp_exp_i32_f64_e32 v149, v[146:147]
	v_cmp_gt_f64_e64 s[38:39], s[38:39], v[160:161]
	s_mov_b32 s53, 0x3c7abc9e
	s_nop 0
	v_subbrev_co_u32_e64 v149, s[38:39], 0, v149, s[38:39]
	v_sub_u32_e32 v160, 0, v149
	v_ldexp_f64 v[146:147], v[146:147], v160
	v_ldexp_f64 v[150:151], v[150:151], v160
	v_add_f64 v[160:161], v[146:147], -1.0
	v_add_f64 v[166:167], v[146:147], 1.0
	v_add_f64 v[162:163], v[160:161], 1.0
	v_add_f64 v[176:177], v[166:167], -1.0
	v_add_f64 v[162:163], v[146:147], -v[162:163]
	v_add_f64 v[146:147], v[146:147], -v[176:177]
	v_add_f64 v[146:147], v[150:151], v[146:147]
	v_add_f64 v[162:163], v[150:151], v[162:163]
	;; [unrolled: 1-line block ×3, first 2 shown]
	v_rcp_f64_e32 v[176:177], v[150:151]
	v_add_f64 v[164:165], v[160:161], v[162:163]
	v_add_f64 v[160:161], v[164:165], -v[160:161]
	v_add_f64 v[160:161], v[162:163], -v[160:161]
	v_add_f64 v[162:163], v[150:151], -v[166:167]
	v_add_f64 v[146:147], v[146:147], -v[162:163]
	v_fma_f64 v[162:163], -v[150:151], v[176:177], 1.0
	v_fmac_f64_e32 v[176:177], v[162:163], v[176:177]
	v_fma_f64 v[162:163], -v[150:151], v[176:177], 1.0
	v_fmac_f64_e32 v[176:177], v[162:163], v[176:177]
	v_mul_f64 v[162:163], v[164:165], v[176:177]
	v_mul_f64 v[166:167], v[150:151], v[162:163]
	v_fma_f64 v[178:179], v[162:163], v[150:151], -v[166:167]
	v_fmac_f64_e32 v[178:179], v[162:163], v[146:147]
	v_add_f64 v[180:181], v[166:167], v[178:179]
	v_add_f64 v[182:183], v[164:165], -v[180:181]
	v_add_f64 v[164:165], v[164:165], -v[182:183]
	;; [unrolled: 1-line block ×4, first 2 shown]
	v_add_f64 v[160:161], v[160:161], v[164:165]
	v_add_f64 v[164:165], v[166:167], -v[178:179]
	v_add_f64 v[160:161], v[164:165], v[160:161]
	v_add_f64 v[164:165], v[182:183], v[160:161]
	v_add_f64 v[166:167], v[182:183], -v[164:165]
	v_add_f64 v[160:161], v[160:161], v[166:167]
	v_mul_f64 v[166:167], v[176:177], v[164:165]
	v_mul_f64 v[178:179], v[150:151], v[166:167]
	v_fma_f64 v[150:151], v[166:167], v[150:151], -v[178:179]
	v_fmac_f64_e32 v[150:151], v[166:167], v[146:147]
	v_add_f64 v[146:147], v[178:179], v[150:151]
	v_add_f64 v[180:181], v[164:165], -v[146:147]
	v_add_f64 v[164:165], v[164:165], -v[180:181]
	;; [unrolled: 1-line block ×4, first 2 shown]
	v_add_f64 v[146:147], v[160:161], v[146:147]
	v_add_f64 v[150:151], v[178:179], -v[150:151]
	v_add_f64 v[146:147], v[150:151], v[146:147]
	v_add_f64 v[150:151], v[162:163], v[166:167]
	;; [unrolled: 1-line block ×3, first 2 shown]
	v_add_f64 v[160:161], v[150:151], -v[162:163]
	v_mul_f64 v[146:147], v[176:177], v[146:147]
	v_add_f64 v[160:161], v[166:167], -v[160:161]
	v_add_f64 v[146:147], v[160:161], v[146:147]
	v_add_f64 v[160:161], v[150:151], v[146:147]
	v_add_f64 v[150:151], v[160:161], -v[150:151]
	s_mov_b32 s38, 0xbf559e2b
	v_add_f64 v[146:147], v[146:147], -v[150:151]
	v_mul_f64 v[150:151], v[160:161], v[160:161]
	v_mov_b32_e32 v162, 0x6b47b09a
	v_mov_b32_e32 v163, 0x3fc38538
	s_mov_b32 s39, 0x3fc3ab76
	v_fmac_f64_e32 v[162:163], s[38:39], v[150:151]
	v_mov_b32_e32 v164, 0xd7f4df2e
	v_mov_b32_e32 v165, 0x3fc7474d
	v_fmac_f64_e32 v[164:165], v[150:151], v[162:163]
	v_mov_b32_e32 v162, 0x16291751
	v_mov_b32_e32 v163, 0x3fcc71c0
	;; [unrolled: 3-line block ×5, first 2 shown]
	v_fmac_f64_e32 v[164:165], v[150:151], v[162:163]
	v_cvt_f64_i32_e32 v[162:163], v149
	v_mul_f64 v[166:167], v[162:163], s[50:51]
	v_fma_f64 v[176:177], v[162:163], s[50:51], -v[166:167]
	v_fmac_f64_e32 v[176:177], s[52:53], v[162:163]
	v_add_f64 v[162:163], v[166:167], v[176:177]
	v_add_f64 v[166:167], v[162:163], -v[166:167]
	v_mul_f64 v[150:151], v[160:161], v[150:151]
	v_add_f64 v[166:167], v[176:177], -v[166:167]
	v_ldexp_f64 v[176:177], v[160:161], 1
	v_mul_f64 v[150:151], v[150:151], v[164:165]
	v_add_f64 v[160:161], v[176:177], v[150:151]
	v_add_f64 v[164:165], v[160:161], -v[176:177]
	v_ldexp_f64 v[146:147], v[146:147], 1
	v_add_f64 v[150:151], v[150:151], -v[164:165]
	v_add_f64 v[146:147], v[146:147], v[150:151]
	v_add_f64 v[150:151], v[160:161], v[146:147]
	v_add_f64 v[160:161], v[150:151], -v[160:161]
	v_add_f64 v[146:147], v[146:147], -v[160:161]
	v_add_f64 v[160:161], v[162:163], v[150:151]
	v_add_f64 v[164:165], v[160:161], -v[162:163]
	v_add_f64 v[176:177], v[160:161], -v[164:165]
	;; [unrolled: 1-line block ×4, first 2 shown]
	v_add_f64 v[150:151], v[150:151], v[162:163]
	v_add_f64 v[162:163], v[166:167], v[146:147]
	v_add_f64 v[164:165], v[162:163], -v[166:167]
	v_add_f64 v[150:151], v[162:163], v[150:151]
	v_add_f64 v[176:177], v[162:163], -v[164:165]
	v_add_f64 v[162:163], v[160:161], v[150:151]
	v_add_f64 v[166:167], v[166:167], -v[176:177]
	v_add_f64 v[146:147], v[146:147], -v[164:165]
	v_add_f64 v[160:161], v[162:163], -v[160:161]
	v_add_f64 v[146:147], v[146:147], v[166:167]
	v_add_f64 v[150:151], v[150:151], -v[160:161]
	s_mov_b32 s38, 0
	v_add_f64 v[146:147], v[146:147], v[150:151]
	s_mov_b32 s39, 0x7ff00000
	v_add_f64 v[146:147], v[162:163], v[146:147]
	v_cmp_eq_f64_e64 s[38:39], s[38:39], v[144:145]
	v_mov_b32_e32 v149, 0x7ff80000
	s_nop 0
	v_cndmask_b32_e64 v146, v146, v144, s[38:39]
	v_cndmask_b32_e64 v147, v147, v145, s[38:39]
	v_cmp_ngt_f64_e64 s[38:39], -1.0, v[144:145]
	s_nop 1
	v_cndmask_b32_e64 v147, v149, v147, s[38:39]
	v_cmp_nge_f64_e64 s[38:39], -1.0, v[144:145]
	v_mov_b32_e32 v149, 0xfff00000
	s_nop 0
	v_cndmask_b32_e64 v146, 0, v146, s[38:39]
	v_cmp_neq_f64_e64 s[38:39], -1.0, v[144:145]
	s_nop 1
	v_cndmask_b32_e64 v147, v149, v147, s[38:39]
	v_add_f64 v[144:145], v[6:7], v[146:147]
.LBB2_300:
	s_or_b64 exec, exec, s[48:49]
	v_mov_b32_e32 v146, v144
	v_mov_b32_e32 v147, v145
	v_mov_b64_e32 v[6:7], v[144:145]
.LBB2_301:
	s_or_b64 exec, exec, s[44:45]
	v_mov_b32_dpp v144, v146 row_shr:2 row_mask:0xf bank_mask:0xf
	v_mov_b32_dpp v145, v147 row_shr:2 row_mask:0xf bank_mask:0xf
	v_cmp_lt_u32_e64 s[38:39], 1, v148
	s_and_saveexec_b64 s[44:45], s[38:39]
	s_cbranch_execz .LBB2_305
; %bb.302:
	v_max_f64 v[150:151], v[144:145], v[144:145]
	v_max_f64 v[160:161], v[6:7], v[6:7]
	v_min_f64 v[146:147], v[150:151], v[160:161]
	v_cmp_u_f64_e64 s[38:39], v[144:145], v[144:145]
	v_max_f64 v[150:151], v[150:151], v[160:161]
	v_cmp_u_f64_e64 s[40:41], v[6:7], v[6:7]
	v_cndmask_b32_e64 v146, v146, v144, s[38:39]
	v_cndmask_b32_e64 v147, v147, v145, s[38:39]
	;; [unrolled: 1-line block ×8, first 2 shown]
	s_movk_i32 s40, 0x1f8
	v_cmp_neq_f64_e64 s[38:39], v[146:147], v[6:7]
	v_cmp_class_f64_e64 s[40:41], v[146:147], s40
	s_or_b64 s[38:39], s[38:39], s[40:41]
	s_and_saveexec_b64 s[48:49], s[38:39]
	s_cbranch_execz .LBB2_304
; %bb.303:
	s_mov_b32 s38, 0x652b82fe
	v_add_f64 v[144:145], v[146:147], -v[6:7]
	s_mov_b32 s39, 0x3ff71547
	v_mul_f64 v[146:147], v[144:145], s[38:39]
	v_rndne_f64_e32 v[146:147], v[146:147]
	s_mov_b32 s51, 0xbfe62e42
	s_mov_b32 s50, 0xfefa39ef
	v_fma_f64 v[150:151], s[50:51], v[146:147], v[144:145]
	s_mov_b32 s53, 0xbc7abc9e
	s_mov_b32 s52, 0x3b39803f
	s_mov_b32 s38, 0x6a5dcb37
	v_fmac_f64_e32 v[150:151], s[52:53], v[146:147]
	v_mov_b32_e32 v160, 0xfca7ab0c
	v_mov_b32_e32 v161, 0x3e928af3
	s_mov_b32 s39, 0x3e5ade15
	v_fmac_f64_e32 v[160:161], s[38:39], v[150:151]
	v_mov_b32_e32 v162, 0x623fde64
	v_mov_b32_e32 v163, 0x3ec71dee
	v_fmac_f64_e32 v[162:163], v[150:151], v[160:161]
	v_mov_b32_e32 v160, 0x7c89e6b0
	v_mov_b32_e32 v161, 0x3efa0199
	;; [unrolled: 3-line block ×8, first 2 shown]
	v_fmac_f64_e32 v[160:161], v[150:151], v[162:163]
	v_fma_f64 v[160:161], v[150:151], v[160:161], 1.0
	s_mov_b32 s38, 0
	s_mov_b32 s40, 0
	v_fma_f64 v[150:151], v[150:151], v[160:161], 1.0
	v_cvt_i32_f64_e32 v146, v[146:147]
	s_mov_b32 s39, 0x40900000
	s_mov_b32 s41, 0xc090cc00
	v_ldexp_f64 v[146:147], v[150:151], v146
	v_mov_b32_e32 v149, 0x7ff00000
	v_cmp_nlt_f64_e64 s[38:39], s[38:39], v[144:145]
	v_cmp_ngt_f64_e64 s[40:41], s[40:41], v[144:145]
	s_mov_b32 s51, 0x3fe62e42
	v_cndmask_b32_e64 v147, v149, v147, s[38:39]
	s_and_b64 s[38:39], s[40:41], s[38:39]
	v_cndmask_b32_e64 v145, 0, v147, s[40:41]
	v_cndmask_b32_e64 v144, 0, v146, s[38:39]
	v_add_f64 v[146:147], v[144:145], 1.0
	v_add_f64 v[150:151], v[146:147], -1.0
	v_add_f64 v[160:161], v[150:151], -v[146:147]
	v_add_f64 v[160:161], v[160:161], 1.0
	v_add_f64 v[150:151], v[144:145], -v[150:151]
	s_mov_b32 s38, 0x55555555
	v_add_f64 v[150:151], v[150:151], v[160:161]
	v_frexp_mant_f64_e32 v[160:161], v[146:147]
	s_mov_b32 s39, 0x3fe55555
	v_frexp_exp_i32_f64_e32 v149, v[146:147]
	v_cmp_gt_f64_e64 s[38:39], s[38:39], v[160:161]
	s_mov_b32 s53, 0x3c7abc9e
	s_nop 0
	v_subbrev_co_u32_e64 v149, s[38:39], 0, v149, s[38:39]
	v_sub_u32_e32 v160, 0, v149
	v_ldexp_f64 v[146:147], v[146:147], v160
	v_ldexp_f64 v[150:151], v[150:151], v160
	v_add_f64 v[160:161], v[146:147], -1.0
	v_add_f64 v[166:167], v[146:147], 1.0
	v_add_f64 v[162:163], v[160:161], 1.0
	v_add_f64 v[176:177], v[166:167], -1.0
	v_add_f64 v[162:163], v[146:147], -v[162:163]
	v_add_f64 v[146:147], v[146:147], -v[176:177]
	v_add_f64 v[146:147], v[150:151], v[146:147]
	v_add_f64 v[162:163], v[150:151], v[162:163]
	;; [unrolled: 1-line block ×3, first 2 shown]
	v_rcp_f64_e32 v[176:177], v[150:151]
	v_add_f64 v[164:165], v[160:161], v[162:163]
	v_add_f64 v[160:161], v[164:165], -v[160:161]
	v_add_f64 v[160:161], v[162:163], -v[160:161]
	;; [unrolled: 1-line block ×4, first 2 shown]
	v_fma_f64 v[162:163], -v[150:151], v[176:177], 1.0
	v_fmac_f64_e32 v[176:177], v[162:163], v[176:177]
	v_fma_f64 v[162:163], -v[150:151], v[176:177], 1.0
	v_fmac_f64_e32 v[176:177], v[162:163], v[176:177]
	v_mul_f64 v[162:163], v[164:165], v[176:177]
	v_mul_f64 v[166:167], v[150:151], v[162:163]
	v_fma_f64 v[178:179], v[162:163], v[150:151], -v[166:167]
	v_fmac_f64_e32 v[178:179], v[162:163], v[146:147]
	v_add_f64 v[180:181], v[166:167], v[178:179]
	v_add_f64 v[182:183], v[164:165], -v[180:181]
	v_add_f64 v[164:165], v[164:165], -v[182:183]
	;; [unrolled: 1-line block ×4, first 2 shown]
	v_add_f64 v[160:161], v[160:161], v[164:165]
	v_add_f64 v[164:165], v[166:167], -v[178:179]
	v_add_f64 v[160:161], v[164:165], v[160:161]
	v_add_f64 v[164:165], v[182:183], v[160:161]
	v_add_f64 v[166:167], v[182:183], -v[164:165]
	v_add_f64 v[160:161], v[160:161], v[166:167]
	v_mul_f64 v[166:167], v[176:177], v[164:165]
	v_mul_f64 v[178:179], v[150:151], v[166:167]
	v_fma_f64 v[150:151], v[166:167], v[150:151], -v[178:179]
	v_fmac_f64_e32 v[150:151], v[166:167], v[146:147]
	v_add_f64 v[146:147], v[178:179], v[150:151]
	v_add_f64 v[180:181], v[164:165], -v[146:147]
	v_add_f64 v[164:165], v[164:165], -v[180:181]
	;; [unrolled: 1-line block ×4, first 2 shown]
	v_add_f64 v[146:147], v[160:161], v[146:147]
	v_add_f64 v[150:151], v[178:179], -v[150:151]
	v_add_f64 v[146:147], v[150:151], v[146:147]
	v_add_f64 v[150:151], v[162:163], v[166:167]
	;; [unrolled: 1-line block ×3, first 2 shown]
	v_add_f64 v[160:161], v[150:151], -v[162:163]
	v_mul_f64 v[146:147], v[176:177], v[146:147]
	v_add_f64 v[160:161], v[166:167], -v[160:161]
	v_add_f64 v[146:147], v[160:161], v[146:147]
	v_add_f64 v[160:161], v[150:151], v[146:147]
	v_add_f64 v[150:151], v[160:161], -v[150:151]
	s_mov_b32 s38, 0xbf559e2b
	v_add_f64 v[146:147], v[146:147], -v[150:151]
	v_mul_f64 v[150:151], v[160:161], v[160:161]
	v_mov_b32_e32 v162, 0x6b47b09a
	v_mov_b32_e32 v163, 0x3fc38538
	s_mov_b32 s39, 0x3fc3ab76
	v_fmac_f64_e32 v[162:163], s[38:39], v[150:151]
	v_mov_b32_e32 v164, 0xd7f4df2e
	v_mov_b32_e32 v165, 0x3fc7474d
	v_fmac_f64_e32 v[164:165], v[150:151], v[162:163]
	v_mov_b32_e32 v162, 0x16291751
	v_mov_b32_e32 v163, 0x3fcc71c0
	v_fmac_f64_e32 v[162:163], v[150:151], v[164:165]
	v_mov_b32_e32 v164, 0x9b27acf1
	v_mov_b32_e32 v165, 0x3fd24924
	v_fmac_f64_e32 v[164:165], v[150:151], v[162:163]
	v_mov_b32_e32 v162, 0x998ef7b6
	v_mov_b32_e32 v163, 0x3fd99999
	v_fmac_f64_e32 v[162:163], v[150:151], v[164:165]
	v_mov_b32_e32 v164, 0x55555780
	v_mov_b32_e32 v165, 0x3fe55555
	v_fmac_f64_e32 v[164:165], v[150:151], v[162:163]
	v_cvt_f64_i32_e32 v[162:163], v149
	v_mul_f64 v[166:167], v[162:163], s[50:51]
	v_fma_f64 v[176:177], v[162:163], s[50:51], -v[166:167]
	v_fmac_f64_e32 v[176:177], s[52:53], v[162:163]
	v_add_f64 v[162:163], v[166:167], v[176:177]
	v_add_f64 v[166:167], v[162:163], -v[166:167]
	v_mul_f64 v[150:151], v[160:161], v[150:151]
	v_add_f64 v[166:167], v[176:177], -v[166:167]
	v_ldexp_f64 v[176:177], v[160:161], 1
	v_mul_f64 v[150:151], v[150:151], v[164:165]
	v_add_f64 v[160:161], v[176:177], v[150:151]
	v_add_f64 v[164:165], v[160:161], -v[176:177]
	v_ldexp_f64 v[146:147], v[146:147], 1
	v_add_f64 v[150:151], v[150:151], -v[164:165]
	v_add_f64 v[146:147], v[146:147], v[150:151]
	v_add_f64 v[150:151], v[160:161], v[146:147]
	v_add_f64 v[160:161], v[150:151], -v[160:161]
	v_add_f64 v[146:147], v[146:147], -v[160:161]
	v_add_f64 v[160:161], v[162:163], v[150:151]
	v_add_f64 v[164:165], v[160:161], -v[162:163]
	v_add_f64 v[176:177], v[160:161], -v[164:165]
	;; [unrolled: 1-line block ×4, first 2 shown]
	v_add_f64 v[150:151], v[150:151], v[162:163]
	v_add_f64 v[162:163], v[166:167], v[146:147]
	v_add_f64 v[164:165], v[162:163], -v[166:167]
	v_add_f64 v[150:151], v[162:163], v[150:151]
	v_add_f64 v[176:177], v[162:163], -v[164:165]
	;; [unrolled: 2-line block ×3, first 2 shown]
	v_add_f64 v[146:147], v[146:147], -v[164:165]
	v_add_f64 v[160:161], v[162:163], -v[160:161]
	v_add_f64 v[146:147], v[146:147], v[166:167]
	v_add_f64 v[150:151], v[150:151], -v[160:161]
	s_mov_b32 s38, 0
	v_add_f64 v[146:147], v[146:147], v[150:151]
	s_mov_b32 s39, 0x7ff00000
	v_add_f64 v[146:147], v[162:163], v[146:147]
	v_cmp_eq_f64_e64 s[38:39], s[38:39], v[144:145]
	v_mov_b32_e32 v149, 0x7ff80000
	s_nop 0
	v_cndmask_b32_e64 v146, v146, v144, s[38:39]
	v_cndmask_b32_e64 v147, v147, v145, s[38:39]
	v_cmp_ngt_f64_e64 s[38:39], -1.0, v[144:145]
	s_nop 1
	v_cndmask_b32_e64 v147, v149, v147, s[38:39]
	v_cmp_nge_f64_e64 s[38:39], -1.0, v[144:145]
	v_mov_b32_e32 v149, 0xfff00000
	s_nop 0
	v_cndmask_b32_e64 v146, 0, v146, s[38:39]
	v_cmp_neq_f64_e64 s[38:39], -1.0, v[144:145]
	s_nop 1
	v_cndmask_b32_e64 v147, v149, v147, s[38:39]
	v_add_f64 v[144:145], v[6:7], v[146:147]
.LBB2_304:
	s_or_b64 exec, exec, s[48:49]
	v_mov_b64_e32 v[6:7], v[144:145]
	v_mov_b32_e32 v146, v144
	v_mov_b32_e32 v147, v145
.LBB2_305:
	s_or_b64 exec, exec, s[44:45]
	v_mov_b32_dpp v144, v146 row_shr:4 row_mask:0xf bank_mask:0xf
	v_mov_b32_dpp v145, v147 row_shr:4 row_mask:0xf bank_mask:0xf
	v_cmp_lt_u32_e64 s[38:39], 3, v148
	s_and_saveexec_b64 s[44:45], s[38:39]
	s_cbranch_execz .LBB2_309
; %bb.306:
	v_max_f64 v[150:151], v[144:145], v[144:145]
	v_max_f64 v[160:161], v[6:7], v[6:7]
	v_min_f64 v[146:147], v[150:151], v[160:161]
	v_cmp_u_f64_e64 s[38:39], v[144:145], v[144:145]
	v_max_f64 v[150:151], v[150:151], v[160:161]
	v_cmp_u_f64_e64 s[40:41], v[6:7], v[6:7]
	v_cndmask_b32_e64 v146, v146, v144, s[38:39]
	v_cndmask_b32_e64 v147, v147, v145, s[38:39]
	v_cndmask_b32_e64 v149, v150, v144, s[38:39]
	v_cndmask_b32_e64 v150, v151, v145, s[38:39]
	v_cndmask_b32_e64 v147, v147, v7, s[40:41]
	v_cndmask_b32_e64 v146, v146, v6, s[40:41]
	v_cndmask_b32_e64 v7, v150, v7, s[40:41]
	v_cndmask_b32_e64 v6, v149, v6, s[40:41]
	s_movk_i32 s40, 0x1f8
	v_cmp_neq_f64_e64 s[38:39], v[146:147], v[6:7]
	v_cmp_class_f64_e64 s[40:41], v[146:147], s40
	s_or_b64 s[38:39], s[38:39], s[40:41]
	s_and_saveexec_b64 s[48:49], s[38:39]
	s_cbranch_execz .LBB2_308
; %bb.307:
	s_mov_b32 s38, 0x652b82fe
	v_add_f64 v[144:145], v[146:147], -v[6:7]
	s_mov_b32 s39, 0x3ff71547
	v_mul_f64 v[146:147], v[144:145], s[38:39]
	v_rndne_f64_e32 v[146:147], v[146:147]
	s_mov_b32 s51, 0xbfe62e42
	s_mov_b32 s50, 0xfefa39ef
	v_fma_f64 v[150:151], s[50:51], v[146:147], v[144:145]
	s_mov_b32 s53, 0xbc7abc9e
	s_mov_b32 s52, 0x3b39803f
	;; [unrolled: 1-line block ×3, first 2 shown]
	v_fmac_f64_e32 v[150:151], s[52:53], v[146:147]
	v_mov_b32_e32 v160, 0xfca7ab0c
	v_mov_b32_e32 v161, 0x3e928af3
	s_mov_b32 s39, 0x3e5ade15
	v_fmac_f64_e32 v[160:161], s[38:39], v[150:151]
	v_mov_b32_e32 v162, 0x623fde64
	v_mov_b32_e32 v163, 0x3ec71dee
	v_fmac_f64_e32 v[162:163], v[150:151], v[160:161]
	v_mov_b32_e32 v160, 0x7c89e6b0
	v_mov_b32_e32 v161, 0x3efa0199
	;; [unrolled: 3-line block ×8, first 2 shown]
	v_fmac_f64_e32 v[160:161], v[150:151], v[162:163]
	v_fma_f64 v[160:161], v[150:151], v[160:161], 1.0
	s_mov_b32 s38, 0
	s_mov_b32 s40, 0
	v_fma_f64 v[150:151], v[150:151], v[160:161], 1.0
	v_cvt_i32_f64_e32 v146, v[146:147]
	s_mov_b32 s39, 0x40900000
	s_mov_b32 s41, 0xc090cc00
	v_ldexp_f64 v[146:147], v[150:151], v146
	v_mov_b32_e32 v149, 0x7ff00000
	v_cmp_nlt_f64_e64 s[38:39], s[38:39], v[144:145]
	v_cmp_ngt_f64_e64 s[40:41], s[40:41], v[144:145]
	s_mov_b32 s51, 0x3fe62e42
	v_cndmask_b32_e64 v147, v149, v147, s[38:39]
	s_and_b64 s[38:39], s[40:41], s[38:39]
	v_cndmask_b32_e64 v145, 0, v147, s[40:41]
	v_cndmask_b32_e64 v144, 0, v146, s[38:39]
	v_add_f64 v[146:147], v[144:145], 1.0
	v_add_f64 v[150:151], v[146:147], -1.0
	v_add_f64 v[160:161], v[150:151], -v[146:147]
	v_add_f64 v[160:161], v[160:161], 1.0
	v_add_f64 v[150:151], v[144:145], -v[150:151]
	s_mov_b32 s38, 0x55555555
	v_add_f64 v[150:151], v[150:151], v[160:161]
	v_frexp_mant_f64_e32 v[160:161], v[146:147]
	s_mov_b32 s39, 0x3fe55555
	v_frexp_exp_i32_f64_e32 v149, v[146:147]
	v_cmp_gt_f64_e64 s[38:39], s[38:39], v[160:161]
	s_mov_b32 s53, 0x3c7abc9e
	s_nop 0
	v_subbrev_co_u32_e64 v149, s[38:39], 0, v149, s[38:39]
	v_sub_u32_e32 v160, 0, v149
	v_ldexp_f64 v[146:147], v[146:147], v160
	v_ldexp_f64 v[150:151], v[150:151], v160
	v_add_f64 v[160:161], v[146:147], -1.0
	v_add_f64 v[166:167], v[146:147], 1.0
	v_add_f64 v[162:163], v[160:161], 1.0
	v_add_f64 v[176:177], v[166:167], -1.0
	v_add_f64 v[162:163], v[146:147], -v[162:163]
	v_add_f64 v[146:147], v[146:147], -v[176:177]
	v_add_f64 v[146:147], v[150:151], v[146:147]
	v_add_f64 v[162:163], v[150:151], v[162:163]
	;; [unrolled: 1-line block ×3, first 2 shown]
	v_rcp_f64_e32 v[176:177], v[150:151]
	v_add_f64 v[164:165], v[160:161], v[162:163]
	v_add_f64 v[160:161], v[164:165], -v[160:161]
	v_add_f64 v[160:161], v[162:163], -v[160:161]
	;; [unrolled: 1-line block ×4, first 2 shown]
	v_fma_f64 v[162:163], -v[150:151], v[176:177], 1.0
	v_fmac_f64_e32 v[176:177], v[162:163], v[176:177]
	v_fma_f64 v[162:163], -v[150:151], v[176:177], 1.0
	v_fmac_f64_e32 v[176:177], v[162:163], v[176:177]
	v_mul_f64 v[162:163], v[164:165], v[176:177]
	v_mul_f64 v[166:167], v[150:151], v[162:163]
	v_fma_f64 v[178:179], v[162:163], v[150:151], -v[166:167]
	v_fmac_f64_e32 v[178:179], v[162:163], v[146:147]
	v_add_f64 v[180:181], v[166:167], v[178:179]
	v_add_f64 v[182:183], v[164:165], -v[180:181]
	v_add_f64 v[164:165], v[164:165], -v[182:183]
	;; [unrolled: 1-line block ×4, first 2 shown]
	v_add_f64 v[160:161], v[160:161], v[164:165]
	v_add_f64 v[164:165], v[166:167], -v[178:179]
	v_add_f64 v[160:161], v[164:165], v[160:161]
	v_add_f64 v[164:165], v[182:183], v[160:161]
	v_add_f64 v[166:167], v[182:183], -v[164:165]
	v_add_f64 v[160:161], v[160:161], v[166:167]
	v_mul_f64 v[166:167], v[176:177], v[164:165]
	v_mul_f64 v[178:179], v[150:151], v[166:167]
	v_fma_f64 v[150:151], v[166:167], v[150:151], -v[178:179]
	v_fmac_f64_e32 v[150:151], v[166:167], v[146:147]
	v_add_f64 v[146:147], v[178:179], v[150:151]
	v_add_f64 v[180:181], v[164:165], -v[146:147]
	v_add_f64 v[164:165], v[164:165], -v[180:181]
	;; [unrolled: 1-line block ×4, first 2 shown]
	v_add_f64 v[146:147], v[160:161], v[146:147]
	v_add_f64 v[150:151], v[178:179], -v[150:151]
	v_add_f64 v[146:147], v[150:151], v[146:147]
	v_add_f64 v[150:151], v[162:163], v[166:167]
	;; [unrolled: 1-line block ×3, first 2 shown]
	v_add_f64 v[160:161], v[150:151], -v[162:163]
	v_mul_f64 v[146:147], v[176:177], v[146:147]
	v_add_f64 v[160:161], v[166:167], -v[160:161]
	v_add_f64 v[146:147], v[160:161], v[146:147]
	v_add_f64 v[160:161], v[150:151], v[146:147]
	v_add_f64 v[150:151], v[160:161], -v[150:151]
	s_mov_b32 s38, 0xbf559e2b
	v_add_f64 v[146:147], v[146:147], -v[150:151]
	v_mul_f64 v[150:151], v[160:161], v[160:161]
	v_mov_b32_e32 v162, 0x6b47b09a
	v_mov_b32_e32 v163, 0x3fc38538
	s_mov_b32 s39, 0x3fc3ab76
	v_fmac_f64_e32 v[162:163], s[38:39], v[150:151]
	v_mov_b32_e32 v164, 0xd7f4df2e
	v_mov_b32_e32 v165, 0x3fc7474d
	v_fmac_f64_e32 v[164:165], v[150:151], v[162:163]
	v_mov_b32_e32 v162, 0x16291751
	v_mov_b32_e32 v163, 0x3fcc71c0
	;; [unrolled: 3-line block ×5, first 2 shown]
	v_fmac_f64_e32 v[164:165], v[150:151], v[162:163]
	v_cvt_f64_i32_e32 v[162:163], v149
	v_mul_f64 v[166:167], v[162:163], s[50:51]
	v_fma_f64 v[176:177], v[162:163], s[50:51], -v[166:167]
	v_fmac_f64_e32 v[176:177], s[52:53], v[162:163]
	v_add_f64 v[162:163], v[166:167], v[176:177]
	v_add_f64 v[166:167], v[162:163], -v[166:167]
	v_mul_f64 v[150:151], v[160:161], v[150:151]
	v_add_f64 v[166:167], v[176:177], -v[166:167]
	v_ldexp_f64 v[176:177], v[160:161], 1
	v_mul_f64 v[150:151], v[150:151], v[164:165]
	v_add_f64 v[160:161], v[176:177], v[150:151]
	v_add_f64 v[164:165], v[160:161], -v[176:177]
	v_ldexp_f64 v[146:147], v[146:147], 1
	v_add_f64 v[150:151], v[150:151], -v[164:165]
	v_add_f64 v[146:147], v[146:147], v[150:151]
	v_add_f64 v[150:151], v[160:161], v[146:147]
	v_add_f64 v[160:161], v[150:151], -v[160:161]
	v_add_f64 v[146:147], v[146:147], -v[160:161]
	v_add_f64 v[160:161], v[162:163], v[150:151]
	v_add_f64 v[164:165], v[160:161], -v[162:163]
	v_add_f64 v[176:177], v[160:161], -v[164:165]
	;; [unrolled: 1-line block ×4, first 2 shown]
	v_add_f64 v[150:151], v[150:151], v[162:163]
	v_add_f64 v[162:163], v[166:167], v[146:147]
	v_add_f64 v[164:165], v[162:163], -v[166:167]
	v_add_f64 v[150:151], v[162:163], v[150:151]
	v_add_f64 v[176:177], v[162:163], -v[164:165]
	;; [unrolled: 2-line block ×3, first 2 shown]
	v_add_f64 v[146:147], v[146:147], -v[164:165]
	v_add_f64 v[160:161], v[162:163], -v[160:161]
	v_add_f64 v[146:147], v[146:147], v[166:167]
	v_add_f64 v[150:151], v[150:151], -v[160:161]
	s_mov_b32 s38, 0
	v_add_f64 v[146:147], v[146:147], v[150:151]
	s_mov_b32 s39, 0x7ff00000
	v_add_f64 v[146:147], v[162:163], v[146:147]
	v_cmp_eq_f64_e64 s[38:39], s[38:39], v[144:145]
	v_mov_b32_e32 v149, 0x7ff80000
	s_nop 0
	v_cndmask_b32_e64 v146, v146, v144, s[38:39]
	v_cndmask_b32_e64 v147, v147, v145, s[38:39]
	v_cmp_ngt_f64_e64 s[38:39], -1.0, v[144:145]
	s_nop 1
	v_cndmask_b32_e64 v147, v149, v147, s[38:39]
	v_cmp_nge_f64_e64 s[38:39], -1.0, v[144:145]
	v_mov_b32_e32 v149, 0xfff00000
	s_nop 0
	v_cndmask_b32_e64 v146, 0, v146, s[38:39]
	v_cmp_neq_f64_e64 s[38:39], -1.0, v[144:145]
	s_nop 1
	v_cndmask_b32_e64 v147, v149, v147, s[38:39]
	v_add_f64 v[144:145], v[6:7], v[146:147]
.LBB2_308:
	s_or_b64 exec, exec, s[48:49]
	v_mov_b64_e32 v[6:7], v[144:145]
	v_mov_b32_e32 v146, v144
	v_mov_b32_e32 v147, v145
.LBB2_309:
	s_or_b64 exec, exec, s[44:45]
	v_mov_b32_dpp v144, v146 row_shr:8 row_mask:0xf bank_mask:0xf
	v_mov_b32_dpp v145, v147 row_shr:8 row_mask:0xf bank_mask:0xf
	v_cmp_lt_u32_e64 s[38:39], 7, v148
	s_and_saveexec_b64 s[44:45], s[38:39]
	s_cbranch_execz .LBB2_313
; %bb.310:
	v_max_f64 v[148:149], v[144:145], v[144:145]
	v_max_f64 v[150:151], v[6:7], v[6:7]
	v_min_f64 v[146:147], v[148:149], v[150:151]
	v_cmp_u_f64_e64 s[38:39], v[144:145], v[144:145]
	v_max_f64 v[148:149], v[148:149], v[150:151]
	v_cmp_u_f64_e64 s[40:41], v[6:7], v[6:7]
	v_cndmask_b32_e64 v146, v146, v144, s[38:39]
	v_cndmask_b32_e64 v147, v147, v145, s[38:39]
	;; [unrolled: 1-line block ×8, first 2 shown]
	s_movk_i32 s40, 0x1f8
	v_cmp_neq_f64_e64 s[38:39], v[146:147], v[6:7]
	v_cmp_class_f64_e64 s[40:41], v[146:147], s40
	s_or_b64 s[38:39], s[38:39], s[40:41]
	s_and_saveexec_b64 s[48:49], s[38:39]
	s_cbranch_execz .LBB2_312
; %bb.311:
	s_mov_b32 s38, 0x652b82fe
	v_add_f64 v[144:145], v[146:147], -v[6:7]
	s_mov_b32 s39, 0x3ff71547
	v_mul_f64 v[146:147], v[144:145], s[38:39]
	v_rndne_f64_e32 v[146:147], v[146:147]
	s_mov_b32 s51, 0xbfe62e42
	s_mov_b32 s50, 0xfefa39ef
	v_fma_f64 v[148:149], s[50:51], v[146:147], v[144:145]
	s_mov_b32 s53, 0xbc7abc9e
	s_mov_b32 s52, 0x3b39803f
	;; [unrolled: 1-line block ×3, first 2 shown]
	v_fmac_f64_e32 v[148:149], s[52:53], v[146:147]
	v_mov_b32_e32 v150, 0xfca7ab0c
	v_mov_b32_e32 v151, 0x3e928af3
	s_mov_b32 s39, 0x3e5ade15
	v_fmac_f64_e32 v[150:151], s[38:39], v[148:149]
	v_mov_b32_e32 v160, 0x623fde64
	v_mov_b32_e32 v161, 0x3ec71dee
	v_fmac_f64_e32 v[160:161], v[148:149], v[150:151]
	v_mov_b32_e32 v150, 0x7c89e6b0
	v_mov_b32_e32 v151, 0x3efa0199
	;; [unrolled: 3-line block ×8, first 2 shown]
	v_fmac_f64_e32 v[150:151], v[148:149], v[160:161]
	v_fma_f64 v[150:151], v[148:149], v[150:151], 1.0
	s_mov_b32 s38, 0
	s_mov_b32 s40, 0
	v_fma_f64 v[148:149], v[148:149], v[150:151], 1.0
	v_cvt_i32_f64_e32 v146, v[146:147]
	s_mov_b32 s39, 0x40900000
	s_mov_b32 s41, 0xc090cc00
	v_ldexp_f64 v[146:147], v[148:149], v146
	v_mov_b32_e32 v148, 0x7ff00000
	v_cmp_nlt_f64_e64 s[38:39], s[38:39], v[144:145]
	v_cmp_ngt_f64_e64 s[40:41], s[40:41], v[144:145]
	s_mov_b32 s51, 0x3fe62e42
	v_cndmask_b32_e64 v147, v148, v147, s[38:39]
	s_and_b64 s[38:39], s[40:41], s[38:39]
	v_cndmask_b32_e64 v145, 0, v147, s[40:41]
	v_cndmask_b32_e64 v144, 0, v146, s[38:39]
	v_add_f64 v[146:147], v[144:145], 1.0
	v_add_f64 v[148:149], v[146:147], -1.0
	v_add_f64 v[150:151], v[148:149], -v[146:147]
	v_add_f64 v[150:151], v[150:151], 1.0
	v_add_f64 v[148:149], v[144:145], -v[148:149]
	s_mov_b32 s38, 0x55555555
	v_add_f64 v[148:149], v[148:149], v[150:151]
	v_frexp_mant_f64_e32 v[150:151], v[146:147]
	s_mov_b32 s39, 0x3fe55555
	v_frexp_exp_i32_f64_e32 v160, v[146:147]
	v_cmp_gt_f64_e64 s[38:39], s[38:39], v[150:151]
	s_mov_b32 s53, 0x3c7abc9e
	s_nop 0
	v_subbrev_co_u32_e64 v182, s[38:39], 0, v160, s[38:39]
	v_sub_u32_e32 v150, 0, v182
	v_ldexp_f64 v[146:147], v[146:147], v150
	v_ldexp_f64 v[148:149], v[148:149], v150
	v_add_f64 v[150:151], v[146:147], -1.0
	v_add_f64 v[164:165], v[146:147], 1.0
	v_add_f64 v[160:161], v[150:151], 1.0
	v_add_f64 v[166:167], v[164:165], -1.0
	v_add_f64 v[160:161], v[146:147], -v[160:161]
	v_add_f64 v[146:147], v[146:147], -v[166:167]
	v_add_f64 v[146:147], v[148:149], v[146:147]
	v_add_f64 v[160:161], v[148:149], v[160:161]
	;; [unrolled: 1-line block ×3, first 2 shown]
	v_rcp_f64_e32 v[166:167], v[148:149]
	v_add_f64 v[162:163], v[150:151], v[160:161]
	v_add_f64 v[150:151], v[162:163], -v[150:151]
	v_add_f64 v[150:151], v[160:161], -v[150:151]
	;; [unrolled: 1-line block ×4, first 2 shown]
	v_fma_f64 v[160:161], -v[148:149], v[166:167], 1.0
	v_fmac_f64_e32 v[166:167], v[160:161], v[166:167]
	v_fma_f64 v[160:161], -v[148:149], v[166:167], 1.0
	v_fmac_f64_e32 v[166:167], v[160:161], v[166:167]
	v_mul_f64 v[160:161], v[162:163], v[166:167]
	v_mul_f64 v[164:165], v[148:149], v[160:161]
	v_fma_f64 v[176:177], v[160:161], v[148:149], -v[164:165]
	v_fmac_f64_e32 v[176:177], v[160:161], v[146:147]
	v_add_f64 v[178:179], v[164:165], v[176:177]
	v_add_f64 v[180:181], v[162:163], -v[178:179]
	v_add_f64 v[162:163], v[162:163], -v[180:181]
	;; [unrolled: 1-line block ×4, first 2 shown]
	v_add_f64 v[150:151], v[150:151], v[162:163]
	v_add_f64 v[162:163], v[164:165], -v[176:177]
	v_add_f64 v[150:151], v[162:163], v[150:151]
	v_add_f64 v[162:163], v[180:181], v[150:151]
	v_add_f64 v[164:165], v[180:181], -v[162:163]
	v_add_f64 v[150:151], v[150:151], v[164:165]
	v_mul_f64 v[164:165], v[166:167], v[162:163]
	v_mul_f64 v[176:177], v[148:149], v[164:165]
	v_fma_f64 v[148:149], v[164:165], v[148:149], -v[176:177]
	v_fmac_f64_e32 v[148:149], v[164:165], v[146:147]
	v_add_f64 v[146:147], v[176:177], v[148:149]
	v_add_f64 v[178:179], v[162:163], -v[146:147]
	v_add_f64 v[162:163], v[162:163], -v[178:179]
	;; [unrolled: 1-line block ×4, first 2 shown]
	v_add_f64 v[146:147], v[150:151], v[146:147]
	v_add_f64 v[148:149], v[176:177], -v[148:149]
	v_add_f64 v[146:147], v[148:149], v[146:147]
	v_add_f64 v[148:149], v[160:161], v[164:165]
	v_add_f64 v[146:147], v[178:179], v[146:147]
	v_add_f64 v[150:151], v[148:149], -v[160:161]
	v_mul_f64 v[146:147], v[166:167], v[146:147]
	v_add_f64 v[150:151], v[164:165], -v[150:151]
	v_add_f64 v[146:147], v[150:151], v[146:147]
	v_add_f64 v[150:151], v[148:149], v[146:147]
	v_add_f64 v[148:149], v[150:151], -v[148:149]
	s_mov_b32 s38, 0xbf559e2b
	v_add_f64 v[146:147], v[146:147], -v[148:149]
	v_mul_f64 v[148:149], v[150:151], v[150:151]
	v_mov_b32_e32 v160, 0x6b47b09a
	v_mov_b32_e32 v161, 0x3fc38538
	s_mov_b32 s39, 0x3fc3ab76
	v_fmac_f64_e32 v[160:161], s[38:39], v[148:149]
	v_mov_b32_e32 v162, 0xd7f4df2e
	v_mov_b32_e32 v163, 0x3fc7474d
	v_fmac_f64_e32 v[162:163], v[148:149], v[160:161]
	v_mov_b32_e32 v160, 0x16291751
	v_mov_b32_e32 v161, 0x3fcc71c0
	;; [unrolled: 3-line block ×5, first 2 shown]
	v_fmac_f64_e32 v[162:163], v[148:149], v[160:161]
	v_cvt_f64_i32_e32 v[160:161], v182
	v_mul_f64 v[164:165], v[160:161], s[50:51]
	v_fma_f64 v[166:167], v[160:161], s[50:51], -v[164:165]
	v_fmac_f64_e32 v[166:167], s[52:53], v[160:161]
	v_add_f64 v[160:161], v[164:165], v[166:167]
	v_add_f64 v[164:165], v[160:161], -v[164:165]
	v_mul_f64 v[148:149], v[150:151], v[148:149]
	v_add_f64 v[164:165], v[166:167], -v[164:165]
	v_ldexp_f64 v[166:167], v[150:151], 1
	v_mul_f64 v[148:149], v[148:149], v[162:163]
	v_add_f64 v[150:151], v[166:167], v[148:149]
	v_add_f64 v[162:163], v[150:151], -v[166:167]
	v_ldexp_f64 v[146:147], v[146:147], 1
	v_add_f64 v[148:149], v[148:149], -v[162:163]
	v_add_f64 v[146:147], v[146:147], v[148:149]
	v_add_f64 v[148:149], v[150:151], v[146:147]
	v_add_f64 v[150:151], v[148:149], -v[150:151]
	v_add_f64 v[146:147], v[146:147], -v[150:151]
	v_add_f64 v[150:151], v[160:161], v[148:149]
	v_add_f64 v[162:163], v[150:151], -v[160:161]
	v_add_f64 v[166:167], v[150:151], -v[162:163]
	v_add_f64 v[160:161], v[160:161], -v[166:167]
	v_add_f64 v[148:149], v[148:149], -v[162:163]
	v_add_f64 v[148:149], v[148:149], v[160:161]
	v_add_f64 v[160:161], v[164:165], v[146:147]
	v_add_f64 v[162:163], v[160:161], -v[164:165]
	v_add_f64 v[148:149], v[160:161], v[148:149]
	v_add_f64 v[166:167], v[160:161], -v[162:163]
	;; [unrolled: 2-line block ×3, first 2 shown]
	v_add_f64 v[146:147], v[146:147], -v[162:163]
	v_add_f64 v[150:151], v[160:161], -v[150:151]
	v_add_f64 v[146:147], v[146:147], v[164:165]
	v_add_f64 v[148:149], v[148:149], -v[150:151]
	s_mov_b32 s38, 0
	v_add_f64 v[146:147], v[146:147], v[148:149]
	s_mov_b32 s39, 0x7ff00000
	v_add_f64 v[146:147], v[160:161], v[146:147]
	v_cmp_eq_f64_e64 s[38:39], s[38:39], v[144:145]
	v_mov_b32_e32 v148, 0x7ff80000
	s_nop 0
	v_cndmask_b32_e64 v146, v146, v144, s[38:39]
	v_cndmask_b32_e64 v147, v147, v145, s[38:39]
	v_cmp_ngt_f64_e64 s[38:39], -1.0, v[144:145]
	s_nop 1
	v_cndmask_b32_e64 v147, v148, v147, s[38:39]
	v_cmp_nge_f64_e64 s[38:39], -1.0, v[144:145]
	v_mov_b32_e32 v148, 0xfff00000
	s_nop 0
	v_cndmask_b32_e64 v146, 0, v146, s[38:39]
	v_cmp_neq_f64_e64 s[38:39], -1.0, v[144:145]
	s_nop 1
	v_cndmask_b32_e64 v147, v148, v147, s[38:39]
	v_add_f64 v[144:145], v[6:7], v[146:147]
.LBB2_312:
	s_or_b64 exec, exec, s[48:49]
	v_mov_b64_e32 v[6:7], v[144:145]
	v_mov_b32_e32 v146, v144
	v_mov_b32_e32 v147, v145
.LBB2_313:
	s_or_b64 exec, exec, s[44:45]
	v_and_b32_e32 v148, 16, v71
	v_mov_b32_dpp v144, v146 row_bcast:15 row_mask:0xf bank_mask:0xf
	v_mov_b32_dpp v145, v147 row_bcast:15 row_mask:0xf bank_mask:0xf
	v_cmp_ne_u32_e64 s[38:39], 0, v148
	s_and_saveexec_b64 s[44:45], s[38:39]
	s_cbranch_execz .LBB2_317
; %bb.314:
	v_max_f64 v[148:149], v[144:145], v[144:145]
	v_max_f64 v[150:151], v[6:7], v[6:7]
	v_min_f64 v[146:147], v[148:149], v[150:151]
	v_cmp_u_f64_e64 s[38:39], v[144:145], v[144:145]
	v_max_f64 v[148:149], v[148:149], v[150:151]
	v_cmp_u_f64_e64 s[40:41], v[6:7], v[6:7]
	v_cndmask_b32_e64 v146, v146, v144, s[38:39]
	v_cndmask_b32_e64 v147, v147, v145, s[38:39]
	;; [unrolled: 1-line block ×8, first 2 shown]
	s_movk_i32 s40, 0x1f8
	v_cmp_neq_f64_e64 s[38:39], v[146:147], v[6:7]
	v_cmp_class_f64_e64 s[40:41], v[146:147], s40
	s_or_b64 s[38:39], s[38:39], s[40:41]
	s_and_saveexec_b64 s[48:49], s[38:39]
	s_cbranch_execz .LBB2_316
; %bb.315:
	s_mov_b32 s38, 0x652b82fe
	v_add_f64 v[144:145], v[146:147], -v[6:7]
	s_mov_b32 s39, 0x3ff71547
	v_mul_f64 v[146:147], v[144:145], s[38:39]
	v_rndne_f64_e32 v[146:147], v[146:147]
	s_mov_b32 s51, 0xbfe62e42
	s_mov_b32 s50, 0xfefa39ef
	v_fma_f64 v[148:149], s[50:51], v[146:147], v[144:145]
	s_mov_b32 s53, 0xbc7abc9e
	s_mov_b32 s52, 0x3b39803f
	;; [unrolled: 1-line block ×3, first 2 shown]
	v_fmac_f64_e32 v[148:149], s[52:53], v[146:147]
	v_mov_b32_e32 v150, 0xfca7ab0c
	v_mov_b32_e32 v151, 0x3e928af3
	s_mov_b32 s39, 0x3e5ade15
	v_fmac_f64_e32 v[150:151], s[38:39], v[148:149]
	v_mov_b32_e32 v160, 0x623fde64
	v_mov_b32_e32 v161, 0x3ec71dee
	v_fmac_f64_e32 v[160:161], v[148:149], v[150:151]
	v_mov_b32_e32 v150, 0x7c89e6b0
	v_mov_b32_e32 v151, 0x3efa0199
	;; [unrolled: 3-line block ×8, first 2 shown]
	v_fmac_f64_e32 v[150:151], v[148:149], v[160:161]
	v_fma_f64 v[150:151], v[148:149], v[150:151], 1.0
	s_mov_b32 s38, 0
	s_mov_b32 s40, 0
	v_fma_f64 v[148:149], v[148:149], v[150:151], 1.0
	v_cvt_i32_f64_e32 v146, v[146:147]
	s_mov_b32 s39, 0x40900000
	s_mov_b32 s41, 0xc090cc00
	v_ldexp_f64 v[146:147], v[148:149], v146
	v_mov_b32_e32 v148, 0x7ff00000
	v_cmp_nlt_f64_e64 s[38:39], s[38:39], v[144:145]
	v_cmp_ngt_f64_e64 s[40:41], s[40:41], v[144:145]
	s_mov_b32 s51, 0x3fe62e42
	v_cndmask_b32_e64 v147, v148, v147, s[38:39]
	s_and_b64 s[38:39], s[40:41], s[38:39]
	v_cndmask_b32_e64 v145, 0, v147, s[40:41]
	v_cndmask_b32_e64 v144, 0, v146, s[38:39]
	v_add_f64 v[146:147], v[144:145], 1.0
	v_add_f64 v[148:149], v[146:147], -1.0
	v_add_f64 v[150:151], v[148:149], -v[146:147]
	v_add_f64 v[150:151], v[150:151], 1.0
	v_add_f64 v[148:149], v[144:145], -v[148:149]
	s_mov_b32 s38, 0x55555555
	v_add_f64 v[148:149], v[148:149], v[150:151]
	v_frexp_mant_f64_e32 v[150:151], v[146:147]
	s_mov_b32 s39, 0x3fe55555
	v_frexp_exp_i32_f64_e32 v160, v[146:147]
	v_cmp_gt_f64_e64 s[38:39], s[38:39], v[150:151]
	s_mov_b32 s53, 0x3c7abc9e
	s_nop 0
	v_subbrev_co_u32_e64 v182, s[38:39], 0, v160, s[38:39]
	v_sub_u32_e32 v150, 0, v182
	v_ldexp_f64 v[146:147], v[146:147], v150
	v_ldexp_f64 v[148:149], v[148:149], v150
	v_add_f64 v[150:151], v[146:147], -1.0
	v_add_f64 v[164:165], v[146:147], 1.0
	v_add_f64 v[160:161], v[150:151], 1.0
	v_add_f64 v[166:167], v[164:165], -1.0
	v_add_f64 v[160:161], v[146:147], -v[160:161]
	v_add_f64 v[146:147], v[146:147], -v[166:167]
	v_add_f64 v[146:147], v[148:149], v[146:147]
	v_add_f64 v[160:161], v[148:149], v[160:161]
	;; [unrolled: 1-line block ×3, first 2 shown]
	v_rcp_f64_e32 v[166:167], v[148:149]
	v_add_f64 v[162:163], v[150:151], v[160:161]
	v_add_f64 v[150:151], v[162:163], -v[150:151]
	v_add_f64 v[150:151], v[160:161], -v[150:151]
	;; [unrolled: 1-line block ×4, first 2 shown]
	v_fma_f64 v[160:161], -v[148:149], v[166:167], 1.0
	v_fmac_f64_e32 v[166:167], v[160:161], v[166:167]
	v_fma_f64 v[160:161], -v[148:149], v[166:167], 1.0
	v_fmac_f64_e32 v[166:167], v[160:161], v[166:167]
	v_mul_f64 v[160:161], v[162:163], v[166:167]
	v_mul_f64 v[164:165], v[148:149], v[160:161]
	v_fma_f64 v[176:177], v[160:161], v[148:149], -v[164:165]
	v_fmac_f64_e32 v[176:177], v[160:161], v[146:147]
	v_add_f64 v[178:179], v[164:165], v[176:177]
	v_add_f64 v[180:181], v[162:163], -v[178:179]
	v_add_f64 v[162:163], v[162:163], -v[180:181]
	v_add_f64 v[164:165], v[178:179], -v[164:165]
	v_add_f64 v[162:163], v[162:163], -v[178:179]
	v_add_f64 v[150:151], v[150:151], v[162:163]
	v_add_f64 v[162:163], v[164:165], -v[176:177]
	v_add_f64 v[150:151], v[162:163], v[150:151]
	v_add_f64 v[162:163], v[180:181], v[150:151]
	v_add_f64 v[164:165], v[180:181], -v[162:163]
	v_add_f64 v[150:151], v[150:151], v[164:165]
	v_mul_f64 v[164:165], v[166:167], v[162:163]
	v_mul_f64 v[176:177], v[148:149], v[164:165]
	v_fma_f64 v[148:149], v[164:165], v[148:149], -v[176:177]
	v_fmac_f64_e32 v[148:149], v[164:165], v[146:147]
	v_add_f64 v[146:147], v[176:177], v[148:149]
	v_add_f64 v[178:179], v[162:163], -v[146:147]
	v_add_f64 v[162:163], v[162:163], -v[178:179]
	;; [unrolled: 1-line block ×4, first 2 shown]
	v_add_f64 v[146:147], v[150:151], v[146:147]
	v_add_f64 v[148:149], v[176:177], -v[148:149]
	v_add_f64 v[146:147], v[148:149], v[146:147]
	v_add_f64 v[148:149], v[160:161], v[164:165]
	;; [unrolled: 1-line block ×3, first 2 shown]
	v_add_f64 v[150:151], v[148:149], -v[160:161]
	v_mul_f64 v[146:147], v[166:167], v[146:147]
	v_add_f64 v[150:151], v[164:165], -v[150:151]
	v_add_f64 v[146:147], v[150:151], v[146:147]
	v_add_f64 v[150:151], v[148:149], v[146:147]
	v_add_f64 v[148:149], v[150:151], -v[148:149]
	s_mov_b32 s38, 0xbf559e2b
	v_add_f64 v[146:147], v[146:147], -v[148:149]
	v_mul_f64 v[148:149], v[150:151], v[150:151]
	v_mov_b32_e32 v160, 0x6b47b09a
	v_mov_b32_e32 v161, 0x3fc38538
	s_mov_b32 s39, 0x3fc3ab76
	v_fmac_f64_e32 v[160:161], s[38:39], v[148:149]
	v_mov_b32_e32 v162, 0xd7f4df2e
	v_mov_b32_e32 v163, 0x3fc7474d
	v_fmac_f64_e32 v[162:163], v[148:149], v[160:161]
	v_mov_b32_e32 v160, 0x16291751
	v_mov_b32_e32 v161, 0x3fcc71c0
	v_fmac_f64_e32 v[160:161], v[148:149], v[162:163]
	v_mov_b32_e32 v162, 0x9b27acf1
	v_mov_b32_e32 v163, 0x3fd24924
	v_fmac_f64_e32 v[162:163], v[148:149], v[160:161]
	v_mov_b32_e32 v160, 0x998ef7b6
	v_mov_b32_e32 v161, 0x3fd99999
	v_fmac_f64_e32 v[160:161], v[148:149], v[162:163]
	v_mov_b32_e32 v162, 0x55555780
	v_mov_b32_e32 v163, 0x3fe55555
	v_fmac_f64_e32 v[162:163], v[148:149], v[160:161]
	v_cvt_f64_i32_e32 v[160:161], v182
	v_mul_f64 v[164:165], v[160:161], s[50:51]
	v_fma_f64 v[166:167], v[160:161], s[50:51], -v[164:165]
	v_fmac_f64_e32 v[166:167], s[52:53], v[160:161]
	v_add_f64 v[160:161], v[164:165], v[166:167]
	v_add_f64 v[164:165], v[160:161], -v[164:165]
	v_mul_f64 v[148:149], v[150:151], v[148:149]
	v_add_f64 v[164:165], v[166:167], -v[164:165]
	v_ldexp_f64 v[166:167], v[150:151], 1
	v_mul_f64 v[148:149], v[148:149], v[162:163]
	v_add_f64 v[150:151], v[166:167], v[148:149]
	v_add_f64 v[162:163], v[150:151], -v[166:167]
	v_ldexp_f64 v[146:147], v[146:147], 1
	v_add_f64 v[148:149], v[148:149], -v[162:163]
	v_add_f64 v[146:147], v[146:147], v[148:149]
	v_add_f64 v[148:149], v[150:151], v[146:147]
	v_add_f64 v[150:151], v[148:149], -v[150:151]
	v_add_f64 v[146:147], v[146:147], -v[150:151]
	v_add_f64 v[150:151], v[160:161], v[148:149]
	v_add_f64 v[162:163], v[150:151], -v[160:161]
	v_add_f64 v[166:167], v[150:151], -v[162:163]
	;; [unrolled: 1-line block ×4, first 2 shown]
	v_add_f64 v[148:149], v[148:149], v[160:161]
	v_add_f64 v[160:161], v[164:165], v[146:147]
	v_add_f64 v[162:163], v[160:161], -v[164:165]
	v_add_f64 v[148:149], v[160:161], v[148:149]
	v_add_f64 v[166:167], v[160:161], -v[162:163]
	v_add_f64 v[160:161], v[150:151], v[148:149]
	v_add_f64 v[164:165], v[164:165], -v[166:167]
	v_add_f64 v[146:147], v[146:147], -v[162:163]
	v_add_f64 v[150:151], v[160:161], -v[150:151]
	v_add_f64 v[146:147], v[146:147], v[164:165]
	v_add_f64 v[148:149], v[148:149], -v[150:151]
	s_mov_b32 s38, 0
	v_add_f64 v[146:147], v[146:147], v[148:149]
	s_mov_b32 s39, 0x7ff00000
	v_add_f64 v[146:147], v[160:161], v[146:147]
	v_cmp_eq_f64_e64 s[38:39], s[38:39], v[144:145]
	v_mov_b32_e32 v148, 0x7ff80000
	s_nop 0
	v_cndmask_b32_e64 v146, v146, v144, s[38:39]
	v_cndmask_b32_e64 v147, v147, v145, s[38:39]
	v_cmp_ngt_f64_e64 s[38:39], -1.0, v[144:145]
	s_nop 1
	v_cndmask_b32_e64 v147, v148, v147, s[38:39]
	v_cmp_nge_f64_e64 s[38:39], -1.0, v[144:145]
	v_mov_b32_e32 v148, 0xfff00000
	s_nop 0
	v_cndmask_b32_e64 v146, 0, v146, s[38:39]
	v_cmp_neq_f64_e64 s[38:39], -1.0, v[144:145]
	s_nop 1
	v_cndmask_b32_e64 v147, v148, v147, s[38:39]
	v_add_f64 v[144:145], v[6:7], v[146:147]
.LBB2_316:
	s_or_b64 exec, exec, s[48:49]
	v_mov_b32_e32 v146, v144
	v_mov_b32_e32 v147, v145
	v_mov_b64_e32 v[6:7], v[144:145]
.LBB2_317:
	s_or_b64 exec, exec, s[44:45]
	v_mov_b32_dpp v144, v146 row_bcast:31 row_mask:0xf bank_mask:0xf
	v_mov_b32_dpp v145, v147 row_bcast:31 row_mask:0xf bank_mask:0xf
	v_cmp_lt_u32_e64 s[38:39], 31, v71
	s_and_saveexec_b64 s[44:45], s[38:39]
	s_cbranch_execz .LBB2_321
; %bb.318:
	v_max_f64 v[148:149], v[144:145], v[144:145]
	v_max_f64 v[150:151], v[6:7], v[6:7]
	v_min_f64 v[146:147], v[148:149], v[150:151]
	v_cmp_u_f64_e64 s[38:39], v[144:145], v[144:145]
	v_max_f64 v[148:149], v[148:149], v[150:151]
	v_cmp_u_f64_e64 s[40:41], v[6:7], v[6:7]
	v_cndmask_b32_e64 v146, v146, v144, s[38:39]
	v_cndmask_b32_e64 v147, v147, v145, s[38:39]
	;; [unrolled: 1-line block ×8, first 2 shown]
	s_movk_i32 s40, 0x1f8
	v_cmp_neq_f64_e64 s[38:39], v[146:147], v[6:7]
	v_cmp_class_f64_e64 s[40:41], v[146:147], s40
	s_or_b64 s[38:39], s[38:39], s[40:41]
	s_and_saveexec_b64 s[48:49], s[38:39]
	s_cbranch_execz .LBB2_320
; %bb.319:
	s_mov_b32 s38, 0x652b82fe
	v_add_f64 v[144:145], v[146:147], -v[6:7]
	s_mov_b32 s39, 0x3ff71547
	v_mul_f64 v[146:147], v[144:145], s[38:39]
	v_rndne_f64_e32 v[146:147], v[146:147]
	s_mov_b32 s51, 0xbfe62e42
	s_mov_b32 s50, 0xfefa39ef
	v_fma_f64 v[148:149], s[50:51], v[146:147], v[144:145]
	s_mov_b32 s53, 0xbc7abc9e
	s_mov_b32 s52, 0x3b39803f
	;; [unrolled: 1-line block ×3, first 2 shown]
	v_fmac_f64_e32 v[148:149], s[52:53], v[146:147]
	v_mov_b32_e32 v150, 0xfca7ab0c
	v_mov_b32_e32 v151, 0x3e928af3
	s_mov_b32 s39, 0x3e5ade15
	v_fmac_f64_e32 v[150:151], s[38:39], v[148:149]
	v_mov_b32_e32 v160, 0x623fde64
	v_mov_b32_e32 v161, 0x3ec71dee
	v_fmac_f64_e32 v[160:161], v[148:149], v[150:151]
	v_mov_b32_e32 v150, 0x7c89e6b0
	v_mov_b32_e32 v151, 0x3efa0199
	;; [unrolled: 3-line block ×8, first 2 shown]
	v_fmac_f64_e32 v[150:151], v[148:149], v[160:161]
	v_fma_f64 v[150:151], v[148:149], v[150:151], 1.0
	s_mov_b32 s38, 0
	s_mov_b32 s40, 0
	v_fma_f64 v[148:149], v[148:149], v[150:151], 1.0
	v_cvt_i32_f64_e32 v146, v[146:147]
	s_mov_b32 s39, 0x40900000
	s_mov_b32 s41, 0xc090cc00
	v_ldexp_f64 v[146:147], v[148:149], v146
	v_mov_b32_e32 v148, 0x7ff00000
	v_cmp_nlt_f64_e64 s[38:39], s[38:39], v[144:145]
	v_cmp_ngt_f64_e64 s[40:41], s[40:41], v[144:145]
	s_mov_b32 s51, 0x3fe62e42
	v_cndmask_b32_e64 v147, v148, v147, s[38:39]
	s_and_b64 s[38:39], s[40:41], s[38:39]
	v_cndmask_b32_e64 v145, 0, v147, s[40:41]
	v_cndmask_b32_e64 v144, 0, v146, s[38:39]
	v_add_f64 v[146:147], v[144:145], 1.0
	v_add_f64 v[148:149], v[146:147], -1.0
	v_add_f64 v[150:151], v[148:149], -v[146:147]
	v_add_f64 v[150:151], v[150:151], 1.0
	v_add_f64 v[148:149], v[144:145], -v[148:149]
	s_mov_b32 s38, 0x55555555
	v_add_f64 v[148:149], v[148:149], v[150:151]
	v_frexp_mant_f64_e32 v[150:151], v[146:147]
	s_mov_b32 s39, 0x3fe55555
	v_frexp_exp_i32_f64_e32 v160, v[146:147]
	v_cmp_gt_f64_e64 s[38:39], s[38:39], v[150:151]
	s_mov_b32 s53, 0x3c7abc9e
	s_nop 0
	v_subbrev_co_u32_e64 v182, s[38:39], 0, v160, s[38:39]
	v_sub_u32_e32 v150, 0, v182
	v_ldexp_f64 v[146:147], v[146:147], v150
	v_ldexp_f64 v[148:149], v[148:149], v150
	v_add_f64 v[150:151], v[146:147], -1.0
	v_add_f64 v[164:165], v[146:147], 1.0
	v_add_f64 v[160:161], v[150:151], 1.0
	v_add_f64 v[166:167], v[164:165], -1.0
	v_add_f64 v[160:161], v[146:147], -v[160:161]
	v_add_f64 v[146:147], v[146:147], -v[166:167]
	v_add_f64 v[146:147], v[148:149], v[146:147]
	v_add_f64 v[160:161], v[148:149], v[160:161]
	;; [unrolled: 1-line block ×3, first 2 shown]
	v_rcp_f64_e32 v[166:167], v[148:149]
	v_add_f64 v[162:163], v[150:151], v[160:161]
	v_add_f64 v[150:151], v[162:163], -v[150:151]
	v_add_f64 v[150:151], v[160:161], -v[150:151]
	;; [unrolled: 1-line block ×4, first 2 shown]
	v_fma_f64 v[160:161], -v[148:149], v[166:167], 1.0
	v_fmac_f64_e32 v[166:167], v[160:161], v[166:167]
	v_fma_f64 v[160:161], -v[148:149], v[166:167], 1.0
	v_fmac_f64_e32 v[166:167], v[160:161], v[166:167]
	v_mul_f64 v[160:161], v[162:163], v[166:167]
	v_mul_f64 v[164:165], v[148:149], v[160:161]
	v_fma_f64 v[176:177], v[160:161], v[148:149], -v[164:165]
	v_fmac_f64_e32 v[176:177], v[160:161], v[146:147]
	v_add_f64 v[178:179], v[164:165], v[176:177]
	v_add_f64 v[180:181], v[162:163], -v[178:179]
	v_add_f64 v[162:163], v[162:163], -v[180:181]
	v_add_f64 v[164:165], v[178:179], -v[164:165]
	v_add_f64 v[162:163], v[162:163], -v[178:179]
	v_add_f64 v[150:151], v[150:151], v[162:163]
	v_add_f64 v[162:163], v[164:165], -v[176:177]
	v_add_f64 v[150:151], v[162:163], v[150:151]
	v_add_f64 v[162:163], v[180:181], v[150:151]
	v_add_f64 v[164:165], v[180:181], -v[162:163]
	v_add_f64 v[150:151], v[150:151], v[164:165]
	v_mul_f64 v[164:165], v[166:167], v[162:163]
	v_mul_f64 v[176:177], v[148:149], v[164:165]
	v_fma_f64 v[148:149], v[164:165], v[148:149], -v[176:177]
	v_fmac_f64_e32 v[148:149], v[164:165], v[146:147]
	v_add_f64 v[146:147], v[176:177], v[148:149]
	v_add_f64 v[178:179], v[162:163], -v[146:147]
	v_add_f64 v[162:163], v[162:163], -v[178:179]
	;; [unrolled: 1-line block ×4, first 2 shown]
	v_add_f64 v[146:147], v[150:151], v[146:147]
	v_add_f64 v[148:149], v[176:177], -v[148:149]
	v_add_f64 v[146:147], v[148:149], v[146:147]
	v_add_f64 v[148:149], v[160:161], v[164:165]
	;; [unrolled: 1-line block ×3, first 2 shown]
	v_add_f64 v[150:151], v[148:149], -v[160:161]
	v_mul_f64 v[146:147], v[166:167], v[146:147]
	v_add_f64 v[150:151], v[164:165], -v[150:151]
	v_add_f64 v[146:147], v[150:151], v[146:147]
	v_add_f64 v[150:151], v[148:149], v[146:147]
	v_add_f64 v[148:149], v[150:151], -v[148:149]
	s_mov_b32 s38, 0xbf559e2b
	v_add_f64 v[146:147], v[146:147], -v[148:149]
	v_mul_f64 v[148:149], v[150:151], v[150:151]
	v_mov_b32_e32 v160, 0x6b47b09a
	v_mov_b32_e32 v161, 0x3fc38538
	s_mov_b32 s39, 0x3fc3ab76
	v_fmac_f64_e32 v[160:161], s[38:39], v[148:149]
	v_mov_b32_e32 v162, 0xd7f4df2e
	v_mov_b32_e32 v163, 0x3fc7474d
	v_fmac_f64_e32 v[162:163], v[148:149], v[160:161]
	v_mov_b32_e32 v160, 0x16291751
	v_mov_b32_e32 v161, 0x3fcc71c0
	v_fmac_f64_e32 v[160:161], v[148:149], v[162:163]
	v_mov_b32_e32 v162, 0x9b27acf1
	v_mov_b32_e32 v163, 0x3fd24924
	v_fmac_f64_e32 v[162:163], v[148:149], v[160:161]
	v_mov_b32_e32 v160, 0x998ef7b6
	v_mov_b32_e32 v161, 0x3fd99999
	v_fmac_f64_e32 v[160:161], v[148:149], v[162:163]
	v_mov_b32_e32 v162, 0x55555780
	v_mov_b32_e32 v163, 0x3fe55555
	v_fmac_f64_e32 v[162:163], v[148:149], v[160:161]
	v_cvt_f64_i32_e32 v[160:161], v182
	v_mul_f64 v[164:165], v[160:161], s[50:51]
	v_fma_f64 v[166:167], v[160:161], s[50:51], -v[164:165]
	v_fmac_f64_e32 v[166:167], s[52:53], v[160:161]
	v_add_f64 v[160:161], v[164:165], v[166:167]
	v_add_f64 v[164:165], v[160:161], -v[164:165]
	v_mul_f64 v[148:149], v[150:151], v[148:149]
	v_add_f64 v[164:165], v[166:167], -v[164:165]
	v_ldexp_f64 v[166:167], v[150:151], 1
	v_mul_f64 v[148:149], v[148:149], v[162:163]
	v_add_f64 v[150:151], v[166:167], v[148:149]
	v_add_f64 v[162:163], v[150:151], -v[166:167]
	v_ldexp_f64 v[146:147], v[146:147], 1
	v_add_f64 v[148:149], v[148:149], -v[162:163]
	v_add_f64 v[146:147], v[146:147], v[148:149]
	v_add_f64 v[148:149], v[150:151], v[146:147]
	v_add_f64 v[150:151], v[148:149], -v[150:151]
	v_add_f64 v[146:147], v[146:147], -v[150:151]
	v_add_f64 v[150:151], v[160:161], v[148:149]
	v_add_f64 v[162:163], v[150:151], -v[160:161]
	v_add_f64 v[166:167], v[150:151], -v[162:163]
	;; [unrolled: 1-line block ×4, first 2 shown]
	v_add_f64 v[148:149], v[148:149], v[160:161]
	v_add_f64 v[160:161], v[164:165], v[146:147]
	v_add_f64 v[162:163], v[160:161], -v[164:165]
	v_add_f64 v[148:149], v[160:161], v[148:149]
	v_add_f64 v[166:167], v[160:161], -v[162:163]
	;; [unrolled: 2-line block ×3, first 2 shown]
	v_add_f64 v[146:147], v[146:147], -v[162:163]
	v_add_f64 v[150:151], v[160:161], -v[150:151]
	v_add_f64 v[146:147], v[146:147], v[164:165]
	v_add_f64 v[148:149], v[148:149], -v[150:151]
	s_mov_b32 s38, 0
	v_add_f64 v[146:147], v[146:147], v[148:149]
	s_mov_b32 s39, 0x7ff00000
	v_add_f64 v[146:147], v[160:161], v[146:147]
	v_cmp_eq_f64_e64 s[38:39], s[38:39], v[144:145]
	v_mov_b32_e32 v148, 0x7ff80000
	s_nop 0
	v_cndmask_b32_e64 v146, v146, v144, s[38:39]
	v_cndmask_b32_e64 v147, v147, v145, s[38:39]
	v_cmp_ngt_f64_e64 s[38:39], -1.0, v[144:145]
	s_nop 1
	v_cndmask_b32_e64 v147, v148, v147, s[38:39]
	v_cmp_nge_f64_e64 s[38:39], -1.0, v[144:145]
	v_mov_b32_e32 v148, 0xfff00000
	s_nop 0
	v_cndmask_b32_e64 v146, 0, v146, s[38:39]
	v_cmp_neq_f64_e64 s[38:39], -1.0, v[144:145]
	s_nop 1
	v_cndmask_b32_e64 v147, v148, v147, s[38:39]
	v_add_f64 v[144:145], v[6:7], v[146:147]
.LBB2_320:
	s_or_b64 exec, exec, s[48:49]
	v_mov_b64_e32 v[6:7], v[144:145]
.LBB2_321:
	s_or_b64 exec, exec, s[44:45]
	v_add_u32_e32 v144, -1, v71
	v_and_b32_e32 v145, 64, v71
	v_cmp_lt_i32_e64 s[38:39], v144, v145
	s_movk_i32 s50, 0x1f8
	s_nop 0
	v_cndmask_b32_e64 v71, v144, v71, s[38:39]
	v_lshlrev_b32_e32 v71, 2, v71
	ds_bpermute_b32 v6, v71, v6
	ds_bpermute_b32 v7, v71, v7
	s_waitcnt lgkmcnt(0)
	v_max_f64 v[146:147], v[6:7], v[6:7]
	v_min_f64 v[144:145], v[146:147], v[134:135]
	v_cmp_u_f64_e64 s[38:39], v[6:7], v[6:7]
	v_max_f64 v[134:135], v[146:147], v[134:135]
	s_nop 0
	v_cndmask_b32_e64 v71, v144, v6, s[38:39]
	v_cndmask_b32_e64 v144, v145, v7, s[38:39]
	;; [unrolled: 1-line block ×8, first 2 shown]
	v_cmp_neq_f64_e64 s[36:37], v[144:145], v[4:5]
	v_cmp_class_f64_e64 s[38:39], v[144:145], s50
	s_or_b64 s[36:37], s[36:37], s[38:39]
	s_and_saveexec_b64 s[40:41], s[36:37]
	s_cbranch_execz .LBB2_323
; %bb.322:
	s_mov_b32 s36, 0x652b82fe
	v_add_f64 v[6:7], v[144:145], -v[4:5]
	s_mov_b32 s37, 0x3ff71547
	v_mul_f64 v[134:135], v[6:7], s[36:37]
	v_rndne_f64_e32 v[134:135], v[134:135]
	s_mov_b32 s45, 0xbfe62e42
	s_mov_b32 s44, 0xfefa39ef
	v_fma_f64 v[144:145], s[44:45], v[134:135], v[6:7]
	s_mov_b32 s49, 0xbc7abc9e
	s_mov_b32 s48, 0x3b39803f
	;; [unrolled: 1-line block ×3, first 2 shown]
	v_fmac_f64_e32 v[144:145], s[48:49], v[134:135]
	v_mov_b32_e32 v146, 0xfca7ab0c
	v_mov_b32_e32 v147, 0x3e928af3
	s_mov_b32 s37, 0x3e5ade15
	v_fmac_f64_e32 v[146:147], s[36:37], v[144:145]
	v_mov_b32_e32 v148, 0x623fde64
	v_mov_b32_e32 v149, 0x3ec71dee
	v_fmac_f64_e32 v[148:149], v[144:145], v[146:147]
	v_mov_b32_e32 v146, 0x7c89e6b0
	v_mov_b32_e32 v147, 0x3efa0199
	v_fmac_f64_e32 v[146:147], v[144:145], v[148:149]
	v_mov_b32_e32 v148, 0x14761f6e
	v_mov_b32_e32 v149, 0x3f2a01a0
	v_fmac_f64_e32 v[148:149], v[144:145], v[146:147]
	v_mov_b32_e32 v146, 0x1852b7b0
	v_mov_b32_e32 v147, 0x3f56c16c
	v_fmac_f64_e32 v[146:147], v[144:145], v[148:149]
	v_mov_b32_e32 v148, 0x11122322
	v_mov_b32_e32 v149, 0x3f811111
	v_fmac_f64_e32 v[148:149], v[144:145], v[146:147]
	v_mov_b32_e32 v146, 0x555502a1
	v_mov_b32_e32 v147, 0x3fa55555
	v_fmac_f64_e32 v[146:147], v[144:145], v[148:149]
	v_mov_b32_e32 v148, 0x55555511
	v_mov_b32_e32 v149, 0x3fc55555
	v_fmac_f64_e32 v[148:149], v[144:145], v[146:147]
	v_mov_b32_e32 v146, 11
	v_mov_b32_e32 v147, 0x3fe00000
	v_fmac_f64_e32 v[146:147], v[144:145], v[148:149]
	v_fma_f64 v[146:147], v[144:145], v[146:147], 1.0
	s_mov_b32 s36, 0
	s_mov_b32 s38, 0
	v_fma_f64 v[144:145], v[144:145], v[146:147], 1.0
	v_cvt_i32_f64_e32 v71, v[134:135]
	s_mov_b32 s37, 0x40900000
	s_mov_b32 s39, 0xc090cc00
	v_ldexp_f64 v[134:135], v[144:145], v71
	v_mov_b32_e32 v71, 0x7ff00000
	v_cmp_nlt_f64_e64 s[36:37], s[36:37], v[6:7]
	v_cmp_ngt_f64_e64 s[38:39], s[38:39], v[6:7]
	s_mov_b32 s45, 0x3fe62e42
	v_cndmask_b32_e64 v71, v71, v135, s[36:37]
	s_and_b64 s[36:37], s[38:39], s[36:37]
	v_cndmask_b32_e64 v7, 0, v71, s[38:39]
	v_cndmask_b32_e64 v6, 0, v134, s[36:37]
	v_add_f64 v[134:135], v[6:7], 1.0
	v_add_f64 v[144:145], v[134:135], -1.0
	v_add_f64 v[146:147], v[144:145], -v[134:135]
	v_add_f64 v[146:147], v[146:147], 1.0
	v_add_f64 v[144:145], v[6:7], -v[144:145]
	s_mov_b32 s36, 0x55555555
	v_add_f64 v[144:145], v[144:145], v[146:147]
	v_frexp_mant_f64_e32 v[146:147], v[134:135]
	s_mov_b32 s37, 0x3fe55555
	v_frexp_exp_i32_f64_e32 v71, v[134:135]
	v_cmp_gt_f64_e64 s[36:37], s[36:37], v[146:147]
	s_mov_b32 s49, 0x3c7abc9e
	s_nop 0
	v_subbrev_co_u32_e64 v71, s[36:37], 0, v71, s[36:37]
	v_sub_u32_e32 v146, 0, v71
	v_ldexp_f64 v[134:135], v[134:135], v146
	v_ldexp_f64 v[144:145], v[144:145], v146
	v_add_f64 v[146:147], v[134:135], -1.0
	v_add_f64 v[160:161], v[134:135], 1.0
	v_add_f64 v[148:149], v[146:147], 1.0
	v_add_f64 v[162:163], v[160:161], -1.0
	v_add_f64 v[148:149], v[134:135], -v[148:149]
	v_add_f64 v[134:135], v[134:135], -v[162:163]
	v_add_f64 v[134:135], v[144:145], v[134:135]
	v_add_f64 v[148:149], v[144:145], v[148:149]
	;; [unrolled: 1-line block ×3, first 2 shown]
	v_rcp_f64_e32 v[162:163], v[144:145]
	v_add_f64 v[150:151], v[146:147], v[148:149]
	v_add_f64 v[146:147], v[150:151], -v[146:147]
	v_add_f64 v[146:147], v[148:149], -v[146:147]
	v_add_f64 v[148:149], v[144:145], -v[160:161]
	v_add_f64 v[134:135], v[134:135], -v[148:149]
	v_fma_f64 v[148:149], -v[144:145], v[162:163], 1.0
	v_fmac_f64_e32 v[162:163], v[148:149], v[162:163]
	v_fma_f64 v[148:149], -v[144:145], v[162:163], 1.0
	v_fmac_f64_e32 v[162:163], v[148:149], v[162:163]
	v_mul_f64 v[148:149], v[150:151], v[162:163]
	v_mul_f64 v[160:161], v[144:145], v[148:149]
	v_fma_f64 v[164:165], v[148:149], v[144:145], -v[160:161]
	v_fmac_f64_e32 v[164:165], v[148:149], v[134:135]
	v_add_f64 v[166:167], v[160:161], v[164:165]
	v_add_f64 v[176:177], v[150:151], -v[166:167]
	v_add_f64 v[150:151], v[150:151], -v[176:177]
	;; [unrolled: 1-line block ×4, first 2 shown]
	v_add_f64 v[146:147], v[146:147], v[150:151]
	v_add_f64 v[150:151], v[160:161], -v[164:165]
	v_add_f64 v[146:147], v[150:151], v[146:147]
	v_add_f64 v[150:151], v[176:177], v[146:147]
	v_add_f64 v[160:161], v[176:177], -v[150:151]
	v_add_f64 v[146:147], v[146:147], v[160:161]
	v_mul_f64 v[160:161], v[162:163], v[150:151]
	v_mul_f64 v[164:165], v[144:145], v[160:161]
	v_fma_f64 v[144:145], v[160:161], v[144:145], -v[164:165]
	v_fmac_f64_e32 v[144:145], v[160:161], v[134:135]
	v_add_f64 v[134:135], v[164:165], v[144:145]
	v_add_f64 v[166:167], v[150:151], -v[134:135]
	v_add_f64 v[150:151], v[150:151], -v[166:167]
	v_add_f64 v[164:165], v[134:135], -v[164:165]
	v_add_f64 v[134:135], v[150:151], -v[134:135]
	v_add_f64 v[134:135], v[146:147], v[134:135]
	v_add_f64 v[144:145], v[164:165], -v[144:145]
	v_add_f64 v[134:135], v[144:145], v[134:135]
	v_add_f64 v[144:145], v[148:149], v[160:161]
	;; [unrolled: 1-line block ×3, first 2 shown]
	v_add_f64 v[146:147], v[144:145], -v[148:149]
	v_mul_f64 v[134:135], v[162:163], v[134:135]
	v_add_f64 v[146:147], v[160:161], -v[146:147]
	v_add_f64 v[134:135], v[146:147], v[134:135]
	v_add_f64 v[146:147], v[144:145], v[134:135]
	v_add_f64 v[144:145], v[146:147], -v[144:145]
	s_mov_b32 s36, 0xbf559e2b
	v_add_f64 v[134:135], v[134:135], -v[144:145]
	v_mul_f64 v[144:145], v[146:147], v[146:147]
	v_mov_b32_e32 v148, 0x6b47b09a
	v_mov_b32_e32 v149, 0x3fc38538
	s_mov_b32 s37, 0x3fc3ab76
	v_fmac_f64_e32 v[148:149], s[36:37], v[144:145]
	v_mov_b32_e32 v150, 0xd7f4df2e
	v_mov_b32_e32 v151, 0x3fc7474d
	v_fmac_f64_e32 v[150:151], v[144:145], v[148:149]
	v_mov_b32_e32 v148, 0x16291751
	v_mov_b32_e32 v149, 0x3fcc71c0
	;; [unrolled: 3-line block ×5, first 2 shown]
	v_fmac_f64_e32 v[150:151], v[144:145], v[148:149]
	v_cvt_f64_i32_e32 v[148:149], v71
	v_mul_f64 v[160:161], v[148:149], s[44:45]
	v_fma_f64 v[162:163], v[148:149], s[44:45], -v[160:161]
	v_fmac_f64_e32 v[162:163], s[48:49], v[148:149]
	v_add_f64 v[148:149], v[160:161], v[162:163]
	v_add_f64 v[160:161], v[148:149], -v[160:161]
	v_mul_f64 v[144:145], v[146:147], v[144:145]
	v_add_f64 v[160:161], v[162:163], -v[160:161]
	v_ldexp_f64 v[162:163], v[146:147], 1
	v_mul_f64 v[144:145], v[144:145], v[150:151]
	v_add_f64 v[146:147], v[162:163], v[144:145]
	v_add_f64 v[150:151], v[146:147], -v[162:163]
	v_ldexp_f64 v[134:135], v[134:135], 1
	v_add_f64 v[144:145], v[144:145], -v[150:151]
	v_add_f64 v[134:135], v[134:135], v[144:145]
	v_add_f64 v[144:145], v[146:147], v[134:135]
	v_add_f64 v[146:147], v[144:145], -v[146:147]
	v_add_f64 v[134:135], v[134:135], -v[146:147]
	v_add_f64 v[146:147], v[148:149], v[144:145]
	v_add_f64 v[150:151], v[146:147], -v[148:149]
	v_add_f64 v[162:163], v[146:147], -v[150:151]
	;; [unrolled: 1-line block ×4, first 2 shown]
	v_add_f64 v[144:145], v[144:145], v[148:149]
	v_add_f64 v[148:149], v[160:161], v[134:135]
	v_add_f64 v[150:151], v[148:149], -v[160:161]
	v_add_f64 v[144:145], v[148:149], v[144:145]
	v_add_f64 v[162:163], v[148:149], -v[150:151]
	;; [unrolled: 2-line block ×3, first 2 shown]
	v_add_f64 v[134:135], v[134:135], -v[150:151]
	v_add_f64 v[146:147], v[148:149], -v[146:147]
	v_add_f64 v[134:135], v[134:135], v[160:161]
	v_add_f64 v[144:145], v[144:145], -v[146:147]
	s_mov_b32 s36, 0
	v_add_f64 v[134:135], v[134:135], v[144:145]
	s_mov_b32 s37, 0x7ff00000
	v_add_f64 v[134:135], v[148:149], v[134:135]
	v_cmp_eq_f64_e64 s[36:37], s[36:37], v[6:7]
	s_nop 1
	v_cndmask_b32_e64 v71, v134, v6, s[36:37]
	v_cndmask_b32_e64 v134, v135, v7, s[36:37]
	v_mov_b32_e32 v135, 0x7ff80000
	v_cmp_ngt_f64_e64 s[36:37], -1.0, v[6:7]
	s_nop 1
	v_cndmask_b32_e64 v135, v135, v134, s[36:37]
	v_cmp_nge_f64_e64 s[36:37], -1.0, v[6:7]
	s_nop 1
	v_cndmask_b32_e64 v134, 0, v71, s[36:37]
	v_mov_b32_e32 v71, 0xfff00000
	v_cmp_neq_f64_e64 s[36:37], -1.0, v[6:7]
	s_nop 1
	v_cndmask_b32_e64 v135, v71, v135, s[36:37]
	v_add_f64 v[6:7], v[4:5], v[134:135]
.LBB2_323:
	s_or_b64 exec, exec, s[40:41]
	v_cndmask_b32_e64 v7, v7, v133, s[34:35]
	v_cndmask_b32_e64 v6, v6, v132, s[34:35]
	; wave barrier
	ds_write_b64 v53, v[6:7]
	; wave barrier
	ds_read_b64 v[4:5], v53 offset:8
	v_max_f64 v[144:145], v[6:7], v[6:7]
	v_cmp_u_f64_e64 s[34:35], v[6:7], v[6:7]
	s_waitcnt lgkmcnt(0)
	v_max_f64 v[146:147], v[4:5], v[4:5]
	v_min_f64 v[134:135], v[144:145], v[146:147]
	v_cndmask_b32_e64 v71, v134, v6, s[34:35]
	v_cndmask_b32_e64 v134, v135, v7, s[34:35]
	v_cmp_u_f64_e64 s[36:37], v[4:5], v[4:5]
	v_max_f64 v[144:145], v[144:145], v[146:147]
	s_nop 0
	v_cndmask_b32_e64 v135, v134, v5, s[36:37]
	v_cndmask_b32_e64 v134, v71, v4, s[36:37]
	;; [unrolled: 1-line block ×6, first 2 shown]
	v_cmp_neq_f64_e64 s[34:35], v[134:135], v[4:5]
	v_cmp_class_f64_e64 s[36:37], v[134:135], s50
	s_or_b64 s[34:35], s[34:35], s[36:37]
	s_and_saveexec_b64 s[38:39], s[34:35]
	s_cbranch_execz .LBB2_325
; %bb.324:
	s_mov_b32 s34, 0x652b82fe
	v_add_f64 v[6:7], v[134:135], -v[4:5]
	s_mov_b32 s35, 0x3ff71547
	v_mul_f64 v[134:135], v[6:7], s[34:35]
	v_rndne_f64_e32 v[134:135], v[134:135]
	s_mov_b32 s41, 0xbfe62e42
	s_mov_b32 s40, 0xfefa39ef
	v_fma_f64 v[144:145], s[40:41], v[134:135], v[6:7]
	s_mov_b32 s45, 0xbc7abc9e
	s_mov_b32 s44, 0x3b39803f
	;; [unrolled: 1-line block ×3, first 2 shown]
	v_fmac_f64_e32 v[144:145], s[44:45], v[134:135]
	v_mov_b32_e32 v146, 0xfca7ab0c
	v_mov_b32_e32 v147, 0x3e928af3
	s_mov_b32 s35, 0x3e5ade15
	v_fmac_f64_e32 v[146:147], s[34:35], v[144:145]
	v_mov_b32_e32 v148, 0x623fde64
	v_mov_b32_e32 v149, 0x3ec71dee
	v_fmac_f64_e32 v[148:149], v[144:145], v[146:147]
	v_mov_b32_e32 v146, 0x7c89e6b0
	v_mov_b32_e32 v147, 0x3efa0199
	;; [unrolled: 3-line block ×8, first 2 shown]
	v_fmac_f64_e32 v[146:147], v[144:145], v[148:149]
	v_fma_f64 v[146:147], v[144:145], v[146:147], 1.0
	s_mov_b32 s34, 0
	s_mov_b32 s36, 0
	v_fma_f64 v[144:145], v[144:145], v[146:147], 1.0
	v_cvt_i32_f64_e32 v71, v[134:135]
	s_mov_b32 s35, 0x40900000
	s_mov_b32 s37, 0xc090cc00
	v_ldexp_f64 v[134:135], v[144:145], v71
	v_mov_b32_e32 v71, 0x7ff00000
	v_cmp_nlt_f64_e64 s[34:35], s[34:35], v[6:7]
	v_cmp_ngt_f64_e64 s[36:37], s[36:37], v[6:7]
	s_mov_b32 s41, 0x3fe62e42
	v_cndmask_b32_e64 v71, v71, v135, s[34:35]
	s_and_b64 s[34:35], s[36:37], s[34:35]
	v_cndmask_b32_e64 v7, 0, v71, s[36:37]
	v_cndmask_b32_e64 v6, 0, v134, s[34:35]
	v_add_f64 v[134:135], v[6:7], 1.0
	v_add_f64 v[144:145], v[134:135], -1.0
	v_add_f64 v[146:147], v[144:145], -v[134:135]
	v_add_f64 v[146:147], v[146:147], 1.0
	v_add_f64 v[144:145], v[6:7], -v[144:145]
	s_mov_b32 s34, 0x55555555
	v_add_f64 v[144:145], v[144:145], v[146:147]
	v_frexp_mant_f64_e32 v[146:147], v[134:135]
	s_mov_b32 s35, 0x3fe55555
	v_frexp_exp_i32_f64_e32 v71, v[134:135]
	v_cmp_gt_f64_e64 s[34:35], s[34:35], v[146:147]
	s_mov_b32 s45, 0x3c7abc9e
	s_nop 0
	v_subbrev_co_u32_e64 v71, s[34:35], 0, v71, s[34:35]
	v_sub_u32_e32 v146, 0, v71
	v_ldexp_f64 v[134:135], v[134:135], v146
	v_ldexp_f64 v[144:145], v[144:145], v146
	v_add_f64 v[146:147], v[134:135], -1.0
	v_add_f64 v[160:161], v[134:135], 1.0
	v_add_f64 v[148:149], v[146:147], 1.0
	v_add_f64 v[162:163], v[160:161], -1.0
	v_add_f64 v[148:149], v[134:135], -v[148:149]
	v_add_f64 v[134:135], v[134:135], -v[162:163]
	v_add_f64 v[134:135], v[144:145], v[134:135]
	v_add_f64 v[148:149], v[144:145], v[148:149]
	;; [unrolled: 1-line block ×3, first 2 shown]
	v_rcp_f64_e32 v[162:163], v[144:145]
	v_add_f64 v[150:151], v[146:147], v[148:149]
	v_add_f64 v[146:147], v[150:151], -v[146:147]
	v_add_f64 v[146:147], v[148:149], -v[146:147]
	;; [unrolled: 1-line block ×4, first 2 shown]
	v_fma_f64 v[148:149], -v[144:145], v[162:163], 1.0
	v_fmac_f64_e32 v[162:163], v[148:149], v[162:163]
	v_fma_f64 v[148:149], -v[144:145], v[162:163], 1.0
	v_fmac_f64_e32 v[162:163], v[148:149], v[162:163]
	v_mul_f64 v[148:149], v[150:151], v[162:163]
	v_mul_f64 v[160:161], v[144:145], v[148:149]
	v_fma_f64 v[164:165], v[148:149], v[144:145], -v[160:161]
	v_fmac_f64_e32 v[164:165], v[148:149], v[134:135]
	v_add_f64 v[166:167], v[160:161], v[164:165]
	v_add_f64 v[176:177], v[150:151], -v[166:167]
	v_add_f64 v[150:151], v[150:151], -v[176:177]
	;; [unrolled: 1-line block ×4, first 2 shown]
	v_add_f64 v[146:147], v[146:147], v[150:151]
	v_add_f64 v[150:151], v[160:161], -v[164:165]
	v_add_f64 v[146:147], v[150:151], v[146:147]
	v_add_f64 v[150:151], v[176:177], v[146:147]
	v_add_f64 v[160:161], v[176:177], -v[150:151]
	v_add_f64 v[146:147], v[146:147], v[160:161]
	v_mul_f64 v[160:161], v[162:163], v[150:151]
	v_mul_f64 v[164:165], v[144:145], v[160:161]
	v_fma_f64 v[144:145], v[160:161], v[144:145], -v[164:165]
	v_fmac_f64_e32 v[144:145], v[160:161], v[134:135]
	v_add_f64 v[134:135], v[164:165], v[144:145]
	v_add_f64 v[166:167], v[150:151], -v[134:135]
	v_add_f64 v[150:151], v[150:151], -v[166:167]
	;; [unrolled: 1-line block ×4, first 2 shown]
	v_add_f64 v[134:135], v[146:147], v[134:135]
	v_add_f64 v[144:145], v[164:165], -v[144:145]
	v_add_f64 v[134:135], v[144:145], v[134:135]
	v_add_f64 v[144:145], v[148:149], v[160:161]
	;; [unrolled: 1-line block ×3, first 2 shown]
	v_add_f64 v[146:147], v[144:145], -v[148:149]
	v_mul_f64 v[134:135], v[162:163], v[134:135]
	v_add_f64 v[146:147], v[160:161], -v[146:147]
	v_add_f64 v[134:135], v[146:147], v[134:135]
	v_add_f64 v[146:147], v[144:145], v[134:135]
	v_add_f64 v[144:145], v[146:147], -v[144:145]
	s_mov_b32 s34, 0xbf559e2b
	v_add_f64 v[134:135], v[134:135], -v[144:145]
	v_mul_f64 v[144:145], v[146:147], v[146:147]
	v_mov_b32_e32 v148, 0x6b47b09a
	v_mov_b32_e32 v149, 0x3fc38538
	s_mov_b32 s35, 0x3fc3ab76
	v_fmac_f64_e32 v[148:149], s[34:35], v[144:145]
	v_mov_b32_e32 v150, 0xd7f4df2e
	v_mov_b32_e32 v151, 0x3fc7474d
	v_fmac_f64_e32 v[150:151], v[144:145], v[148:149]
	v_mov_b32_e32 v148, 0x16291751
	v_mov_b32_e32 v149, 0x3fcc71c0
	;; [unrolled: 3-line block ×5, first 2 shown]
	v_fmac_f64_e32 v[150:151], v[144:145], v[148:149]
	v_cvt_f64_i32_e32 v[148:149], v71
	v_mul_f64 v[160:161], v[148:149], s[40:41]
	v_fma_f64 v[162:163], v[148:149], s[40:41], -v[160:161]
	v_fmac_f64_e32 v[162:163], s[44:45], v[148:149]
	v_add_f64 v[148:149], v[160:161], v[162:163]
	v_add_f64 v[160:161], v[148:149], -v[160:161]
	v_mul_f64 v[144:145], v[146:147], v[144:145]
	v_add_f64 v[160:161], v[162:163], -v[160:161]
	v_ldexp_f64 v[162:163], v[146:147], 1
	v_mul_f64 v[144:145], v[144:145], v[150:151]
	v_add_f64 v[146:147], v[162:163], v[144:145]
	v_add_f64 v[150:151], v[146:147], -v[162:163]
	v_ldexp_f64 v[134:135], v[134:135], 1
	v_add_f64 v[144:145], v[144:145], -v[150:151]
	v_add_f64 v[134:135], v[134:135], v[144:145]
	v_add_f64 v[144:145], v[146:147], v[134:135]
	v_add_f64 v[146:147], v[144:145], -v[146:147]
	v_add_f64 v[134:135], v[134:135], -v[146:147]
	v_add_f64 v[146:147], v[148:149], v[144:145]
	v_add_f64 v[150:151], v[146:147], -v[148:149]
	v_add_f64 v[162:163], v[146:147], -v[150:151]
	;; [unrolled: 1-line block ×4, first 2 shown]
	v_add_f64 v[144:145], v[144:145], v[148:149]
	v_add_f64 v[148:149], v[160:161], v[134:135]
	v_add_f64 v[150:151], v[148:149], -v[160:161]
	v_add_f64 v[144:145], v[148:149], v[144:145]
	v_add_f64 v[162:163], v[148:149], -v[150:151]
	;; [unrolled: 2-line block ×3, first 2 shown]
	v_add_f64 v[134:135], v[134:135], -v[150:151]
	v_add_f64 v[146:147], v[148:149], -v[146:147]
	v_add_f64 v[134:135], v[134:135], v[160:161]
	v_add_f64 v[144:145], v[144:145], -v[146:147]
	s_mov_b32 s34, 0
	v_add_f64 v[134:135], v[134:135], v[144:145]
	s_mov_b32 s35, 0x7ff00000
	v_add_f64 v[134:135], v[148:149], v[134:135]
	v_cmp_eq_f64_e64 s[34:35], s[34:35], v[6:7]
	s_nop 1
	v_cndmask_b32_e64 v71, v134, v6, s[34:35]
	v_cndmask_b32_e64 v134, v135, v7, s[34:35]
	v_mov_b32_e32 v135, 0x7ff80000
	v_cmp_ngt_f64_e64 s[34:35], -1.0, v[6:7]
	s_nop 1
	v_cndmask_b32_e64 v135, v135, v134, s[34:35]
	v_cmp_nge_f64_e64 s[34:35], -1.0, v[6:7]
	s_nop 1
	v_cndmask_b32_e64 v134, 0, v71, s[34:35]
	v_mov_b32_e32 v71, 0xfff00000
	v_cmp_neq_f64_e64 s[34:35], -1.0, v[6:7]
	s_nop 1
	v_cndmask_b32_e64 v135, v71, v135, s[34:35]
	v_add_f64 v[6:7], v[4:5], v[134:135]
.LBB2_325:
	s_or_b64 exec, exec, s[38:39]
	ds_read_b64 v[4:5], v53 offset:16
	v_max_f64 v[144:145], v[6:7], v[6:7]
	v_cmp_u_f64_e64 s[34:35], v[6:7], v[6:7]
	s_movk_i32 s48, 0x1f8
	ds_write_b64 v53, v[6:7] offset:8
	s_waitcnt lgkmcnt(1)
	v_max_f64 v[146:147], v[4:5], v[4:5]
	v_min_f64 v[134:135], v[144:145], v[146:147]
	v_cndmask_b32_e64 v71, v134, v6, s[34:35]
	v_cndmask_b32_e64 v134, v135, v7, s[34:35]
	v_cmp_u_f64_e64 s[36:37], v[4:5], v[4:5]
	v_max_f64 v[144:145], v[144:145], v[146:147]
	s_nop 0
	v_cndmask_b32_e64 v135, v134, v5, s[36:37]
	v_cndmask_b32_e64 v134, v71, v4, s[36:37]
	;; [unrolled: 1-line block ×6, first 2 shown]
	v_cmp_neq_f64_e64 s[34:35], v[134:135], v[4:5]
	v_cmp_class_f64_e64 s[36:37], v[134:135], s48
	s_or_b64 s[34:35], s[34:35], s[36:37]
	s_and_saveexec_b64 s[38:39], s[34:35]
	s_cbranch_execz .LBB2_327
; %bb.326:
	s_mov_b32 s34, 0x652b82fe
	v_add_f64 v[6:7], v[134:135], -v[4:5]
	s_mov_b32 s35, 0x3ff71547
	v_mul_f64 v[134:135], v[6:7], s[34:35]
	v_rndne_f64_e32 v[134:135], v[134:135]
	s_mov_b32 s41, 0xbfe62e42
	s_mov_b32 s40, 0xfefa39ef
	v_fma_f64 v[144:145], s[40:41], v[134:135], v[6:7]
	s_mov_b32 s45, 0xbc7abc9e
	s_mov_b32 s44, 0x3b39803f
	;; [unrolled: 1-line block ×3, first 2 shown]
	v_fmac_f64_e32 v[144:145], s[44:45], v[134:135]
	v_mov_b32_e32 v146, 0xfca7ab0c
	v_mov_b32_e32 v147, 0x3e928af3
	s_mov_b32 s35, 0x3e5ade15
	v_fmac_f64_e32 v[146:147], s[34:35], v[144:145]
	v_mov_b32_e32 v148, 0x623fde64
	v_mov_b32_e32 v149, 0x3ec71dee
	v_fmac_f64_e32 v[148:149], v[144:145], v[146:147]
	v_mov_b32_e32 v146, 0x7c89e6b0
	v_mov_b32_e32 v147, 0x3efa0199
	;; [unrolled: 3-line block ×8, first 2 shown]
	v_fmac_f64_e32 v[146:147], v[144:145], v[148:149]
	v_fma_f64 v[146:147], v[144:145], v[146:147], 1.0
	s_mov_b32 s34, 0
	s_mov_b32 s36, 0
	v_fma_f64 v[144:145], v[144:145], v[146:147], 1.0
	v_cvt_i32_f64_e32 v71, v[134:135]
	s_mov_b32 s35, 0x40900000
	s_mov_b32 s37, 0xc090cc00
	v_ldexp_f64 v[134:135], v[144:145], v71
	v_mov_b32_e32 v71, 0x7ff00000
	v_cmp_nlt_f64_e64 s[34:35], s[34:35], v[6:7]
	v_cmp_ngt_f64_e64 s[36:37], s[36:37], v[6:7]
	s_mov_b32 s41, 0x3fe62e42
	v_cndmask_b32_e64 v71, v71, v135, s[34:35]
	s_and_b64 s[34:35], s[36:37], s[34:35]
	v_cndmask_b32_e64 v7, 0, v71, s[36:37]
	v_cndmask_b32_e64 v6, 0, v134, s[34:35]
	v_add_f64 v[134:135], v[6:7], 1.0
	v_add_f64 v[144:145], v[134:135], -1.0
	v_add_f64 v[146:147], v[144:145], -v[134:135]
	v_add_f64 v[146:147], v[146:147], 1.0
	v_add_f64 v[144:145], v[6:7], -v[144:145]
	s_mov_b32 s34, 0x55555555
	v_add_f64 v[144:145], v[144:145], v[146:147]
	v_frexp_mant_f64_e32 v[146:147], v[134:135]
	s_mov_b32 s35, 0x3fe55555
	v_frexp_exp_i32_f64_e32 v71, v[134:135]
	v_cmp_gt_f64_e64 s[34:35], s[34:35], v[146:147]
	s_mov_b32 s45, 0x3c7abc9e
	s_nop 0
	v_subbrev_co_u32_e64 v71, s[34:35], 0, v71, s[34:35]
	v_sub_u32_e32 v146, 0, v71
	v_ldexp_f64 v[134:135], v[134:135], v146
	v_ldexp_f64 v[144:145], v[144:145], v146
	v_add_f64 v[146:147], v[134:135], -1.0
	v_add_f64 v[160:161], v[134:135], 1.0
	v_add_f64 v[148:149], v[146:147], 1.0
	v_add_f64 v[162:163], v[160:161], -1.0
	v_add_f64 v[148:149], v[134:135], -v[148:149]
	v_add_f64 v[134:135], v[134:135], -v[162:163]
	v_add_f64 v[134:135], v[144:145], v[134:135]
	v_add_f64 v[148:149], v[144:145], v[148:149]
	;; [unrolled: 1-line block ×3, first 2 shown]
	v_rcp_f64_e32 v[162:163], v[144:145]
	v_add_f64 v[150:151], v[146:147], v[148:149]
	v_add_f64 v[146:147], v[150:151], -v[146:147]
	v_add_f64 v[146:147], v[148:149], -v[146:147]
	;; [unrolled: 1-line block ×4, first 2 shown]
	v_fma_f64 v[148:149], -v[144:145], v[162:163], 1.0
	v_fmac_f64_e32 v[162:163], v[148:149], v[162:163]
	v_fma_f64 v[148:149], -v[144:145], v[162:163], 1.0
	v_fmac_f64_e32 v[162:163], v[148:149], v[162:163]
	v_mul_f64 v[148:149], v[150:151], v[162:163]
	v_mul_f64 v[160:161], v[144:145], v[148:149]
	v_fma_f64 v[164:165], v[148:149], v[144:145], -v[160:161]
	v_fmac_f64_e32 v[164:165], v[148:149], v[134:135]
	v_add_f64 v[166:167], v[160:161], v[164:165]
	v_add_f64 v[176:177], v[150:151], -v[166:167]
	v_add_f64 v[150:151], v[150:151], -v[176:177]
	v_add_f64 v[160:161], v[166:167], -v[160:161]
	v_add_f64 v[150:151], v[150:151], -v[166:167]
	v_add_f64 v[146:147], v[146:147], v[150:151]
	v_add_f64 v[150:151], v[160:161], -v[164:165]
	v_add_f64 v[146:147], v[150:151], v[146:147]
	v_add_f64 v[150:151], v[176:177], v[146:147]
	v_add_f64 v[160:161], v[176:177], -v[150:151]
	v_add_f64 v[146:147], v[146:147], v[160:161]
	v_mul_f64 v[160:161], v[162:163], v[150:151]
	v_mul_f64 v[164:165], v[144:145], v[160:161]
	v_fma_f64 v[144:145], v[160:161], v[144:145], -v[164:165]
	v_fmac_f64_e32 v[144:145], v[160:161], v[134:135]
	v_add_f64 v[134:135], v[164:165], v[144:145]
	v_add_f64 v[166:167], v[150:151], -v[134:135]
	v_add_f64 v[150:151], v[150:151], -v[166:167]
	;; [unrolled: 1-line block ×4, first 2 shown]
	v_add_f64 v[134:135], v[146:147], v[134:135]
	v_add_f64 v[144:145], v[164:165], -v[144:145]
	v_add_f64 v[134:135], v[144:145], v[134:135]
	v_add_f64 v[144:145], v[148:149], v[160:161]
	;; [unrolled: 1-line block ×3, first 2 shown]
	v_add_f64 v[146:147], v[144:145], -v[148:149]
	v_mul_f64 v[134:135], v[162:163], v[134:135]
	v_add_f64 v[146:147], v[160:161], -v[146:147]
	v_add_f64 v[134:135], v[146:147], v[134:135]
	v_add_f64 v[146:147], v[144:145], v[134:135]
	v_add_f64 v[144:145], v[146:147], -v[144:145]
	s_mov_b32 s34, 0xbf559e2b
	v_add_f64 v[134:135], v[134:135], -v[144:145]
	v_mul_f64 v[144:145], v[146:147], v[146:147]
	v_mov_b32_e32 v148, 0x6b47b09a
	v_mov_b32_e32 v149, 0x3fc38538
	s_mov_b32 s35, 0x3fc3ab76
	v_fmac_f64_e32 v[148:149], s[34:35], v[144:145]
	v_mov_b32_e32 v150, 0xd7f4df2e
	v_mov_b32_e32 v151, 0x3fc7474d
	v_fmac_f64_e32 v[150:151], v[144:145], v[148:149]
	v_mov_b32_e32 v148, 0x16291751
	v_mov_b32_e32 v149, 0x3fcc71c0
	;; [unrolled: 3-line block ×5, first 2 shown]
	v_fmac_f64_e32 v[150:151], v[144:145], v[148:149]
	v_cvt_f64_i32_e32 v[148:149], v71
	v_mul_f64 v[160:161], v[148:149], s[40:41]
	v_fma_f64 v[162:163], v[148:149], s[40:41], -v[160:161]
	v_fmac_f64_e32 v[162:163], s[44:45], v[148:149]
	v_add_f64 v[148:149], v[160:161], v[162:163]
	v_add_f64 v[160:161], v[148:149], -v[160:161]
	v_mul_f64 v[144:145], v[146:147], v[144:145]
	v_add_f64 v[160:161], v[162:163], -v[160:161]
	v_ldexp_f64 v[162:163], v[146:147], 1
	v_mul_f64 v[144:145], v[144:145], v[150:151]
	v_add_f64 v[146:147], v[162:163], v[144:145]
	v_add_f64 v[150:151], v[146:147], -v[162:163]
	v_ldexp_f64 v[134:135], v[134:135], 1
	v_add_f64 v[144:145], v[144:145], -v[150:151]
	v_add_f64 v[134:135], v[134:135], v[144:145]
	v_add_f64 v[144:145], v[146:147], v[134:135]
	v_add_f64 v[146:147], v[144:145], -v[146:147]
	v_add_f64 v[134:135], v[134:135], -v[146:147]
	v_add_f64 v[146:147], v[148:149], v[144:145]
	v_add_f64 v[150:151], v[146:147], -v[148:149]
	v_add_f64 v[162:163], v[146:147], -v[150:151]
	;; [unrolled: 1-line block ×4, first 2 shown]
	v_add_f64 v[144:145], v[144:145], v[148:149]
	v_add_f64 v[148:149], v[160:161], v[134:135]
	v_add_f64 v[150:151], v[148:149], -v[160:161]
	v_add_f64 v[144:145], v[148:149], v[144:145]
	v_add_f64 v[162:163], v[148:149], -v[150:151]
	;; [unrolled: 2-line block ×3, first 2 shown]
	v_add_f64 v[134:135], v[134:135], -v[150:151]
	v_add_f64 v[146:147], v[148:149], -v[146:147]
	v_add_f64 v[134:135], v[134:135], v[160:161]
	v_add_f64 v[144:145], v[144:145], -v[146:147]
	s_mov_b32 s34, 0
	v_add_f64 v[134:135], v[134:135], v[144:145]
	s_mov_b32 s35, 0x7ff00000
	v_add_f64 v[134:135], v[148:149], v[134:135]
	v_cmp_eq_f64_e64 s[34:35], s[34:35], v[6:7]
	s_nop 1
	v_cndmask_b32_e64 v71, v134, v6, s[34:35]
	v_cndmask_b32_e64 v134, v135, v7, s[34:35]
	v_mov_b32_e32 v135, 0x7ff80000
	v_cmp_ngt_f64_e64 s[34:35], -1.0, v[6:7]
	s_nop 1
	v_cndmask_b32_e64 v135, v135, v134, s[34:35]
	v_cmp_nge_f64_e64 s[34:35], -1.0, v[6:7]
	s_nop 1
	v_cndmask_b32_e64 v134, 0, v71, s[34:35]
	v_mov_b32_e32 v71, 0xfff00000
	v_cmp_neq_f64_e64 s[34:35], -1.0, v[6:7]
	s_nop 1
	v_cndmask_b32_e64 v135, v71, v135, s[34:35]
	v_add_f64 v[6:7], v[4:5], v[134:135]
.LBB2_327:
	s_or_b64 exec, exec, s[38:39]
	ds_read_b64 v[4:5], v53 offset:24
	v_max_f64 v[144:145], v[6:7], v[6:7]
	v_cmp_u_f64_e64 s[34:35], v[6:7], v[6:7]
	ds_write_b64 v53, v[6:7] offset:16
	s_waitcnt lgkmcnt(1)
	v_max_f64 v[146:147], v[4:5], v[4:5]
	v_min_f64 v[134:135], v[144:145], v[146:147]
	v_cndmask_b32_e64 v71, v134, v6, s[34:35]
	v_cndmask_b32_e64 v134, v135, v7, s[34:35]
	v_cmp_u_f64_e64 s[36:37], v[4:5], v[4:5]
	v_max_f64 v[144:145], v[144:145], v[146:147]
	s_nop 0
	v_cndmask_b32_e64 v135, v134, v5, s[36:37]
	v_cndmask_b32_e64 v134, v71, v4, s[36:37]
	v_cndmask_b32_e64 v71, v144, v6, s[34:35]
	v_cndmask_b32_e64 v144, v145, v7, s[34:35]
	v_cndmask_b32_e64 v5, v144, v5, s[36:37]
	v_cndmask_b32_e64 v4, v71, v4, s[36:37]
	v_cmp_neq_f64_e64 s[34:35], v[134:135], v[4:5]
	v_cmp_class_f64_e64 s[36:37], v[134:135], s48
	s_or_b64 s[34:35], s[34:35], s[36:37]
	s_and_saveexec_b64 s[38:39], s[34:35]
	s_cbranch_execz .LBB2_329
; %bb.328:
	s_mov_b32 s34, 0x652b82fe
	v_add_f64 v[6:7], v[134:135], -v[4:5]
	s_mov_b32 s35, 0x3ff71547
	v_mul_f64 v[134:135], v[6:7], s[34:35]
	v_rndne_f64_e32 v[134:135], v[134:135]
	s_mov_b32 s41, 0xbfe62e42
	s_mov_b32 s40, 0xfefa39ef
	v_fma_f64 v[144:145], s[40:41], v[134:135], v[6:7]
	s_mov_b32 s45, 0xbc7abc9e
	s_mov_b32 s44, 0x3b39803f
	;; [unrolled: 1-line block ×3, first 2 shown]
	v_fmac_f64_e32 v[144:145], s[44:45], v[134:135]
	v_mov_b32_e32 v146, 0xfca7ab0c
	v_mov_b32_e32 v147, 0x3e928af3
	s_mov_b32 s35, 0x3e5ade15
	v_fmac_f64_e32 v[146:147], s[34:35], v[144:145]
	v_mov_b32_e32 v148, 0x623fde64
	v_mov_b32_e32 v149, 0x3ec71dee
	v_fmac_f64_e32 v[148:149], v[144:145], v[146:147]
	v_mov_b32_e32 v146, 0x7c89e6b0
	v_mov_b32_e32 v147, 0x3efa0199
	v_fmac_f64_e32 v[146:147], v[144:145], v[148:149]
	v_mov_b32_e32 v148, 0x14761f6e
	v_mov_b32_e32 v149, 0x3f2a01a0
	v_fmac_f64_e32 v[148:149], v[144:145], v[146:147]
	v_mov_b32_e32 v146, 0x1852b7b0
	v_mov_b32_e32 v147, 0x3f56c16c
	v_fmac_f64_e32 v[146:147], v[144:145], v[148:149]
	v_mov_b32_e32 v148, 0x11122322
	v_mov_b32_e32 v149, 0x3f811111
	v_fmac_f64_e32 v[148:149], v[144:145], v[146:147]
	v_mov_b32_e32 v146, 0x555502a1
	v_mov_b32_e32 v147, 0x3fa55555
	v_fmac_f64_e32 v[146:147], v[144:145], v[148:149]
	v_mov_b32_e32 v148, 0x55555511
	v_mov_b32_e32 v149, 0x3fc55555
	v_fmac_f64_e32 v[148:149], v[144:145], v[146:147]
	v_mov_b32_e32 v146, 11
	v_mov_b32_e32 v147, 0x3fe00000
	v_fmac_f64_e32 v[146:147], v[144:145], v[148:149]
	v_fma_f64 v[146:147], v[144:145], v[146:147], 1.0
	s_mov_b32 s34, 0
	s_mov_b32 s36, 0
	v_fma_f64 v[144:145], v[144:145], v[146:147], 1.0
	v_cvt_i32_f64_e32 v71, v[134:135]
	s_mov_b32 s35, 0x40900000
	s_mov_b32 s37, 0xc090cc00
	v_ldexp_f64 v[134:135], v[144:145], v71
	v_mov_b32_e32 v71, 0x7ff00000
	v_cmp_nlt_f64_e64 s[34:35], s[34:35], v[6:7]
	v_cmp_ngt_f64_e64 s[36:37], s[36:37], v[6:7]
	s_mov_b32 s41, 0x3fe62e42
	v_cndmask_b32_e64 v71, v71, v135, s[34:35]
	s_and_b64 s[34:35], s[36:37], s[34:35]
	v_cndmask_b32_e64 v7, 0, v71, s[36:37]
	v_cndmask_b32_e64 v6, 0, v134, s[34:35]
	v_add_f64 v[134:135], v[6:7], 1.0
	v_add_f64 v[144:145], v[134:135], -1.0
	v_add_f64 v[146:147], v[144:145], -v[134:135]
	v_add_f64 v[146:147], v[146:147], 1.0
	v_add_f64 v[144:145], v[6:7], -v[144:145]
	s_mov_b32 s34, 0x55555555
	v_add_f64 v[144:145], v[144:145], v[146:147]
	v_frexp_mant_f64_e32 v[146:147], v[134:135]
	s_mov_b32 s35, 0x3fe55555
	v_frexp_exp_i32_f64_e32 v71, v[134:135]
	v_cmp_gt_f64_e64 s[34:35], s[34:35], v[146:147]
	s_mov_b32 s45, 0x3c7abc9e
	s_nop 0
	v_subbrev_co_u32_e64 v71, s[34:35], 0, v71, s[34:35]
	v_sub_u32_e32 v146, 0, v71
	v_ldexp_f64 v[134:135], v[134:135], v146
	v_ldexp_f64 v[144:145], v[144:145], v146
	v_add_f64 v[146:147], v[134:135], -1.0
	v_add_f64 v[160:161], v[134:135], 1.0
	v_add_f64 v[148:149], v[146:147], 1.0
	v_add_f64 v[162:163], v[160:161], -1.0
	v_add_f64 v[148:149], v[134:135], -v[148:149]
	v_add_f64 v[134:135], v[134:135], -v[162:163]
	v_add_f64 v[134:135], v[144:145], v[134:135]
	v_add_f64 v[148:149], v[144:145], v[148:149]
	;; [unrolled: 1-line block ×3, first 2 shown]
	v_rcp_f64_e32 v[162:163], v[144:145]
	v_add_f64 v[150:151], v[146:147], v[148:149]
	v_add_f64 v[146:147], v[150:151], -v[146:147]
	v_add_f64 v[146:147], v[148:149], -v[146:147]
	v_add_f64 v[148:149], v[144:145], -v[160:161]
	v_add_f64 v[134:135], v[134:135], -v[148:149]
	v_fma_f64 v[148:149], -v[144:145], v[162:163], 1.0
	v_fmac_f64_e32 v[162:163], v[148:149], v[162:163]
	v_fma_f64 v[148:149], -v[144:145], v[162:163], 1.0
	v_fmac_f64_e32 v[162:163], v[148:149], v[162:163]
	v_mul_f64 v[148:149], v[150:151], v[162:163]
	v_mul_f64 v[160:161], v[144:145], v[148:149]
	v_fma_f64 v[164:165], v[148:149], v[144:145], -v[160:161]
	v_fmac_f64_e32 v[164:165], v[148:149], v[134:135]
	v_add_f64 v[166:167], v[160:161], v[164:165]
	v_add_f64 v[176:177], v[150:151], -v[166:167]
	v_add_f64 v[150:151], v[150:151], -v[176:177]
	;; [unrolled: 1-line block ×4, first 2 shown]
	v_add_f64 v[146:147], v[146:147], v[150:151]
	v_add_f64 v[150:151], v[160:161], -v[164:165]
	v_add_f64 v[146:147], v[150:151], v[146:147]
	v_add_f64 v[150:151], v[176:177], v[146:147]
	v_add_f64 v[160:161], v[176:177], -v[150:151]
	v_add_f64 v[146:147], v[146:147], v[160:161]
	v_mul_f64 v[160:161], v[162:163], v[150:151]
	v_mul_f64 v[164:165], v[144:145], v[160:161]
	v_fma_f64 v[144:145], v[160:161], v[144:145], -v[164:165]
	v_fmac_f64_e32 v[144:145], v[160:161], v[134:135]
	v_add_f64 v[134:135], v[164:165], v[144:145]
	v_add_f64 v[166:167], v[150:151], -v[134:135]
	v_add_f64 v[150:151], v[150:151], -v[166:167]
	v_add_f64 v[164:165], v[134:135], -v[164:165]
	v_add_f64 v[134:135], v[150:151], -v[134:135]
	v_add_f64 v[134:135], v[146:147], v[134:135]
	v_add_f64 v[144:145], v[164:165], -v[144:145]
	v_add_f64 v[134:135], v[144:145], v[134:135]
	v_add_f64 v[144:145], v[148:149], v[160:161]
	;; [unrolled: 1-line block ×3, first 2 shown]
	v_add_f64 v[146:147], v[144:145], -v[148:149]
	v_mul_f64 v[134:135], v[162:163], v[134:135]
	v_add_f64 v[146:147], v[160:161], -v[146:147]
	v_add_f64 v[134:135], v[146:147], v[134:135]
	v_add_f64 v[146:147], v[144:145], v[134:135]
	v_add_f64 v[144:145], v[146:147], -v[144:145]
	s_mov_b32 s34, 0xbf559e2b
	v_add_f64 v[134:135], v[134:135], -v[144:145]
	v_mul_f64 v[144:145], v[146:147], v[146:147]
	v_mov_b32_e32 v148, 0x6b47b09a
	v_mov_b32_e32 v149, 0x3fc38538
	s_mov_b32 s35, 0x3fc3ab76
	v_fmac_f64_e32 v[148:149], s[34:35], v[144:145]
	v_mov_b32_e32 v150, 0xd7f4df2e
	v_mov_b32_e32 v151, 0x3fc7474d
	v_fmac_f64_e32 v[150:151], v[144:145], v[148:149]
	v_mov_b32_e32 v148, 0x16291751
	v_mov_b32_e32 v149, 0x3fcc71c0
	;; [unrolled: 3-line block ×5, first 2 shown]
	v_fmac_f64_e32 v[150:151], v[144:145], v[148:149]
	v_cvt_f64_i32_e32 v[148:149], v71
	v_mul_f64 v[160:161], v[148:149], s[40:41]
	v_fma_f64 v[162:163], v[148:149], s[40:41], -v[160:161]
	v_fmac_f64_e32 v[162:163], s[44:45], v[148:149]
	v_add_f64 v[148:149], v[160:161], v[162:163]
	v_add_f64 v[160:161], v[148:149], -v[160:161]
	v_mul_f64 v[144:145], v[146:147], v[144:145]
	v_add_f64 v[160:161], v[162:163], -v[160:161]
	v_ldexp_f64 v[162:163], v[146:147], 1
	v_mul_f64 v[144:145], v[144:145], v[150:151]
	v_add_f64 v[146:147], v[162:163], v[144:145]
	v_add_f64 v[150:151], v[146:147], -v[162:163]
	v_ldexp_f64 v[134:135], v[134:135], 1
	v_add_f64 v[144:145], v[144:145], -v[150:151]
	v_add_f64 v[134:135], v[134:135], v[144:145]
	v_add_f64 v[144:145], v[146:147], v[134:135]
	v_add_f64 v[146:147], v[144:145], -v[146:147]
	v_add_f64 v[134:135], v[134:135], -v[146:147]
	v_add_f64 v[146:147], v[148:149], v[144:145]
	v_add_f64 v[150:151], v[146:147], -v[148:149]
	v_add_f64 v[162:163], v[146:147], -v[150:151]
	;; [unrolled: 1-line block ×4, first 2 shown]
	v_add_f64 v[144:145], v[144:145], v[148:149]
	v_add_f64 v[148:149], v[160:161], v[134:135]
	v_add_f64 v[150:151], v[148:149], -v[160:161]
	v_add_f64 v[144:145], v[148:149], v[144:145]
	v_add_f64 v[162:163], v[148:149], -v[150:151]
	;; [unrolled: 2-line block ×3, first 2 shown]
	v_add_f64 v[134:135], v[134:135], -v[150:151]
	v_add_f64 v[146:147], v[148:149], -v[146:147]
	v_add_f64 v[134:135], v[134:135], v[160:161]
	v_add_f64 v[144:145], v[144:145], -v[146:147]
	s_mov_b32 s34, 0
	v_add_f64 v[134:135], v[134:135], v[144:145]
	s_mov_b32 s35, 0x7ff00000
	v_add_f64 v[134:135], v[148:149], v[134:135]
	v_cmp_eq_f64_e64 s[34:35], s[34:35], v[6:7]
	s_nop 1
	v_cndmask_b32_e64 v71, v134, v6, s[34:35]
	v_cndmask_b32_e64 v134, v135, v7, s[34:35]
	v_mov_b32_e32 v135, 0x7ff80000
	v_cmp_ngt_f64_e64 s[34:35], -1.0, v[6:7]
	s_nop 1
	v_cndmask_b32_e64 v135, v135, v134, s[34:35]
	v_cmp_nge_f64_e64 s[34:35], -1.0, v[6:7]
	s_nop 1
	v_cndmask_b32_e64 v134, 0, v71, s[34:35]
	v_mov_b32_e32 v71, 0xfff00000
	v_cmp_neq_f64_e64 s[34:35], -1.0, v[6:7]
	s_nop 1
	v_cndmask_b32_e64 v135, v71, v135, s[34:35]
	v_add_f64 v[6:7], v[4:5], v[134:135]
.LBB2_329:
	s_or_b64 exec, exec, s[38:39]
	ds_write_b64 v53, v[6:7] offset:24
.LBB2_330:
	s_or_b64 exec, exec, s[42:43]
	s_waitcnt lgkmcnt(0)
	s_barrier
	s_and_saveexec_b64 s[34:35], vcc
	s_cbranch_execz .LBB2_332
; %bb.331:
	v_add_u32_e32 v4, -1, v70
	v_lshrrev_b32_e32 v5, 5, v4
	v_add_lshl_u32 v4, v5, v4, 3
	ds_read_b64 v[132:133], v4
.LBB2_332:
	s_or_b64 exec, exec, s[34:35]
	s_and_saveexec_b64 s[34:35], vcc
	s_cbranch_execz .LBB2_336
; %bb.333:
	s_waitcnt lgkmcnt(0)
	v_max_f64 v[6:7], v[132:133], v[132:133]
	v_min_f64 v[4:5], v[6:7], v[34:35]
	v_cmp_u_f64_e32 vcc, v[132:133], v[132:133]
	v_max_f64 v[6:7], v[6:7], v[34:35]
	s_nop 0
	v_cndmask_b32_e32 v4, v4, v132, vcc
	v_cndmask_b32_e32 v5, v5, v133, vcc
	;; [unrolled: 1-line block ×4, first 2 shown]
	v_cndmask_b32_e64 v5, v5, v1, s[30:31]
	v_cndmask_b32_e64 v4, v4, v0, s[30:31]
	;; [unrolled: 1-line block ×4, first 2 shown]
	s_movk_i32 s30, 0x1f8
	v_cmp_neq_f64_e32 vcc, v[4:5], v[0:1]
	v_cmp_class_f64_e64 s[30:31], v[4:5], s30
	s_or_b64 vcc, vcc, s[30:31]
	s_and_saveexec_b64 s[36:37], vcc
	s_cbranch_execz .LBB2_335
; %bb.334:
	s_mov_b32 vcc_lo, 0x652b82fe
	v_add_f64 v[4:5], v[4:5], -v[0:1]
	s_mov_b32 vcc_hi, 0x3ff71547
	v_mul_f64 v[6:7], v[4:5], vcc
	v_rndne_f64_e32 v[6:7], v[6:7]
	s_mov_b32 s39, 0xbfe62e42
	s_mov_b32 s38, 0xfefa39ef
	v_fma_f64 v[34:35], s[38:39], v[6:7], v[4:5]
	s_mov_b32 s41, 0xbc7abc9e
	s_mov_b32 s40, 0x3b39803f
	s_mov_b32 vcc_lo, 0x6a5dcb37
	v_fmac_f64_e32 v[34:35], s[40:41], v[6:7]
	v_mov_b32_e32 v36, 0xfca7ab0c
	v_mov_b32_e32 v37, 0x3e928af3
	s_mov_b32 vcc_hi, 0x3e5ade15
	v_fmac_f64_e32 v[36:37], vcc, v[34:35]
	v_mov_b32_e32 v48, 0x623fde64
	v_mov_b32_e32 v49, 0x3ec71dee
	v_fmac_f64_e32 v[48:49], v[34:35], v[36:37]
	v_mov_b32_e32 v36, 0x7c89e6b0
	v_mov_b32_e32 v37, 0x3efa0199
	v_fmac_f64_e32 v[36:37], v[34:35], v[48:49]
	;; [unrolled: 3-line block ×8, first 2 shown]
	v_fma_f64 v[36:37], v[34:35], v[36:37], 1.0
	s_mov_b32 vcc_lo, 0
	s_mov_b32 s30, 0
	v_fma_f64 v[34:35], v[34:35], v[36:37], 1.0
	v_cvt_i32_f64_e32 v6, v[6:7]
	s_mov_b32 vcc_hi, 0x40900000
	s_mov_b32 s31, 0xc090cc00
	v_ldexp_f64 v[6:7], v[34:35], v6
	v_mov_b32_e32 v34, 0x7ff00000
	v_cmp_nlt_f64_e32 vcc, vcc, v[4:5]
	v_cmp_ngt_f64_e64 s[30:31], s[30:31], v[4:5]
	s_mov_b32 s39, 0x3fe62e42
	v_cndmask_b32_e32 v7, v34, v7, vcc
	s_and_b64 vcc, s[30:31], vcc
	v_cndmask_b32_e64 v5, 0, v7, s[30:31]
	v_cndmask_b32_e32 v4, 0, v6, vcc
	v_add_f64 v[6:7], v[4:5], 1.0
	v_add_f64 v[34:35], v[6:7], -1.0
	v_add_f64 v[36:37], v[34:35], -v[6:7]
	v_add_f64 v[36:37], v[36:37], 1.0
	v_add_f64 v[34:35], v[4:5], -v[34:35]
	s_mov_b32 vcc_lo, 0x55555555
	v_add_f64 v[34:35], v[34:35], v[36:37]
	v_frexp_mant_f64_e32 v[36:37], v[6:7]
	s_mov_b32 vcc_hi, 0x3fe55555
	v_frexp_exp_i32_f64_e32 v48, v[6:7]
	v_cmp_gt_f64_e32 vcc, vcc, v[36:37]
	s_mov_b32 s41, 0x3c7abc9e
	s_nop 0
	v_subbrev_co_u32_e32 v53, vcc, 0, v48, vcc
	v_sub_u32_e32 v36, 0, v53
	v_ldexp_f64 v[6:7], v[6:7], v36
	v_ldexp_f64 v[34:35], v[34:35], v36
	v_add_f64 v[36:37], v[6:7], -1.0
	v_add_f64 v[134:135], v[6:7], 1.0
	v_add_f64 v[48:49], v[36:37], 1.0
	v_add_f64 v[144:145], v[134:135], -1.0
	v_add_f64 v[48:49], v[6:7], -v[48:49]
	v_add_f64 v[6:7], v[6:7], -v[144:145]
	v_add_f64 v[6:7], v[34:35], v[6:7]
	v_add_f64 v[48:49], v[34:35], v[48:49]
	;; [unrolled: 1-line block ×3, first 2 shown]
	v_rcp_f64_e32 v[144:145], v[34:35]
	v_add_f64 v[132:133], v[36:37], v[48:49]
	v_add_f64 v[36:37], v[132:133], -v[36:37]
	v_add_f64 v[36:37], v[48:49], -v[36:37]
	;; [unrolled: 1-line block ×4, first 2 shown]
	v_fma_f64 v[48:49], -v[34:35], v[144:145], 1.0
	v_fmac_f64_e32 v[144:145], v[48:49], v[144:145]
	v_fma_f64 v[48:49], -v[34:35], v[144:145], 1.0
	v_fmac_f64_e32 v[144:145], v[48:49], v[144:145]
	v_mul_f64 v[48:49], v[132:133], v[144:145]
	v_mul_f64 v[134:135], v[34:35], v[48:49]
	v_fma_f64 v[146:147], v[48:49], v[34:35], -v[134:135]
	v_fmac_f64_e32 v[146:147], v[48:49], v[6:7]
	v_add_f64 v[148:149], v[134:135], v[146:147]
	v_add_f64 v[150:151], v[132:133], -v[148:149]
	v_add_f64 v[132:133], v[132:133], -v[150:151]
	;; [unrolled: 1-line block ×4, first 2 shown]
	v_add_f64 v[36:37], v[36:37], v[132:133]
	v_add_f64 v[132:133], v[134:135], -v[146:147]
	v_add_f64 v[36:37], v[132:133], v[36:37]
	v_add_f64 v[132:133], v[150:151], v[36:37]
	v_add_f64 v[134:135], v[150:151], -v[132:133]
	v_add_f64 v[36:37], v[36:37], v[134:135]
	v_mul_f64 v[134:135], v[144:145], v[132:133]
	v_mul_f64 v[146:147], v[34:35], v[134:135]
	v_fma_f64 v[34:35], v[134:135], v[34:35], -v[146:147]
	v_fmac_f64_e32 v[34:35], v[134:135], v[6:7]
	v_add_f64 v[6:7], v[146:147], v[34:35]
	v_add_f64 v[148:149], v[132:133], -v[6:7]
	v_add_f64 v[132:133], v[132:133], -v[148:149]
	;; [unrolled: 1-line block ×4, first 2 shown]
	v_add_f64 v[6:7], v[36:37], v[6:7]
	v_add_f64 v[34:35], v[146:147], -v[34:35]
	v_add_f64 v[6:7], v[34:35], v[6:7]
	v_add_f64 v[34:35], v[48:49], v[134:135]
	;; [unrolled: 1-line block ×3, first 2 shown]
	v_add_f64 v[36:37], v[34:35], -v[48:49]
	v_mul_f64 v[6:7], v[144:145], v[6:7]
	v_add_f64 v[36:37], v[134:135], -v[36:37]
	v_add_f64 v[6:7], v[36:37], v[6:7]
	v_add_f64 v[36:37], v[34:35], v[6:7]
	v_add_f64 v[34:35], v[36:37], -v[34:35]
	s_mov_b32 vcc_lo, 0xbf559e2b
	v_add_f64 v[6:7], v[6:7], -v[34:35]
	v_mul_f64 v[34:35], v[36:37], v[36:37]
	v_mov_b32_e32 v48, 0x6b47b09a
	v_mov_b32_e32 v49, 0x3fc38538
	s_mov_b32 vcc_hi, 0x3fc3ab76
	v_fmac_f64_e32 v[48:49], vcc, v[34:35]
	v_mov_b32_e32 v132, 0xd7f4df2e
	v_mov_b32_e32 v133, 0x3fc7474d
	v_fmac_f64_e32 v[132:133], v[34:35], v[48:49]
	v_mov_b32_e32 v48, 0x16291751
	v_mov_b32_e32 v49, 0x3fcc71c0
	v_fmac_f64_e32 v[48:49], v[34:35], v[132:133]
	;; [unrolled: 3-line block ×5, first 2 shown]
	v_cvt_f64_i32_e32 v[48:49], v53
	v_mul_f64 v[134:135], v[48:49], s[38:39]
	v_fma_f64 v[144:145], v[48:49], s[38:39], -v[134:135]
	v_fmac_f64_e32 v[144:145], s[40:41], v[48:49]
	v_add_f64 v[48:49], v[134:135], v[144:145]
	v_add_f64 v[134:135], v[48:49], -v[134:135]
	v_mul_f64 v[34:35], v[36:37], v[34:35]
	v_add_f64 v[134:135], v[144:145], -v[134:135]
	v_ldexp_f64 v[144:145], v[36:37], 1
	v_mul_f64 v[34:35], v[34:35], v[132:133]
	v_add_f64 v[36:37], v[144:145], v[34:35]
	v_add_f64 v[132:133], v[36:37], -v[144:145]
	v_ldexp_f64 v[6:7], v[6:7], 1
	v_add_f64 v[34:35], v[34:35], -v[132:133]
	v_add_f64 v[6:7], v[6:7], v[34:35]
	v_add_f64 v[34:35], v[36:37], v[6:7]
	v_add_f64 v[36:37], v[34:35], -v[36:37]
	v_add_f64 v[6:7], v[6:7], -v[36:37]
	v_add_f64 v[36:37], v[48:49], v[34:35]
	v_add_f64 v[132:133], v[36:37], -v[48:49]
	v_add_f64 v[144:145], v[36:37], -v[132:133]
	;; [unrolled: 1-line block ×4, first 2 shown]
	v_add_f64 v[34:35], v[34:35], v[48:49]
	v_add_f64 v[48:49], v[134:135], v[6:7]
	v_add_f64 v[132:133], v[48:49], -v[134:135]
	v_add_f64 v[34:35], v[48:49], v[34:35]
	v_add_f64 v[144:145], v[48:49], -v[132:133]
	;; [unrolled: 2-line block ×3, first 2 shown]
	v_add_f64 v[6:7], v[6:7], -v[132:133]
	v_add_f64 v[36:37], v[48:49], -v[36:37]
	v_add_f64 v[6:7], v[6:7], v[134:135]
	v_add_f64 v[34:35], v[34:35], -v[36:37]
	s_mov_b32 vcc_lo, 0
	v_add_f64 v[6:7], v[6:7], v[34:35]
	s_mov_b32 vcc_hi, 0x7ff00000
	v_add_f64 v[6:7], v[48:49], v[6:7]
	v_cmp_eq_f64_e32 vcc, vcc, v[4:5]
	v_mov_b32_e32 v34, 0x7ff80000
	s_nop 0
	v_cndmask_b32_e32 v6, v6, v4, vcc
	v_cndmask_b32_e32 v7, v7, v5, vcc
	v_cmp_ngt_f64_e32 vcc, -1.0, v[4:5]
	s_nop 1
	v_cndmask_b32_e32 v7, v34, v7, vcc
	v_cmp_nge_f64_e32 vcc, -1.0, v[4:5]
	v_mov_b32_e32 v34, 0xfff00000
	s_nop 0
	v_cndmask_b32_e32 v6, 0, v6, vcc
	v_cmp_neq_f64_e32 vcc, -1.0, v[4:5]
	s_nop 1
	v_cndmask_b32_e32 v7, v34, v7, vcc
	v_add_f64 v[132:133], v[0:1], v[6:7]
.LBB2_335:
	s_or_b64 exec, exec, s[36:37]
	v_max_f64 v[0:1], v[132:133], v[132:133]
	v_min_f64 v[36:37], v[0:1], v[130:131]
	v_max_f64 v[48:49], v[0:1], v[130:131]
	v_mov_b64_e32 v[0:1], v[132:133]
	;;#ASMSTART
	;;#ASMEND
.LBB2_336:
	s_or_b64 exec, exec, s[34:35]
	v_cmp_u_f64_e32 vcc, v[0:1], v[0:1]
	s_movk_i32 s38, 0x1f8
	s_nop 0
	v_cndmask_b32_e32 v4, v36, v0, vcc
	v_cndmask_b32_e32 v5, v37, v1, vcc
	v_cndmask_b32_e64 v7, v5, v3, s[2:3]
	v_cndmask_b32_e64 v6, v4, v2, s[2:3]
	v_cndmask_b32_e32 v4, v48, v0, vcc
	v_cndmask_b32_e32 v5, v49, v1, vcc
	v_cndmask_b32_e64 v5, v5, v3, s[2:3]
	v_cndmask_b32_e64 v4, v4, v2, s[2:3]
	v_cmp_neq_f64_e32 vcc, v[6:7], v[4:5]
	v_cmp_class_f64_e64 s[2:3], v[6:7], s38
	s_or_b64 s[2:3], vcc, s[2:3]
	v_mov_b64_e32 v[2:3], v[0:1]
	s_and_saveexec_b64 s[30:31], s[2:3]
	s_cbranch_execz .LBB2_338
; %bb.337:
	s_mov_b32 s2, 0x652b82fe
	v_add_f64 v[2:3], v[6:7], -v[4:5]
	s_mov_b32 s3, 0x3ff71547
	v_mul_f64 v[6:7], v[2:3], s[2:3]
	v_rndne_f64_e32 v[6:7], v[6:7]
	s_mov_b32 s35, 0xbfe62e42
	s_mov_b32 s34, 0xfefa39ef
	v_fma_f64 v[34:35], s[34:35], v[6:7], v[2:3]
	s_mov_b32 s37, 0xbc7abc9e
	s_mov_b32 s36, 0x3b39803f
	;; [unrolled: 1-line block ×3, first 2 shown]
	v_fmac_f64_e32 v[34:35], s[36:37], v[6:7]
	v_mov_b32_e32 v36, 0xfca7ab0c
	v_mov_b32_e32 v37, 0x3e928af3
	s_mov_b32 s3, 0x3e5ade15
	v_fmac_f64_e32 v[36:37], s[2:3], v[34:35]
	v_mov_b32_e32 v48, 0x623fde64
	v_mov_b32_e32 v49, 0x3ec71dee
	v_fmac_f64_e32 v[48:49], v[34:35], v[36:37]
	v_mov_b32_e32 v36, 0x7c89e6b0
	v_mov_b32_e32 v37, 0x3efa0199
	;; [unrolled: 3-line block ×8, first 2 shown]
	s_mov_b32 s2, 0
	v_fmac_f64_e32 v[36:37], v[34:35], v[48:49]
	s_mov_b32 s3, 0x40900000
	v_fma_f64 v[36:37], v[34:35], v[36:37], 1.0
	v_cmp_nlt_f64_e32 vcc, s[2:3], v[2:3]
	s_mov_b32 s2, 0
	v_fma_f64 v[34:35], v[34:35], v[36:37], 1.0
	v_cvt_i32_f64_e32 v6, v[6:7]
	s_mov_b32 s3, 0xc090cc00
	v_ldexp_f64 v[6:7], v[34:35], v6
	v_mov_b32_e32 v34, 0x7ff00000
	v_cmp_ngt_f64_e64 s[2:3], s[2:3], v[2:3]
	v_cndmask_b32_e32 v7, v34, v7, vcc
	s_and_b64 vcc, s[2:3], vcc
	v_cndmask_b32_e64 v3, 0, v7, s[2:3]
	v_cndmask_b32_e32 v2, 0, v6, vcc
	v_add_f64 v[6:7], v[2:3], 1.0
	v_add_f64 v[34:35], v[6:7], -1.0
	v_add_f64 v[36:37], v[34:35], -v[6:7]
	v_add_f64 v[36:37], v[36:37], 1.0
	v_add_f64 v[34:35], v[2:3], -v[34:35]
	s_mov_b32 s2, 0x55555555
	v_add_f64 v[34:35], v[34:35], v[36:37]
	v_frexp_mant_f64_e32 v[36:37], v[6:7]
	s_mov_b32 s3, 0x3fe55555
	v_frexp_exp_i32_f64_e32 v48, v[6:7]
	v_cmp_gt_f64_e32 vcc, s[2:3], v[36:37]
	s_mov_b32 s2, 0xbf559e2b
	s_mov_b32 s3, 0x3fc3ab76
	v_subbrev_co_u32_e32 v53, vcc, 0, v48, vcc
	v_sub_u32_e32 v36, 0, v53
	v_ldexp_f64 v[6:7], v[6:7], v36
	v_ldexp_f64 v[34:35], v[34:35], v36
	v_add_f64 v[36:37], v[6:7], -1.0
	s_waitcnt lgkmcnt(0)
	v_add_f64 v[132:133], v[6:7], 1.0
	v_add_f64 v[48:49], v[36:37], 1.0
	v_add_f64 v[134:135], v[132:133], -1.0
	v_add_f64 v[48:49], v[6:7], -v[48:49]
	v_add_f64 v[6:7], v[6:7], -v[134:135]
	v_add_f64 v[6:7], v[34:35], v[6:7]
	v_add_f64 v[48:49], v[34:35], v[48:49]
	;; [unrolled: 1-line block ×3, first 2 shown]
	v_rcp_f64_e32 v[134:135], v[34:35]
	v_add_f64 v[130:131], v[36:37], v[48:49]
	v_add_f64 v[36:37], v[130:131], -v[36:37]
	v_add_f64 v[36:37], v[48:49], -v[36:37]
	v_add_f64 v[48:49], v[34:35], -v[132:133]
	v_add_f64 v[6:7], v[6:7], -v[48:49]
	v_fma_f64 v[48:49], -v[34:35], v[134:135], 1.0
	v_fmac_f64_e32 v[134:135], v[48:49], v[134:135]
	v_fma_f64 v[48:49], -v[34:35], v[134:135], 1.0
	v_fmac_f64_e32 v[134:135], v[48:49], v[134:135]
	v_mul_f64 v[48:49], v[130:131], v[134:135]
	v_mul_f64 v[132:133], v[34:35], v[48:49]
	v_fma_f64 v[144:145], v[48:49], v[34:35], -v[132:133]
	v_fmac_f64_e32 v[144:145], v[48:49], v[6:7]
	v_add_f64 v[146:147], v[132:133], v[144:145]
	v_add_f64 v[148:149], v[130:131], -v[146:147]
	v_add_f64 v[130:131], v[130:131], -v[148:149]
	;; [unrolled: 1-line block ×4, first 2 shown]
	v_add_f64 v[36:37], v[36:37], v[130:131]
	v_add_f64 v[130:131], v[132:133], -v[144:145]
	v_add_f64 v[36:37], v[130:131], v[36:37]
	v_add_f64 v[130:131], v[148:149], v[36:37]
	v_add_f64 v[132:133], v[148:149], -v[130:131]
	v_add_f64 v[36:37], v[36:37], v[132:133]
	v_mul_f64 v[132:133], v[134:135], v[130:131]
	v_mul_f64 v[144:145], v[34:35], v[132:133]
	v_fma_f64 v[34:35], v[132:133], v[34:35], -v[144:145]
	v_fmac_f64_e32 v[34:35], v[132:133], v[6:7]
	v_add_f64 v[6:7], v[144:145], v[34:35]
	v_add_f64 v[146:147], v[130:131], -v[6:7]
	v_add_f64 v[130:131], v[130:131], -v[146:147]
	;; [unrolled: 1-line block ×4, first 2 shown]
	v_add_f64 v[6:7], v[36:37], v[6:7]
	v_add_f64 v[34:35], v[144:145], -v[34:35]
	v_add_f64 v[6:7], v[34:35], v[6:7]
	v_add_f64 v[34:35], v[48:49], v[132:133]
	;; [unrolled: 1-line block ×3, first 2 shown]
	v_add_f64 v[36:37], v[34:35], -v[48:49]
	v_mul_f64 v[6:7], v[134:135], v[6:7]
	v_add_f64 v[36:37], v[132:133], -v[36:37]
	v_add_f64 v[6:7], v[36:37], v[6:7]
	v_add_f64 v[36:37], v[34:35], v[6:7]
	v_add_f64 v[34:35], v[36:37], -v[34:35]
	v_add_f64 v[6:7], v[6:7], -v[34:35]
	v_mul_f64 v[34:35], v[36:37], v[36:37]
	v_mov_b32_e32 v48, 0x6b47b09a
	v_mov_b32_e32 v49, 0x3fc38538
	v_fmac_f64_e32 v[48:49], s[2:3], v[34:35]
	v_mov_b32_e32 v130, 0xd7f4df2e
	v_mov_b32_e32 v131, 0x3fc7474d
	v_fmac_f64_e32 v[130:131], v[34:35], v[48:49]
	;; [unrolled: 3-line block ×6, first 2 shown]
	v_cvt_f64_i32_e32 v[48:49], v53
	s_mov_b32 s35, 0x3fe62e42
	v_mul_f64 v[132:133], v[48:49], s[34:35]
	v_fma_f64 v[134:135], v[48:49], s[34:35], -v[132:133]
	s_mov_b32 s37, 0x3c7abc9e
	v_fmac_f64_e32 v[134:135], s[36:37], v[48:49]
	v_add_f64 v[48:49], v[132:133], v[134:135]
	v_add_f64 v[132:133], v[48:49], -v[132:133]
	v_mul_f64 v[34:35], v[36:37], v[34:35]
	v_add_f64 v[132:133], v[134:135], -v[132:133]
	v_ldexp_f64 v[134:135], v[36:37], 1
	v_mul_f64 v[34:35], v[34:35], v[130:131]
	v_add_f64 v[36:37], v[134:135], v[34:35]
	v_add_f64 v[130:131], v[36:37], -v[134:135]
	v_ldexp_f64 v[6:7], v[6:7], 1
	v_add_f64 v[34:35], v[34:35], -v[130:131]
	v_add_f64 v[6:7], v[6:7], v[34:35]
	v_add_f64 v[34:35], v[36:37], v[6:7]
	v_add_f64 v[36:37], v[34:35], -v[36:37]
	v_add_f64 v[6:7], v[6:7], -v[36:37]
	v_add_f64 v[36:37], v[48:49], v[34:35]
	v_add_f64 v[130:131], v[36:37], -v[48:49]
	v_add_f64 v[134:135], v[36:37], -v[130:131]
	;; [unrolled: 1-line block ×4, first 2 shown]
	v_add_f64 v[34:35], v[34:35], v[48:49]
	v_add_f64 v[48:49], v[132:133], v[6:7]
	v_add_f64 v[130:131], v[48:49], -v[132:133]
	v_add_f64 v[34:35], v[48:49], v[34:35]
	v_add_f64 v[134:135], v[48:49], -v[130:131]
	;; [unrolled: 2-line block ×3, first 2 shown]
	v_add_f64 v[6:7], v[6:7], -v[130:131]
	v_add_f64 v[36:37], v[48:49], -v[36:37]
	v_add_f64 v[6:7], v[6:7], v[132:133]
	v_add_f64 v[34:35], v[34:35], -v[36:37]
	s_mov_b32 s2, 0
	v_add_f64 v[6:7], v[6:7], v[34:35]
	s_mov_b32 s3, 0x7ff00000
	v_add_f64 v[6:7], v[48:49], v[6:7]
	v_cmp_eq_f64_e32 vcc, s[2:3], v[2:3]
	v_mov_b32_e32 v34, 0x7ff80000
	s_nop 0
	v_cndmask_b32_e32 v6, v6, v2, vcc
	v_cndmask_b32_e32 v7, v7, v3, vcc
	v_cmp_ngt_f64_e32 vcc, -1.0, v[2:3]
	s_nop 1
	v_cndmask_b32_e32 v7, v34, v7, vcc
	v_cmp_nge_f64_e32 vcc, -1.0, v[2:3]
	v_mov_b32_e32 v34, 0xfff00000
	s_nop 0
	v_cndmask_b32_e32 v6, 0, v6, vcc
	v_cmp_neq_f64_e32 vcc, -1.0, v[2:3]
	s_nop 1
	v_cndmask_b32_e32 v7, v34, v7, vcc
	v_add_f64 v[2:3], v[4:5], v[6:7]
.LBB2_338:
	s_or_b64 exec, exec, s[30:31]
	v_max_f64 v[4:5], v[2:3], v[2:3]
	v_min_f64 v[6:7], v[4:5], v[8:9]
	v_cmp_u_f64_e32 vcc, v[2:3], v[2:3]
	v_max_f64 v[4:5], v[4:5], v[8:9]
	s_nop 0
	v_cndmask_b32_e32 v6, v6, v2, vcc
	v_cndmask_b32_e32 v7, v7, v3, vcc
	;; [unrolled: 1-line block ×4, first 2 shown]
	v_cndmask_b32_e64 v35, v7, v113, s[4:5]
	v_cndmask_b32_e64 v34, v6, v112, s[4:5]
	;; [unrolled: 1-line block ×4, first 2 shown]
	v_cmp_neq_f64_e32 vcc, v[34:35], v[6:7]
	v_cmp_class_f64_e64 s[2:3], v[34:35], s38
	s_or_b64 s[2:3], vcc, s[2:3]
	v_mov_b64_e32 v[4:5], v[2:3]
	s_and_saveexec_b64 s[4:5], s[2:3]
	s_cbranch_execz .LBB2_340
; %bb.339:
	s_mov_b32 s2, 0x652b82fe
	v_add_f64 v[4:5], v[34:35], -v[6:7]
	s_mov_b32 s3, 0x3ff71547
	v_mul_f64 v[8:9], v[4:5], s[2:3]
	v_rndne_f64_e32 v[8:9], v[8:9]
	s_mov_b32 s31, 0xbfe62e42
	s_mov_b32 s30, 0xfefa39ef
	v_fma_f64 v[34:35], s[30:31], v[8:9], v[4:5]
	s_mov_b32 s35, 0xbc7abc9e
	s_mov_b32 s34, 0x3b39803f
	;; [unrolled: 1-line block ×3, first 2 shown]
	v_fmac_f64_e32 v[34:35], s[34:35], v[8:9]
	v_mov_b32_e32 v36, 0xfca7ab0c
	v_mov_b32_e32 v37, 0x3e928af3
	s_mov_b32 s3, 0x3e5ade15
	v_fmac_f64_e32 v[36:37], s[2:3], v[34:35]
	v_mov_b32_e32 v48, 0x623fde64
	v_mov_b32_e32 v49, 0x3ec71dee
	v_fmac_f64_e32 v[48:49], v[34:35], v[36:37]
	v_mov_b32_e32 v36, 0x7c89e6b0
	v_mov_b32_e32 v37, 0x3efa0199
	;; [unrolled: 3-line block ×8, first 2 shown]
	s_mov_b32 s2, 0
	v_fmac_f64_e32 v[36:37], v[34:35], v[48:49]
	s_mov_b32 s3, 0x40900000
	v_fma_f64 v[36:37], v[34:35], v[36:37], 1.0
	v_cmp_nlt_f64_e32 vcc, s[2:3], v[4:5]
	s_mov_b32 s2, 0
	v_fma_f64 v[34:35], v[34:35], v[36:37], 1.0
	v_cvt_i32_f64_e32 v8, v[8:9]
	s_mov_b32 s3, 0xc090cc00
	v_ldexp_f64 v[8:9], v[34:35], v8
	v_mov_b32_e32 v34, 0x7ff00000
	v_cmp_ngt_f64_e64 s[2:3], s[2:3], v[4:5]
	v_cndmask_b32_e32 v9, v34, v9, vcc
	s_and_b64 vcc, s[2:3], vcc
	v_cndmask_b32_e64 v5, 0, v9, s[2:3]
	v_cndmask_b32_e32 v4, 0, v8, vcc
	v_add_f64 v[8:9], v[4:5], 1.0
	v_add_f64 v[34:35], v[8:9], -1.0
	v_add_f64 v[36:37], v[34:35], -v[8:9]
	v_add_f64 v[36:37], v[36:37], 1.0
	v_add_f64 v[34:35], v[4:5], -v[34:35]
	s_mov_b32 s2, 0x55555555
	v_add_f64 v[34:35], v[34:35], v[36:37]
	v_frexp_mant_f64_e32 v[36:37], v[8:9]
	s_mov_b32 s3, 0x3fe55555
	v_frexp_exp_i32_f64_e32 v48, v[8:9]
	v_cmp_gt_f64_e32 vcc, s[2:3], v[36:37]
	s_mov_b32 s2, 0xbf559e2b
	s_mov_b32 s3, 0x3fc3ab76
	v_subbrev_co_u32_e32 v53, vcc, 0, v48, vcc
	v_sub_u32_e32 v36, 0, v53
	v_ldexp_f64 v[8:9], v[8:9], v36
	v_ldexp_f64 v[34:35], v[34:35], v36
	v_add_f64 v[36:37], v[8:9], -1.0
	v_add_f64 v[130:131], v[8:9], 1.0
	v_add_f64 v[48:49], v[36:37], 1.0
	s_waitcnt lgkmcnt(0)
	v_add_f64 v[132:133], v[130:131], -1.0
	v_add_f64 v[48:49], v[8:9], -v[48:49]
	v_add_f64 v[8:9], v[8:9], -v[132:133]
	v_add_f64 v[8:9], v[34:35], v[8:9]
	v_add_f64 v[48:49], v[34:35], v[48:49]
	;; [unrolled: 1-line block ×3, first 2 shown]
	v_rcp_f64_e32 v[132:133], v[34:35]
	v_add_f64 v[112:113], v[36:37], v[48:49]
	v_add_f64 v[36:37], v[112:113], -v[36:37]
	v_add_f64 v[36:37], v[48:49], -v[36:37]
	;; [unrolled: 1-line block ×4, first 2 shown]
	v_fma_f64 v[48:49], -v[34:35], v[132:133], 1.0
	v_fmac_f64_e32 v[132:133], v[48:49], v[132:133]
	v_fma_f64 v[48:49], -v[34:35], v[132:133], 1.0
	v_fmac_f64_e32 v[132:133], v[48:49], v[132:133]
	v_mul_f64 v[48:49], v[112:113], v[132:133]
	v_mul_f64 v[130:131], v[34:35], v[48:49]
	v_fma_f64 v[134:135], v[48:49], v[34:35], -v[130:131]
	v_fmac_f64_e32 v[134:135], v[48:49], v[8:9]
	v_add_f64 v[144:145], v[130:131], v[134:135]
	v_add_f64 v[146:147], v[112:113], -v[144:145]
	v_add_f64 v[112:113], v[112:113], -v[146:147]
	;; [unrolled: 1-line block ×4, first 2 shown]
	v_add_f64 v[36:37], v[36:37], v[112:113]
	v_add_f64 v[112:113], v[130:131], -v[134:135]
	v_add_f64 v[36:37], v[112:113], v[36:37]
	v_add_f64 v[112:113], v[146:147], v[36:37]
	v_add_f64 v[130:131], v[146:147], -v[112:113]
	v_add_f64 v[36:37], v[36:37], v[130:131]
	v_mul_f64 v[130:131], v[132:133], v[112:113]
	v_mul_f64 v[134:135], v[34:35], v[130:131]
	v_fma_f64 v[34:35], v[130:131], v[34:35], -v[134:135]
	v_fmac_f64_e32 v[34:35], v[130:131], v[8:9]
	v_add_f64 v[8:9], v[134:135], v[34:35]
	v_add_f64 v[144:145], v[112:113], -v[8:9]
	v_add_f64 v[112:113], v[112:113], -v[144:145]
	;; [unrolled: 1-line block ×4, first 2 shown]
	v_add_f64 v[8:9], v[36:37], v[8:9]
	v_add_f64 v[34:35], v[134:135], -v[34:35]
	v_add_f64 v[8:9], v[34:35], v[8:9]
	v_add_f64 v[34:35], v[48:49], v[130:131]
	;; [unrolled: 1-line block ×3, first 2 shown]
	v_add_f64 v[36:37], v[34:35], -v[48:49]
	v_mul_f64 v[8:9], v[132:133], v[8:9]
	v_add_f64 v[36:37], v[130:131], -v[36:37]
	v_add_f64 v[8:9], v[36:37], v[8:9]
	v_add_f64 v[36:37], v[34:35], v[8:9]
	v_add_f64 v[34:35], v[36:37], -v[34:35]
	v_add_f64 v[8:9], v[8:9], -v[34:35]
	v_mul_f64 v[34:35], v[36:37], v[36:37]
	v_mov_b32_e32 v48, 0x6b47b09a
	v_mov_b32_e32 v49, 0x3fc38538
	v_fmac_f64_e32 v[48:49], s[2:3], v[34:35]
	v_mov_b32_e32 v112, 0xd7f4df2e
	v_mov_b32_e32 v113, 0x3fc7474d
	v_fmac_f64_e32 v[112:113], v[34:35], v[48:49]
	;; [unrolled: 3-line block ×6, first 2 shown]
	v_cvt_f64_i32_e32 v[48:49], v53
	s_mov_b32 s31, 0x3fe62e42
	v_mul_f64 v[130:131], v[48:49], s[30:31]
	v_fma_f64 v[132:133], v[48:49], s[30:31], -v[130:131]
	s_mov_b32 s35, 0x3c7abc9e
	v_fmac_f64_e32 v[132:133], s[34:35], v[48:49]
	v_add_f64 v[48:49], v[130:131], v[132:133]
	v_add_f64 v[130:131], v[48:49], -v[130:131]
	v_mul_f64 v[34:35], v[36:37], v[34:35]
	v_add_f64 v[130:131], v[132:133], -v[130:131]
	v_ldexp_f64 v[132:133], v[36:37], 1
	v_mul_f64 v[34:35], v[34:35], v[112:113]
	v_add_f64 v[36:37], v[132:133], v[34:35]
	v_add_f64 v[112:113], v[36:37], -v[132:133]
	v_ldexp_f64 v[8:9], v[8:9], 1
	v_add_f64 v[34:35], v[34:35], -v[112:113]
	v_add_f64 v[8:9], v[8:9], v[34:35]
	v_add_f64 v[34:35], v[36:37], v[8:9]
	v_add_f64 v[36:37], v[34:35], -v[36:37]
	v_add_f64 v[8:9], v[8:9], -v[36:37]
	v_add_f64 v[36:37], v[48:49], v[34:35]
	v_add_f64 v[112:113], v[36:37], -v[48:49]
	v_add_f64 v[132:133], v[36:37], -v[112:113]
	;; [unrolled: 1-line block ×4, first 2 shown]
	v_add_f64 v[34:35], v[34:35], v[48:49]
	v_add_f64 v[48:49], v[130:131], v[8:9]
	v_add_f64 v[112:113], v[48:49], -v[130:131]
	v_add_f64 v[34:35], v[48:49], v[34:35]
	v_add_f64 v[132:133], v[48:49], -v[112:113]
	v_add_f64 v[48:49], v[36:37], v[34:35]
	v_add_f64 v[130:131], v[130:131], -v[132:133]
	v_add_f64 v[8:9], v[8:9], -v[112:113]
	v_add_f64 v[36:37], v[48:49], -v[36:37]
	v_add_f64 v[8:9], v[8:9], v[130:131]
	v_add_f64 v[34:35], v[34:35], -v[36:37]
	s_mov_b32 s2, 0
	v_add_f64 v[8:9], v[8:9], v[34:35]
	s_mov_b32 s3, 0x7ff00000
	v_add_f64 v[8:9], v[48:49], v[8:9]
	v_cmp_eq_f64_e32 vcc, s[2:3], v[4:5]
	v_mov_b32_e32 v34, 0x7ff80000
	s_nop 0
	v_cndmask_b32_e32 v8, v8, v4, vcc
	v_cndmask_b32_e32 v9, v9, v5, vcc
	v_cmp_ngt_f64_e32 vcc, -1.0, v[4:5]
	s_nop 1
	v_cndmask_b32_e32 v9, v34, v9, vcc
	v_cmp_nge_f64_e32 vcc, -1.0, v[4:5]
	v_mov_b32_e32 v34, 0xfff00000
	s_nop 0
	v_cndmask_b32_e32 v8, 0, v8, vcc
	v_cmp_neq_f64_e32 vcc, -1.0, v[4:5]
	s_nop 1
	v_cndmask_b32_e32 v9, v34, v9, vcc
	v_add_f64 v[4:5], v[6:7], v[8:9]
.LBB2_340:
	s_or_b64 exec, exec, s[4:5]
	v_max_f64 v[6:7], v[4:5], v[4:5]
	v_min_f64 v[8:9], v[6:7], v[10:11]
	v_cmp_u_f64_e32 vcc, v[4:5], v[4:5]
	v_max_f64 v[6:7], v[6:7], v[10:11]
	s_movk_i32 s34, 0x1f8
	v_cndmask_b32_e32 v8, v8, v4, vcc
	v_cndmask_b32_e32 v9, v9, v5, vcc
	;; [unrolled: 1-line block ×4, first 2 shown]
	v_cndmask_b32_e64 v35, v9, v115, s[6:7]
	v_cndmask_b32_e64 v34, v8, v114, s[6:7]
	;; [unrolled: 1-line block ×4, first 2 shown]
	v_cmp_neq_f64_e32 vcc, v[34:35], v[8:9]
	v_cmp_class_f64_e64 s[2:3], v[34:35], s34
	s_or_b64 s[2:3], vcc, s[2:3]
	v_mov_b64_e32 v[6:7], v[4:5]
	s_and_saveexec_b64 s[4:5], s[2:3]
	s_cbranch_execz .LBB2_342
; %bb.341:
	s_mov_b32 s2, 0x652b82fe
	v_add_f64 v[6:7], v[34:35], -v[8:9]
	s_mov_b32 s3, 0x3ff71547
	v_mul_f64 v[10:11], v[6:7], s[2:3]
	v_rndne_f64_e32 v[10:11], v[10:11]
	s_mov_b32 s7, 0xbfe62e42
	s_mov_b32 s6, 0xfefa39ef
	v_fma_f64 v[34:35], s[6:7], v[10:11], v[6:7]
	s_mov_b32 s31, 0xbc7abc9e
	s_mov_b32 s30, 0x3b39803f
	;; [unrolled: 1-line block ×3, first 2 shown]
	v_fmac_f64_e32 v[34:35], s[30:31], v[10:11]
	v_mov_b32_e32 v36, 0xfca7ab0c
	v_mov_b32_e32 v37, 0x3e928af3
	s_mov_b32 s3, 0x3e5ade15
	v_fmac_f64_e32 v[36:37], s[2:3], v[34:35]
	v_mov_b32_e32 v48, 0x623fde64
	v_mov_b32_e32 v49, 0x3ec71dee
	v_fmac_f64_e32 v[48:49], v[34:35], v[36:37]
	v_mov_b32_e32 v36, 0x7c89e6b0
	v_mov_b32_e32 v37, 0x3efa0199
	;; [unrolled: 3-line block ×8, first 2 shown]
	s_mov_b32 s2, 0
	v_fmac_f64_e32 v[36:37], v[34:35], v[48:49]
	s_mov_b32 s3, 0x40900000
	v_fma_f64 v[36:37], v[34:35], v[36:37], 1.0
	v_cmp_nlt_f64_e32 vcc, s[2:3], v[6:7]
	s_mov_b32 s2, 0
	v_fma_f64 v[34:35], v[34:35], v[36:37], 1.0
	v_cvt_i32_f64_e32 v10, v[10:11]
	s_mov_b32 s3, 0xc090cc00
	v_ldexp_f64 v[10:11], v[34:35], v10
	v_mov_b32_e32 v34, 0x7ff00000
	v_cmp_ngt_f64_e64 s[2:3], s[2:3], v[6:7]
	v_cndmask_b32_e32 v11, v34, v11, vcc
	s_and_b64 vcc, s[2:3], vcc
	v_cndmask_b32_e64 v7, 0, v11, s[2:3]
	v_cndmask_b32_e32 v6, 0, v10, vcc
	v_add_f64 v[10:11], v[6:7], 1.0
	v_add_f64 v[34:35], v[10:11], -1.0
	v_add_f64 v[36:37], v[34:35], -v[10:11]
	v_add_f64 v[36:37], v[36:37], 1.0
	v_add_f64 v[34:35], v[6:7], -v[34:35]
	s_mov_b32 s2, 0x55555555
	v_add_f64 v[34:35], v[34:35], v[36:37]
	v_frexp_mant_f64_e32 v[36:37], v[10:11]
	s_mov_b32 s3, 0x3fe55555
	v_frexp_exp_i32_f64_e32 v48, v[10:11]
	v_cmp_gt_f64_e32 vcc, s[2:3], v[36:37]
	s_mov_b32 s2, 0xbf559e2b
	s_mov_b32 s3, 0x3fc3ab76
	v_subbrev_co_u32_e32 v53, vcc, 0, v48, vcc
	v_sub_u32_e32 v36, 0, v53
	v_ldexp_f64 v[10:11], v[10:11], v36
	v_ldexp_f64 v[34:35], v[34:35], v36
	v_add_f64 v[36:37], v[10:11], -1.0
	v_add_f64 v[114:115], v[10:11], 1.0
	v_add_f64 v[48:49], v[36:37], 1.0
	v_add_f64 v[130:131], v[114:115], -1.0
	v_add_f64 v[48:49], v[10:11], -v[48:49]
	v_add_f64 v[10:11], v[10:11], -v[130:131]
	v_add_f64 v[10:11], v[34:35], v[10:11]
	v_add_f64 v[48:49], v[34:35], v[48:49]
	;; [unrolled: 1-line block ×3, first 2 shown]
	v_rcp_f64_e32 v[130:131], v[34:35]
	v_add_f64 v[112:113], v[36:37], v[48:49]
	v_add_f64 v[36:37], v[112:113], -v[36:37]
	v_add_f64 v[36:37], v[48:49], -v[36:37]
	;; [unrolled: 1-line block ×4, first 2 shown]
	v_fma_f64 v[48:49], -v[34:35], v[130:131], 1.0
	v_fmac_f64_e32 v[130:131], v[48:49], v[130:131]
	v_fma_f64 v[48:49], -v[34:35], v[130:131], 1.0
	v_fmac_f64_e32 v[130:131], v[48:49], v[130:131]
	v_mul_f64 v[48:49], v[112:113], v[130:131]
	v_mul_f64 v[114:115], v[34:35], v[48:49]
	s_waitcnt lgkmcnt(0)
	v_fma_f64 v[132:133], v[48:49], v[34:35], -v[114:115]
	v_fmac_f64_e32 v[132:133], v[48:49], v[10:11]
	v_add_f64 v[134:135], v[114:115], v[132:133]
	v_add_f64 v[144:145], v[112:113], -v[134:135]
	v_add_f64 v[112:113], v[112:113], -v[144:145]
	;; [unrolled: 1-line block ×4, first 2 shown]
	v_add_f64 v[36:37], v[36:37], v[112:113]
	v_add_f64 v[112:113], v[114:115], -v[132:133]
	v_add_f64 v[36:37], v[112:113], v[36:37]
	v_add_f64 v[112:113], v[144:145], v[36:37]
	v_add_f64 v[114:115], v[144:145], -v[112:113]
	v_add_f64 v[36:37], v[36:37], v[114:115]
	v_mul_f64 v[114:115], v[130:131], v[112:113]
	v_mul_f64 v[132:133], v[34:35], v[114:115]
	v_fma_f64 v[34:35], v[114:115], v[34:35], -v[132:133]
	v_fmac_f64_e32 v[34:35], v[114:115], v[10:11]
	v_add_f64 v[10:11], v[132:133], v[34:35]
	v_add_f64 v[134:135], v[112:113], -v[10:11]
	v_add_f64 v[112:113], v[112:113], -v[134:135]
	;; [unrolled: 1-line block ×4, first 2 shown]
	v_add_f64 v[10:11], v[36:37], v[10:11]
	v_add_f64 v[34:35], v[132:133], -v[34:35]
	v_add_f64 v[10:11], v[34:35], v[10:11]
	v_add_f64 v[34:35], v[48:49], v[114:115]
	;; [unrolled: 1-line block ×3, first 2 shown]
	v_add_f64 v[36:37], v[34:35], -v[48:49]
	v_mul_f64 v[10:11], v[130:131], v[10:11]
	v_add_f64 v[36:37], v[114:115], -v[36:37]
	v_add_f64 v[10:11], v[36:37], v[10:11]
	v_add_f64 v[36:37], v[34:35], v[10:11]
	v_add_f64 v[34:35], v[36:37], -v[34:35]
	v_add_f64 v[10:11], v[10:11], -v[34:35]
	v_mul_f64 v[34:35], v[36:37], v[36:37]
	v_mov_b32_e32 v48, 0x6b47b09a
	v_mov_b32_e32 v49, 0x3fc38538
	v_fmac_f64_e32 v[48:49], s[2:3], v[34:35]
	v_mov_b32_e32 v112, 0xd7f4df2e
	v_mov_b32_e32 v113, 0x3fc7474d
	v_fmac_f64_e32 v[112:113], v[34:35], v[48:49]
	;; [unrolled: 3-line block ×6, first 2 shown]
	v_cvt_f64_i32_e32 v[48:49], v53
	s_mov_b32 s7, 0x3fe62e42
	v_mul_f64 v[114:115], v[48:49], s[6:7]
	v_fma_f64 v[130:131], v[48:49], s[6:7], -v[114:115]
	s_mov_b32 s31, 0x3c7abc9e
	v_fmac_f64_e32 v[130:131], s[30:31], v[48:49]
	v_add_f64 v[48:49], v[114:115], v[130:131]
	v_add_f64 v[114:115], v[48:49], -v[114:115]
	v_mul_f64 v[34:35], v[36:37], v[34:35]
	v_add_f64 v[114:115], v[130:131], -v[114:115]
	v_ldexp_f64 v[130:131], v[36:37], 1
	v_mul_f64 v[34:35], v[34:35], v[112:113]
	v_add_f64 v[36:37], v[130:131], v[34:35]
	v_add_f64 v[112:113], v[36:37], -v[130:131]
	v_ldexp_f64 v[10:11], v[10:11], 1
	v_add_f64 v[34:35], v[34:35], -v[112:113]
	v_add_f64 v[10:11], v[10:11], v[34:35]
	v_add_f64 v[34:35], v[36:37], v[10:11]
	v_add_f64 v[36:37], v[34:35], -v[36:37]
	v_add_f64 v[10:11], v[10:11], -v[36:37]
	v_add_f64 v[36:37], v[48:49], v[34:35]
	v_add_f64 v[112:113], v[36:37], -v[48:49]
	v_add_f64 v[130:131], v[36:37], -v[112:113]
	;; [unrolled: 1-line block ×4, first 2 shown]
	v_add_f64 v[34:35], v[34:35], v[48:49]
	v_add_f64 v[48:49], v[114:115], v[10:11]
	v_add_f64 v[112:113], v[48:49], -v[114:115]
	v_add_f64 v[34:35], v[48:49], v[34:35]
	v_add_f64 v[130:131], v[48:49], -v[112:113]
	;; [unrolled: 2-line block ×3, first 2 shown]
	v_add_f64 v[10:11], v[10:11], -v[112:113]
	v_add_f64 v[36:37], v[48:49], -v[36:37]
	v_add_f64 v[10:11], v[10:11], v[114:115]
	v_add_f64 v[34:35], v[34:35], -v[36:37]
	s_mov_b32 s2, 0
	v_add_f64 v[10:11], v[10:11], v[34:35]
	s_mov_b32 s3, 0x7ff00000
	v_add_f64 v[10:11], v[48:49], v[10:11]
	v_cmp_eq_f64_e32 vcc, s[2:3], v[6:7]
	v_mov_b32_e32 v34, 0x7ff80000
	s_nop 0
	v_cndmask_b32_e32 v10, v10, v6, vcc
	v_cndmask_b32_e32 v11, v11, v7, vcc
	v_cmp_ngt_f64_e32 vcc, -1.0, v[6:7]
	s_nop 1
	v_cndmask_b32_e32 v11, v34, v11, vcc
	v_cmp_nge_f64_e32 vcc, -1.0, v[6:7]
	v_mov_b32_e32 v34, 0xfff00000
	s_nop 0
	v_cndmask_b32_e32 v10, 0, v10, vcc
	v_cmp_neq_f64_e32 vcc, -1.0, v[6:7]
	s_nop 1
	v_cndmask_b32_e32 v11, v34, v11, vcc
	v_add_f64 v[6:7], v[8:9], v[10:11]
.LBB2_342:
	s_or_b64 exec, exec, s[4:5]
	v_max_f64 v[8:9], v[6:7], v[6:7]
	v_min_f64 v[10:11], v[8:9], v[12:13]
	v_cmp_u_f64_e32 vcc, v[6:7], v[6:7]
	v_max_f64 v[8:9], v[8:9], v[12:13]
	s_nop 0
	v_cndmask_b32_e32 v10, v10, v6, vcc
	v_cndmask_b32_e32 v11, v11, v7, vcc
	;; [unrolled: 1-line block ×4, first 2 shown]
	v_cndmask_b32_e64 v35, v11, v101, s[8:9]
	v_cndmask_b32_e64 v34, v10, v100, s[8:9]
	;; [unrolled: 1-line block ×4, first 2 shown]
	v_cmp_neq_f64_e32 vcc, v[34:35], v[10:11]
	v_cmp_class_f64_e64 s[2:3], v[34:35], s34
	s_or_b64 s[2:3], vcc, s[2:3]
	v_mov_b64_e32 v[8:9], v[6:7]
	s_and_saveexec_b64 s[4:5], s[2:3]
	s_cbranch_execz .LBB2_344
; %bb.343:
	s_mov_b32 s2, 0x652b82fe
	v_add_f64 v[8:9], v[34:35], -v[10:11]
	s_mov_b32 s3, 0x3ff71547
	v_mul_f64 v[12:13], v[8:9], s[2:3]
	v_rndne_f64_e32 v[12:13], v[12:13]
	s_mov_b32 s7, 0xbfe62e42
	s_mov_b32 s6, 0xfefa39ef
	v_fma_f64 v[34:35], s[6:7], v[12:13], v[8:9]
	s_mov_b32 s9, 0xbc7abc9e
	s_mov_b32 s8, 0x3b39803f
	;; [unrolled: 1-line block ×3, first 2 shown]
	v_fmac_f64_e32 v[34:35], s[8:9], v[12:13]
	v_mov_b32_e32 v36, 0xfca7ab0c
	v_mov_b32_e32 v37, 0x3e928af3
	s_mov_b32 s3, 0x3e5ade15
	v_fmac_f64_e32 v[36:37], s[2:3], v[34:35]
	v_mov_b32_e32 v48, 0x623fde64
	v_mov_b32_e32 v49, 0x3ec71dee
	v_fmac_f64_e32 v[48:49], v[34:35], v[36:37]
	v_mov_b32_e32 v36, 0x7c89e6b0
	v_mov_b32_e32 v37, 0x3efa0199
	v_fmac_f64_e32 v[36:37], v[34:35], v[48:49]
	v_mov_b32_e32 v48, 0x14761f6e
	v_mov_b32_e32 v49, 0x3f2a01a0
	v_fmac_f64_e32 v[48:49], v[34:35], v[36:37]
	v_mov_b32_e32 v36, 0x1852b7b0
	v_mov_b32_e32 v37, 0x3f56c16c
	v_fmac_f64_e32 v[36:37], v[34:35], v[48:49]
	v_mov_b32_e32 v48, 0x11122322
	v_mov_b32_e32 v49, 0x3f811111
	v_fmac_f64_e32 v[48:49], v[34:35], v[36:37]
	v_mov_b32_e32 v36, 0x555502a1
	v_mov_b32_e32 v37, 0x3fa55555
	v_fmac_f64_e32 v[36:37], v[34:35], v[48:49]
	v_mov_b32_e32 v48, 0x55555511
	v_mov_b32_e32 v49, 0x3fc55555
	v_fmac_f64_e32 v[48:49], v[34:35], v[36:37]
	v_mov_b32_e32 v36, 11
	v_mov_b32_e32 v37, 0x3fe00000
	s_mov_b32 s2, 0
	v_fmac_f64_e32 v[36:37], v[34:35], v[48:49]
	s_mov_b32 s3, 0x40900000
	v_fma_f64 v[36:37], v[34:35], v[36:37], 1.0
	v_cmp_nlt_f64_e32 vcc, s[2:3], v[8:9]
	s_mov_b32 s2, 0
	v_fma_f64 v[34:35], v[34:35], v[36:37], 1.0
	v_cvt_i32_f64_e32 v12, v[12:13]
	s_mov_b32 s3, 0xc090cc00
	v_ldexp_f64 v[12:13], v[34:35], v12
	v_mov_b32_e32 v34, 0x7ff00000
	v_cmp_ngt_f64_e64 s[2:3], s[2:3], v[8:9]
	v_cndmask_b32_e32 v13, v34, v13, vcc
	s_and_b64 vcc, s[2:3], vcc
	v_cndmask_b32_e64 v9, 0, v13, s[2:3]
	v_cndmask_b32_e32 v8, 0, v12, vcc
	v_add_f64 v[12:13], v[8:9], 1.0
	v_add_f64 v[34:35], v[12:13], -1.0
	v_add_f64 v[36:37], v[34:35], -v[12:13]
	v_add_f64 v[36:37], v[36:37], 1.0
	v_add_f64 v[34:35], v[8:9], -v[34:35]
	s_mov_b32 s2, 0x55555555
	v_add_f64 v[34:35], v[34:35], v[36:37]
	v_frexp_mant_f64_e32 v[36:37], v[12:13]
	s_mov_b32 s3, 0x3fe55555
	v_frexp_exp_i32_f64_e32 v48, v[12:13]
	v_cmp_gt_f64_e32 vcc, s[2:3], v[36:37]
	s_mov_b32 s2, 0xbf559e2b
	s_mov_b32 s3, 0x3fc3ab76
	v_subbrev_co_u32_e32 v53, vcc, 0, v48, vcc
	v_sub_u32_e32 v36, 0, v53
	v_ldexp_f64 v[12:13], v[12:13], v36
	v_ldexp_f64 v[34:35], v[34:35], v36
	v_add_f64 v[36:37], v[12:13], -1.0
	v_add_f64 v[112:113], v[12:13], 1.0
	v_add_f64 v[48:49], v[36:37], 1.0
	v_add_f64 v[114:115], v[112:113], -1.0
	v_add_f64 v[48:49], v[12:13], -v[48:49]
	v_add_f64 v[12:13], v[12:13], -v[114:115]
	v_add_f64 v[12:13], v[34:35], v[12:13]
	v_add_f64 v[48:49], v[34:35], v[48:49]
	;; [unrolled: 1-line block ×3, first 2 shown]
	v_rcp_f64_e32 v[114:115], v[34:35]
	v_add_f64 v[100:101], v[36:37], v[48:49]
	v_add_f64 v[36:37], v[100:101], -v[36:37]
	v_add_f64 v[36:37], v[48:49], -v[36:37]
	;; [unrolled: 1-line block ×4, first 2 shown]
	v_fma_f64 v[48:49], -v[34:35], v[114:115], 1.0
	v_fmac_f64_e32 v[114:115], v[48:49], v[114:115]
	v_fma_f64 v[48:49], -v[34:35], v[114:115], 1.0
	v_fmac_f64_e32 v[114:115], v[48:49], v[114:115]
	v_mul_f64 v[48:49], v[100:101], v[114:115]
	v_mul_f64 v[112:113], v[34:35], v[48:49]
	v_fma_f64 v[130:131], v[48:49], v[34:35], -v[112:113]
	v_fmac_f64_e32 v[130:131], v[48:49], v[12:13]
	s_waitcnt lgkmcnt(0)
	v_add_f64 v[132:133], v[112:113], v[130:131]
	v_add_f64 v[134:135], v[100:101], -v[132:133]
	v_add_f64 v[100:101], v[100:101], -v[134:135]
	v_add_f64 v[112:113], v[132:133], -v[112:113]
	v_add_f64 v[100:101], v[100:101], -v[132:133]
	v_add_f64 v[36:37], v[36:37], v[100:101]
	v_add_f64 v[100:101], v[112:113], -v[130:131]
	v_add_f64 v[36:37], v[100:101], v[36:37]
	v_add_f64 v[100:101], v[134:135], v[36:37]
	v_add_f64 v[112:113], v[134:135], -v[100:101]
	v_add_f64 v[36:37], v[36:37], v[112:113]
	v_mul_f64 v[112:113], v[114:115], v[100:101]
	v_mul_f64 v[130:131], v[34:35], v[112:113]
	v_fma_f64 v[34:35], v[112:113], v[34:35], -v[130:131]
	v_fmac_f64_e32 v[34:35], v[112:113], v[12:13]
	v_add_f64 v[12:13], v[130:131], v[34:35]
	v_add_f64 v[132:133], v[100:101], -v[12:13]
	v_add_f64 v[100:101], v[100:101], -v[132:133]
	;; [unrolled: 1-line block ×4, first 2 shown]
	v_add_f64 v[12:13], v[36:37], v[12:13]
	v_add_f64 v[34:35], v[130:131], -v[34:35]
	v_add_f64 v[12:13], v[34:35], v[12:13]
	v_add_f64 v[34:35], v[48:49], v[112:113]
	;; [unrolled: 1-line block ×3, first 2 shown]
	v_add_f64 v[36:37], v[34:35], -v[48:49]
	v_mul_f64 v[12:13], v[114:115], v[12:13]
	v_add_f64 v[36:37], v[112:113], -v[36:37]
	v_add_f64 v[12:13], v[36:37], v[12:13]
	v_add_f64 v[36:37], v[34:35], v[12:13]
	v_add_f64 v[34:35], v[36:37], -v[34:35]
	v_add_f64 v[12:13], v[12:13], -v[34:35]
	v_mul_f64 v[34:35], v[36:37], v[36:37]
	v_mov_b32_e32 v48, 0x6b47b09a
	v_mov_b32_e32 v49, 0x3fc38538
	v_fmac_f64_e32 v[48:49], s[2:3], v[34:35]
	v_mov_b32_e32 v100, 0xd7f4df2e
	v_mov_b32_e32 v101, 0x3fc7474d
	v_fmac_f64_e32 v[100:101], v[34:35], v[48:49]
	;; [unrolled: 3-line block ×6, first 2 shown]
	v_cvt_f64_i32_e32 v[48:49], v53
	s_mov_b32 s7, 0x3fe62e42
	v_mul_f64 v[112:113], v[48:49], s[6:7]
	v_fma_f64 v[114:115], v[48:49], s[6:7], -v[112:113]
	s_mov_b32 s9, 0x3c7abc9e
	v_fmac_f64_e32 v[114:115], s[8:9], v[48:49]
	v_add_f64 v[48:49], v[112:113], v[114:115]
	v_add_f64 v[112:113], v[48:49], -v[112:113]
	v_mul_f64 v[34:35], v[36:37], v[34:35]
	v_add_f64 v[112:113], v[114:115], -v[112:113]
	v_ldexp_f64 v[114:115], v[36:37], 1
	v_mul_f64 v[34:35], v[34:35], v[100:101]
	v_add_f64 v[36:37], v[114:115], v[34:35]
	v_add_f64 v[100:101], v[36:37], -v[114:115]
	v_ldexp_f64 v[12:13], v[12:13], 1
	v_add_f64 v[34:35], v[34:35], -v[100:101]
	v_add_f64 v[12:13], v[12:13], v[34:35]
	v_add_f64 v[34:35], v[36:37], v[12:13]
	v_add_f64 v[36:37], v[34:35], -v[36:37]
	v_add_f64 v[12:13], v[12:13], -v[36:37]
	v_add_f64 v[36:37], v[48:49], v[34:35]
	v_add_f64 v[100:101], v[36:37], -v[48:49]
	v_add_f64 v[114:115], v[36:37], -v[100:101]
	;; [unrolled: 1-line block ×4, first 2 shown]
	v_add_f64 v[34:35], v[34:35], v[48:49]
	v_add_f64 v[48:49], v[112:113], v[12:13]
	v_add_f64 v[100:101], v[48:49], -v[112:113]
	v_add_f64 v[34:35], v[48:49], v[34:35]
	v_add_f64 v[114:115], v[48:49], -v[100:101]
	;; [unrolled: 2-line block ×3, first 2 shown]
	v_add_f64 v[12:13], v[12:13], -v[100:101]
	v_add_f64 v[36:37], v[48:49], -v[36:37]
	v_add_f64 v[12:13], v[12:13], v[112:113]
	v_add_f64 v[34:35], v[34:35], -v[36:37]
	s_mov_b32 s2, 0
	v_add_f64 v[12:13], v[12:13], v[34:35]
	s_mov_b32 s3, 0x7ff00000
	v_add_f64 v[12:13], v[48:49], v[12:13]
	v_cmp_eq_f64_e32 vcc, s[2:3], v[8:9]
	v_mov_b32_e32 v34, 0x7ff80000
	s_nop 0
	v_cndmask_b32_e32 v12, v12, v8, vcc
	v_cndmask_b32_e32 v13, v13, v9, vcc
	v_cmp_ngt_f64_e32 vcc, -1.0, v[8:9]
	s_nop 1
	v_cndmask_b32_e32 v13, v34, v13, vcc
	v_cmp_nge_f64_e32 vcc, -1.0, v[8:9]
	v_mov_b32_e32 v34, 0xfff00000
	s_nop 0
	v_cndmask_b32_e32 v12, 0, v12, vcc
	v_cmp_neq_f64_e32 vcc, -1.0, v[8:9]
	s_nop 1
	v_cndmask_b32_e32 v13, v34, v13, vcc
	v_add_f64 v[8:9], v[10:11], v[12:13]
.LBB2_344:
	s_or_b64 exec, exec, s[4:5]
	v_max_f64 v[10:11], v[8:9], v[8:9]
	v_min_f64 v[12:13], v[10:11], v[14:15]
	v_cmp_u_f64_e32 vcc, v[8:9], v[8:9]
	v_max_f64 v[10:11], v[10:11], v[14:15]
	s_nop 0
	v_cndmask_b32_e32 v12, v12, v8, vcc
	v_cndmask_b32_e32 v13, v13, v9, vcc
	;; [unrolled: 1-line block ×4, first 2 shown]
	v_cndmask_b32_e64 v35, v13, v103, s[10:11]
	v_cndmask_b32_e64 v34, v12, v102, s[10:11]
	;; [unrolled: 1-line block ×4, first 2 shown]
	s_movk_i32 s10, 0x1f8
	v_cmp_neq_f64_e32 vcc, v[34:35], v[12:13]
	v_cmp_class_f64_e64 s[2:3], v[34:35], s10
	s_or_b64 s[2:3], vcc, s[2:3]
	v_mov_b64_e32 v[10:11], v[8:9]
	s_and_saveexec_b64 s[4:5], s[2:3]
	s_cbranch_execz .LBB2_346
; %bb.345:
	s_mov_b32 s2, 0x652b82fe
	v_add_f64 v[10:11], v[34:35], -v[12:13]
	s_mov_b32 s3, 0x3ff71547
	v_mul_f64 v[14:15], v[10:11], s[2:3]
	v_rndne_f64_e32 v[14:15], v[14:15]
	s_mov_b32 s7, 0xbfe62e42
	s_mov_b32 s6, 0xfefa39ef
	v_fma_f64 v[34:35], s[6:7], v[14:15], v[10:11]
	s_mov_b32 s9, 0xbc7abc9e
	s_mov_b32 s8, 0x3b39803f
	;; [unrolled: 1-line block ×3, first 2 shown]
	v_fmac_f64_e32 v[34:35], s[8:9], v[14:15]
	v_mov_b32_e32 v36, 0xfca7ab0c
	v_mov_b32_e32 v37, 0x3e928af3
	s_mov_b32 s3, 0x3e5ade15
	v_fmac_f64_e32 v[36:37], s[2:3], v[34:35]
	v_mov_b32_e32 v48, 0x623fde64
	v_mov_b32_e32 v49, 0x3ec71dee
	v_fmac_f64_e32 v[48:49], v[34:35], v[36:37]
	v_mov_b32_e32 v36, 0x7c89e6b0
	v_mov_b32_e32 v37, 0x3efa0199
	v_fmac_f64_e32 v[36:37], v[34:35], v[48:49]
	v_mov_b32_e32 v48, 0x14761f6e
	v_mov_b32_e32 v49, 0x3f2a01a0
	v_fmac_f64_e32 v[48:49], v[34:35], v[36:37]
	v_mov_b32_e32 v36, 0x1852b7b0
	v_mov_b32_e32 v37, 0x3f56c16c
	v_fmac_f64_e32 v[36:37], v[34:35], v[48:49]
	v_mov_b32_e32 v48, 0x11122322
	v_mov_b32_e32 v49, 0x3f811111
	v_fmac_f64_e32 v[48:49], v[34:35], v[36:37]
	v_mov_b32_e32 v36, 0x555502a1
	v_mov_b32_e32 v37, 0x3fa55555
	v_fmac_f64_e32 v[36:37], v[34:35], v[48:49]
	v_mov_b32_e32 v48, 0x55555511
	v_mov_b32_e32 v49, 0x3fc55555
	v_fmac_f64_e32 v[48:49], v[34:35], v[36:37]
	v_mov_b32_e32 v36, 11
	v_mov_b32_e32 v37, 0x3fe00000
	s_mov_b32 s2, 0
	v_fmac_f64_e32 v[36:37], v[34:35], v[48:49]
	s_mov_b32 s3, 0x40900000
	v_fma_f64 v[36:37], v[34:35], v[36:37], 1.0
	v_cmp_nlt_f64_e32 vcc, s[2:3], v[10:11]
	s_mov_b32 s2, 0
	v_fma_f64 v[34:35], v[34:35], v[36:37], 1.0
	v_cvt_i32_f64_e32 v14, v[14:15]
	s_mov_b32 s3, 0xc090cc00
	v_ldexp_f64 v[14:15], v[34:35], v14
	v_mov_b32_e32 v34, 0x7ff00000
	v_cmp_ngt_f64_e64 s[2:3], s[2:3], v[10:11]
	v_cndmask_b32_e32 v15, v34, v15, vcc
	s_and_b64 vcc, s[2:3], vcc
	v_cndmask_b32_e64 v11, 0, v15, s[2:3]
	v_cndmask_b32_e32 v10, 0, v14, vcc
	v_add_f64 v[14:15], v[10:11], 1.0
	v_add_f64 v[34:35], v[14:15], -1.0
	v_add_f64 v[36:37], v[34:35], -v[14:15]
	v_add_f64 v[36:37], v[36:37], 1.0
	v_add_f64 v[34:35], v[10:11], -v[34:35]
	s_mov_b32 s2, 0x55555555
	v_add_f64 v[34:35], v[34:35], v[36:37]
	v_frexp_mant_f64_e32 v[36:37], v[14:15]
	s_mov_b32 s3, 0x3fe55555
	v_frexp_exp_i32_f64_e32 v48, v[14:15]
	v_cmp_gt_f64_e32 vcc, s[2:3], v[36:37]
	s_mov_b32 s2, 0xbf559e2b
	s_mov_b32 s3, 0x3fc3ab76
	v_subbrev_co_u32_e32 v53, vcc, 0, v48, vcc
	v_sub_u32_e32 v36, 0, v53
	v_ldexp_f64 v[14:15], v[14:15], v36
	v_ldexp_f64 v[34:35], v[34:35], v36
	v_add_f64 v[36:37], v[14:15], -1.0
	v_add_f64 v[102:103], v[14:15], 1.0
	v_add_f64 v[48:49], v[36:37], 1.0
	v_add_f64 v[112:113], v[102:103], -1.0
	v_add_f64 v[48:49], v[14:15], -v[48:49]
	v_add_f64 v[14:15], v[14:15], -v[112:113]
	v_add_f64 v[14:15], v[34:35], v[14:15]
	v_add_f64 v[48:49], v[34:35], v[48:49]
	;; [unrolled: 1-line block ×3, first 2 shown]
	v_rcp_f64_e32 v[112:113], v[34:35]
	v_add_f64 v[100:101], v[36:37], v[48:49]
	v_add_f64 v[36:37], v[100:101], -v[36:37]
	v_add_f64 v[36:37], v[48:49], -v[36:37]
	;; [unrolled: 1-line block ×4, first 2 shown]
	v_fma_f64 v[48:49], -v[34:35], v[112:113], 1.0
	v_fmac_f64_e32 v[112:113], v[48:49], v[112:113]
	v_fma_f64 v[48:49], -v[34:35], v[112:113], 1.0
	v_fmac_f64_e32 v[112:113], v[48:49], v[112:113]
	v_mul_f64 v[48:49], v[100:101], v[112:113]
	v_mul_f64 v[102:103], v[34:35], v[48:49]
	v_fma_f64 v[114:115], v[48:49], v[34:35], -v[102:103]
	v_fmac_f64_e32 v[114:115], v[48:49], v[14:15]
	v_add_f64 v[130:131], v[102:103], v[114:115]
	s_waitcnt lgkmcnt(0)
	v_add_f64 v[132:133], v[100:101], -v[130:131]
	v_add_f64 v[100:101], v[100:101], -v[132:133]
	;; [unrolled: 1-line block ×4, first 2 shown]
	v_add_f64 v[36:37], v[36:37], v[100:101]
	v_add_f64 v[100:101], v[102:103], -v[114:115]
	v_add_f64 v[36:37], v[100:101], v[36:37]
	v_add_f64 v[100:101], v[132:133], v[36:37]
	v_add_f64 v[102:103], v[132:133], -v[100:101]
	v_add_f64 v[36:37], v[36:37], v[102:103]
	v_mul_f64 v[102:103], v[112:113], v[100:101]
	v_mul_f64 v[114:115], v[34:35], v[102:103]
	v_fma_f64 v[34:35], v[102:103], v[34:35], -v[114:115]
	v_fmac_f64_e32 v[34:35], v[102:103], v[14:15]
	v_add_f64 v[14:15], v[114:115], v[34:35]
	v_add_f64 v[130:131], v[100:101], -v[14:15]
	v_add_f64 v[100:101], v[100:101], -v[130:131]
	;; [unrolled: 1-line block ×4, first 2 shown]
	v_add_f64 v[14:15], v[36:37], v[14:15]
	v_add_f64 v[34:35], v[114:115], -v[34:35]
	v_add_f64 v[14:15], v[34:35], v[14:15]
	v_add_f64 v[34:35], v[48:49], v[102:103]
	;; [unrolled: 1-line block ×3, first 2 shown]
	v_add_f64 v[36:37], v[34:35], -v[48:49]
	v_mul_f64 v[14:15], v[112:113], v[14:15]
	v_add_f64 v[36:37], v[102:103], -v[36:37]
	v_add_f64 v[14:15], v[36:37], v[14:15]
	v_add_f64 v[36:37], v[34:35], v[14:15]
	v_add_f64 v[34:35], v[36:37], -v[34:35]
	v_add_f64 v[14:15], v[14:15], -v[34:35]
	v_mul_f64 v[34:35], v[36:37], v[36:37]
	v_mov_b32_e32 v48, 0x6b47b09a
	v_mov_b32_e32 v49, 0x3fc38538
	v_fmac_f64_e32 v[48:49], s[2:3], v[34:35]
	v_mov_b32_e32 v100, 0xd7f4df2e
	v_mov_b32_e32 v101, 0x3fc7474d
	v_fmac_f64_e32 v[100:101], v[34:35], v[48:49]
	;; [unrolled: 3-line block ×6, first 2 shown]
	v_cvt_f64_i32_e32 v[48:49], v53
	s_mov_b32 s7, 0x3fe62e42
	v_mul_f64 v[102:103], v[48:49], s[6:7]
	v_fma_f64 v[112:113], v[48:49], s[6:7], -v[102:103]
	s_mov_b32 s9, 0x3c7abc9e
	v_fmac_f64_e32 v[112:113], s[8:9], v[48:49]
	v_add_f64 v[48:49], v[102:103], v[112:113]
	v_add_f64 v[102:103], v[48:49], -v[102:103]
	v_mul_f64 v[34:35], v[36:37], v[34:35]
	v_add_f64 v[102:103], v[112:113], -v[102:103]
	v_ldexp_f64 v[112:113], v[36:37], 1
	v_mul_f64 v[34:35], v[34:35], v[100:101]
	v_add_f64 v[36:37], v[112:113], v[34:35]
	v_add_f64 v[100:101], v[36:37], -v[112:113]
	v_ldexp_f64 v[14:15], v[14:15], 1
	v_add_f64 v[34:35], v[34:35], -v[100:101]
	v_add_f64 v[14:15], v[14:15], v[34:35]
	v_add_f64 v[34:35], v[36:37], v[14:15]
	v_add_f64 v[36:37], v[34:35], -v[36:37]
	v_add_f64 v[14:15], v[14:15], -v[36:37]
	v_add_f64 v[36:37], v[48:49], v[34:35]
	v_add_f64 v[100:101], v[36:37], -v[48:49]
	v_add_f64 v[112:113], v[36:37], -v[100:101]
	;; [unrolled: 1-line block ×4, first 2 shown]
	v_add_f64 v[34:35], v[34:35], v[48:49]
	v_add_f64 v[48:49], v[102:103], v[14:15]
	v_add_f64 v[100:101], v[48:49], -v[102:103]
	v_add_f64 v[34:35], v[48:49], v[34:35]
	v_add_f64 v[112:113], v[48:49], -v[100:101]
	;; [unrolled: 2-line block ×3, first 2 shown]
	v_add_f64 v[14:15], v[14:15], -v[100:101]
	v_add_f64 v[36:37], v[48:49], -v[36:37]
	v_add_f64 v[14:15], v[14:15], v[102:103]
	v_add_f64 v[34:35], v[34:35], -v[36:37]
	s_mov_b32 s2, 0
	v_add_f64 v[14:15], v[14:15], v[34:35]
	s_mov_b32 s3, 0x7ff00000
	v_add_f64 v[14:15], v[48:49], v[14:15]
	v_cmp_eq_f64_e32 vcc, s[2:3], v[10:11]
	v_mov_b32_e32 v34, 0x7ff80000
	s_nop 0
	v_cndmask_b32_e32 v14, v14, v10, vcc
	v_cndmask_b32_e32 v15, v15, v11, vcc
	v_cmp_ngt_f64_e32 vcc, -1.0, v[10:11]
	s_nop 1
	v_cndmask_b32_e32 v15, v34, v15, vcc
	v_cmp_nge_f64_e32 vcc, -1.0, v[10:11]
	v_mov_b32_e32 v34, 0xfff00000
	s_nop 0
	v_cndmask_b32_e32 v14, 0, v14, vcc
	v_cmp_neq_f64_e32 vcc, -1.0, v[10:11]
	s_nop 1
	v_cndmask_b32_e32 v15, v34, v15, vcc
	v_add_f64 v[10:11], v[12:13], v[14:15]
.LBB2_346:
	s_or_b64 exec, exec, s[4:5]
	v_max_f64 v[12:13], v[10:11], v[10:11]
	v_min_f64 v[14:15], v[12:13], v[16:17]
	v_cmp_u_f64_e32 vcc, v[10:11], v[10:11]
	v_max_f64 v[12:13], v[12:13], v[16:17]
	s_nop 0
	v_cndmask_b32_e32 v14, v14, v10, vcc
	v_cndmask_b32_e32 v15, v15, v11, vcc
	v_cndmask_b32_e32 v12, v12, v10, vcc
	v_cndmask_b32_e32 v13, v13, v11, vcc
	v_cndmask_b32_e64 v35, v15, v97, s[12:13]
	v_cndmask_b32_e64 v34, v14, v96, s[12:13]
	;; [unrolled: 1-line block ×4, first 2 shown]
	v_cmp_neq_f64_e32 vcc, v[34:35], v[14:15]
	v_cmp_class_f64_e64 s[2:3], v[34:35], s10
	s_or_b64 s[2:3], vcc, s[2:3]
	v_mov_b64_e32 v[12:13], v[10:11]
	s_and_saveexec_b64 s[4:5], s[2:3]
	s_cbranch_execz .LBB2_348
; %bb.347:
	s_mov_b32 s2, 0x652b82fe
	v_add_f64 v[12:13], v[34:35], -v[14:15]
	s_mov_b32 s3, 0x3ff71547
	v_mul_f64 v[16:17], v[12:13], s[2:3]
	v_rndne_f64_e32 v[16:17], v[16:17]
	s_mov_b32 s7, 0xbfe62e42
	s_mov_b32 s6, 0xfefa39ef
	v_fma_f64 v[34:35], s[6:7], v[16:17], v[12:13]
	s_mov_b32 s9, 0xbc7abc9e
	s_mov_b32 s8, 0x3b39803f
	;; [unrolled: 1-line block ×3, first 2 shown]
	v_fmac_f64_e32 v[34:35], s[8:9], v[16:17]
	v_mov_b32_e32 v36, 0xfca7ab0c
	v_mov_b32_e32 v37, 0x3e928af3
	s_mov_b32 s3, 0x3e5ade15
	v_fmac_f64_e32 v[36:37], s[2:3], v[34:35]
	v_mov_b32_e32 v48, 0x623fde64
	v_mov_b32_e32 v49, 0x3ec71dee
	v_fmac_f64_e32 v[48:49], v[34:35], v[36:37]
	v_mov_b32_e32 v36, 0x7c89e6b0
	v_mov_b32_e32 v37, 0x3efa0199
	v_fmac_f64_e32 v[36:37], v[34:35], v[48:49]
	v_mov_b32_e32 v48, 0x14761f6e
	v_mov_b32_e32 v49, 0x3f2a01a0
	v_fmac_f64_e32 v[48:49], v[34:35], v[36:37]
	v_mov_b32_e32 v36, 0x1852b7b0
	v_mov_b32_e32 v37, 0x3f56c16c
	v_fmac_f64_e32 v[36:37], v[34:35], v[48:49]
	v_mov_b32_e32 v48, 0x11122322
	v_mov_b32_e32 v49, 0x3f811111
	v_fmac_f64_e32 v[48:49], v[34:35], v[36:37]
	v_mov_b32_e32 v36, 0x555502a1
	v_mov_b32_e32 v37, 0x3fa55555
	v_fmac_f64_e32 v[36:37], v[34:35], v[48:49]
	v_mov_b32_e32 v48, 0x55555511
	v_mov_b32_e32 v49, 0x3fc55555
	v_fmac_f64_e32 v[48:49], v[34:35], v[36:37]
	v_mov_b32_e32 v36, 11
	v_mov_b32_e32 v37, 0x3fe00000
	s_mov_b32 s2, 0
	v_fmac_f64_e32 v[36:37], v[34:35], v[48:49]
	s_mov_b32 s3, 0x40900000
	v_fma_f64 v[36:37], v[34:35], v[36:37], 1.0
	v_cmp_nlt_f64_e32 vcc, s[2:3], v[12:13]
	s_mov_b32 s2, 0
	v_fma_f64 v[34:35], v[34:35], v[36:37], 1.0
	v_cvt_i32_f64_e32 v16, v[16:17]
	s_mov_b32 s3, 0xc090cc00
	v_ldexp_f64 v[16:17], v[34:35], v16
	v_mov_b32_e32 v34, 0x7ff00000
	v_cmp_ngt_f64_e64 s[2:3], s[2:3], v[12:13]
	v_cndmask_b32_e32 v17, v34, v17, vcc
	s_and_b64 vcc, s[2:3], vcc
	v_cndmask_b32_e64 v13, 0, v17, s[2:3]
	v_cndmask_b32_e32 v12, 0, v16, vcc
	v_add_f64 v[16:17], v[12:13], 1.0
	v_add_f64 v[34:35], v[16:17], -1.0
	v_add_f64 v[36:37], v[34:35], -v[16:17]
	v_add_f64 v[36:37], v[36:37], 1.0
	v_add_f64 v[34:35], v[12:13], -v[34:35]
	s_mov_b32 s2, 0x55555555
	v_add_f64 v[34:35], v[34:35], v[36:37]
	v_frexp_mant_f64_e32 v[36:37], v[16:17]
	s_mov_b32 s3, 0x3fe55555
	v_frexp_exp_i32_f64_e32 v48, v[16:17]
	v_cmp_gt_f64_e32 vcc, s[2:3], v[36:37]
	s_mov_b32 s2, 0xbf559e2b
	s_mov_b32 s3, 0x3fc3ab76
	v_subbrev_co_u32_e32 v53, vcc, 0, v48, vcc
	v_sub_u32_e32 v36, 0, v53
	v_ldexp_f64 v[16:17], v[16:17], v36
	v_ldexp_f64 v[34:35], v[34:35], v36
	v_add_f64 v[36:37], v[16:17], -1.0
	v_add_f64 v[100:101], v[16:17], 1.0
	v_add_f64 v[48:49], v[36:37], 1.0
	v_add_f64 v[102:103], v[100:101], -1.0
	v_add_f64 v[48:49], v[16:17], -v[48:49]
	v_add_f64 v[16:17], v[16:17], -v[102:103]
	v_add_f64 v[16:17], v[34:35], v[16:17]
	v_add_f64 v[48:49], v[34:35], v[48:49]
	;; [unrolled: 1-line block ×3, first 2 shown]
	v_rcp_f64_e32 v[102:103], v[34:35]
	v_add_f64 v[96:97], v[36:37], v[48:49]
	v_add_f64 v[36:37], v[96:97], -v[36:37]
	v_add_f64 v[36:37], v[48:49], -v[36:37]
	;; [unrolled: 1-line block ×4, first 2 shown]
	v_fma_f64 v[48:49], -v[34:35], v[102:103], 1.0
	v_fmac_f64_e32 v[102:103], v[48:49], v[102:103]
	v_fma_f64 v[48:49], -v[34:35], v[102:103], 1.0
	v_fmac_f64_e32 v[102:103], v[48:49], v[102:103]
	v_mul_f64 v[48:49], v[96:97], v[102:103]
	v_mul_f64 v[100:101], v[34:35], v[48:49]
	v_fma_f64 v[112:113], v[48:49], v[34:35], -v[100:101]
	v_fmac_f64_e32 v[112:113], v[48:49], v[16:17]
	v_add_f64 v[114:115], v[100:101], v[112:113]
	v_add_f64 v[130:131], v[96:97], -v[114:115]
	v_add_f64 v[96:97], v[96:97], -v[130:131]
	;; [unrolled: 1-line block ×4, first 2 shown]
	v_add_f64 v[36:37], v[36:37], v[96:97]
	v_add_f64 v[96:97], v[100:101], -v[112:113]
	v_add_f64 v[36:37], v[96:97], v[36:37]
	v_add_f64 v[96:97], v[130:131], v[36:37]
	v_add_f64 v[100:101], v[130:131], -v[96:97]
	v_add_f64 v[36:37], v[36:37], v[100:101]
	v_mul_f64 v[100:101], v[102:103], v[96:97]
	v_mul_f64 v[112:113], v[34:35], v[100:101]
	v_fma_f64 v[34:35], v[100:101], v[34:35], -v[112:113]
	v_fmac_f64_e32 v[34:35], v[100:101], v[16:17]
	v_add_f64 v[16:17], v[112:113], v[34:35]
	v_add_f64 v[114:115], v[96:97], -v[16:17]
	v_add_f64 v[96:97], v[96:97], -v[114:115]
	;; [unrolled: 1-line block ×4, first 2 shown]
	v_add_f64 v[16:17], v[36:37], v[16:17]
	v_add_f64 v[34:35], v[112:113], -v[34:35]
	v_add_f64 v[16:17], v[34:35], v[16:17]
	v_add_f64 v[34:35], v[48:49], v[100:101]
	;; [unrolled: 1-line block ×3, first 2 shown]
	v_add_f64 v[36:37], v[34:35], -v[48:49]
	v_mul_f64 v[16:17], v[102:103], v[16:17]
	v_add_f64 v[36:37], v[100:101], -v[36:37]
	v_add_f64 v[16:17], v[36:37], v[16:17]
	v_add_f64 v[36:37], v[34:35], v[16:17]
	v_add_f64 v[34:35], v[36:37], -v[34:35]
	v_add_f64 v[16:17], v[16:17], -v[34:35]
	v_mul_f64 v[34:35], v[36:37], v[36:37]
	v_mov_b32_e32 v48, 0x6b47b09a
	v_mov_b32_e32 v49, 0x3fc38538
	v_fmac_f64_e32 v[48:49], s[2:3], v[34:35]
	v_mov_b32_e32 v96, 0xd7f4df2e
	v_mov_b32_e32 v97, 0x3fc7474d
	v_fmac_f64_e32 v[96:97], v[34:35], v[48:49]
	;; [unrolled: 3-line block ×6, first 2 shown]
	v_cvt_f64_i32_e32 v[48:49], v53
	s_mov_b32 s7, 0x3fe62e42
	v_mul_f64 v[100:101], v[48:49], s[6:7]
	v_fma_f64 v[102:103], v[48:49], s[6:7], -v[100:101]
	s_mov_b32 s9, 0x3c7abc9e
	v_fmac_f64_e32 v[102:103], s[8:9], v[48:49]
	v_add_f64 v[48:49], v[100:101], v[102:103]
	v_add_f64 v[100:101], v[48:49], -v[100:101]
	v_mul_f64 v[34:35], v[36:37], v[34:35]
	v_add_f64 v[100:101], v[102:103], -v[100:101]
	v_ldexp_f64 v[102:103], v[36:37], 1
	v_mul_f64 v[34:35], v[34:35], v[96:97]
	v_add_f64 v[36:37], v[102:103], v[34:35]
	v_add_f64 v[96:97], v[36:37], -v[102:103]
	v_ldexp_f64 v[16:17], v[16:17], 1
	v_add_f64 v[34:35], v[34:35], -v[96:97]
	v_add_f64 v[16:17], v[16:17], v[34:35]
	v_add_f64 v[34:35], v[36:37], v[16:17]
	v_add_f64 v[36:37], v[34:35], -v[36:37]
	v_add_f64 v[16:17], v[16:17], -v[36:37]
	v_add_f64 v[36:37], v[48:49], v[34:35]
	v_add_f64 v[96:97], v[36:37], -v[48:49]
	v_add_f64 v[102:103], v[36:37], -v[96:97]
	;; [unrolled: 1-line block ×4, first 2 shown]
	v_add_f64 v[34:35], v[34:35], v[48:49]
	v_add_f64 v[48:49], v[100:101], v[16:17]
	v_add_f64 v[96:97], v[48:49], -v[100:101]
	v_add_f64 v[34:35], v[48:49], v[34:35]
	v_add_f64 v[102:103], v[48:49], -v[96:97]
	;; [unrolled: 2-line block ×3, first 2 shown]
	v_add_f64 v[16:17], v[16:17], -v[96:97]
	v_add_f64 v[36:37], v[48:49], -v[36:37]
	v_add_f64 v[16:17], v[16:17], v[100:101]
	v_add_f64 v[34:35], v[34:35], -v[36:37]
	s_mov_b32 s2, 0
	v_add_f64 v[16:17], v[16:17], v[34:35]
	s_mov_b32 s3, 0x7ff00000
	v_add_f64 v[16:17], v[48:49], v[16:17]
	v_cmp_eq_f64_e32 vcc, s[2:3], v[12:13]
	v_mov_b32_e32 v34, 0x7ff80000
	s_nop 0
	v_cndmask_b32_e32 v16, v16, v12, vcc
	v_cndmask_b32_e32 v17, v17, v13, vcc
	v_cmp_ngt_f64_e32 vcc, -1.0, v[12:13]
	s_nop 1
	v_cndmask_b32_e32 v17, v34, v17, vcc
	v_cmp_nge_f64_e32 vcc, -1.0, v[12:13]
	v_mov_b32_e32 v34, 0xfff00000
	s_nop 0
	v_cndmask_b32_e32 v16, 0, v16, vcc
	v_cmp_neq_f64_e32 vcc, -1.0, v[12:13]
	s_nop 1
	v_cndmask_b32_e32 v17, v34, v17, vcc
	v_add_f64 v[12:13], v[14:15], v[16:17]
.LBB2_348:
	s_or_b64 exec, exec, s[4:5]
	v_max_f64 v[14:15], v[12:13], v[12:13]
	v_min_f64 v[16:17], v[14:15], v[18:19]
	v_cmp_u_f64_e32 vcc, v[12:13], v[12:13]
	v_max_f64 v[14:15], v[14:15], v[18:19]
	s_nop 0
	v_cndmask_b32_e32 v16, v16, v12, vcc
	v_cndmask_b32_e32 v17, v17, v13, vcc
	v_cndmask_b32_e32 v14, v14, v12, vcc
	v_cndmask_b32_e32 v15, v15, v13, vcc
	v_cndmask_b32_e64 v35, v17, v99, s[14:15]
	v_cndmask_b32_e64 v34, v16, v98, s[14:15]
	;; [unrolled: 1-line block ×4, first 2 shown]
	v_cmp_neq_f64_e32 vcc, v[34:35], v[16:17]
	v_cmp_class_f64_e64 s[2:3], v[34:35], s10
	s_or_b64 s[2:3], vcc, s[2:3]
	v_mov_b64_e32 v[14:15], v[12:13]
	s_and_saveexec_b64 s[4:5], s[2:3]
	s_cbranch_execz .LBB2_350
; %bb.349:
	s_mov_b32 s2, 0x652b82fe
	v_add_f64 v[14:15], v[34:35], -v[16:17]
	s_mov_b32 s3, 0x3ff71547
	v_mul_f64 v[18:19], v[14:15], s[2:3]
	v_rndne_f64_e32 v[18:19], v[18:19]
	s_mov_b32 s7, 0xbfe62e42
	s_mov_b32 s6, 0xfefa39ef
	v_fma_f64 v[34:35], s[6:7], v[18:19], v[14:15]
	s_mov_b32 s9, 0xbc7abc9e
	s_mov_b32 s8, 0x3b39803f
	s_mov_b32 s2, 0x6a5dcb37
	v_fmac_f64_e32 v[34:35], s[8:9], v[18:19]
	v_mov_b32_e32 v36, 0xfca7ab0c
	v_mov_b32_e32 v37, 0x3e928af3
	s_mov_b32 s3, 0x3e5ade15
	v_fmac_f64_e32 v[36:37], s[2:3], v[34:35]
	v_mov_b32_e32 v48, 0x623fde64
	v_mov_b32_e32 v49, 0x3ec71dee
	v_fmac_f64_e32 v[48:49], v[34:35], v[36:37]
	v_mov_b32_e32 v36, 0x7c89e6b0
	v_mov_b32_e32 v37, 0x3efa0199
	;; [unrolled: 3-line block ×8, first 2 shown]
	s_mov_b32 s2, 0
	v_fmac_f64_e32 v[36:37], v[34:35], v[48:49]
	s_mov_b32 s3, 0x40900000
	v_fma_f64 v[36:37], v[34:35], v[36:37], 1.0
	v_cmp_nlt_f64_e32 vcc, s[2:3], v[14:15]
	s_mov_b32 s2, 0
	v_fma_f64 v[34:35], v[34:35], v[36:37], 1.0
	v_cvt_i32_f64_e32 v18, v[18:19]
	s_mov_b32 s3, 0xc090cc00
	v_ldexp_f64 v[18:19], v[34:35], v18
	v_mov_b32_e32 v34, 0x7ff00000
	v_cmp_ngt_f64_e64 s[2:3], s[2:3], v[14:15]
	v_cndmask_b32_e32 v19, v34, v19, vcc
	s_and_b64 vcc, s[2:3], vcc
	v_cndmask_b32_e64 v15, 0, v19, s[2:3]
	v_cndmask_b32_e32 v14, 0, v18, vcc
	v_add_f64 v[18:19], v[14:15], 1.0
	v_add_f64 v[34:35], v[18:19], -1.0
	v_add_f64 v[36:37], v[34:35], -v[18:19]
	v_add_f64 v[36:37], v[36:37], 1.0
	v_add_f64 v[34:35], v[14:15], -v[34:35]
	s_mov_b32 s2, 0x55555555
	v_add_f64 v[34:35], v[34:35], v[36:37]
	v_frexp_mant_f64_e32 v[36:37], v[18:19]
	s_mov_b32 s3, 0x3fe55555
	v_frexp_exp_i32_f64_e32 v48, v[18:19]
	v_cmp_gt_f64_e32 vcc, s[2:3], v[36:37]
	s_mov_b32 s2, 0xbf559e2b
	s_mov_b32 s3, 0x3fc3ab76
	v_subbrev_co_u32_e32 v53, vcc, 0, v48, vcc
	v_sub_u32_e32 v36, 0, v53
	v_ldexp_f64 v[18:19], v[18:19], v36
	v_ldexp_f64 v[34:35], v[34:35], v36
	v_add_f64 v[36:37], v[18:19], -1.0
	v_add_f64 v[98:99], v[18:19], 1.0
	v_add_f64 v[48:49], v[36:37], 1.0
	v_add_f64 v[100:101], v[98:99], -1.0
	v_add_f64 v[48:49], v[18:19], -v[48:49]
	v_add_f64 v[18:19], v[18:19], -v[100:101]
	v_add_f64 v[18:19], v[34:35], v[18:19]
	v_add_f64 v[48:49], v[34:35], v[48:49]
	v_add_f64 v[34:35], v[98:99], v[18:19]
	v_rcp_f64_e32 v[100:101], v[34:35]
	v_add_f64 v[96:97], v[36:37], v[48:49]
	v_add_f64 v[36:37], v[96:97], -v[36:37]
	v_add_f64 v[36:37], v[48:49], -v[36:37]
	;; [unrolled: 1-line block ×4, first 2 shown]
	v_fma_f64 v[48:49], -v[34:35], v[100:101], 1.0
	v_fmac_f64_e32 v[100:101], v[48:49], v[100:101]
	v_fma_f64 v[48:49], -v[34:35], v[100:101], 1.0
	v_fmac_f64_e32 v[100:101], v[48:49], v[100:101]
	v_mul_f64 v[48:49], v[96:97], v[100:101]
	v_mul_f64 v[98:99], v[34:35], v[48:49]
	v_fma_f64 v[102:103], v[48:49], v[34:35], -v[98:99]
	v_fmac_f64_e32 v[102:103], v[48:49], v[18:19]
	v_add_f64 v[112:113], v[98:99], v[102:103]
	v_add_f64 v[114:115], v[96:97], -v[112:113]
	v_add_f64 v[96:97], v[96:97], -v[114:115]
	;; [unrolled: 1-line block ×4, first 2 shown]
	v_add_f64 v[36:37], v[36:37], v[96:97]
	v_add_f64 v[96:97], v[98:99], -v[102:103]
	v_add_f64 v[36:37], v[96:97], v[36:37]
	v_add_f64 v[96:97], v[114:115], v[36:37]
	v_add_f64 v[98:99], v[114:115], -v[96:97]
	v_add_f64 v[36:37], v[36:37], v[98:99]
	v_mul_f64 v[98:99], v[100:101], v[96:97]
	v_mul_f64 v[102:103], v[34:35], v[98:99]
	v_fma_f64 v[34:35], v[98:99], v[34:35], -v[102:103]
	v_fmac_f64_e32 v[34:35], v[98:99], v[18:19]
	v_add_f64 v[18:19], v[102:103], v[34:35]
	v_add_f64 v[112:113], v[96:97], -v[18:19]
	v_add_f64 v[96:97], v[96:97], -v[112:113]
	;; [unrolled: 1-line block ×4, first 2 shown]
	v_add_f64 v[18:19], v[36:37], v[18:19]
	v_add_f64 v[34:35], v[102:103], -v[34:35]
	v_add_f64 v[18:19], v[34:35], v[18:19]
	v_add_f64 v[34:35], v[48:49], v[98:99]
	v_add_f64 v[18:19], v[112:113], v[18:19]
	v_add_f64 v[36:37], v[34:35], -v[48:49]
	v_mul_f64 v[18:19], v[100:101], v[18:19]
	v_add_f64 v[36:37], v[98:99], -v[36:37]
	v_add_f64 v[18:19], v[36:37], v[18:19]
	v_add_f64 v[36:37], v[34:35], v[18:19]
	v_add_f64 v[34:35], v[36:37], -v[34:35]
	v_add_f64 v[18:19], v[18:19], -v[34:35]
	v_mul_f64 v[34:35], v[36:37], v[36:37]
	v_mov_b32_e32 v48, 0x6b47b09a
	v_mov_b32_e32 v49, 0x3fc38538
	v_fmac_f64_e32 v[48:49], s[2:3], v[34:35]
	v_mov_b32_e32 v96, 0xd7f4df2e
	v_mov_b32_e32 v97, 0x3fc7474d
	v_fmac_f64_e32 v[96:97], v[34:35], v[48:49]
	;; [unrolled: 3-line block ×6, first 2 shown]
	v_cvt_f64_i32_e32 v[48:49], v53
	s_mov_b32 s7, 0x3fe62e42
	v_mul_f64 v[98:99], v[48:49], s[6:7]
	v_fma_f64 v[100:101], v[48:49], s[6:7], -v[98:99]
	s_mov_b32 s9, 0x3c7abc9e
	v_fmac_f64_e32 v[100:101], s[8:9], v[48:49]
	v_add_f64 v[48:49], v[98:99], v[100:101]
	v_add_f64 v[98:99], v[48:49], -v[98:99]
	v_mul_f64 v[34:35], v[36:37], v[34:35]
	v_add_f64 v[98:99], v[100:101], -v[98:99]
	v_ldexp_f64 v[100:101], v[36:37], 1
	v_mul_f64 v[34:35], v[34:35], v[96:97]
	v_add_f64 v[36:37], v[100:101], v[34:35]
	v_add_f64 v[96:97], v[36:37], -v[100:101]
	v_ldexp_f64 v[18:19], v[18:19], 1
	v_add_f64 v[34:35], v[34:35], -v[96:97]
	v_add_f64 v[18:19], v[18:19], v[34:35]
	v_add_f64 v[34:35], v[36:37], v[18:19]
	v_add_f64 v[36:37], v[34:35], -v[36:37]
	v_add_f64 v[18:19], v[18:19], -v[36:37]
	v_add_f64 v[36:37], v[48:49], v[34:35]
	v_add_f64 v[96:97], v[36:37], -v[48:49]
	v_add_f64 v[100:101], v[36:37], -v[96:97]
	;; [unrolled: 1-line block ×4, first 2 shown]
	v_add_f64 v[34:35], v[34:35], v[48:49]
	v_add_f64 v[48:49], v[98:99], v[18:19]
	v_add_f64 v[96:97], v[48:49], -v[98:99]
	v_add_f64 v[34:35], v[48:49], v[34:35]
	v_add_f64 v[100:101], v[48:49], -v[96:97]
	;; [unrolled: 2-line block ×3, first 2 shown]
	v_add_f64 v[18:19], v[18:19], -v[96:97]
	v_add_f64 v[36:37], v[48:49], -v[36:37]
	v_add_f64 v[18:19], v[18:19], v[98:99]
	v_add_f64 v[34:35], v[34:35], -v[36:37]
	s_mov_b32 s2, 0
	v_add_f64 v[18:19], v[18:19], v[34:35]
	s_mov_b32 s3, 0x7ff00000
	v_add_f64 v[18:19], v[48:49], v[18:19]
	v_cmp_eq_f64_e32 vcc, s[2:3], v[14:15]
	v_mov_b32_e32 v34, 0x7ff80000
	s_nop 0
	v_cndmask_b32_e32 v18, v18, v14, vcc
	v_cndmask_b32_e32 v19, v19, v15, vcc
	v_cmp_ngt_f64_e32 vcc, -1.0, v[14:15]
	s_nop 1
	v_cndmask_b32_e32 v19, v34, v19, vcc
	v_cmp_nge_f64_e32 vcc, -1.0, v[14:15]
	v_mov_b32_e32 v34, 0xfff00000
	s_nop 0
	v_cndmask_b32_e32 v18, 0, v18, vcc
	v_cmp_neq_f64_e32 vcc, -1.0, v[14:15]
	s_nop 1
	v_cndmask_b32_e32 v19, v34, v19, vcc
	v_add_f64 v[14:15], v[16:17], v[18:19]
.LBB2_350:
	s_or_b64 exec, exec, s[4:5]
	v_max_f64 v[16:17], v[14:15], v[14:15]
	v_min_f64 v[18:19], v[16:17], v[20:21]
	v_cmp_u_f64_e32 vcc, v[14:15], v[14:15]
	v_max_f64 v[16:17], v[16:17], v[20:21]
	s_nop 0
	v_cndmask_b32_e32 v18, v18, v14, vcc
	v_cndmask_b32_e32 v19, v19, v15, vcc
	;; [unrolled: 1-line block ×4, first 2 shown]
	v_cndmask_b32_e64 v35, v19, v85, s[16:17]
	v_cndmask_b32_e64 v34, v18, v84, s[16:17]
	;; [unrolled: 1-line block ×4, first 2 shown]
	v_cmp_neq_f64_e32 vcc, v[34:35], v[18:19]
	v_cmp_class_f64_e64 s[2:3], v[34:35], s10
	s_or_b64 s[2:3], vcc, s[2:3]
	v_mov_b64_e32 v[16:17], v[14:15]
	s_and_saveexec_b64 s[4:5], s[2:3]
	s_cbranch_execz .LBB2_352
; %bb.351:
	s_mov_b32 s2, 0x652b82fe
	v_add_f64 v[16:17], v[34:35], -v[18:19]
	s_mov_b32 s3, 0x3ff71547
	v_mul_f64 v[20:21], v[16:17], s[2:3]
	v_rndne_f64_e32 v[20:21], v[20:21]
	s_mov_b32 s7, 0xbfe62e42
	s_mov_b32 s6, 0xfefa39ef
	v_fma_f64 v[34:35], s[6:7], v[20:21], v[16:17]
	s_mov_b32 s9, 0xbc7abc9e
	s_mov_b32 s8, 0x3b39803f
	;; [unrolled: 1-line block ×3, first 2 shown]
	v_fmac_f64_e32 v[34:35], s[8:9], v[20:21]
	v_mov_b32_e32 v36, 0xfca7ab0c
	v_mov_b32_e32 v37, 0x3e928af3
	s_mov_b32 s3, 0x3e5ade15
	v_fmac_f64_e32 v[36:37], s[2:3], v[34:35]
	v_mov_b32_e32 v48, 0x623fde64
	v_mov_b32_e32 v49, 0x3ec71dee
	v_fmac_f64_e32 v[48:49], v[34:35], v[36:37]
	v_mov_b32_e32 v36, 0x7c89e6b0
	v_mov_b32_e32 v37, 0x3efa0199
	v_fmac_f64_e32 v[36:37], v[34:35], v[48:49]
	v_mov_b32_e32 v48, 0x14761f6e
	v_mov_b32_e32 v49, 0x3f2a01a0
	v_fmac_f64_e32 v[48:49], v[34:35], v[36:37]
	v_mov_b32_e32 v36, 0x1852b7b0
	v_mov_b32_e32 v37, 0x3f56c16c
	v_fmac_f64_e32 v[36:37], v[34:35], v[48:49]
	v_mov_b32_e32 v48, 0x11122322
	v_mov_b32_e32 v49, 0x3f811111
	v_fmac_f64_e32 v[48:49], v[34:35], v[36:37]
	v_mov_b32_e32 v36, 0x555502a1
	v_mov_b32_e32 v37, 0x3fa55555
	v_fmac_f64_e32 v[36:37], v[34:35], v[48:49]
	v_mov_b32_e32 v48, 0x55555511
	v_mov_b32_e32 v49, 0x3fc55555
	v_fmac_f64_e32 v[48:49], v[34:35], v[36:37]
	v_mov_b32_e32 v36, 11
	v_mov_b32_e32 v37, 0x3fe00000
	s_mov_b32 s2, 0
	v_fmac_f64_e32 v[36:37], v[34:35], v[48:49]
	s_mov_b32 s3, 0x40900000
	v_fma_f64 v[36:37], v[34:35], v[36:37], 1.0
	v_cmp_nlt_f64_e32 vcc, s[2:3], v[16:17]
	s_mov_b32 s2, 0
	v_fma_f64 v[34:35], v[34:35], v[36:37], 1.0
	v_cvt_i32_f64_e32 v20, v[20:21]
	s_mov_b32 s3, 0xc090cc00
	v_ldexp_f64 v[20:21], v[34:35], v20
	v_mov_b32_e32 v34, 0x7ff00000
	v_cmp_ngt_f64_e64 s[2:3], s[2:3], v[16:17]
	v_cndmask_b32_e32 v21, v34, v21, vcc
	s_and_b64 vcc, s[2:3], vcc
	v_cndmask_b32_e64 v17, 0, v21, s[2:3]
	v_cndmask_b32_e32 v16, 0, v20, vcc
	v_add_f64 v[20:21], v[16:17], 1.0
	v_add_f64 v[34:35], v[20:21], -1.0
	v_add_f64 v[36:37], v[34:35], -v[20:21]
	v_add_f64 v[36:37], v[36:37], 1.0
	v_add_f64 v[34:35], v[16:17], -v[34:35]
	s_mov_b32 s2, 0x55555555
	v_add_f64 v[34:35], v[34:35], v[36:37]
	v_frexp_mant_f64_e32 v[36:37], v[20:21]
	s_mov_b32 s3, 0x3fe55555
	v_frexp_exp_i32_f64_e32 v48, v[20:21]
	v_cmp_gt_f64_e32 vcc, s[2:3], v[36:37]
	s_mov_b32 s2, 0xbf559e2b
	s_mov_b32 s3, 0x3fc3ab76
	v_subbrev_co_u32_e32 v53, vcc, 0, v48, vcc
	v_sub_u32_e32 v36, 0, v53
	v_ldexp_f64 v[20:21], v[20:21], v36
	v_ldexp_f64 v[34:35], v[34:35], v36
	v_add_f64 v[36:37], v[20:21], -1.0
	v_add_f64 v[96:97], v[20:21], 1.0
	v_add_f64 v[48:49], v[36:37], 1.0
	v_add_f64 v[98:99], v[96:97], -1.0
	v_add_f64 v[48:49], v[20:21], -v[48:49]
	v_add_f64 v[20:21], v[20:21], -v[98:99]
	v_add_f64 v[20:21], v[34:35], v[20:21]
	v_add_f64 v[48:49], v[34:35], v[48:49]
	;; [unrolled: 1-line block ×3, first 2 shown]
	v_rcp_f64_e32 v[98:99], v[34:35]
	v_add_f64 v[84:85], v[36:37], v[48:49]
	v_add_f64 v[36:37], v[84:85], -v[36:37]
	v_add_f64 v[36:37], v[48:49], -v[36:37]
	;; [unrolled: 1-line block ×4, first 2 shown]
	v_fma_f64 v[48:49], -v[34:35], v[98:99], 1.0
	v_fmac_f64_e32 v[98:99], v[48:49], v[98:99]
	v_fma_f64 v[48:49], -v[34:35], v[98:99], 1.0
	v_fmac_f64_e32 v[98:99], v[48:49], v[98:99]
	v_mul_f64 v[48:49], v[84:85], v[98:99]
	v_mul_f64 v[96:97], v[34:35], v[48:49]
	v_fma_f64 v[100:101], v[48:49], v[34:35], -v[96:97]
	v_fmac_f64_e32 v[100:101], v[48:49], v[20:21]
	v_add_f64 v[102:103], v[96:97], v[100:101]
	v_add_f64 v[112:113], v[84:85], -v[102:103]
	v_add_f64 v[84:85], v[84:85], -v[112:113]
	;; [unrolled: 1-line block ×4, first 2 shown]
	v_add_f64 v[36:37], v[36:37], v[84:85]
	v_add_f64 v[84:85], v[96:97], -v[100:101]
	v_add_f64 v[36:37], v[84:85], v[36:37]
	v_add_f64 v[84:85], v[112:113], v[36:37]
	v_add_f64 v[96:97], v[112:113], -v[84:85]
	v_add_f64 v[36:37], v[36:37], v[96:97]
	v_mul_f64 v[96:97], v[98:99], v[84:85]
	v_mul_f64 v[100:101], v[34:35], v[96:97]
	v_fma_f64 v[34:35], v[96:97], v[34:35], -v[100:101]
	v_fmac_f64_e32 v[34:35], v[96:97], v[20:21]
	v_add_f64 v[20:21], v[100:101], v[34:35]
	v_add_f64 v[102:103], v[84:85], -v[20:21]
	v_add_f64 v[84:85], v[84:85], -v[102:103]
	;; [unrolled: 1-line block ×4, first 2 shown]
	v_add_f64 v[20:21], v[36:37], v[20:21]
	v_add_f64 v[34:35], v[100:101], -v[34:35]
	v_add_f64 v[20:21], v[34:35], v[20:21]
	v_add_f64 v[34:35], v[48:49], v[96:97]
	;; [unrolled: 1-line block ×3, first 2 shown]
	v_add_f64 v[36:37], v[34:35], -v[48:49]
	v_mul_f64 v[20:21], v[98:99], v[20:21]
	v_add_f64 v[36:37], v[96:97], -v[36:37]
	v_add_f64 v[20:21], v[36:37], v[20:21]
	v_add_f64 v[36:37], v[34:35], v[20:21]
	v_add_f64 v[34:35], v[36:37], -v[34:35]
	v_add_f64 v[20:21], v[20:21], -v[34:35]
	v_mul_f64 v[34:35], v[36:37], v[36:37]
	v_mov_b32_e32 v48, 0x6b47b09a
	v_mov_b32_e32 v49, 0x3fc38538
	v_fmac_f64_e32 v[48:49], s[2:3], v[34:35]
	v_mov_b32_e32 v84, 0xd7f4df2e
	v_mov_b32_e32 v85, 0x3fc7474d
	v_fmac_f64_e32 v[84:85], v[34:35], v[48:49]
	;; [unrolled: 3-line block ×6, first 2 shown]
	v_cvt_f64_i32_e32 v[48:49], v53
	s_mov_b32 s7, 0x3fe62e42
	v_mul_f64 v[96:97], v[48:49], s[6:7]
	v_fma_f64 v[98:99], v[48:49], s[6:7], -v[96:97]
	s_mov_b32 s9, 0x3c7abc9e
	v_fmac_f64_e32 v[98:99], s[8:9], v[48:49]
	v_add_f64 v[48:49], v[96:97], v[98:99]
	v_add_f64 v[96:97], v[48:49], -v[96:97]
	v_mul_f64 v[34:35], v[36:37], v[34:35]
	v_add_f64 v[96:97], v[98:99], -v[96:97]
	v_ldexp_f64 v[98:99], v[36:37], 1
	v_mul_f64 v[34:35], v[34:35], v[84:85]
	v_add_f64 v[36:37], v[98:99], v[34:35]
	v_add_f64 v[84:85], v[36:37], -v[98:99]
	v_ldexp_f64 v[20:21], v[20:21], 1
	v_add_f64 v[34:35], v[34:35], -v[84:85]
	v_add_f64 v[20:21], v[20:21], v[34:35]
	v_add_f64 v[34:35], v[36:37], v[20:21]
	v_add_f64 v[36:37], v[34:35], -v[36:37]
	v_add_f64 v[20:21], v[20:21], -v[36:37]
	v_add_f64 v[36:37], v[48:49], v[34:35]
	v_add_f64 v[84:85], v[36:37], -v[48:49]
	v_add_f64 v[98:99], v[36:37], -v[84:85]
	;; [unrolled: 1-line block ×4, first 2 shown]
	v_add_f64 v[34:35], v[34:35], v[48:49]
	v_add_f64 v[48:49], v[96:97], v[20:21]
	v_add_f64 v[84:85], v[48:49], -v[96:97]
	v_add_f64 v[34:35], v[48:49], v[34:35]
	v_add_f64 v[98:99], v[48:49], -v[84:85]
	v_add_f64 v[48:49], v[36:37], v[34:35]
	v_add_f64 v[96:97], v[96:97], -v[98:99]
	v_add_f64 v[20:21], v[20:21], -v[84:85]
	v_add_f64 v[36:37], v[48:49], -v[36:37]
	v_add_f64 v[20:21], v[20:21], v[96:97]
	v_add_f64 v[34:35], v[34:35], -v[36:37]
	s_mov_b32 s2, 0
	v_add_f64 v[20:21], v[20:21], v[34:35]
	s_mov_b32 s3, 0x7ff00000
	v_add_f64 v[20:21], v[48:49], v[20:21]
	v_cmp_eq_f64_e32 vcc, s[2:3], v[16:17]
	v_mov_b32_e32 v34, 0x7ff80000
	s_nop 0
	v_cndmask_b32_e32 v20, v20, v16, vcc
	v_cndmask_b32_e32 v21, v21, v17, vcc
	v_cmp_ngt_f64_e32 vcc, -1.0, v[16:17]
	s_nop 1
	v_cndmask_b32_e32 v21, v34, v21, vcc
	v_cmp_nge_f64_e32 vcc, -1.0, v[16:17]
	v_mov_b32_e32 v34, 0xfff00000
	s_nop 0
	v_cndmask_b32_e32 v20, 0, v20, vcc
	v_cmp_neq_f64_e32 vcc, -1.0, v[16:17]
	s_nop 1
	v_cndmask_b32_e32 v21, v34, v21, vcc
	v_add_f64 v[16:17], v[18:19], v[20:21]
.LBB2_352:
	s_or_b64 exec, exec, s[4:5]
	v_max_f64 v[18:19], v[16:17], v[16:17]
	v_min_f64 v[20:21], v[18:19], v[22:23]
	v_cmp_u_f64_e32 vcc, v[16:17], v[16:17]
	v_max_f64 v[18:19], v[18:19], v[22:23]
	s_nop 0
	v_cndmask_b32_e32 v20, v20, v16, vcc
	v_cndmask_b32_e32 v21, v21, v17, vcc
	;; [unrolled: 1-line block ×4, first 2 shown]
	v_cndmask_b32_e64 v35, v21, v87, s[18:19]
	v_cndmask_b32_e64 v34, v20, v86, s[18:19]
	;; [unrolled: 1-line block ×4, first 2 shown]
	v_cmp_neq_f64_e32 vcc, v[34:35], v[20:21]
	v_cmp_class_f64_e64 s[2:3], v[34:35], s10
	s_or_b64 s[2:3], vcc, s[2:3]
	v_mov_b64_e32 v[18:19], v[16:17]
	s_and_saveexec_b64 s[4:5], s[2:3]
	s_cbranch_execz .LBB2_354
; %bb.353:
	s_mov_b32 s2, 0x652b82fe
	v_add_f64 v[18:19], v[34:35], -v[20:21]
	s_mov_b32 s3, 0x3ff71547
	v_mul_f64 v[22:23], v[18:19], s[2:3]
	v_rndne_f64_e32 v[22:23], v[22:23]
	s_mov_b32 s7, 0xbfe62e42
	s_mov_b32 s6, 0xfefa39ef
	v_fma_f64 v[34:35], s[6:7], v[22:23], v[18:19]
	s_mov_b32 s9, 0xbc7abc9e
	s_mov_b32 s8, 0x3b39803f
	;; [unrolled: 1-line block ×3, first 2 shown]
	v_fmac_f64_e32 v[34:35], s[8:9], v[22:23]
	v_mov_b32_e32 v36, 0xfca7ab0c
	v_mov_b32_e32 v37, 0x3e928af3
	s_mov_b32 s3, 0x3e5ade15
	v_fmac_f64_e32 v[36:37], s[2:3], v[34:35]
	v_mov_b32_e32 v48, 0x623fde64
	v_mov_b32_e32 v49, 0x3ec71dee
	v_fmac_f64_e32 v[48:49], v[34:35], v[36:37]
	v_mov_b32_e32 v36, 0x7c89e6b0
	v_mov_b32_e32 v37, 0x3efa0199
	;; [unrolled: 3-line block ×8, first 2 shown]
	s_mov_b32 s2, 0
	v_fmac_f64_e32 v[36:37], v[34:35], v[48:49]
	s_mov_b32 s3, 0x40900000
	v_fma_f64 v[36:37], v[34:35], v[36:37], 1.0
	v_cmp_nlt_f64_e32 vcc, s[2:3], v[18:19]
	s_mov_b32 s2, 0
	v_fma_f64 v[34:35], v[34:35], v[36:37], 1.0
	v_cvt_i32_f64_e32 v22, v[22:23]
	s_mov_b32 s3, 0xc090cc00
	v_ldexp_f64 v[22:23], v[34:35], v22
	v_mov_b32_e32 v34, 0x7ff00000
	v_cmp_ngt_f64_e64 s[2:3], s[2:3], v[18:19]
	v_cndmask_b32_e32 v23, v34, v23, vcc
	s_and_b64 vcc, s[2:3], vcc
	v_cndmask_b32_e64 v19, 0, v23, s[2:3]
	v_cndmask_b32_e32 v18, 0, v22, vcc
	v_add_f64 v[22:23], v[18:19], 1.0
	v_add_f64 v[34:35], v[22:23], -1.0
	v_add_f64 v[36:37], v[34:35], -v[22:23]
	v_add_f64 v[36:37], v[36:37], 1.0
	v_add_f64 v[34:35], v[18:19], -v[34:35]
	s_mov_b32 s2, 0x55555555
	v_add_f64 v[34:35], v[34:35], v[36:37]
	v_frexp_mant_f64_e32 v[36:37], v[22:23]
	s_mov_b32 s3, 0x3fe55555
	v_frexp_exp_i32_f64_e32 v48, v[22:23]
	v_cmp_gt_f64_e32 vcc, s[2:3], v[36:37]
	s_mov_b32 s2, 0xbf559e2b
	s_mov_b32 s3, 0x3fc3ab76
	v_subbrev_co_u32_e32 v53, vcc, 0, v48, vcc
	v_sub_u32_e32 v36, 0, v53
	v_ldexp_f64 v[22:23], v[22:23], v36
	v_ldexp_f64 v[34:35], v[34:35], v36
	v_add_f64 v[36:37], v[22:23], -1.0
	v_add_f64 v[86:87], v[22:23], 1.0
	v_add_f64 v[48:49], v[36:37], 1.0
	v_add_f64 v[96:97], v[86:87], -1.0
	v_add_f64 v[48:49], v[22:23], -v[48:49]
	v_add_f64 v[22:23], v[22:23], -v[96:97]
	v_add_f64 v[22:23], v[34:35], v[22:23]
	v_add_f64 v[48:49], v[34:35], v[48:49]
	v_add_f64 v[34:35], v[86:87], v[22:23]
	v_rcp_f64_e32 v[96:97], v[34:35]
	v_add_f64 v[84:85], v[36:37], v[48:49]
	v_add_f64 v[36:37], v[84:85], -v[36:37]
	v_add_f64 v[36:37], v[48:49], -v[36:37]
	;; [unrolled: 1-line block ×4, first 2 shown]
	v_fma_f64 v[48:49], -v[34:35], v[96:97], 1.0
	v_fmac_f64_e32 v[96:97], v[48:49], v[96:97]
	v_fma_f64 v[48:49], -v[34:35], v[96:97], 1.0
	v_fmac_f64_e32 v[96:97], v[48:49], v[96:97]
	v_mul_f64 v[48:49], v[84:85], v[96:97]
	v_mul_f64 v[86:87], v[34:35], v[48:49]
	v_fma_f64 v[98:99], v[48:49], v[34:35], -v[86:87]
	v_fmac_f64_e32 v[98:99], v[48:49], v[22:23]
	v_add_f64 v[100:101], v[86:87], v[98:99]
	v_add_f64 v[102:103], v[84:85], -v[100:101]
	v_add_f64 v[84:85], v[84:85], -v[102:103]
	;; [unrolled: 1-line block ×4, first 2 shown]
	v_add_f64 v[36:37], v[36:37], v[84:85]
	v_add_f64 v[84:85], v[86:87], -v[98:99]
	v_add_f64 v[36:37], v[84:85], v[36:37]
	v_add_f64 v[84:85], v[102:103], v[36:37]
	v_add_f64 v[86:87], v[102:103], -v[84:85]
	v_add_f64 v[36:37], v[36:37], v[86:87]
	v_mul_f64 v[86:87], v[96:97], v[84:85]
	v_mul_f64 v[98:99], v[34:35], v[86:87]
	v_fma_f64 v[34:35], v[86:87], v[34:35], -v[98:99]
	v_fmac_f64_e32 v[34:35], v[86:87], v[22:23]
	v_add_f64 v[22:23], v[98:99], v[34:35]
	v_add_f64 v[100:101], v[84:85], -v[22:23]
	v_add_f64 v[84:85], v[84:85], -v[100:101]
	;; [unrolled: 1-line block ×4, first 2 shown]
	v_add_f64 v[22:23], v[36:37], v[22:23]
	v_add_f64 v[34:35], v[98:99], -v[34:35]
	v_add_f64 v[22:23], v[34:35], v[22:23]
	v_add_f64 v[34:35], v[48:49], v[86:87]
	;; [unrolled: 1-line block ×3, first 2 shown]
	v_add_f64 v[36:37], v[34:35], -v[48:49]
	v_mul_f64 v[22:23], v[96:97], v[22:23]
	v_add_f64 v[36:37], v[86:87], -v[36:37]
	v_add_f64 v[22:23], v[36:37], v[22:23]
	v_add_f64 v[36:37], v[34:35], v[22:23]
	v_add_f64 v[34:35], v[36:37], -v[34:35]
	v_add_f64 v[22:23], v[22:23], -v[34:35]
	v_mul_f64 v[34:35], v[36:37], v[36:37]
	v_mov_b32_e32 v48, 0x6b47b09a
	v_mov_b32_e32 v49, 0x3fc38538
	v_fmac_f64_e32 v[48:49], s[2:3], v[34:35]
	v_mov_b32_e32 v84, 0xd7f4df2e
	v_mov_b32_e32 v85, 0x3fc7474d
	v_fmac_f64_e32 v[84:85], v[34:35], v[48:49]
	;; [unrolled: 3-line block ×6, first 2 shown]
	v_cvt_f64_i32_e32 v[48:49], v53
	s_mov_b32 s7, 0x3fe62e42
	v_mul_f64 v[86:87], v[48:49], s[6:7]
	v_fma_f64 v[96:97], v[48:49], s[6:7], -v[86:87]
	s_mov_b32 s9, 0x3c7abc9e
	v_fmac_f64_e32 v[96:97], s[8:9], v[48:49]
	v_add_f64 v[48:49], v[86:87], v[96:97]
	v_add_f64 v[86:87], v[48:49], -v[86:87]
	v_mul_f64 v[34:35], v[36:37], v[34:35]
	v_add_f64 v[86:87], v[96:97], -v[86:87]
	v_ldexp_f64 v[96:97], v[36:37], 1
	v_mul_f64 v[34:35], v[34:35], v[84:85]
	v_add_f64 v[36:37], v[96:97], v[34:35]
	v_add_f64 v[84:85], v[36:37], -v[96:97]
	v_ldexp_f64 v[22:23], v[22:23], 1
	v_add_f64 v[34:35], v[34:35], -v[84:85]
	v_add_f64 v[22:23], v[22:23], v[34:35]
	v_add_f64 v[34:35], v[36:37], v[22:23]
	v_add_f64 v[36:37], v[34:35], -v[36:37]
	v_add_f64 v[22:23], v[22:23], -v[36:37]
	v_add_f64 v[36:37], v[48:49], v[34:35]
	v_add_f64 v[84:85], v[36:37], -v[48:49]
	v_add_f64 v[96:97], v[36:37], -v[84:85]
	;; [unrolled: 1-line block ×4, first 2 shown]
	v_add_f64 v[34:35], v[34:35], v[48:49]
	v_add_f64 v[48:49], v[86:87], v[22:23]
	v_add_f64 v[84:85], v[48:49], -v[86:87]
	v_add_f64 v[34:35], v[48:49], v[34:35]
	v_add_f64 v[96:97], v[48:49], -v[84:85]
	;; [unrolled: 2-line block ×3, first 2 shown]
	v_add_f64 v[22:23], v[22:23], -v[84:85]
	v_add_f64 v[36:37], v[48:49], -v[36:37]
	v_add_f64 v[22:23], v[22:23], v[86:87]
	v_add_f64 v[34:35], v[34:35], -v[36:37]
	s_mov_b32 s2, 0
	v_add_f64 v[22:23], v[22:23], v[34:35]
	s_mov_b32 s3, 0x7ff00000
	v_add_f64 v[22:23], v[48:49], v[22:23]
	v_cmp_eq_f64_e32 vcc, s[2:3], v[18:19]
	v_mov_b32_e32 v34, 0x7ff80000
	s_nop 0
	v_cndmask_b32_e32 v22, v22, v18, vcc
	v_cndmask_b32_e32 v23, v23, v19, vcc
	v_cmp_ngt_f64_e32 vcc, -1.0, v[18:19]
	s_nop 1
	v_cndmask_b32_e32 v23, v34, v23, vcc
	v_cmp_nge_f64_e32 vcc, -1.0, v[18:19]
	v_mov_b32_e32 v34, 0xfff00000
	s_nop 0
	v_cndmask_b32_e32 v22, 0, v22, vcc
	v_cmp_neq_f64_e32 vcc, -1.0, v[18:19]
	s_nop 1
	v_cndmask_b32_e32 v23, v34, v23, vcc
	v_add_f64 v[18:19], v[20:21], v[22:23]
.LBB2_354:
	s_or_b64 exec, exec, s[4:5]
	v_max_f64 v[20:21], v[18:19], v[18:19]
	v_min_f64 v[22:23], v[20:21], v[24:25]
	v_cmp_u_f64_e32 vcc, v[18:19], v[18:19]
	v_max_f64 v[20:21], v[20:21], v[24:25]
	s_nop 0
	v_cndmask_b32_e32 v22, v22, v18, vcc
	v_cndmask_b32_e32 v23, v23, v19, vcc
	;; [unrolled: 1-line block ×4, first 2 shown]
	v_cndmask_b32_e64 v35, v23, v81, s[20:21]
	v_cndmask_b32_e64 v34, v22, v80, s[20:21]
	v_cndmask_b32_e64 v23, v21, v81, s[20:21]
	v_cndmask_b32_e64 v22, v20, v80, s[20:21]
	v_cmp_neq_f64_e32 vcc, v[34:35], v[22:23]
	v_cmp_class_f64_e64 s[2:3], v[34:35], s10
	s_or_b64 s[2:3], vcc, s[2:3]
	v_mov_b64_e32 v[20:21], v[18:19]
	s_and_saveexec_b64 s[4:5], s[2:3]
	s_cbranch_execz .LBB2_356
; %bb.355:
	s_mov_b32 s2, 0x652b82fe
	v_add_f64 v[20:21], v[34:35], -v[22:23]
	s_mov_b32 s3, 0x3ff71547
	v_mul_f64 v[24:25], v[20:21], s[2:3]
	v_rndne_f64_e32 v[24:25], v[24:25]
	s_mov_b32 s7, 0xbfe62e42
	s_mov_b32 s6, 0xfefa39ef
	v_fma_f64 v[34:35], s[6:7], v[24:25], v[20:21]
	s_mov_b32 s9, 0xbc7abc9e
	s_mov_b32 s8, 0x3b39803f
	;; [unrolled: 1-line block ×3, first 2 shown]
	v_fmac_f64_e32 v[34:35], s[8:9], v[24:25]
	v_mov_b32_e32 v36, 0xfca7ab0c
	v_mov_b32_e32 v37, 0x3e928af3
	s_mov_b32 s3, 0x3e5ade15
	v_fmac_f64_e32 v[36:37], s[2:3], v[34:35]
	v_mov_b32_e32 v48, 0x623fde64
	v_mov_b32_e32 v49, 0x3ec71dee
	v_fmac_f64_e32 v[48:49], v[34:35], v[36:37]
	v_mov_b32_e32 v36, 0x7c89e6b0
	v_mov_b32_e32 v37, 0x3efa0199
	;; [unrolled: 3-line block ×8, first 2 shown]
	s_mov_b32 s2, 0
	v_fmac_f64_e32 v[36:37], v[34:35], v[48:49]
	s_mov_b32 s3, 0x40900000
	v_fma_f64 v[36:37], v[34:35], v[36:37], 1.0
	v_cmp_nlt_f64_e32 vcc, s[2:3], v[20:21]
	s_mov_b32 s2, 0
	v_fma_f64 v[34:35], v[34:35], v[36:37], 1.0
	v_cvt_i32_f64_e32 v24, v[24:25]
	s_mov_b32 s3, 0xc090cc00
	v_ldexp_f64 v[24:25], v[34:35], v24
	v_mov_b32_e32 v34, 0x7ff00000
	v_cmp_ngt_f64_e64 s[2:3], s[2:3], v[20:21]
	v_cndmask_b32_e32 v25, v34, v25, vcc
	s_and_b64 vcc, s[2:3], vcc
	v_cndmask_b32_e64 v21, 0, v25, s[2:3]
	v_cndmask_b32_e32 v20, 0, v24, vcc
	v_add_f64 v[24:25], v[20:21], 1.0
	v_add_f64 v[34:35], v[24:25], -1.0
	v_add_f64 v[36:37], v[34:35], -v[24:25]
	v_add_f64 v[36:37], v[36:37], 1.0
	v_add_f64 v[34:35], v[20:21], -v[34:35]
	s_mov_b32 s2, 0x55555555
	v_add_f64 v[34:35], v[34:35], v[36:37]
	v_frexp_mant_f64_e32 v[36:37], v[24:25]
	s_mov_b32 s3, 0x3fe55555
	v_frexp_exp_i32_f64_e32 v48, v[24:25]
	v_cmp_gt_f64_e32 vcc, s[2:3], v[36:37]
	s_mov_b32 s2, 0xbf559e2b
	s_mov_b32 s3, 0x3fc3ab76
	v_subbrev_co_u32_e32 v53, vcc, 0, v48, vcc
	v_sub_u32_e32 v36, 0, v53
	v_ldexp_f64 v[24:25], v[24:25], v36
	v_ldexp_f64 v[34:35], v[34:35], v36
	v_add_f64 v[36:37], v[24:25], -1.0
	v_add_f64 v[84:85], v[24:25], 1.0
	v_add_f64 v[48:49], v[36:37], 1.0
	v_add_f64 v[86:87], v[84:85], -1.0
	v_add_f64 v[48:49], v[24:25], -v[48:49]
	v_add_f64 v[24:25], v[24:25], -v[86:87]
	v_add_f64 v[24:25], v[34:35], v[24:25]
	v_add_f64 v[48:49], v[34:35], v[48:49]
	;; [unrolled: 1-line block ×3, first 2 shown]
	v_rcp_f64_e32 v[86:87], v[34:35]
	v_add_f64 v[80:81], v[36:37], v[48:49]
	v_add_f64 v[36:37], v[80:81], -v[36:37]
	v_add_f64 v[36:37], v[48:49], -v[36:37]
	;; [unrolled: 1-line block ×4, first 2 shown]
	v_fma_f64 v[48:49], -v[34:35], v[86:87], 1.0
	v_fmac_f64_e32 v[86:87], v[48:49], v[86:87]
	v_fma_f64 v[48:49], -v[34:35], v[86:87], 1.0
	v_fmac_f64_e32 v[86:87], v[48:49], v[86:87]
	v_mul_f64 v[48:49], v[80:81], v[86:87]
	v_mul_f64 v[84:85], v[34:35], v[48:49]
	v_fma_f64 v[96:97], v[48:49], v[34:35], -v[84:85]
	v_fmac_f64_e32 v[96:97], v[48:49], v[24:25]
	v_add_f64 v[98:99], v[84:85], v[96:97]
	v_add_f64 v[100:101], v[80:81], -v[98:99]
	v_add_f64 v[80:81], v[80:81], -v[100:101]
	;; [unrolled: 1-line block ×4, first 2 shown]
	v_add_f64 v[36:37], v[36:37], v[80:81]
	v_add_f64 v[80:81], v[84:85], -v[96:97]
	v_add_f64 v[36:37], v[80:81], v[36:37]
	v_add_f64 v[80:81], v[100:101], v[36:37]
	v_add_f64 v[84:85], v[100:101], -v[80:81]
	v_add_f64 v[36:37], v[36:37], v[84:85]
	v_mul_f64 v[84:85], v[86:87], v[80:81]
	v_mul_f64 v[96:97], v[34:35], v[84:85]
	v_fma_f64 v[34:35], v[84:85], v[34:35], -v[96:97]
	v_fmac_f64_e32 v[34:35], v[84:85], v[24:25]
	v_add_f64 v[24:25], v[96:97], v[34:35]
	v_add_f64 v[98:99], v[80:81], -v[24:25]
	v_add_f64 v[80:81], v[80:81], -v[98:99]
	;; [unrolled: 1-line block ×4, first 2 shown]
	v_add_f64 v[24:25], v[36:37], v[24:25]
	v_add_f64 v[34:35], v[96:97], -v[34:35]
	v_add_f64 v[24:25], v[34:35], v[24:25]
	v_add_f64 v[34:35], v[48:49], v[84:85]
	;; [unrolled: 1-line block ×3, first 2 shown]
	v_add_f64 v[36:37], v[34:35], -v[48:49]
	v_mul_f64 v[24:25], v[86:87], v[24:25]
	v_add_f64 v[36:37], v[84:85], -v[36:37]
	v_add_f64 v[24:25], v[36:37], v[24:25]
	v_add_f64 v[36:37], v[34:35], v[24:25]
	v_add_f64 v[34:35], v[36:37], -v[34:35]
	v_add_f64 v[24:25], v[24:25], -v[34:35]
	v_mul_f64 v[34:35], v[36:37], v[36:37]
	v_mov_b32_e32 v48, 0x6b47b09a
	v_mov_b32_e32 v49, 0x3fc38538
	v_fmac_f64_e32 v[48:49], s[2:3], v[34:35]
	v_mov_b32_e32 v80, 0xd7f4df2e
	v_mov_b32_e32 v81, 0x3fc7474d
	v_fmac_f64_e32 v[80:81], v[34:35], v[48:49]
	;; [unrolled: 3-line block ×6, first 2 shown]
	v_cvt_f64_i32_e32 v[48:49], v53
	s_mov_b32 s7, 0x3fe62e42
	v_mul_f64 v[84:85], v[48:49], s[6:7]
	v_fma_f64 v[86:87], v[48:49], s[6:7], -v[84:85]
	s_mov_b32 s9, 0x3c7abc9e
	v_fmac_f64_e32 v[86:87], s[8:9], v[48:49]
	v_add_f64 v[48:49], v[84:85], v[86:87]
	v_add_f64 v[84:85], v[48:49], -v[84:85]
	v_mul_f64 v[34:35], v[36:37], v[34:35]
	v_add_f64 v[84:85], v[86:87], -v[84:85]
	v_ldexp_f64 v[86:87], v[36:37], 1
	v_mul_f64 v[34:35], v[34:35], v[80:81]
	v_add_f64 v[36:37], v[86:87], v[34:35]
	v_add_f64 v[80:81], v[36:37], -v[86:87]
	v_ldexp_f64 v[24:25], v[24:25], 1
	v_add_f64 v[34:35], v[34:35], -v[80:81]
	v_add_f64 v[24:25], v[24:25], v[34:35]
	v_add_f64 v[34:35], v[36:37], v[24:25]
	v_add_f64 v[36:37], v[34:35], -v[36:37]
	v_add_f64 v[24:25], v[24:25], -v[36:37]
	v_add_f64 v[36:37], v[48:49], v[34:35]
	v_add_f64 v[80:81], v[36:37], -v[48:49]
	v_add_f64 v[86:87], v[36:37], -v[80:81]
	;; [unrolled: 1-line block ×4, first 2 shown]
	v_add_f64 v[34:35], v[34:35], v[48:49]
	v_add_f64 v[48:49], v[84:85], v[24:25]
	v_add_f64 v[80:81], v[48:49], -v[84:85]
	v_add_f64 v[34:35], v[48:49], v[34:35]
	v_add_f64 v[86:87], v[48:49], -v[80:81]
	;; [unrolled: 2-line block ×3, first 2 shown]
	v_add_f64 v[24:25], v[24:25], -v[80:81]
	v_add_f64 v[36:37], v[48:49], -v[36:37]
	v_add_f64 v[24:25], v[24:25], v[84:85]
	v_add_f64 v[34:35], v[34:35], -v[36:37]
	s_mov_b32 s2, 0
	v_add_f64 v[24:25], v[24:25], v[34:35]
	s_mov_b32 s3, 0x7ff00000
	v_add_f64 v[24:25], v[48:49], v[24:25]
	v_cmp_eq_f64_e32 vcc, s[2:3], v[20:21]
	v_mov_b32_e32 v34, 0x7ff80000
	s_nop 0
	v_cndmask_b32_e32 v24, v24, v20, vcc
	v_cndmask_b32_e32 v25, v25, v21, vcc
	v_cmp_ngt_f64_e32 vcc, -1.0, v[20:21]
	s_nop 1
	v_cndmask_b32_e32 v25, v34, v25, vcc
	v_cmp_nge_f64_e32 vcc, -1.0, v[20:21]
	v_mov_b32_e32 v34, 0xfff00000
	s_nop 0
	v_cndmask_b32_e32 v24, 0, v24, vcc
	v_cmp_neq_f64_e32 vcc, -1.0, v[20:21]
	s_nop 1
	v_cndmask_b32_e32 v25, v34, v25, vcc
	v_add_f64 v[20:21], v[22:23], v[24:25]
.LBB2_356:
	s_or_b64 exec, exec, s[4:5]
	v_max_f64 v[22:23], v[20:21], v[20:21]
	v_min_f64 v[24:25], v[22:23], v[26:27]
	v_cmp_u_f64_e32 vcc, v[20:21], v[20:21]
	v_max_f64 v[22:23], v[22:23], v[26:27]
	s_nop 0
	v_cndmask_b32_e32 v24, v24, v20, vcc
	v_cndmask_b32_e32 v25, v25, v21, vcc
	v_cndmask_b32_e32 v22, v22, v20, vcc
	v_cndmask_b32_e32 v23, v23, v21, vcc
	v_cndmask_b32_e64 v35, v25, v83, s[22:23]
	v_cndmask_b32_e64 v34, v24, v82, s[22:23]
	;; [unrolled: 1-line block ×4, first 2 shown]
	v_cmp_neq_f64_e32 vcc, v[34:35], v[24:25]
	v_cmp_class_f64_e64 s[2:3], v[34:35], s10
	s_or_b64 s[2:3], vcc, s[2:3]
	v_mov_b64_e32 v[22:23], v[20:21]
	s_and_saveexec_b64 s[4:5], s[2:3]
	s_cbranch_execz .LBB2_358
; %bb.357:
	s_mov_b32 s2, 0x652b82fe
	v_add_f64 v[22:23], v[34:35], -v[24:25]
	s_mov_b32 s3, 0x3ff71547
	v_mul_f64 v[26:27], v[22:23], s[2:3]
	v_rndne_f64_e32 v[26:27], v[26:27]
	s_mov_b32 s7, 0xbfe62e42
	s_mov_b32 s6, 0xfefa39ef
	v_fma_f64 v[34:35], s[6:7], v[26:27], v[22:23]
	s_mov_b32 s9, 0xbc7abc9e
	s_mov_b32 s8, 0x3b39803f
	;; [unrolled: 1-line block ×3, first 2 shown]
	v_fmac_f64_e32 v[34:35], s[8:9], v[26:27]
	v_mov_b32_e32 v36, 0xfca7ab0c
	v_mov_b32_e32 v37, 0x3e928af3
	s_mov_b32 s3, 0x3e5ade15
	v_fmac_f64_e32 v[36:37], s[2:3], v[34:35]
	v_mov_b32_e32 v48, 0x623fde64
	v_mov_b32_e32 v49, 0x3ec71dee
	v_fmac_f64_e32 v[48:49], v[34:35], v[36:37]
	v_mov_b32_e32 v36, 0x7c89e6b0
	v_mov_b32_e32 v37, 0x3efa0199
	;; [unrolled: 3-line block ×8, first 2 shown]
	s_mov_b32 s2, 0
	v_fmac_f64_e32 v[36:37], v[34:35], v[48:49]
	s_mov_b32 s3, 0x40900000
	v_fma_f64 v[36:37], v[34:35], v[36:37], 1.0
	v_cmp_nlt_f64_e32 vcc, s[2:3], v[22:23]
	s_mov_b32 s2, 0
	v_fma_f64 v[34:35], v[34:35], v[36:37], 1.0
	v_cvt_i32_f64_e32 v26, v[26:27]
	s_mov_b32 s3, 0xc090cc00
	v_ldexp_f64 v[26:27], v[34:35], v26
	v_mov_b32_e32 v34, 0x7ff00000
	v_cmp_ngt_f64_e64 s[2:3], s[2:3], v[22:23]
	v_cndmask_b32_e32 v27, v34, v27, vcc
	s_and_b64 vcc, s[2:3], vcc
	v_cndmask_b32_e64 v23, 0, v27, s[2:3]
	v_cndmask_b32_e32 v22, 0, v26, vcc
	v_add_f64 v[26:27], v[22:23], 1.0
	v_add_f64 v[34:35], v[26:27], -1.0
	v_add_f64 v[36:37], v[34:35], -v[26:27]
	v_add_f64 v[36:37], v[36:37], 1.0
	v_add_f64 v[34:35], v[22:23], -v[34:35]
	s_mov_b32 s2, 0x55555555
	v_add_f64 v[34:35], v[34:35], v[36:37]
	v_frexp_mant_f64_e32 v[36:37], v[26:27]
	s_mov_b32 s3, 0x3fe55555
	v_frexp_exp_i32_f64_e32 v48, v[26:27]
	v_cmp_gt_f64_e32 vcc, s[2:3], v[36:37]
	s_mov_b32 s2, 0xbf559e2b
	s_mov_b32 s3, 0x3fc3ab76
	v_subbrev_co_u32_e32 v53, vcc, 0, v48, vcc
	v_sub_u32_e32 v36, 0, v53
	v_ldexp_f64 v[26:27], v[26:27], v36
	v_ldexp_f64 v[34:35], v[34:35], v36
	v_add_f64 v[36:37], v[26:27], -1.0
	v_add_f64 v[82:83], v[26:27], 1.0
	v_add_f64 v[48:49], v[36:37], 1.0
	v_add_f64 v[84:85], v[82:83], -1.0
	v_add_f64 v[48:49], v[26:27], -v[48:49]
	v_add_f64 v[26:27], v[26:27], -v[84:85]
	v_add_f64 v[26:27], v[34:35], v[26:27]
	v_add_f64 v[48:49], v[34:35], v[48:49]
	;; [unrolled: 1-line block ×3, first 2 shown]
	v_rcp_f64_e32 v[84:85], v[34:35]
	v_add_f64 v[80:81], v[36:37], v[48:49]
	v_add_f64 v[36:37], v[80:81], -v[36:37]
	v_add_f64 v[36:37], v[48:49], -v[36:37]
	;; [unrolled: 1-line block ×4, first 2 shown]
	v_fma_f64 v[48:49], -v[34:35], v[84:85], 1.0
	v_fmac_f64_e32 v[84:85], v[48:49], v[84:85]
	v_fma_f64 v[48:49], -v[34:35], v[84:85], 1.0
	v_fmac_f64_e32 v[84:85], v[48:49], v[84:85]
	v_mul_f64 v[48:49], v[80:81], v[84:85]
	v_mul_f64 v[82:83], v[34:35], v[48:49]
	v_fma_f64 v[86:87], v[48:49], v[34:35], -v[82:83]
	v_fmac_f64_e32 v[86:87], v[48:49], v[26:27]
	v_add_f64 v[96:97], v[82:83], v[86:87]
	v_add_f64 v[98:99], v[80:81], -v[96:97]
	v_add_f64 v[80:81], v[80:81], -v[98:99]
	v_add_f64 v[82:83], v[96:97], -v[82:83]
	v_add_f64 v[80:81], v[80:81], -v[96:97]
	v_add_f64 v[36:37], v[36:37], v[80:81]
	v_add_f64 v[80:81], v[82:83], -v[86:87]
	v_add_f64 v[36:37], v[80:81], v[36:37]
	v_add_f64 v[80:81], v[98:99], v[36:37]
	v_add_f64 v[82:83], v[98:99], -v[80:81]
	v_add_f64 v[36:37], v[36:37], v[82:83]
	v_mul_f64 v[82:83], v[84:85], v[80:81]
	v_mul_f64 v[86:87], v[34:35], v[82:83]
	v_fma_f64 v[34:35], v[82:83], v[34:35], -v[86:87]
	v_fmac_f64_e32 v[34:35], v[82:83], v[26:27]
	v_add_f64 v[26:27], v[86:87], v[34:35]
	v_add_f64 v[96:97], v[80:81], -v[26:27]
	v_add_f64 v[80:81], v[80:81], -v[96:97]
	;; [unrolled: 1-line block ×4, first 2 shown]
	v_add_f64 v[26:27], v[36:37], v[26:27]
	v_add_f64 v[34:35], v[86:87], -v[34:35]
	v_add_f64 v[26:27], v[34:35], v[26:27]
	v_add_f64 v[34:35], v[48:49], v[82:83]
	;; [unrolled: 1-line block ×3, first 2 shown]
	v_add_f64 v[36:37], v[34:35], -v[48:49]
	v_mul_f64 v[26:27], v[84:85], v[26:27]
	v_add_f64 v[36:37], v[82:83], -v[36:37]
	v_add_f64 v[26:27], v[36:37], v[26:27]
	v_add_f64 v[36:37], v[34:35], v[26:27]
	v_add_f64 v[34:35], v[36:37], -v[34:35]
	v_add_f64 v[26:27], v[26:27], -v[34:35]
	v_mul_f64 v[34:35], v[36:37], v[36:37]
	v_mov_b32_e32 v48, 0x6b47b09a
	v_mov_b32_e32 v49, 0x3fc38538
	v_fmac_f64_e32 v[48:49], s[2:3], v[34:35]
	v_mov_b32_e32 v80, 0xd7f4df2e
	v_mov_b32_e32 v81, 0x3fc7474d
	v_fmac_f64_e32 v[80:81], v[34:35], v[48:49]
	;; [unrolled: 3-line block ×6, first 2 shown]
	v_cvt_f64_i32_e32 v[48:49], v53
	s_mov_b32 s7, 0x3fe62e42
	v_mul_f64 v[82:83], v[48:49], s[6:7]
	v_fma_f64 v[84:85], v[48:49], s[6:7], -v[82:83]
	s_mov_b32 s9, 0x3c7abc9e
	v_fmac_f64_e32 v[84:85], s[8:9], v[48:49]
	v_add_f64 v[48:49], v[82:83], v[84:85]
	v_add_f64 v[82:83], v[48:49], -v[82:83]
	v_mul_f64 v[34:35], v[36:37], v[34:35]
	v_add_f64 v[82:83], v[84:85], -v[82:83]
	v_ldexp_f64 v[84:85], v[36:37], 1
	v_mul_f64 v[34:35], v[34:35], v[80:81]
	v_add_f64 v[36:37], v[84:85], v[34:35]
	v_add_f64 v[80:81], v[36:37], -v[84:85]
	v_ldexp_f64 v[26:27], v[26:27], 1
	v_add_f64 v[34:35], v[34:35], -v[80:81]
	v_add_f64 v[26:27], v[26:27], v[34:35]
	v_add_f64 v[34:35], v[36:37], v[26:27]
	v_add_f64 v[36:37], v[34:35], -v[36:37]
	v_add_f64 v[26:27], v[26:27], -v[36:37]
	v_add_f64 v[36:37], v[48:49], v[34:35]
	v_add_f64 v[80:81], v[36:37], -v[48:49]
	v_add_f64 v[84:85], v[36:37], -v[80:81]
	;; [unrolled: 1-line block ×4, first 2 shown]
	v_add_f64 v[34:35], v[34:35], v[48:49]
	v_add_f64 v[48:49], v[82:83], v[26:27]
	v_add_f64 v[80:81], v[48:49], -v[82:83]
	v_add_f64 v[34:35], v[48:49], v[34:35]
	v_add_f64 v[84:85], v[48:49], -v[80:81]
	;; [unrolled: 2-line block ×3, first 2 shown]
	v_add_f64 v[26:27], v[26:27], -v[80:81]
	v_add_f64 v[36:37], v[48:49], -v[36:37]
	v_add_f64 v[26:27], v[26:27], v[82:83]
	v_add_f64 v[34:35], v[34:35], -v[36:37]
	s_mov_b32 s2, 0
	v_add_f64 v[26:27], v[26:27], v[34:35]
	s_mov_b32 s3, 0x7ff00000
	v_add_f64 v[26:27], v[48:49], v[26:27]
	v_cmp_eq_f64_e32 vcc, s[2:3], v[22:23]
	v_mov_b32_e32 v34, 0x7ff80000
	s_nop 0
	v_cndmask_b32_e32 v26, v26, v22, vcc
	v_cndmask_b32_e32 v27, v27, v23, vcc
	v_cmp_ngt_f64_e32 vcc, -1.0, v[22:23]
	s_nop 1
	v_cndmask_b32_e32 v27, v34, v27, vcc
	v_cmp_nge_f64_e32 vcc, -1.0, v[22:23]
	v_mov_b32_e32 v34, 0xfff00000
	s_nop 0
	v_cndmask_b32_e32 v26, 0, v26, vcc
	v_cmp_neq_f64_e32 vcc, -1.0, v[22:23]
	s_nop 1
	v_cndmask_b32_e32 v27, v34, v27, vcc
	v_add_f64 v[22:23], v[24:25], v[26:27]
.LBB2_358:
	s_or_b64 exec, exec, s[4:5]
	v_max_f64 v[24:25], v[22:23], v[22:23]
	v_min_f64 v[26:27], v[24:25], v[28:29]
	v_cmp_u_f64_e32 vcc, v[22:23], v[22:23]
	v_max_f64 v[24:25], v[24:25], v[28:29]
	s_nop 0
	v_cndmask_b32_e32 v26, v26, v22, vcc
	v_cndmask_b32_e32 v27, v27, v23, vcc
	;; [unrolled: 1-line block ×4, first 2 shown]
	v_cndmask_b32_e64 v35, v27, v67, s[24:25]
	v_cndmask_b32_e64 v34, v26, v66, s[24:25]
	;; [unrolled: 1-line block ×4, first 2 shown]
	v_cmp_neq_f64_e32 vcc, v[34:35], v[26:27]
	v_cmp_class_f64_e64 s[2:3], v[34:35], s10
	s_or_b64 s[2:3], vcc, s[2:3]
	v_mov_b64_e32 v[24:25], v[22:23]
	s_and_saveexec_b64 s[4:5], s[2:3]
	s_cbranch_execz .LBB2_360
; %bb.359:
	s_mov_b32 s2, 0x652b82fe
	v_add_f64 v[24:25], v[34:35], -v[26:27]
	s_mov_b32 s3, 0x3ff71547
	v_mul_f64 v[28:29], v[24:25], s[2:3]
	v_rndne_f64_e32 v[28:29], v[28:29]
	s_mov_b32 s7, 0xbfe62e42
	s_mov_b32 s6, 0xfefa39ef
	v_fma_f64 v[34:35], s[6:7], v[28:29], v[24:25]
	s_mov_b32 s9, 0xbc7abc9e
	s_mov_b32 s8, 0x3b39803f
	;; [unrolled: 1-line block ×3, first 2 shown]
	v_fmac_f64_e32 v[34:35], s[8:9], v[28:29]
	v_mov_b32_e32 v36, 0xfca7ab0c
	v_mov_b32_e32 v37, 0x3e928af3
	s_mov_b32 s3, 0x3e5ade15
	v_fmac_f64_e32 v[36:37], s[2:3], v[34:35]
	v_mov_b32_e32 v48, 0x623fde64
	v_mov_b32_e32 v49, 0x3ec71dee
	v_fmac_f64_e32 v[48:49], v[34:35], v[36:37]
	v_mov_b32_e32 v36, 0x7c89e6b0
	v_mov_b32_e32 v37, 0x3efa0199
	;; [unrolled: 3-line block ×8, first 2 shown]
	s_mov_b32 s2, 0
	v_fmac_f64_e32 v[36:37], v[34:35], v[48:49]
	s_mov_b32 s3, 0x40900000
	v_fma_f64 v[36:37], v[34:35], v[36:37], 1.0
	v_cmp_nlt_f64_e32 vcc, s[2:3], v[24:25]
	s_mov_b32 s2, 0
	v_fma_f64 v[34:35], v[34:35], v[36:37], 1.0
	v_cvt_i32_f64_e32 v28, v[28:29]
	s_mov_b32 s3, 0xc090cc00
	v_ldexp_f64 v[28:29], v[34:35], v28
	v_mov_b32_e32 v34, 0x7ff00000
	v_cmp_ngt_f64_e64 s[2:3], s[2:3], v[24:25]
	v_cndmask_b32_e32 v29, v34, v29, vcc
	s_and_b64 vcc, s[2:3], vcc
	v_cndmask_b32_e64 v25, 0, v29, s[2:3]
	v_cndmask_b32_e32 v24, 0, v28, vcc
	v_add_f64 v[28:29], v[24:25], 1.0
	v_add_f64 v[34:35], v[28:29], -1.0
	v_add_f64 v[36:37], v[34:35], -v[28:29]
	v_add_f64 v[36:37], v[36:37], 1.0
	v_add_f64 v[34:35], v[24:25], -v[34:35]
	s_mov_b32 s2, 0x55555555
	v_add_f64 v[34:35], v[34:35], v[36:37]
	v_frexp_mant_f64_e32 v[36:37], v[28:29]
	s_mov_b32 s3, 0x3fe55555
	v_frexp_exp_i32_f64_e32 v48, v[28:29]
	v_cmp_gt_f64_e32 vcc, s[2:3], v[36:37]
	s_mov_b32 s2, 0xbf559e2b
	s_mov_b32 s3, 0x3fc3ab76
	v_subbrev_co_u32_e32 v53, vcc, 0, v48, vcc
	v_sub_u32_e32 v36, 0, v53
	v_ldexp_f64 v[28:29], v[28:29], v36
	v_ldexp_f64 v[34:35], v[34:35], v36
	v_add_f64 v[36:37], v[28:29], -1.0
	v_add_f64 v[80:81], v[28:29], 1.0
	v_add_f64 v[48:49], v[36:37], 1.0
	v_add_f64 v[82:83], v[80:81], -1.0
	v_add_f64 v[48:49], v[28:29], -v[48:49]
	v_add_f64 v[28:29], v[28:29], -v[82:83]
	v_add_f64 v[28:29], v[34:35], v[28:29]
	v_add_f64 v[48:49], v[34:35], v[48:49]
	;; [unrolled: 1-line block ×3, first 2 shown]
	v_rcp_f64_e32 v[82:83], v[34:35]
	v_add_f64 v[66:67], v[36:37], v[48:49]
	v_add_f64 v[36:37], v[66:67], -v[36:37]
	v_add_f64 v[36:37], v[48:49], -v[36:37]
	;; [unrolled: 1-line block ×4, first 2 shown]
	v_fma_f64 v[48:49], -v[34:35], v[82:83], 1.0
	v_fmac_f64_e32 v[82:83], v[48:49], v[82:83]
	v_fma_f64 v[48:49], -v[34:35], v[82:83], 1.0
	v_fmac_f64_e32 v[82:83], v[48:49], v[82:83]
	v_mul_f64 v[48:49], v[66:67], v[82:83]
	v_mul_f64 v[80:81], v[34:35], v[48:49]
	v_fma_f64 v[84:85], v[48:49], v[34:35], -v[80:81]
	v_fmac_f64_e32 v[84:85], v[48:49], v[28:29]
	v_add_f64 v[86:87], v[80:81], v[84:85]
	v_add_f64 v[96:97], v[66:67], -v[86:87]
	v_add_f64 v[66:67], v[66:67], -v[96:97]
	;; [unrolled: 1-line block ×4, first 2 shown]
	v_add_f64 v[36:37], v[36:37], v[66:67]
	v_add_f64 v[66:67], v[80:81], -v[84:85]
	v_add_f64 v[36:37], v[66:67], v[36:37]
	v_add_f64 v[66:67], v[96:97], v[36:37]
	v_add_f64 v[80:81], v[96:97], -v[66:67]
	v_add_f64 v[36:37], v[36:37], v[80:81]
	v_mul_f64 v[80:81], v[82:83], v[66:67]
	v_mul_f64 v[84:85], v[34:35], v[80:81]
	v_fma_f64 v[34:35], v[80:81], v[34:35], -v[84:85]
	v_fmac_f64_e32 v[34:35], v[80:81], v[28:29]
	v_add_f64 v[28:29], v[84:85], v[34:35]
	v_add_f64 v[86:87], v[66:67], -v[28:29]
	v_add_f64 v[66:67], v[66:67], -v[86:87]
	;; [unrolled: 1-line block ×4, first 2 shown]
	v_add_f64 v[28:29], v[36:37], v[28:29]
	v_add_f64 v[34:35], v[84:85], -v[34:35]
	v_add_f64 v[28:29], v[34:35], v[28:29]
	v_add_f64 v[34:35], v[48:49], v[80:81]
	;; [unrolled: 1-line block ×3, first 2 shown]
	v_add_f64 v[36:37], v[34:35], -v[48:49]
	v_mul_f64 v[28:29], v[82:83], v[28:29]
	v_add_f64 v[36:37], v[80:81], -v[36:37]
	v_add_f64 v[28:29], v[36:37], v[28:29]
	v_add_f64 v[36:37], v[34:35], v[28:29]
	v_add_f64 v[34:35], v[36:37], -v[34:35]
	v_add_f64 v[28:29], v[28:29], -v[34:35]
	v_mul_f64 v[34:35], v[36:37], v[36:37]
	v_mov_b32_e32 v48, 0x6b47b09a
	v_mov_b32_e32 v49, 0x3fc38538
	v_fmac_f64_e32 v[48:49], s[2:3], v[34:35]
	v_mov_b32_e32 v66, 0xd7f4df2e
	v_mov_b32_e32 v67, 0x3fc7474d
	v_fmac_f64_e32 v[66:67], v[34:35], v[48:49]
	;; [unrolled: 3-line block ×6, first 2 shown]
	v_cvt_f64_i32_e32 v[48:49], v53
	s_mov_b32 s7, 0x3fe62e42
	v_mul_f64 v[80:81], v[48:49], s[6:7]
	v_fma_f64 v[82:83], v[48:49], s[6:7], -v[80:81]
	s_mov_b32 s9, 0x3c7abc9e
	v_fmac_f64_e32 v[82:83], s[8:9], v[48:49]
	v_add_f64 v[48:49], v[80:81], v[82:83]
	v_add_f64 v[80:81], v[48:49], -v[80:81]
	v_mul_f64 v[34:35], v[36:37], v[34:35]
	v_add_f64 v[80:81], v[82:83], -v[80:81]
	v_ldexp_f64 v[82:83], v[36:37], 1
	v_mul_f64 v[34:35], v[34:35], v[66:67]
	v_add_f64 v[36:37], v[82:83], v[34:35]
	v_add_f64 v[66:67], v[36:37], -v[82:83]
	v_ldexp_f64 v[28:29], v[28:29], 1
	v_add_f64 v[34:35], v[34:35], -v[66:67]
	v_add_f64 v[28:29], v[28:29], v[34:35]
	v_add_f64 v[34:35], v[36:37], v[28:29]
	v_add_f64 v[36:37], v[34:35], -v[36:37]
	v_add_f64 v[28:29], v[28:29], -v[36:37]
	v_add_f64 v[36:37], v[48:49], v[34:35]
	v_add_f64 v[66:67], v[36:37], -v[48:49]
	v_add_f64 v[82:83], v[36:37], -v[66:67]
	;; [unrolled: 1-line block ×4, first 2 shown]
	v_add_f64 v[34:35], v[34:35], v[48:49]
	v_add_f64 v[48:49], v[80:81], v[28:29]
	v_add_f64 v[66:67], v[48:49], -v[80:81]
	v_add_f64 v[34:35], v[48:49], v[34:35]
	v_add_f64 v[82:83], v[48:49], -v[66:67]
	;; [unrolled: 2-line block ×3, first 2 shown]
	v_add_f64 v[28:29], v[28:29], -v[66:67]
	v_add_f64 v[36:37], v[48:49], -v[36:37]
	v_add_f64 v[28:29], v[28:29], v[80:81]
	v_add_f64 v[34:35], v[34:35], -v[36:37]
	s_mov_b32 s2, 0
	v_add_f64 v[28:29], v[28:29], v[34:35]
	s_mov_b32 s3, 0x7ff00000
	v_add_f64 v[28:29], v[48:49], v[28:29]
	v_cmp_eq_f64_e32 vcc, s[2:3], v[24:25]
	v_mov_b32_e32 v34, 0x7ff80000
	s_nop 0
	v_cndmask_b32_e32 v28, v28, v24, vcc
	v_cndmask_b32_e32 v29, v29, v25, vcc
	v_cmp_ngt_f64_e32 vcc, -1.0, v[24:25]
	s_nop 1
	v_cndmask_b32_e32 v29, v34, v29, vcc
	v_cmp_nge_f64_e32 vcc, -1.0, v[24:25]
	v_mov_b32_e32 v34, 0xfff00000
	s_nop 0
	v_cndmask_b32_e32 v28, 0, v28, vcc
	v_cmp_neq_f64_e32 vcc, -1.0, v[24:25]
	s_nop 1
	v_cndmask_b32_e32 v29, v34, v29, vcc
	v_add_f64 v[24:25], v[26:27], v[28:29]
.LBB2_360:
	s_or_b64 exec, exec, s[4:5]
	v_max_f64 v[26:27], v[24:25], v[24:25]
	v_min_f64 v[28:29], v[26:27], v[30:31]
	v_cmp_u_f64_e32 vcc, v[24:25], v[24:25]
	v_max_f64 v[26:27], v[26:27], v[30:31]
	s_nop 0
	v_cndmask_b32_e32 v28, v28, v24, vcc
	v_cndmask_b32_e32 v29, v29, v25, vcc
	;; [unrolled: 1-line block ×4, first 2 shown]
	v_cndmask_b32_e64 v35, v29, v69, s[26:27]
	v_cndmask_b32_e64 v34, v28, v68, s[26:27]
	;; [unrolled: 1-line block ×4, first 2 shown]
	v_cmp_neq_f64_e32 vcc, v[34:35], v[28:29]
	v_cmp_class_f64_e64 s[2:3], v[34:35], s10
	s_or_b64 s[2:3], vcc, s[2:3]
	v_mov_b64_e32 v[26:27], v[24:25]
	s_and_saveexec_b64 s[4:5], s[2:3]
	s_cbranch_execz .LBB2_362
; %bb.361:
	s_mov_b32 s2, 0x652b82fe
	v_add_f64 v[26:27], v[34:35], -v[28:29]
	s_mov_b32 s3, 0x3ff71547
	v_mul_f64 v[30:31], v[26:27], s[2:3]
	v_rndne_f64_e32 v[30:31], v[30:31]
	s_mov_b32 s7, 0xbfe62e42
	s_mov_b32 s6, 0xfefa39ef
	v_fma_f64 v[34:35], s[6:7], v[30:31], v[26:27]
	s_mov_b32 s9, 0xbc7abc9e
	s_mov_b32 s8, 0x3b39803f
	;; [unrolled: 1-line block ×3, first 2 shown]
	v_fmac_f64_e32 v[34:35], s[8:9], v[30:31]
	v_mov_b32_e32 v36, 0xfca7ab0c
	v_mov_b32_e32 v37, 0x3e928af3
	s_mov_b32 s3, 0x3e5ade15
	v_fmac_f64_e32 v[36:37], s[2:3], v[34:35]
	v_mov_b32_e32 v48, 0x623fde64
	v_mov_b32_e32 v49, 0x3ec71dee
	v_fmac_f64_e32 v[48:49], v[34:35], v[36:37]
	v_mov_b32_e32 v36, 0x7c89e6b0
	v_mov_b32_e32 v37, 0x3efa0199
	;; [unrolled: 3-line block ×8, first 2 shown]
	s_mov_b32 s2, 0
	v_fmac_f64_e32 v[36:37], v[34:35], v[48:49]
	s_mov_b32 s3, 0x40900000
	v_fma_f64 v[36:37], v[34:35], v[36:37], 1.0
	v_cmp_nlt_f64_e32 vcc, s[2:3], v[26:27]
	s_mov_b32 s2, 0
	v_fma_f64 v[34:35], v[34:35], v[36:37], 1.0
	v_cvt_i32_f64_e32 v30, v[30:31]
	s_mov_b32 s3, 0xc090cc00
	v_ldexp_f64 v[30:31], v[34:35], v30
	v_mov_b32_e32 v34, 0x7ff00000
	v_cmp_ngt_f64_e64 s[2:3], s[2:3], v[26:27]
	v_cndmask_b32_e32 v31, v34, v31, vcc
	s_and_b64 vcc, s[2:3], vcc
	v_cndmask_b32_e64 v27, 0, v31, s[2:3]
	v_cndmask_b32_e32 v26, 0, v30, vcc
	v_add_f64 v[30:31], v[26:27], 1.0
	v_add_f64 v[34:35], v[30:31], -1.0
	v_add_f64 v[36:37], v[34:35], -v[30:31]
	v_add_f64 v[36:37], v[36:37], 1.0
	v_add_f64 v[34:35], v[26:27], -v[34:35]
	s_mov_b32 s2, 0x55555555
	v_add_f64 v[34:35], v[34:35], v[36:37]
	v_frexp_mant_f64_e32 v[36:37], v[30:31]
	s_mov_b32 s3, 0x3fe55555
	v_frexp_exp_i32_f64_e32 v48, v[30:31]
	v_cmp_gt_f64_e32 vcc, s[2:3], v[36:37]
	s_mov_b32 s2, 0xbf559e2b
	s_mov_b32 s3, 0x3fc3ab76
	v_subbrev_co_u32_e32 v53, vcc, 0, v48, vcc
	v_sub_u32_e32 v36, 0, v53
	v_ldexp_f64 v[30:31], v[30:31], v36
	v_ldexp_f64 v[34:35], v[34:35], v36
	v_add_f64 v[36:37], v[30:31], -1.0
	v_add_f64 v[68:69], v[30:31], 1.0
	v_add_f64 v[48:49], v[36:37], 1.0
	v_add_f64 v[80:81], v[68:69], -1.0
	v_add_f64 v[48:49], v[30:31], -v[48:49]
	v_add_f64 v[30:31], v[30:31], -v[80:81]
	v_add_f64 v[30:31], v[34:35], v[30:31]
	v_add_f64 v[48:49], v[34:35], v[48:49]
	;; [unrolled: 1-line block ×3, first 2 shown]
	v_rcp_f64_e32 v[80:81], v[34:35]
	v_add_f64 v[66:67], v[36:37], v[48:49]
	v_add_f64 v[36:37], v[66:67], -v[36:37]
	v_add_f64 v[36:37], v[48:49], -v[36:37]
	;; [unrolled: 1-line block ×4, first 2 shown]
	v_fma_f64 v[48:49], -v[34:35], v[80:81], 1.0
	v_fmac_f64_e32 v[80:81], v[48:49], v[80:81]
	v_fma_f64 v[48:49], -v[34:35], v[80:81], 1.0
	v_fmac_f64_e32 v[80:81], v[48:49], v[80:81]
	v_mul_f64 v[48:49], v[66:67], v[80:81]
	v_mul_f64 v[68:69], v[34:35], v[48:49]
	v_fma_f64 v[82:83], v[48:49], v[34:35], -v[68:69]
	v_fmac_f64_e32 v[82:83], v[48:49], v[30:31]
	v_add_f64 v[84:85], v[68:69], v[82:83]
	v_add_f64 v[86:87], v[66:67], -v[84:85]
	v_add_f64 v[66:67], v[66:67], -v[86:87]
	;; [unrolled: 1-line block ×4, first 2 shown]
	v_add_f64 v[36:37], v[36:37], v[66:67]
	v_add_f64 v[66:67], v[68:69], -v[82:83]
	v_add_f64 v[36:37], v[66:67], v[36:37]
	v_add_f64 v[66:67], v[86:87], v[36:37]
	v_add_f64 v[68:69], v[86:87], -v[66:67]
	v_add_f64 v[36:37], v[36:37], v[68:69]
	v_mul_f64 v[68:69], v[80:81], v[66:67]
	v_mul_f64 v[82:83], v[34:35], v[68:69]
	v_fma_f64 v[34:35], v[68:69], v[34:35], -v[82:83]
	v_fmac_f64_e32 v[34:35], v[68:69], v[30:31]
	v_add_f64 v[30:31], v[82:83], v[34:35]
	v_add_f64 v[84:85], v[66:67], -v[30:31]
	v_add_f64 v[66:67], v[66:67], -v[84:85]
	;; [unrolled: 1-line block ×4, first 2 shown]
	v_add_f64 v[30:31], v[36:37], v[30:31]
	v_add_f64 v[34:35], v[82:83], -v[34:35]
	v_add_f64 v[30:31], v[34:35], v[30:31]
	v_add_f64 v[34:35], v[48:49], v[68:69]
	;; [unrolled: 1-line block ×3, first 2 shown]
	v_add_f64 v[36:37], v[34:35], -v[48:49]
	v_mul_f64 v[30:31], v[80:81], v[30:31]
	v_add_f64 v[36:37], v[68:69], -v[36:37]
	v_add_f64 v[30:31], v[36:37], v[30:31]
	v_add_f64 v[36:37], v[34:35], v[30:31]
	v_add_f64 v[34:35], v[36:37], -v[34:35]
	v_add_f64 v[30:31], v[30:31], -v[34:35]
	v_mul_f64 v[34:35], v[36:37], v[36:37]
	v_mov_b32_e32 v48, 0x6b47b09a
	v_mov_b32_e32 v49, 0x3fc38538
	v_fmac_f64_e32 v[48:49], s[2:3], v[34:35]
	v_mov_b32_e32 v66, 0xd7f4df2e
	v_mov_b32_e32 v67, 0x3fc7474d
	v_fmac_f64_e32 v[66:67], v[34:35], v[48:49]
	;; [unrolled: 3-line block ×6, first 2 shown]
	v_cvt_f64_i32_e32 v[48:49], v53
	s_mov_b32 s7, 0x3fe62e42
	v_mul_f64 v[68:69], v[48:49], s[6:7]
	v_fma_f64 v[80:81], v[48:49], s[6:7], -v[68:69]
	s_mov_b32 s9, 0x3c7abc9e
	v_fmac_f64_e32 v[80:81], s[8:9], v[48:49]
	v_add_f64 v[48:49], v[68:69], v[80:81]
	v_add_f64 v[68:69], v[48:49], -v[68:69]
	v_mul_f64 v[34:35], v[36:37], v[34:35]
	v_add_f64 v[68:69], v[80:81], -v[68:69]
	v_ldexp_f64 v[80:81], v[36:37], 1
	v_mul_f64 v[34:35], v[34:35], v[66:67]
	v_add_f64 v[36:37], v[80:81], v[34:35]
	v_add_f64 v[66:67], v[36:37], -v[80:81]
	v_ldexp_f64 v[30:31], v[30:31], 1
	v_add_f64 v[34:35], v[34:35], -v[66:67]
	v_add_f64 v[30:31], v[30:31], v[34:35]
	v_add_f64 v[34:35], v[36:37], v[30:31]
	v_add_f64 v[36:37], v[34:35], -v[36:37]
	v_add_f64 v[30:31], v[30:31], -v[36:37]
	v_add_f64 v[36:37], v[48:49], v[34:35]
	v_add_f64 v[66:67], v[36:37], -v[48:49]
	v_add_f64 v[80:81], v[36:37], -v[66:67]
	;; [unrolled: 1-line block ×4, first 2 shown]
	v_add_f64 v[34:35], v[34:35], v[48:49]
	v_add_f64 v[48:49], v[68:69], v[30:31]
	v_add_f64 v[66:67], v[48:49], -v[68:69]
	v_add_f64 v[34:35], v[48:49], v[34:35]
	v_add_f64 v[80:81], v[48:49], -v[66:67]
	v_add_f64 v[48:49], v[36:37], v[34:35]
	v_add_f64 v[68:69], v[68:69], -v[80:81]
	v_add_f64 v[30:31], v[30:31], -v[66:67]
	v_add_f64 v[36:37], v[48:49], -v[36:37]
	v_add_f64 v[30:31], v[30:31], v[68:69]
	v_add_f64 v[34:35], v[34:35], -v[36:37]
	s_mov_b32 s2, 0
	v_add_f64 v[30:31], v[30:31], v[34:35]
	s_mov_b32 s3, 0x7ff00000
	v_add_f64 v[30:31], v[48:49], v[30:31]
	v_cmp_eq_f64_e32 vcc, s[2:3], v[26:27]
	v_mov_b32_e32 v34, 0x7ff80000
	s_nop 0
	v_cndmask_b32_e32 v30, v30, v26, vcc
	v_cndmask_b32_e32 v31, v31, v27, vcc
	v_cmp_ngt_f64_e32 vcc, -1.0, v[26:27]
	s_nop 1
	v_cndmask_b32_e32 v31, v34, v31, vcc
	v_cmp_nge_f64_e32 vcc, -1.0, v[26:27]
	v_mov_b32_e32 v34, 0xfff00000
	s_nop 0
	v_cndmask_b32_e32 v30, 0, v30, vcc
	v_cmp_neq_f64_e32 vcc, -1.0, v[26:27]
	s_nop 1
	v_cndmask_b32_e32 v31, v34, v31, vcc
	v_add_f64 v[26:27], v[28:29], v[30:31]
.LBB2_362:
	s_or_b64 exec, exec, s[4:5]
	v_max_f64 v[28:29], v[26:27], v[26:27]
	v_min_f64 v[30:31], v[28:29], v[32:33]
	v_cmp_u_f64_e32 vcc, v[26:27], v[26:27]
	v_max_f64 v[28:29], v[28:29], v[32:33]
	s_nop 0
	v_cndmask_b32_e32 v30, v30, v26, vcc
	v_cndmask_b32_e32 v31, v31, v27, vcc
	;; [unrolled: 1-line block ×4, first 2 shown]
	v_cndmask_b32_e64 v35, v31, v129, s[28:29]
	v_cndmask_b32_e64 v34, v30, v128, s[28:29]
	;; [unrolled: 1-line block ×4, first 2 shown]
	v_cmp_neq_f64_e32 vcc, v[34:35], v[30:31]
	v_cmp_class_f64_e64 s[2:3], v[34:35], s10
	s_or_b64 s[2:3], vcc, s[2:3]
	v_mov_b64_e32 v[28:29], v[26:27]
	s_and_saveexec_b64 s[4:5], s[2:3]
	s_cbranch_execz .LBB2_364
; %bb.363:
	s_mov_b32 s2, 0x652b82fe
	v_add_f64 v[28:29], v[34:35], -v[30:31]
	s_mov_b32 s3, 0x3ff71547
	v_mul_f64 v[32:33], v[28:29], s[2:3]
	v_rndne_f64_e32 v[32:33], v[32:33]
	s_mov_b32 s7, 0xbfe62e42
	s_mov_b32 s6, 0xfefa39ef
	v_fma_f64 v[34:35], s[6:7], v[32:33], v[28:29]
	s_mov_b32 s9, 0xbc7abc9e
	s_mov_b32 s8, 0x3b39803f
	;; [unrolled: 1-line block ×3, first 2 shown]
	v_fmac_f64_e32 v[34:35], s[8:9], v[32:33]
	v_mov_b32_e32 v36, 0xfca7ab0c
	v_mov_b32_e32 v37, 0x3e928af3
	s_mov_b32 s3, 0x3e5ade15
	v_fmac_f64_e32 v[36:37], s[2:3], v[34:35]
	v_mov_b32_e32 v48, 0x623fde64
	v_mov_b32_e32 v49, 0x3ec71dee
	v_fmac_f64_e32 v[48:49], v[34:35], v[36:37]
	v_mov_b32_e32 v36, 0x7c89e6b0
	v_mov_b32_e32 v37, 0x3efa0199
	;; [unrolled: 3-line block ×8, first 2 shown]
	s_mov_b32 s2, 0
	v_fmac_f64_e32 v[36:37], v[34:35], v[48:49]
	s_mov_b32 s3, 0x40900000
	v_fma_f64 v[36:37], v[34:35], v[36:37], 1.0
	v_cmp_nlt_f64_e32 vcc, s[2:3], v[28:29]
	s_mov_b32 s2, 0
	v_fma_f64 v[34:35], v[34:35], v[36:37], 1.0
	v_cvt_i32_f64_e32 v32, v[32:33]
	s_mov_b32 s3, 0xc090cc00
	v_ldexp_f64 v[32:33], v[34:35], v32
	v_mov_b32_e32 v34, 0x7ff00000
	v_cmp_ngt_f64_e64 s[2:3], s[2:3], v[28:29]
	v_cndmask_b32_e32 v33, v34, v33, vcc
	s_and_b64 vcc, s[2:3], vcc
	v_cndmask_b32_e64 v29, 0, v33, s[2:3]
	v_cndmask_b32_e32 v28, 0, v32, vcc
	v_add_f64 v[32:33], v[28:29], 1.0
	v_add_f64 v[34:35], v[32:33], -1.0
	v_add_f64 v[36:37], v[34:35], -v[32:33]
	v_add_f64 v[36:37], v[36:37], 1.0
	v_add_f64 v[34:35], v[28:29], -v[34:35]
	s_mov_b32 s2, 0x55555555
	v_add_f64 v[34:35], v[34:35], v[36:37]
	v_frexp_mant_f64_e32 v[36:37], v[32:33]
	s_mov_b32 s3, 0x3fe55555
	v_frexp_exp_i32_f64_e32 v48, v[32:33]
	v_cmp_gt_f64_e32 vcc, s[2:3], v[36:37]
	s_mov_b32 s2, 0xbf559e2b
	s_mov_b32 s3, 0x3fc3ab76
	v_subbrev_co_u32_e32 v53, vcc, 0, v48, vcc
	v_sub_u32_e32 v36, 0, v53
	v_ldexp_f64 v[32:33], v[32:33], v36
	v_ldexp_f64 v[34:35], v[34:35], v36
	v_add_f64 v[36:37], v[32:33], -1.0
	v_add_f64 v[68:69], v[32:33], 1.0
	v_add_f64 v[48:49], v[36:37], 1.0
	v_add_f64 v[80:81], v[68:69], -1.0
	v_add_f64 v[48:49], v[32:33], -v[48:49]
	v_add_f64 v[32:33], v[32:33], -v[80:81]
	v_add_f64 v[32:33], v[34:35], v[32:33]
	v_add_f64 v[48:49], v[34:35], v[48:49]
	;; [unrolled: 1-line block ×3, first 2 shown]
	v_rcp_f64_e32 v[80:81], v[34:35]
	v_add_f64 v[66:67], v[36:37], v[48:49]
	v_add_f64 v[36:37], v[66:67], -v[36:37]
	v_add_f64 v[36:37], v[48:49], -v[36:37]
	;; [unrolled: 1-line block ×4, first 2 shown]
	v_fma_f64 v[48:49], -v[34:35], v[80:81], 1.0
	v_fmac_f64_e32 v[80:81], v[48:49], v[80:81]
	v_fma_f64 v[48:49], -v[34:35], v[80:81], 1.0
	v_fmac_f64_e32 v[80:81], v[48:49], v[80:81]
	v_mul_f64 v[48:49], v[66:67], v[80:81]
	v_mul_f64 v[68:69], v[34:35], v[48:49]
	v_fma_f64 v[82:83], v[48:49], v[34:35], -v[68:69]
	v_fmac_f64_e32 v[82:83], v[48:49], v[32:33]
	v_add_f64 v[84:85], v[68:69], v[82:83]
	v_add_f64 v[86:87], v[66:67], -v[84:85]
	v_add_f64 v[66:67], v[66:67], -v[86:87]
	;; [unrolled: 1-line block ×4, first 2 shown]
	v_add_f64 v[36:37], v[36:37], v[66:67]
	v_add_f64 v[66:67], v[68:69], -v[82:83]
	v_add_f64 v[36:37], v[66:67], v[36:37]
	v_add_f64 v[66:67], v[86:87], v[36:37]
	v_add_f64 v[68:69], v[86:87], -v[66:67]
	v_add_f64 v[36:37], v[36:37], v[68:69]
	v_mul_f64 v[68:69], v[80:81], v[66:67]
	v_mul_f64 v[82:83], v[34:35], v[68:69]
	v_fma_f64 v[34:35], v[68:69], v[34:35], -v[82:83]
	v_fmac_f64_e32 v[34:35], v[68:69], v[32:33]
	v_add_f64 v[32:33], v[82:83], v[34:35]
	v_add_f64 v[84:85], v[66:67], -v[32:33]
	v_add_f64 v[66:67], v[66:67], -v[84:85]
	;; [unrolled: 1-line block ×4, first 2 shown]
	v_add_f64 v[32:33], v[36:37], v[32:33]
	v_add_f64 v[34:35], v[82:83], -v[34:35]
	v_add_f64 v[32:33], v[34:35], v[32:33]
	v_add_f64 v[34:35], v[48:49], v[68:69]
	;; [unrolled: 1-line block ×3, first 2 shown]
	v_add_f64 v[36:37], v[34:35], -v[48:49]
	v_mul_f64 v[32:33], v[80:81], v[32:33]
	v_add_f64 v[36:37], v[68:69], -v[36:37]
	v_add_f64 v[32:33], v[36:37], v[32:33]
	v_add_f64 v[36:37], v[34:35], v[32:33]
	v_add_f64 v[34:35], v[36:37], -v[34:35]
	v_add_f64 v[32:33], v[32:33], -v[34:35]
	v_mul_f64 v[34:35], v[36:37], v[36:37]
	v_mov_b32_e32 v48, 0x6b47b09a
	v_mov_b32_e32 v49, 0x3fc38538
	v_fmac_f64_e32 v[48:49], s[2:3], v[34:35]
	v_mov_b32_e32 v66, 0xd7f4df2e
	v_mov_b32_e32 v67, 0x3fc7474d
	v_fmac_f64_e32 v[66:67], v[34:35], v[48:49]
	;; [unrolled: 3-line block ×6, first 2 shown]
	v_cvt_f64_i32_e32 v[48:49], v53
	s_mov_b32 s7, 0x3fe62e42
	v_mul_f64 v[68:69], v[48:49], s[6:7]
	v_fma_f64 v[80:81], v[48:49], s[6:7], -v[68:69]
	s_mov_b32 s9, 0x3c7abc9e
	v_fmac_f64_e32 v[80:81], s[8:9], v[48:49]
	v_add_f64 v[48:49], v[68:69], v[80:81]
	v_add_f64 v[68:69], v[48:49], -v[68:69]
	v_mul_f64 v[34:35], v[36:37], v[34:35]
	v_add_f64 v[68:69], v[80:81], -v[68:69]
	v_ldexp_f64 v[80:81], v[36:37], 1
	v_mul_f64 v[34:35], v[34:35], v[66:67]
	v_add_f64 v[36:37], v[80:81], v[34:35]
	v_add_f64 v[66:67], v[36:37], -v[80:81]
	v_ldexp_f64 v[32:33], v[32:33], 1
	v_add_f64 v[34:35], v[34:35], -v[66:67]
	v_add_f64 v[32:33], v[32:33], v[34:35]
	v_add_f64 v[34:35], v[36:37], v[32:33]
	v_add_f64 v[36:37], v[34:35], -v[36:37]
	v_add_f64 v[32:33], v[32:33], -v[36:37]
	v_add_f64 v[36:37], v[48:49], v[34:35]
	v_add_f64 v[66:67], v[36:37], -v[48:49]
	v_add_f64 v[80:81], v[36:37], -v[66:67]
	;; [unrolled: 1-line block ×4, first 2 shown]
	v_add_f64 v[34:35], v[34:35], v[48:49]
	v_add_f64 v[48:49], v[68:69], v[32:33]
	v_add_f64 v[66:67], v[48:49], -v[68:69]
	v_add_f64 v[34:35], v[48:49], v[34:35]
	v_add_f64 v[80:81], v[48:49], -v[66:67]
	;; [unrolled: 2-line block ×3, first 2 shown]
	v_add_f64 v[32:33], v[32:33], -v[66:67]
	v_add_f64 v[36:37], v[48:49], -v[36:37]
	v_add_f64 v[32:33], v[32:33], v[68:69]
	v_add_f64 v[34:35], v[34:35], -v[36:37]
	s_mov_b32 s2, 0
	v_add_f64 v[32:33], v[32:33], v[34:35]
	s_mov_b32 s3, 0x7ff00000
	v_add_f64 v[32:33], v[48:49], v[32:33]
	v_cmp_eq_f64_e32 vcc, s[2:3], v[28:29]
	v_mov_b32_e32 v34, 0x7ff80000
	s_nop 0
	v_cndmask_b32_e32 v32, v32, v28, vcc
	v_cndmask_b32_e32 v33, v33, v29, vcc
	v_cmp_ngt_f64_e32 vcc, -1.0, v[28:29]
	s_nop 1
	v_cndmask_b32_e32 v33, v34, v33, vcc
	v_cmp_nge_f64_e32 vcc, -1.0, v[28:29]
	v_mov_b32_e32 v34, 0xfff00000
	s_nop 0
	v_cndmask_b32_e32 v32, 0, v32, vcc
	v_cmp_neq_f64_e32 vcc, -1.0, v[28:29]
	s_nop 1
	v_cndmask_b32_e32 v33, v34, v33, vcc
	v_add_f64 v[28:29], v[30:31], v[32:33]
.LBB2_364:
	s_or_b64 exec, exec, s[4:5]
	s_movk_i32 s2, 0xff
	v_cmp_eq_u32_e32 vcc, s2, v70
	s_and_saveexec_b64 s[2:3], vcc
	s_cbranch_execz .LBB2_374
; %bb.365:
	s_mov_b64 s[4:5], 0x400
	v_lshl_add_u64 v[32:33], v[116:117], 0, s[4:5]
	s_mov_b64 s[4:5], src_shared_base
	v_cmp_ne_u32_e32 vcc, s5, v33
	s_and_saveexec_b64 s[4:5], vcc
	s_xor_b64 s[4:5], exec, s[4:5]
	s_cbranch_execz .LBB2_371
; %bb.366:
	s_mov_b64 s[6:7], src_private_base
	v_cmp_ne_u32_e32 vcc, s7, v33
	s_and_saveexec_b64 s[6:7], vcc
	s_xor_b64 s[6:7], exec, s[6:7]
	s_cbranch_execz .LBB2_368
; %bb.367:
	v_mov_b32_e32 v31, 0
	v_mov_b32_e32 v30, 2
	;;#ASMSTART
	global_store_dwordx4 v[32:33], v[28:31] off sc1	
s_waitcnt vmcnt(0)
	;;#ASMEND
                                        ; implicit-def: $vgpr32_vgpr33
.LBB2_368:
	s_andn2_saveexec_b64 s[6:7], s[6:7]
	s_cbranch_execz .LBB2_370
; %bb.369:
	v_mov_b32_e32 v31, 0
	v_mov_b32_e32 v30, 2
	;;#ASMSTART
	flat_store_dwordx4 v[32:33], v[28:31] sc1	
s_waitcnt vmcnt(0)
	;;#ASMEND
.LBB2_370:
	s_or_b64 exec, exec, s[6:7]
                                        ; implicit-def: $vgpr32_vgpr33
.LBB2_371:
	s_andn2_saveexec_b64 s[4:5], s[4:5]
	s_cbranch_execz .LBB2_373
; %bb.372:
	v_cmp_ne_u64_e32 vcc, 0, v[32:33]
	v_mov_b32_e32 v35, 0
	v_mov_b32_e32 v34, 2
	v_cndmask_b32_e32 v36, -1, v32, vcc
	v_mov_b32_e32 v32, v28
	v_mov_b32_e32 v33, v29
	;;#ASMSTART
	ds_write_b128 v36, v[32:35] 	
s_waitcnt lgkmcnt(0)
	;;#ASMEND
.LBB2_373:
	s_or_b64 exec, exec, s[4:5]
.LBB2_374:
	s_or_b64 exec, exec, s[2:3]
	v_mov_b64_e32 v[34:35], v[30:31]
	v_mov_b64_e32 v[32:33], v[28:29]
	v_mov_b64_e32 v[30:31], v[26:27]
	v_mov_b64_e32 v[28:29], v[24:25]
	v_mov_b64_e32 v[26:27], v[22:23]
	v_mov_b64_e32 v[24:25], v[20:21]
	v_mov_b64_e32 v[22:23], v[18:19]
	v_mov_b64_e32 v[20:21], v[16:17]
	v_mov_b64_e32 v[18:19], v[14:15]
	v_mov_b64_e32 v[16:17], v[12:13]
	v_mov_b64_e32 v[14:15], v[10:11]
	v_mov_b64_e32 v[12:13], v[8:9]
	v_mov_b64_e32 v[10:11], v[6:7]
	v_mov_b64_e32 v[8:9], v[4:5]
	v_mov_b64_e32 v[6:7], v[2:3]
	v_mov_b64_e32 v[4:5], v[0:1]
.LBB2_375:
	v_lshl_add_u64 v[0:1], v[54:55], 3, v[64:65]
	v_lshl_add_u64 v[34:35], s[46:47], 3, v[0:1]
	s_waitcnt lgkmcnt(0)
	s_barrier
	s_and_saveexec_b64 s[2:3], s[0:1]
	s_xor_b64 s[0:1], exec, s[2:3]
	s_cbranch_execz .LBB2_377
; %bb.376:
	v_mul_u32_u24_e32 v0, 0x78, v70
	s_movk_i32 s2, 0x78
	ds_write2_b64 v0, v[4:5], v[6:7] offset1:1
	ds_write2_b64 v0, v[8:9], v[10:11] offset0:2 offset1:3
	ds_write2_b64 v0, v[12:13], v[14:15] offset0:4 offset1:5
	;; [unrolled: 1-line block ×6, first 2 shown]
	ds_write_b64 v0, v[32:33] offset:112
	v_mul_i32_i24_e32 v0, 0xffffff90, v70
	v_mad_u32_u24 v28, v70, s2, v0
	v_mov_b32_e32 v53, 0
	s_waitcnt lgkmcnt(0)
	s_barrier
	ds_read2st64_b64 v[0:3], v28 offset1:4
	ds_read2st64_b64 v[4:7], v28 offset0:8 offset1:12
	ds_read2st64_b64 v[8:11], v28 offset0:16 offset1:20
	;; [unrolled: 1-line block ×6, first 2 shown]
	ds_read_b64 v[28:29], v28 offset:28672
	v_lshl_add_u64 v[30:31], v[34:35], 0, v[52:53]
	s_movk_i32 s2, 0x1000
	s_waitcnt lgkmcnt(7)
	flat_store_dwordx2 v[30:31], v[0:1]
	flat_store_dwordx2 v[30:31], v[2:3] offset:2048
	v_add_co_u32_e32 v0, vcc, s2, v30
	s_movk_i32 s2, 0x2000
	s_nop 0
	v_addc_co_u32_e32 v1, vcc, 0, v31, vcc
	s_waitcnt lgkmcnt(0)
	flat_store_dwordx2 v[0:1], v[4:5]
	flat_store_dwordx2 v[0:1], v[6:7] offset:2048
	v_add_co_u32_e32 v0, vcc, s2, v30
	s_movk_i32 s2, 0x3000
	s_nop 0
	v_addc_co_u32_e32 v1, vcc, 0, v31, vcc
	flat_store_dwordx2 v[0:1], v[8:9]
	flat_store_dwordx2 v[0:1], v[10:11] offset:2048
	v_add_co_u32_e32 v0, vcc, s2, v30
	s_movk_i32 s2, 0x4000
	s_nop 0
	v_addc_co_u32_e32 v1, vcc, 0, v31, vcc
	flat_store_dwordx2 v[0:1], v[12:13]
	flat_store_dwordx2 v[0:1], v[14:15] offset:2048
	v_add_co_u32_e32 v0, vcc, s2, v30
	s_movk_i32 s2, 0x5000
	s_nop 0
	v_addc_co_u32_e32 v1, vcc, 0, v31, vcc
	flat_store_dwordx2 v[0:1], v[16:17]
	flat_store_dwordx2 v[0:1], v[18:19] offset:2048
	v_add_co_u32_e32 v0, vcc, s2, v30
                                        ; implicit-def: $vgpr36_vgpr37_vgpr38_vgpr39
                                        ; implicit-def: $vgpr48_vgpr49_vgpr50_vgpr51
                                        ; implicit-def: $vgpr70
                                        ; implicit-def: $vgpr118_vgpr119
                                        ; implicit-def: $vgpr244
                                        ; implicit-def: $vgpr52
	s_nop 1
	v_addc_co_u32_e32 v1, vcc, 0, v31, vcc
	flat_store_dwordx2 v[0:1], v[20:21]
	flat_store_dwordx2 v[0:1], v[22:23] offset:2048
	v_add_co_u32_e32 v0, vcc, 0x6000, v30
	s_nop 1
	v_addc_co_u32_e32 v1, vcc, 0, v31, vcc
	flat_store_dwordx2 v[0:1], v[24:25]
	flat_store_dwordx2 v[0:1], v[26:27] offset:2048
	v_add_co_u32_e32 v0, vcc, 0x7000, v30
	s_nop 1
	v_addc_co_u32_e32 v1, vcc, 0, v31, vcc
	flat_store_dwordx2 v[0:1], v[28:29]
                                        ; implicit-def: $vgpr4_vgpr5_vgpr6_vgpr7_vgpr8_vgpr9_vgpr10_vgpr11_vgpr12_vgpr13_vgpr14_vgpr15_vgpr16_vgpr17_vgpr18_vgpr19_vgpr20_vgpr21_vgpr22_vgpr23_vgpr24_vgpr25_vgpr26_vgpr27_vgpr28_vgpr29_vgpr30_vgpr31_vgpr32_vgpr33_vgpr34_vgpr35
                                        ; implicit-def: $vgpr34_vgpr35
.LBB2_377:
	s_andn2_saveexec_b64 s[2:3], s[0:1]
	s_cbranch_execz .LBB2_464
; %bb.378:
	v_mul_u32_u24_e32 v0, 0x78, v70
	s_movk_i32 s0, 0x78
	ds_write2_b64 v0, v[4:5], v[6:7] offset1:1
	ds_write2_b64 v0, v[8:9], v[10:11] offset0:2 offset1:3
	ds_write2_b64 v0, v[12:13], v[14:15] offset0:4 offset1:5
	;; [unrolled: 1-line block ×6, first 2 shown]
	ds_write_b64 v0, v[32:33] offset:112
	v_mul_i32_i24_e32 v0, 0xffffff90, v70
	v_mad_u32_u24 v28, v70, s0, v0
	s_waitcnt lgkmcnt(0)
	s_barrier
	ds_read2st64_b64 v[4:7], v28 offset1:4
	ds_read2st64_b64 v[12:15], v28 offset0:8 offset1:12
	ds_read2st64_b64 v[8:11], v28 offset0:16 offset1:20
	;; [unrolled: 1-line block ×6, first 2 shown]
	ds_read_b64 v[28:29], v28 offset:28672
	v_mov_b32_e32 v53, 0
	v_lshl_add_u64 v[30:31], v[34:35], 0, v[52:53]
	v_cmp_lt_u32_e32 vcc, v70, v118
	s_and_saveexec_b64 s[0:1], vcc
	s_cbranch_execz .LBB2_380
; %bb.379:
	s_waitcnt lgkmcnt(0)
	flat_store_dwordx2 v[30:31], v[4:5]
.LBB2_380:
	s_or_b64 exec, exec, s[0:1]
	v_add_u32_e32 v32, 0x100, v70
	v_cmp_lt_u32_e32 vcc, v32, v118
	s_and_saveexec_b64 s[0:1], vcc
	s_cbranch_execz .LBB2_382
; %bb.381:
	s_waitcnt lgkmcnt(0)
	flat_store_dwordx2 v[30:31], v[6:7] offset:2048
.LBB2_382:
	s_or_b64 exec, exec, s[0:1]
	v_add_u32_e32 v32, 0x200, v70
	v_cmp_lt_u32_e32 vcc, v32, v118
	s_and_saveexec_b64 s[0:1], vcc
	s_cbranch_execz .LBB2_384
; %bb.383:
	v_add_co_u32_e32 v32, vcc, 0x1000, v30
	s_nop 1
	v_addc_co_u32_e32 v33, vcc, 0, v31, vcc
	s_waitcnt lgkmcnt(0)
	flat_store_dwordx2 v[32:33], v[12:13]
.LBB2_384:
	s_or_b64 exec, exec, s[0:1]
	v_add_u32_e32 v32, 0x300, v70
	v_cmp_lt_u32_e32 vcc, v32, v118
	s_and_saveexec_b64 s[0:1], vcc
	s_cbranch_execz .LBB2_386
; %bb.385:
	v_add_co_u32_e32 v32, vcc, 0x1000, v30
	s_nop 1
	v_addc_co_u32_e32 v33, vcc, 0, v31, vcc
	s_waitcnt lgkmcnt(0)
	flat_store_dwordx2 v[32:33], v[14:15] offset:2048
.LBB2_386:
	s_or_b64 exec, exec, s[0:1]
	v_or_b32_e32 v32, 0x400, v70
	v_cmp_lt_u32_e32 vcc, v32, v118
	s_and_saveexec_b64 s[0:1], vcc
	s_cbranch_execz .LBB2_388
; %bb.387:
	v_add_co_u32_e32 v32, vcc, 0x2000, v30
	s_nop 1
	v_addc_co_u32_e32 v33, vcc, 0, v31, vcc
	s_waitcnt lgkmcnt(0)
	flat_store_dwordx2 v[32:33], v[8:9]
.LBB2_388:
	s_or_b64 exec, exec, s[0:1]
	v_add_u32_e32 v32, 0x500, v70
	v_cmp_lt_u32_e32 vcc, v32, v118
	s_and_saveexec_b64 s[0:1], vcc
	s_cbranch_execz .LBB2_390
; %bb.389:
	v_add_co_u32_e32 v32, vcc, 0x2000, v30
	s_nop 1
	v_addc_co_u32_e32 v33, vcc, 0, v31, vcc
	s_waitcnt lgkmcnt(0)
	flat_store_dwordx2 v[32:33], v[10:11] offset:2048
.LBB2_390:
	s_or_b64 exec, exec, s[0:1]
	v_add_u32_e32 v32, 0x600, v70
	v_cmp_lt_u32_e32 vcc, v32, v118
	s_and_saveexec_b64 s[0:1], vcc
	s_cbranch_execz .LBB2_392
; %bb.391:
	v_add_co_u32_e32 v32, vcc, 0x3000, v30
	s_nop 1
	v_addc_co_u32_e32 v33, vcc, 0, v31, vcc
	s_waitcnt lgkmcnt(0)
	flat_store_dwordx2 v[32:33], v[24:25]
.LBB2_392:
	s_or_b64 exec, exec, s[0:1]
	v_add_u32_e32 v32, 0x700, v70
	v_cmp_lt_u32_e32 vcc, v32, v118
	s_and_saveexec_b64 s[0:1], vcc
	s_cbranch_execz .LBB2_394
; %bb.393:
	v_add_co_u32_e32 v32, vcc, 0x3000, v30
	s_nop 1
	v_addc_co_u32_e32 v33, vcc, 0, v31, vcc
	s_waitcnt lgkmcnt(0)
	flat_store_dwordx2 v[32:33], v[26:27] offset:2048
.LBB2_394:
	s_or_b64 exec, exec, s[0:1]
	v_or_b32_e32 v32, 0x800, v70
	v_cmp_lt_u32_e32 vcc, v32, v118
	s_and_saveexec_b64 s[0:1], vcc
	s_cbranch_execz .LBB2_396
; %bb.395:
	v_add_co_u32_e32 v32, vcc, 0x4000, v30
	s_nop 1
	v_addc_co_u32_e32 v33, vcc, 0, v31, vcc
	s_waitcnt lgkmcnt(0)
	flat_store_dwordx2 v[32:33], v[16:17]
.LBB2_396:
	s_or_b64 exec, exec, s[0:1]
	v_add_u32_e32 v32, 0x900, v70
	v_cmp_lt_u32_e32 vcc, v32, v118
	s_and_saveexec_b64 s[0:1], vcc
	s_cbranch_execz .LBB2_398
; %bb.397:
	v_add_co_u32_e32 v32, vcc, 0x4000, v30
	s_nop 1
	v_addc_co_u32_e32 v33, vcc, 0, v31, vcc
	s_waitcnt lgkmcnt(0)
	flat_store_dwordx2 v[32:33], v[18:19] offset:2048
.LBB2_398:
	;; [unrolled: 48-line block ×3, first 2 shown]
	s_or_b64 exec, exec, s[0:1]
	v_add_u32_e32 v32, 0xe00, v70
	v_cmp_lt_u32_e32 vcc, v32, v118
	s_and_saveexec_b64 s[0:1], vcc
	s_cbranch_execz .LBB2_408
; %bb.407:
	v_add_co_u32_e32 v30, vcc, 0x7000, v30
	s_nop 1
	v_addc_co_u32_e32 v31, vcc, 0, v31, vcc
	s_waitcnt lgkmcnt(0)
	flat_store_dwordx2 v[30:31], v[28:29]
.LBB2_408:
	s_or_b64 exec, exec, s[0:1]
	v_cmp_lt_u64_e32 vcc, 1, v[50:51]
	s_and_saveexec_b64 s[4:5], vcc
	s_cbranch_execz .LBB2_463
; %bb.409:
	s_add_u32 s0, 0, 0x11108400
	s_addc_u32 s1, 0, 49
	s_add_i32 s1, s1, 0x111110e0
	s_mul_hi_u32 s9, s0, -15
	s_sub_i32 s9, s9, s0
	s_mul_i32 s10, s1, -15
	s_mul_i32 s6, s0, -15
	s_add_i32 s9, s9, s10
	s_mul_hi_u32 s7, s1, s6
	s_mul_i32 s8, s1, s6
	s_mul_i32 s11, s0, s9
	s_mul_hi_u32 s6, s0, s6
	s_mul_hi_u32 s10, s0, s9
	s_add_u32 s6, s6, s11
	s_addc_u32 s10, 0, s10
	s_add_u32 s6, s6, s8
	s_mul_hi_u32 s11, s1, s9
	s_addc_u32 s6, s10, s7
	s_addc_u32 s7, s11, 0
	s_mul_i32 s8, s1, s9
	s_add_u32 s6, s6, s8
	v_mov_b32_e32 v32, s6
	s_addc_u32 s7, 0, s7
	v_add_co_u32_e32 v48, vcc, s0, v32
	s_cmp_lg_u64 vcc, 0
	v_lshl_add_u64 v[30:31], v[118:119], 0, -1
	s_addc_u32 s6, s1, s7
	v_mad_u64_u32 v[32:33], s[0:1], v30, s6, 0
	v_mul_hi_u32 v34, v30, v48
	v_mov_b32_e32 v35, 0
	v_lshl_add_u64 v[32:33], v[34:35], 0, v[32:33]
	v_mad_u64_u32 v[48:49], s[0:1], v31, v48, 0
	v_add_co_u32_e32 v32, vcc, v32, v48
	v_mad_u64_u32 v[36:37], s[0:1], v31, s6, 0
	s_nop 0
	v_addc_co_u32_e32 v34, vcc, v33, v49, vcc
	v_mov_b32_e32 v71, v53
	s_nop 0
	v_addc_co_u32_e32 v37, vcc, 0, v37, vcc
	v_lshl_add_u64 v[32:33], v[34:35], 0, v[36:37]
	v_mad_u64_u32 v[34:35], s[0:1], v32, 15, 0
	v_mov_b32_e32 v36, v35
	v_mad_u64_u32 v[36:37], s[0:1], v33, 15, v[36:37]
	v_sub_co_u32_e32 v48, vcc, v30, v34
	v_cmp_lt_u32_e64 s[0:1], 14, v48
	s_nop 0
	v_subb_co_u32_e32 v49, vcc, v31, v36, vcc
	v_subrev_co_u32_e32 v34, vcc, 15, v48
	v_lshl_add_u64 v[36:37], v[32:33], 0, 1
	s_nop 0
	v_subbrev_co_u32_e32 v35, vcc, 0, v49, vcc
	v_cmp_lt_u32_e32 vcc, 14, v34
	s_nop 1
	v_cndmask_b32_e64 v34, 0, -1, vcc
	v_cmp_eq_u32_e32 vcc, 0, v35
	s_nop 1
	v_cndmask_b32_e32 v50, -1, v34, vcc
	v_lshl_add_u64 v[34:35], v[32:33], 0, 2
	v_cmp_ne_u32_e32 vcc, 0, v50
	s_nop 1
	v_cndmask_b32_e32 v35, v37, v35, vcc
	v_cndmask_b32_e64 v37, 0, -1, s[0:1]
	v_cmp_eq_u32_e64 s[0:1], 0, v49
	v_cndmask_b32_e32 v34, v36, v34, vcc
	s_nop 0
	v_cndmask_b32_e64 v37, -1, v37, s[0:1]
	v_cmp_ne_u32_e64 s[0:1], 0, v37
	s_nop 1
	v_cndmask_b32_e64 v33, v33, v35, s[0:1]
	v_cndmask_b32_e64 v32, v32, v34, s[0:1]
	v_cmp_eq_u64_e32 vcc, v[32:33], v[70:71]
	s_and_b64 exec, exec, vcc
	s_cbranch_execz .LBB2_463
; %bb.410:
	v_mul_hi_u32_u24_e32 v32, 15, v70
	v_sub_co_u32_e32 v30, vcc, v30, v244
	s_nop 1
	v_subb_co_u32_e32 v31, vcc, v31, v32, vcc
	v_cmp_lt_i64_e32 vcc, 7, v[30:31]
	s_and_saveexec_b64 s[0:1], vcc
	s_xor_b64 s[0:1], exec, s[0:1]
	s_cbranch_execz .LBB2_436
; %bb.411:
	v_cmp_lt_i64_e32 vcc, 10, v[30:31]
	s_and_saveexec_b64 s[6:7], vcc
	s_xor_b64 s[6:7], exec, s[6:7]
	s_cbranch_execz .LBB2_425
; %bb.412:
	;; [unrolled: 5-line block ×4, first 2 shown]
	s_waitcnt lgkmcnt(0)
	flat_store_dwordx2 v[38:39], v[28:29]
                                        ; implicit-def: $vgpr38_vgpr39
                                        ; implicit-def: $vgpr20_vgpr21_vgpr22_vgpr23
.LBB2_415:
	s_andn2_saveexec_b64 s[10:11], s[10:11]
	s_cbranch_execz .LBB2_417
; %bb.416:
	s_waitcnt lgkmcnt(0)
	flat_store_dwordx2 v[38:39], v[22:23]
.LBB2_417:
	s_or_b64 exec, exec, s[10:11]
                                        ; implicit-def: $vgpr38_vgpr39
                                        ; implicit-def: $vgpr0_vgpr1_vgpr2_vgpr3
                                        ; implicit-def: $vgpr30_vgpr31
                                        ; implicit-def: $vgpr20_vgpr21_vgpr22_vgpr23
.LBB2_418:
	s_andn2_saveexec_b64 s[8:9], s[8:9]
	s_cbranch_execz .LBB2_424
; %bb.419:
	v_cmp_lt_i64_e32 vcc, 11, v[30:31]
	s_and_saveexec_b64 s[10:11], vcc
	s_xor_b64 s[10:11], exec, s[10:11]
	s_cbranch_execz .LBB2_421
; %bb.420:
	s_waitcnt lgkmcnt(0)
	flat_store_dwordx2 v[38:39], v[20:21]
                                        ; implicit-def: $vgpr38_vgpr39
                                        ; implicit-def: $vgpr0_vgpr1_vgpr2_vgpr3
.LBB2_421:
	s_andn2_saveexec_b64 s[10:11], s[10:11]
	s_cbranch_execz .LBB2_423
; %bb.422:
	s_waitcnt lgkmcnt(0)
	flat_store_dwordx2 v[38:39], v[2:3]
.LBB2_423:
	s_or_b64 exec, exec, s[10:11]
.LBB2_424:
	s_or_b64 exec, exec, s[8:9]
                                        ; implicit-def: $vgpr38_vgpr39
                                        ; implicit-def: $vgpr16_vgpr17_vgpr18_vgpr19
                                        ; implicit-def: $vgpr30_vgpr31
                                        ; implicit-def: $vgpr0_vgpr1_vgpr2_vgpr3
.LBB2_425:
	s_andn2_saveexec_b64 s[6:7], s[6:7]
	s_cbranch_execz .LBB2_435
; %bb.426:
	v_cmp_lt_i64_e32 vcc, 8, v[30:31]
	s_and_saveexec_b64 s[8:9], vcc
	s_xor_b64 s[8:9], exec, s[8:9]
	s_cbranch_execz .LBB2_432
; %bb.427:
	v_cmp_lt_i64_e32 vcc, 9, v[30:31]
	s_and_saveexec_b64 s[10:11], vcc
	s_xor_b64 s[10:11], exec, s[10:11]
	s_cbranch_execz .LBB2_429
; %bb.428:
	s_waitcnt lgkmcnt(0)
	flat_store_dwordx2 v[38:39], v[0:1]
                                        ; implicit-def: $vgpr38_vgpr39
                                        ; implicit-def: $vgpr16_vgpr17_vgpr18_vgpr19
.LBB2_429:
	s_andn2_saveexec_b64 s[10:11], s[10:11]
	s_cbranch_execz .LBB2_431
; %bb.430:
	s_waitcnt lgkmcnt(0)
	flat_store_dwordx2 v[38:39], v[18:19]
.LBB2_431:
	s_or_b64 exec, exec, s[10:11]
                                        ; implicit-def: $vgpr38_vgpr39
                                        ; implicit-def: $vgpr16_vgpr17_vgpr18_vgpr19
.LBB2_432:
	s_andn2_saveexec_b64 s[8:9], s[8:9]
	s_cbranch_execz .LBB2_434
; %bb.433:
	s_waitcnt lgkmcnt(0)
	flat_store_dwordx2 v[38:39], v[16:17]
.LBB2_434:
	s_or_b64 exec, exec, s[8:9]
.LBB2_435:
	s_or_b64 exec, exec, s[6:7]
                                        ; implicit-def: $vgpr30_vgpr31
                                        ; implicit-def: $vgpr38_vgpr39
                                        ; implicit-def: $vgpr4_vgpr5_vgpr6_vgpr7
                                        ; implicit-def: $vgpr8_vgpr9_vgpr10_vgpr11
                                        ; implicit-def: $vgpr12_vgpr13_vgpr14_vgpr15
                                        ; implicit-def: $vgpr24_vgpr25_vgpr26_vgpr27
.LBB2_436:
	s_andn2_saveexec_b64 s[0:1], s[0:1]
	s_cbranch_execz .LBB2_463
; %bb.437:
	v_cmp_lt_i64_e32 vcc, 3, v[30:31]
	s_and_saveexec_b64 s[0:1], vcc
	s_xor_b64 s[0:1], exec, s[0:1]
	s_cbranch_execz .LBB2_451
; %bb.438:
	v_cmp_lt_i64_e32 vcc, 5, v[30:31]
	s_and_saveexec_b64 s[6:7], vcc
	s_xor_b64 s[6:7], exec, s[6:7]
	;; [unrolled: 5-line block ×3, first 2 shown]
	s_cbranch_execz .LBB2_441
; %bb.440:
	s_waitcnt lgkmcnt(0)
	flat_store_dwordx2 v[38:39], v[26:27]
                                        ; implicit-def: $vgpr38_vgpr39
                                        ; implicit-def: $vgpr24_vgpr25_vgpr26_vgpr27
.LBB2_441:
	s_andn2_saveexec_b64 s[8:9], s[8:9]
	s_cbranch_execz .LBB2_443
; %bb.442:
	s_waitcnt lgkmcnt(0)
	flat_store_dwordx2 v[38:39], v[24:25]
.LBB2_443:
	s_or_b64 exec, exec, s[8:9]
                                        ; implicit-def: $vgpr38_vgpr39
                                        ; implicit-def: $vgpr8_vgpr9_vgpr10_vgpr11
                                        ; implicit-def: $vgpr30_vgpr31
.LBB2_444:
	s_andn2_saveexec_b64 s[6:7], s[6:7]
	s_cbranch_execz .LBB2_450
; %bb.445:
	v_cmp_lt_i64_e32 vcc, 4, v[30:31]
	s_and_saveexec_b64 s[8:9], vcc
	s_xor_b64 s[8:9], exec, s[8:9]
	s_cbranch_execz .LBB2_447
; %bb.446:
	s_waitcnt lgkmcnt(0)
	flat_store_dwordx2 v[38:39], v[10:11]
                                        ; implicit-def: $vgpr38_vgpr39
                                        ; implicit-def: $vgpr8_vgpr9_vgpr10_vgpr11
.LBB2_447:
	s_andn2_saveexec_b64 s[8:9], s[8:9]
	s_cbranch_execz .LBB2_449
; %bb.448:
	s_waitcnt lgkmcnt(0)
	flat_store_dwordx2 v[38:39], v[8:9]
.LBB2_449:
	s_or_b64 exec, exec, s[8:9]
.LBB2_450:
	s_or_b64 exec, exec, s[6:7]
                                        ; implicit-def: $vgpr30_vgpr31
                                        ; implicit-def: $vgpr38_vgpr39
                                        ; implicit-def: $vgpr4_vgpr5_vgpr6_vgpr7
                                        ; implicit-def: $vgpr12_vgpr13_vgpr14_vgpr15
.LBB2_451:
	s_andn2_saveexec_b64 s[0:1], s[0:1]
	s_cbranch_execz .LBB2_463
; %bb.452:
	v_cmp_lt_i64_e32 vcc, 1, v[30:31]
	s_and_saveexec_b64 s[0:1], vcc
	s_xor_b64 s[0:1], exec, s[0:1]
	s_cbranch_execz .LBB2_458
; %bb.453:
	v_cmp_lt_i64_e32 vcc, 2, v[30:31]
	s_and_saveexec_b64 s[6:7], vcc
	s_xor_b64 s[6:7], exec, s[6:7]
	s_cbranch_execz .LBB2_455
; %bb.454:
	s_waitcnt lgkmcnt(0)
	flat_store_dwordx2 v[38:39], v[14:15]
                                        ; implicit-def: $vgpr38_vgpr39
                                        ; implicit-def: $vgpr12_vgpr13_vgpr14_vgpr15
.LBB2_455:
	s_andn2_saveexec_b64 s[6:7], s[6:7]
	s_cbranch_execz .LBB2_457
; %bb.456:
	s_waitcnt lgkmcnt(0)
	flat_store_dwordx2 v[38:39], v[12:13]
.LBB2_457:
	s_or_b64 exec, exec, s[6:7]
                                        ; implicit-def: $vgpr38_vgpr39
                                        ; implicit-def: $vgpr4_vgpr5_vgpr6_vgpr7
                                        ; implicit-def: $vgpr30_vgpr31
.LBB2_458:
	s_andn2_saveexec_b64 s[0:1], s[0:1]
	s_cbranch_execz .LBB2_463
; %bb.459:
	v_cmp_ne_u64_e32 vcc, 1, v[30:31]
	s_and_saveexec_b64 s[0:1], vcc
	s_xor_b64 s[0:1], exec, s[0:1]
	s_cbranch_execz .LBB2_461
; %bb.460:
	s_waitcnt lgkmcnt(0)
	flat_store_dwordx2 v[38:39], v[4:5]
                                        ; implicit-def: $vgpr38_vgpr39
                                        ; implicit-def: $vgpr4_vgpr5_vgpr6_vgpr7
.LBB2_461:
	s_andn2_saveexec_b64 s[0:1], s[0:1]
	s_cbranch_execz .LBB2_463
; %bb.462:
	s_waitcnt lgkmcnt(0)
	flat_store_dwordx2 v[38:39], v[6:7]
.LBB2_463:
	s_or_b64 exec, exec, s[4:5]
.LBB2_464:
	s_or_b64 exec, exec, s[2:3]
	v_readlane_b32 s30, v74, 0
	v_readlane_b32 s31, v74, 1
	s_or_saveexec_b64 s[0:1], -1
	scratch_load_dword v74, off, s32        ; 4-byte Folded Reload
	s_mov_b64 exec, s[0:1]
	s_waitcnt vmcnt(0) lgkmcnt(0)
	s_setpc_b64 s[30:31]
.Lfunc_end2:
	.size	_ZZZN7rocprim17ROCPRIM_400000_NS6detail9scan_implILNS1_25lookback_scan_determinismE0ELb0ELb0ENS0_14default_configEPKdPddZZZN2at6native31launch_logcumsumexp_cuda_kernelERKNS8_10TensorBaseESC_lENKUlvE_clEvENKUlvE_clEvEUlddE_dEEDaPvRmT3_T4_T5_mT6_P12ihipStream_tbENKUlT_T0_E_clISt17integral_constantIbLb0EEST_EEDaSO_SP_ENKUlSO_E_clINS1_13target_configIS4_NS1_20scan_config_selectorIdEENS1_11comp_targetILNS1_3genE5ELNS1_11target_archE942ELNS1_3gpuE9ELNS1_3repE0EEELNS0_4arch9wavefront6targetE1EEEEEDaSO_, .Lfunc_end2-_ZZZN7rocprim17ROCPRIM_400000_NS6detail9scan_implILNS1_25lookback_scan_determinismE0ELb0ELb0ENS0_14default_configEPKdPddZZZN2at6native31launch_logcumsumexp_cuda_kernelERKNS8_10TensorBaseESC_lENKUlvE_clEvENKUlvE_clEvEUlddE_dEEDaPvRmT3_T4_T5_mT6_P12ihipStream_tbENKUlT_T0_E_clISt17integral_constantIbLb0EEST_EEDaSO_SP_ENKUlSO_E_clINS1_13target_configIS4_NS1_20scan_config_selectorIdEENS1_11comp_targetILNS1_3genE5ELNS1_11target_archE942ELNS1_3gpuE9ELNS1_3repE0EEELNS0_4arch9wavefront6targetE1EEEEEDaSO_
                                        ; -- End function
	.section	.AMDGPU.csdata,"",@progbits
; Function info:
; codeLenInByte = 163852
; NumSgprs: 88
; NumVgprs: 248
; NumAgprs: 0
; TotalNumVgprs: 248
; ScratchSize: 8
; MemoryBound: 0
	.section	.text._ZN7rocprim17ROCPRIM_400000_NS6detail17trampoline_kernelINS0_14default_configENS1_20scan_config_selectorIdEEZZNS1_9scan_implILNS1_25lookback_scan_determinismE0ELb0ELb0ES3_PKdPddZZZN2at6native31launch_logcumsumexp_cuda_kernelERKNSB_10TensorBaseESF_lENKUlvE_clEvENKUlvE_clEvEUlddE_dEEDaPvRmT3_T4_T5_mT6_P12ihipStream_tbENKUlT_T0_E_clISt17integral_constantIbLb0EESW_EEDaSR_SS_EUlSR_E_NS1_11comp_targetILNS1_3genE5ELNS1_11target_archE942ELNS1_3gpuE9ELNS1_3repE0EEENS1_30default_config_static_selectorELNS0_4arch9wavefront6targetE1EEEvT1_,"axG",@progbits,_ZN7rocprim17ROCPRIM_400000_NS6detail17trampoline_kernelINS0_14default_configENS1_20scan_config_selectorIdEEZZNS1_9scan_implILNS1_25lookback_scan_determinismE0ELb0ELb0ES3_PKdPddZZZN2at6native31launch_logcumsumexp_cuda_kernelERKNSB_10TensorBaseESF_lENKUlvE_clEvENKUlvE_clEvEUlddE_dEEDaPvRmT3_T4_T5_mT6_P12ihipStream_tbENKUlT_T0_E_clISt17integral_constantIbLb0EESW_EEDaSR_SS_EUlSR_E_NS1_11comp_targetILNS1_3genE5ELNS1_11target_archE942ELNS1_3gpuE9ELNS1_3repE0EEENS1_30default_config_static_selectorELNS0_4arch9wavefront6targetE1EEEvT1_,comdat
	.globl	_ZN7rocprim17ROCPRIM_400000_NS6detail17trampoline_kernelINS0_14default_configENS1_20scan_config_selectorIdEEZZNS1_9scan_implILNS1_25lookback_scan_determinismE0ELb0ELb0ES3_PKdPddZZZN2at6native31launch_logcumsumexp_cuda_kernelERKNSB_10TensorBaseESF_lENKUlvE_clEvENKUlvE_clEvEUlddE_dEEDaPvRmT3_T4_T5_mT6_P12ihipStream_tbENKUlT_T0_E_clISt17integral_constantIbLb0EESW_EEDaSR_SS_EUlSR_E_NS1_11comp_targetILNS1_3genE5ELNS1_11target_archE942ELNS1_3gpuE9ELNS1_3repE0EEENS1_30default_config_static_selectorELNS0_4arch9wavefront6targetE1EEEvT1_ ; -- Begin function _ZN7rocprim17ROCPRIM_400000_NS6detail17trampoline_kernelINS0_14default_configENS1_20scan_config_selectorIdEEZZNS1_9scan_implILNS1_25lookback_scan_determinismE0ELb0ELb0ES3_PKdPddZZZN2at6native31launch_logcumsumexp_cuda_kernelERKNSB_10TensorBaseESF_lENKUlvE_clEvENKUlvE_clEvEUlddE_dEEDaPvRmT3_T4_T5_mT6_P12ihipStream_tbENKUlT_T0_E_clISt17integral_constantIbLb0EESW_EEDaSR_SS_EUlSR_E_NS1_11comp_targetILNS1_3genE5ELNS1_11target_archE942ELNS1_3gpuE9ELNS1_3repE0EEENS1_30default_config_static_selectorELNS0_4arch9wavefront6targetE1EEEvT1_
	.p2align	8
	.type	_ZN7rocprim17ROCPRIM_400000_NS6detail17trampoline_kernelINS0_14default_configENS1_20scan_config_selectorIdEEZZNS1_9scan_implILNS1_25lookback_scan_determinismE0ELb0ELb0ES3_PKdPddZZZN2at6native31launch_logcumsumexp_cuda_kernelERKNSB_10TensorBaseESF_lENKUlvE_clEvENKUlvE_clEvEUlddE_dEEDaPvRmT3_T4_T5_mT6_P12ihipStream_tbENKUlT_T0_E_clISt17integral_constantIbLb0EESW_EEDaSR_SS_EUlSR_E_NS1_11comp_targetILNS1_3genE5ELNS1_11target_archE942ELNS1_3gpuE9ELNS1_3repE0EEENS1_30default_config_static_selectorELNS0_4arch9wavefront6targetE1EEEvT1_,@function
_ZN7rocprim17ROCPRIM_400000_NS6detail17trampoline_kernelINS0_14default_configENS1_20scan_config_selectorIdEEZZNS1_9scan_implILNS1_25lookback_scan_determinismE0ELb0ELb0ES3_PKdPddZZZN2at6native31launch_logcumsumexp_cuda_kernelERKNSB_10TensorBaseESF_lENKUlvE_clEvENKUlvE_clEvEUlddE_dEEDaPvRmT3_T4_T5_mT6_P12ihipStream_tbENKUlT_T0_E_clISt17integral_constantIbLb0EESW_EEDaSR_SS_EUlSR_E_NS1_11comp_targetILNS1_3genE5ELNS1_11target_archE942ELNS1_3gpuE9ELNS1_3repE0EEENS1_30default_config_static_selectorELNS0_4arch9wavefront6targetE1EEEvT1_: ; @_ZN7rocprim17ROCPRIM_400000_NS6detail17trampoline_kernelINS0_14default_configENS1_20scan_config_selectorIdEEZZNS1_9scan_implILNS1_25lookback_scan_determinismE0ELb0ELb0ES3_PKdPddZZZN2at6native31launch_logcumsumexp_cuda_kernelERKNSB_10TensorBaseESF_lENKUlvE_clEvENKUlvE_clEvEUlddE_dEEDaPvRmT3_T4_T5_mT6_P12ihipStream_tbENKUlT_T0_E_clISt17integral_constantIbLb0EESW_EEDaSR_SS_EUlSR_E_NS1_11comp_targetILNS1_3genE5ELNS1_11target_archE942ELNS1_3gpuE9ELNS1_3repE0EEENS1_30default_config_static_selectorELNS0_4arch9wavefront6targetE1EEEvT1_
; %bb.0:
	s_load_dwordx8 s[4:11], s[0:1], 0x0
	s_load_dwordx8 s[12:19], s[0:1], 0x20
	s_mov_b64 s[20:21], src_private_base
	v_mov_b32_e32 v31, v0
	v_mov_b32_e32 v0, 0
	s_waitcnt lgkmcnt(0)
	v_mov_b64_e32 v[2:3], s[4:5]
	v_mov_b64_e32 v[4:5], s[6:7]
	scratch_store_dwordx4 off, v[2:5], off
	v_mov_b32_e32 v1, s21
	s_movk_i32 s32, 0x70
	v_mov_b64_e32 v[2:3], s[8:9]
	v_mov_b64_e32 v[4:5], s[10:11]
	s_load_dwordx8 s[4:11], s[0:1], 0x40
	scratch_store_dwordx4 off, v[2:5], off offset:16
	s_nop 1
	v_mov_b64_e32 v[2:3], s[12:13]
	v_mov_b64_e32 v[4:5], s[14:15]
	scratch_store_dwordx4 off, v[2:5], off offset:32
	s_load_dwordx2 s[12:13], s[0:1], 0x60
	s_nop 0
	v_mov_b64_e32 v[2:3], s[16:17]
	v_mov_b64_e32 v[4:5], s[18:19]
	scratch_store_dwordx4 off, v[2:5], off offset:48
	s_waitcnt lgkmcnt(0)
	s_nop 0
	v_mov_b64_e32 v[2:3], s[4:5]
	v_mov_b64_e32 v[4:5], s[6:7]
	scratch_store_dwordx4 off, v[2:5], off offset:64
	s_nop 1
	v_mov_b64_e32 v[2:3], s[8:9]
	v_mov_b64_e32 v[4:5], s[10:11]
	s_add_u32 s8, s0, 0x68
	scratch_store_dwordx4 off, v[2:5], off offset:80
	s_addc_u32 s9, s1, 0
	s_getpc_b64 s[0:1]
	s_add_u32 s0, s0, _ZZZN7rocprim17ROCPRIM_400000_NS6detail9scan_implILNS1_25lookback_scan_determinismE0ELb0ELb0ENS0_14default_configEPKdPddZZZN2at6native31launch_logcumsumexp_cuda_kernelERKNS8_10TensorBaseESC_lENKUlvE_clEvENKUlvE_clEvEUlddE_dEEDaPvRmT3_T4_T5_mT6_P12ihipStream_tbENKUlT_T0_E_clISt17integral_constantIbLb0EEST_EEDaSO_SP_ENKUlSO_E_clINS1_13target_configIS4_NS1_20scan_config_selectorIdEENS1_11comp_targetILNS1_3genE5ELNS1_11target_archE942ELNS1_3gpuE9ELNS1_3repE0EEELNS0_4arch9wavefront6targetE1EEEEEDaSO_@rel32@lo+4
	s_addc_u32 s1, s1, _ZZZN7rocprim17ROCPRIM_400000_NS6detail9scan_implILNS1_25lookback_scan_determinismE0ELb0ELb0ENS0_14default_configEPKdPddZZZN2at6native31launch_logcumsumexp_cuda_kernelERKNS8_10TensorBaseESC_lENKUlvE_clEvENKUlvE_clEvEUlddE_dEEDaPvRmT3_T4_T5_mT6_P12ihipStream_tbENKUlT_T0_E_clISt17integral_constantIbLb0EEST_EEDaSO_SP_ENKUlSO_E_clINS1_13target_configIS4_NS1_20scan_config_selectorIdEENS1_11comp_targetILNS1_3genE5ELNS1_11target_archE942ELNS1_3gpuE9ELNS1_3repE0EEELNS0_4arch9wavefront6targetE1EEEEEDaSO_@rel32@hi+12
	v_mov_b64_e32 v[2:3], s[12:13]
	s_mov_b32 s12, s2
	scratch_store_dwordx2 off, v[2:3], off offset:96
	s_swappc_b64 s[30:31], s[0:1]
	s_endpgm
	.section	.rodata,"a",@progbits
	.p2align	6, 0x0
	.amdhsa_kernel _ZN7rocprim17ROCPRIM_400000_NS6detail17trampoline_kernelINS0_14default_configENS1_20scan_config_selectorIdEEZZNS1_9scan_implILNS1_25lookback_scan_determinismE0ELb0ELb0ES3_PKdPddZZZN2at6native31launch_logcumsumexp_cuda_kernelERKNSB_10TensorBaseESF_lENKUlvE_clEvENKUlvE_clEvEUlddE_dEEDaPvRmT3_T4_T5_mT6_P12ihipStream_tbENKUlT_T0_E_clISt17integral_constantIbLb0EESW_EEDaSR_SS_EUlSR_E_NS1_11comp_targetILNS1_3genE5ELNS1_11target_archE942ELNS1_3gpuE9ELNS1_3repE0EEENS1_30default_config_static_selectorELNS0_4arch9wavefront6targetE1EEEvT1_
		.amdhsa_group_segment_fixed_size 30720
		.amdhsa_private_segment_fixed_size 120
		.amdhsa_kernarg_size 360
		.amdhsa_user_sgpr_count 2
		.amdhsa_user_sgpr_dispatch_ptr 0
		.amdhsa_user_sgpr_queue_ptr 0
		.amdhsa_user_sgpr_kernarg_segment_ptr 1
		.amdhsa_user_sgpr_dispatch_id 0
		.amdhsa_user_sgpr_kernarg_preload_length 0
		.amdhsa_user_sgpr_kernarg_preload_offset 0
		.amdhsa_user_sgpr_private_segment_size 0
		.amdhsa_uses_dynamic_stack 0
		.amdhsa_enable_private_segment 1
		.amdhsa_system_sgpr_workgroup_id_x 1
		.amdhsa_system_sgpr_workgroup_id_y 0
		.amdhsa_system_sgpr_workgroup_id_z 0
		.amdhsa_system_sgpr_workgroup_info 0
		.amdhsa_system_vgpr_workitem_id 0
		.amdhsa_next_free_vgpr 248
		.amdhsa_next_free_sgpr 82
		.amdhsa_accum_offset 248
		.amdhsa_reserve_vcc 1
		.amdhsa_float_round_mode_32 0
		.amdhsa_float_round_mode_16_64 0
		.amdhsa_float_denorm_mode_32 3
		.amdhsa_float_denorm_mode_16_64 3
		.amdhsa_dx10_clamp 1
		.amdhsa_ieee_mode 1
		.amdhsa_fp16_overflow 0
		.amdhsa_tg_split 0
		.amdhsa_exception_fp_ieee_invalid_op 0
		.amdhsa_exception_fp_denorm_src 0
		.amdhsa_exception_fp_ieee_div_zero 0
		.amdhsa_exception_fp_ieee_overflow 0
		.amdhsa_exception_fp_ieee_underflow 0
		.amdhsa_exception_fp_ieee_inexact 0
		.amdhsa_exception_int_div_zero 0
	.end_amdhsa_kernel
	.section	.text._ZN7rocprim17ROCPRIM_400000_NS6detail17trampoline_kernelINS0_14default_configENS1_20scan_config_selectorIdEEZZNS1_9scan_implILNS1_25lookback_scan_determinismE0ELb0ELb0ES3_PKdPddZZZN2at6native31launch_logcumsumexp_cuda_kernelERKNSB_10TensorBaseESF_lENKUlvE_clEvENKUlvE_clEvEUlddE_dEEDaPvRmT3_T4_T5_mT6_P12ihipStream_tbENKUlT_T0_E_clISt17integral_constantIbLb0EESW_EEDaSR_SS_EUlSR_E_NS1_11comp_targetILNS1_3genE5ELNS1_11target_archE942ELNS1_3gpuE9ELNS1_3repE0EEENS1_30default_config_static_selectorELNS0_4arch9wavefront6targetE1EEEvT1_,"axG",@progbits,_ZN7rocprim17ROCPRIM_400000_NS6detail17trampoline_kernelINS0_14default_configENS1_20scan_config_selectorIdEEZZNS1_9scan_implILNS1_25lookback_scan_determinismE0ELb0ELb0ES3_PKdPddZZZN2at6native31launch_logcumsumexp_cuda_kernelERKNSB_10TensorBaseESF_lENKUlvE_clEvENKUlvE_clEvEUlddE_dEEDaPvRmT3_T4_T5_mT6_P12ihipStream_tbENKUlT_T0_E_clISt17integral_constantIbLb0EESW_EEDaSR_SS_EUlSR_E_NS1_11comp_targetILNS1_3genE5ELNS1_11target_archE942ELNS1_3gpuE9ELNS1_3repE0EEENS1_30default_config_static_selectorELNS0_4arch9wavefront6targetE1EEEvT1_,comdat
.Lfunc_end3:
	.size	_ZN7rocprim17ROCPRIM_400000_NS6detail17trampoline_kernelINS0_14default_configENS1_20scan_config_selectorIdEEZZNS1_9scan_implILNS1_25lookback_scan_determinismE0ELb0ELb0ES3_PKdPddZZZN2at6native31launch_logcumsumexp_cuda_kernelERKNSB_10TensorBaseESF_lENKUlvE_clEvENKUlvE_clEvEUlddE_dEEDaPvRmT3_T4_T5_mT6_P12ihipStream_tbENKUlT_T0_E_clISt17integral_constantIbLb0EESW_EEDaSR_SS_EUlSR_E_NS1_11comp_targetILNS1_3genE5ELNS1_11target_archE942ELNS1_3gpuE9ELNS1_3repE0EEENS1_30default_config_static_selectorELNS0_4arch9wavefront6targetE1EEEvT1_, .Lfunc_end3-_ZN7rocprim17ROCPRIM_400000_NS6detail17trampoline_kernelINS0_14default_configENS1_20scan_config_selectorIdEEZZNS1_9scan_implILNS1_25lookback_scan_determinismE0ELb0ELb0ES3_PKdPddZZZN2at6native31launch_logcumsumexp_cuda_kernelERKNSB_10TensorBaseESF_lENKUlvE_clEvENKUlvE_clEvEUlddE_dEEDaPvRmT3_T4_T5_mT6_P12ihipStream_tbENKUlT_T0_E_clISt17integral_constantIbLb0EESW_EEDaSR_SS_EUlSR_E_NS1_11comp_targetILNS1_3genE5ELNS1_11target_archE942ELNS1_3gpuE9ELNS1_3repE0EEENS1_30default_config_static_selectorELNS0_4arch9wavefront6targetE1EEEvT1_
                                        ; -- End function
	.section	.AMDGPU.csdata,"",@progbits
; Kernel info:
; codeLenInByte = 228
; NumSgprs: 88
; NumVgprs: 248
; NumAgprs: 0
; TotalNumVgprs: 248
; ScratchSize: 120
; MemoryBound: 0
; FloatMode: 240
; IeeeMode: 1
; LDSByteSize: 30720 bytes/workgroup (compile time only)
; SGPRBlocks: 10
; VGPRBlocks: 30
; NumSGPRsForWavesPerEU: 88
; NumVGPRsForWavesPerEU: 248
; AccumOffset: 248
; Occupancy: 2
; WaveLimiterHint : 1
; COMPUTE_PGM_RSRC2:SCRATCH_EN: 1
; COMPUTE_PGM_RSRC2:USER_SGPR: 2
; COMPUTE_PGM_RSRC2:TRAP_HANDLER: 0
; COMPUTE_PGM_RSRC2:TGID_X_EN: 1
; COMPUTE_PGM_RSRC2:TGID_Y_EN: 0
; COMPUTE_PGM_RSRC2:TGID_Z_EN: 0
; COMPUTE_PGM_RSRC2:TIDIG_COMP_CNT: 0
; COMPUTE_PGM_RSRC3_GFX90A:ACCUM_OFFSET: 61
; COMPUTE_PGM_RSRC3_GFX90A:TG_SPLIT: 0
	.section	.text._ZN7rocprim17ROCPRIM_400000_NS6detail17trampoline_kernelINS0_14default_configENS1_20scan_config_selectorIdEEZZNS1_9scan_implILNS1_25lookback_scan_determinismE0ELb0ELb0ES3_PKdPddZZZN2at6native31launch_logcumsumexp_cuda_kernelERKNSB_10TensorBaseESF_lENKUlvE_clEvENKUlvE_clEvEUlddE_dEEDaPvRmT3_T4_T5_mT6_P12ihipStream_tbENKUlT_T0_E_clISt17integral_constantIbLb0EESW_EEDaSR_SS_EUlSR_E_NS1_11comp_targetILNS1_3genE4ELNS1_11target_archE910ELNS1_3gpuE8ELNS1_3repE0EEENS1_30default_config_static_selectorELNS0_4arch9wavefront6targetE1EEEvT1_,"axG",@progbits,_ZN7rocprim17ROCPRIM_400000_NS6detail17trampoline_kernelINS0_14default_configENS1_20scan_config_selectorIdEEZZNS1_9scan_implILNS1_25lookback_scan_determinismE0ELb0ELb0ES3_PKdPddZZZN2at6native31launch_logcumsumexp_cuda_kernelERKNSB_10TensorBaseESF_lENKUlvE_clEvENKUlvE_clEvEUlddE_dEEDaPvRmT3_T4_T5_mT6_P12ihipStream_tbENKUlT_T0_E_clISt17integral_constantIbLb0EESW_EEDaSR_SS_EUlSR_E_NS1_11comp_targetILNS1_3genE4ELNS1_11target_archE910ELNS1_3gpuE8ELNS1_3repE0EEENS1_30default_config_static_selectorELNS0_4arch9wavefront6targetE1EEEvT1_,comdat
	.globl	_ZN7rocprim17ROCPRIM_400000_NS6detail17trampoline_kernelINS0_14default_configENS1_20scan_config_selectorIdEEZZNS1_9scan_implILNS1_25lookback_scan_determinismE0ELb0ELb0ES3_PKdPddZZZN2at6native31launch_logcumsumexp_cuda_kernelERKNSB_10TensorBaseESF_lENKUlvE_clEvENKUlvE_clEvEUlddE_dEEDaPvRmT3_T4_T5_mT6_P12ihipStream_tbENKUlT_T0_E_clISt17integral_constantIbLb0EESW_EEDaSR_SS_EUlSR_E_NS1_11comp_targetILNS1_3genE4ELNS1_11target_archE910ELNS1_3gpuE8ELNS1_3repE0EEENS1_30default_config_static_selectorELNS0_4arch9wavefront6targetE1EEEvT1_ ; -- Begin function _ZN7rocprim17ROCPRIM_400000_NS6detail17trampoline_kernelINS0_14default_configENS1_20scan_config_selectorIdEEZZNS1_9scan_implILNS1_25lookback_scan_determinismE0ELb0ELb0ES3_PKdPddZZZN2at6native31launch_logcumsumexp_cuda_kernelERKNSB_10TensorBaseESF_lENKUlvE_clEvENKUlvE_clEvEUlddE_dEEDaPvRmT3_T4_T5_mT6_P12ihipStream_tbENKUlT_T0_E_clISt17integral_constantIbLb0EESW_EEDaSR_SS_EUlSR_E_NS1_11comp_targetILNS1_3genE4ELNS1_11target_archE910ELNS1_3gpuE8ELNS1_3repE0EEENS1_30default_config_static_selectorELNS0_4arch9wavefront6targetE1EEEvT1_
	.p2align	8
	.type	_ZN7rocprim17ROCPRIM_400000_NS6detail17trampoline_kernelINS0_14default_configENS1_20scan_config_selectorIdEEZZNS1_9scan_implILNS1_25lookback_scan_determinismE0ELb0ELb0ES3_PKdPddZZZN2at6native31launch_logcumsumexp_cuda_kernelERKNSB_10TensorBaseESF_lENKUlvE_clEvENKUlvE_clEvEUlddE_dEEDaPvRmT3_T4_T5_mT6_P12ihipStream_tbENKUlT_T0_E_clISt17integral_constantIbLb0EESW_EEDaSR_SS_EUlSR_E_NS1_11comp_targetILNS1_3genE4ELNS1_11target_archE910ELNS1_3gpuE8ELNS1_3repE0EEENS1_30default_config_static_selectorELNS0_4arch9wavefront6targetE1EEEvT1_,@function
_ZN7rocprim17ROCPRIM_400000_NS6detail17trampoline_kernelINS0_14default_configENS1_20scan_config_selectorIdEEZZNS1_9scan_implILNS1_25lookback_scan_determinismE0ELb0ELb0ES3_PKdPddZZZN2at6native31launch_logcumsumexp_cuda_kernelERKNSB_10TensorBaseESF_lENKUlvE_clEvENKUlvE_clEvEUlddE_dEEDaPvRmT3_T4_T5_mT6_P12ihipStream_tbENKUlT_T0_E_clISt17integral_constantIbLb0EESW_EEDaSR_SS_EUlSR_E_NS1_11comp_targetILNS1_3genE4ELNS1_11target_archE910ELNS1_3gpuE8ELNS1_3repE0EEENS1_30default_config_static_selectorELNS0_4arch9wavefront6targetE1EEEvT1_: ; @_ZN7rocprim17ROCPRIM_400000_NS6detail17trampoline_kernelINS0_14default_configENS1_20scan_config_selectorIdEEZZNS1_9scan_implILNS1_25lookback_scan_determinismE0ELb0ELb0ES3_PKdPddZZZN2at6native31launch_logcumsumexp_cuda_kernelERKNSB_10TensorBaseESF_lENKUlvE_clEvENKUlvE_clEvEUlddE_dEEDaPvRmT3_T4_T5_mT6_P12ihipStream_tbENKUlT_T0_E_clISt17integral_constantIbLb0EESW_EEDaSR_SS_EUlSR_E_NS1_11comp_targetILNS1_3genE4ELNS1_11target_archE910ELNS1_3gpuE8ELNS1_3repE0EEENS1_30default_config_static_selectorELNS0_4arch9wavefront6targetE1EEEvT1_
; %bb.0:
	.section	.rodata,"a",@progbits
	.p2align	6, 0x0
	.amdhsa_kernel _ZN7rocprim17ROCPRIM_400000_NS6detail17trampoline_kernelINS0_14default_configENS1_20scan_config_selectorIdEEZZNS1_9scan_implILNS1_25lookback_scan_determinismE0ELb0ELb0ES3_PKdPddZZZN2at6native31launch_logcumsumexp_cuda_kernelERKNSB_10TensorBaseESF_lENKUlvE_clEvENKUlvE_clEvEUlddE_dEEDaPvRmT3_T4_T5_mT6_P12ihipStream_tbENKUlT_T0_E_clISt17integral_constantIbLb0EESW_EEDaSR_SS_EUlSR_E_NS1_11comp_targetILNS1_3genE4ELNS1_11target_archE910ELNS1_3gpuE8ELNS1_3repE0EEENS1_30default_config_static_selectorELNS0_4arch9wavefront6targetE1EEEvT1_
		.amdhsa_group_segment_fixed_size 0
		.amdhsa_private_segment_fixed_size 0
		.amdhsa_kernarg_size 104
		.amdhsa_user_sgpr_count 2
		.amdhsa_user_sgpr_dispatch_ptr 0
		.amdhsa_user_sgpr_queue_ptr 0
		.amdhsa_user_sgpr_kernarg_segment_ptr 1
		.amdhsa_user_sgpr_dispatch_id 0
		.amdhsa_user_sgpr_kernarg_preload_length 0
		.amdhsa_user_sgpr_kernarg_preload_offset 0
		.amdhsa_user_sgpr_private_segment_size 0
		.amdhsa_uses_dynamic_stack 0
		.amdhsa_enable_private_segment 0
		.amdhsa_system_sgpr_workgroup_id_x 1
		.amdhsa_system_sgpr_workgroup_id_y 0
		.amdhsa_system_sgpr_workgroup_id_z 0
		.amdhsa_system_sgpr_workgroup_info 0
		.amdhsa_system_vgpr_workitem_id 0
		.amdhsa_next_free_vgpr 1
		.amdhsa_next_free_sgpr 0
		.amdhsa_accum_offset 4
		.amdhsa_reserve_vcc 0
		.amdhsa_float_round_mode_32 0
		.amdhsa_float_round_mode_16_64 0
		.amdhsa_float_denorm_mode_32 3
		.amdhsa_float_denorm_mode_16_64 3
		.amdhsa_dx10_clamp 1
		.amdhsa_ieee_mode 1
		.amdhsa_fp16_overflow 0
		.amdhsa_tg_split 0
		.amdhsa_exception_fp_ieee_invalid_op 0
		.amdhsa_exception_fp_denorm_src 0
		.amdhsa_exception_fp_ieee_div_zero 0
		.amdhsa_exception_fp_ieee_overflow 0
		.amdhsa_exception_fp_ieee_underflow 0
		.amdhsa_exception_fp_ieee_inexact 0
		.amdhsa_exception_int_div_zero 0
	.end_amdhsa_kernel
	.section	.text._ZN7rocprim17ROCPRIM_400000_NS6detail17trampoline_kernelINS0_14default_configENS1_20scan_config_selectorIdEEZZNS1_9scan_implILNS1_25lookback_scan_determinismE0ELb0ELb0ES3_PKdPddZZZN2at6native31launch_logcumsumexp_cuda_kernelERKNSB_10TensorBaseESF_lENKUlvE_clEvENKUlvE_clEvEUlddE_dEEDaPvRmT3_T4_T5_mT6_P12ihipStream_tbENKUlT_T0_E_clISt17integral_constantIbLb0EESW_EEDaSR_SS_EUlSR_E_NS1_11comp_targetILNS1_3genE4ELNS1_11target_archE910ELNS1_3gpuE8ELNS1_3repE0EEENS1_30default_config_static_selectorELNS0_4arch9wavefront6targetE1EEEvT1_,"axG",@progbits,_ZN7rocprim17ROCPRIM_400000_NS6detail17trampoline_kernelINS0_14default_configENS1_20scan_config_selectorIdEEZZNS1_9scan_implILNS1_25lookback_scan_determinismE0ELb0ELb0ES3_PKdPddZZZN2at6native31launch_logcumsumexp_cuda_kernelERKNSB_10TensorBaseESF_lENKUlvE_clEvENKUlvE_clEvEUlddE_dEEDaPvRmT3_T4_T5_mT6_P12ihipStream_tbENKUlT_T0_E_clISt17integral_constantIbLb0EESW_EEDaSR_SS_EUlSR_E_NS1_11comp_targetILNS1_3genE4ELNS1_11target_archE910ELNS1_3gpuE8ELNS1_3repE0EEENS1_30default_config_static_selectorELNS0_4arch9wavefront6targetE1EEEvT1_,comdat
.Lfunc_end4:
	.size	_ZN7rocprim17ROCPRIM_400000_NS6detail17trampoline_kernelINS0_14default_configENS1_20scan_config_selectorIdEEZZNS1_9scan_implILNS1_25lookback_scan_determinismE0ELb0ELb0ES3_PKdPddZZZN2at6native31launch_logcumsumexp_cuda_kernelERKNSB_10TensorBaseESF_lENKUlvE_clEvENKUlvE_clEvEUlddE_dEEDaPvRmT3_T4_T5_mT6_P12ihipStream_tbENKUlT_T0_E_clISt17integral_constantIbLb0EESW_EEDaSR_SS_EUlSR_E_NS1_11comp_targetILNS1_3genE4ELNS1_11target_archE910ELNS1_3gpuE8ELNS1_3repE0EEENS1_30default_config_static_selectorELNS0_4arch9wavefront6targetE1EEEvT1_, .Lfunc_end4-_ZN7rocprim17ROCPRIM_400000_NS6detail17trampoline_kernelINS0_14default_configENS1_20scan_config_selectorIdEEZZNS1_9scan_implILNS1_25lookback_scan_determinismE0ELb0ELb0ES3_PKdPddZZZN2at6native31launch_logcumsumexp_cuda_kernelERKNSB_10TensorBaseESF_lENKUlvE_clEvENKUlvE_clEvEUlddE_dEEDaPvRmT3_T4_T5_mT6_P12ihipStream_tbENKUlT_T0_E_clISt17integral_constantIbLb0EESW_EEDaSR_SS_EUlSR_E_NS1_11comp_targetILNS1_3genE4ELNS1_11target_archE910ELNS1_3gpuE8ELNS1_3repE0EEENS1_30default_config_static_selectorELNS0_4arch9wavefront6targetE1EEEvT1_
                                        ; -- End function
	.section	.AMDGPU.csdata,"",@progbits
; Kernel info:
; codeLenInByte = 0
; NumSgprs: 6
; NumVgprs: 0
; NumAgprs: 0
; TotalNumVgprs: 0
; ScratchSize: 0
; MemoryBound: 0
; FloatMode: 240
; IeeeMode: 1
; LDSByteSize: 0 bytes/workgroup (compile time only)
; SGPRBlocks: 0
; VGPRBlocks: 0
; NumSGPRsForWavesPerEU: 6
; NumVGPRsForWavesPerEU: 1
; AccumOffset: 4
; Occupancy: 8
; WaveLimiterHint : 0
; COMPUTE_PGM_RSRC2:SCRATCH_EN: 0
; COMPUTE_PGM_RSRC2:USER_SGPR: 2
; COMPUTE_PGM_RSRC2:TRAP_HANDLER: 0
; COMPUTE_PGM_RSRC2:TGID_X_EN: 1
; COMPUTE_PGM_RSRC2:TGID_Y_EN: 0
; COMPUTE_PGM_RSRC2:TGID_Z_EN: 0
; COMPUTE_PGM_RSRC2:TIDIG_COMP_CNT: 0
; COMPUTE_PGM_RSRC3_GFX90A:ACCUM_OFFSET: 0
; COMPUTE_PGM_RSRC3_GFX90A:TG_SPLIT: 0
	.section	.text._ZN7rocprim17ROCPRIM_400000_NS6detail17trampoline_kernelINS0_14default_configENS1_20scan_config_selectorIdEEZZNS1_9scan_implILNS1_25lookback_scan_determinismE0ELb0ELb0ES3_PKdPddZZZN2at6native31launch_logcumsumexp_cuda_kernelERKNSB_10TensorBaseESF_lENKUlvE_clEvENKUlvE_clEvEUlddE_dEEDaPvRmT3_T4_T5_mT6_P12ihipStream_tbENKUlT_T0_E_clISt17integral_constantIbLb0EESW_EEDaSR_SS_EUlSR_E_NS1_11comp_targetILNS1_3genE3ELNS1_11target_archE908ELNS1_3gpuE7ELNS1_3repE0EEENS1_30default_config_static_selectorELNS0_4arch9wavefront6targetE1EEEvT1_,"axG",@progbits,_ZN7rocprim17ROCPRIM_400000_NS6detail17trampoline_kernelINS0_14default_configENS1_20scan_config_selectorIdEEZZNS1_9scan_implILNS1_25lookback_scan_determinismE0ELb0ELb0ES3_PKdPddZZZN2at6native31launch_logcumsumexp_cuda_kernelERKNSB_10TensorBaseESF_lENKUlvE_clEvENKUlvE_clEvEUlddE_dEEDaPvRmT3_T4_T5_mT6_P12ihipStream_tbENKUlT_T0_E_clISt17integral_constantIbLb0EESW_EEDaSR_SS_EUlSR_E_NS1_11comp_targetILNS1_3genE3ELNS1_11target_archE908ELNS1_3gpuE7ELNS1_3repE0EEENS1_30default_config_static_selectorELNS0_4arch9wavefront6targetE1EEEvT1_,comdat
	.globl	_ZN7rocprim17ROCPRIM_400000_NS6detail17trampoline_kernelINS0_14default_configENS1_20scan_config_selectorIdEEZZNS1_9scan_implILNS1_25lookback_scan_determinismE0ELb0ELb0ES3_PKdPddZZZN2at6native31launch_logcumsumexp_cuda_kernelERKNSB_10TensorBaseESF_lENKUlvE_clEvENKUlvE_clEvEUlddE_dEEDaPvRmT3_T4_T5_mT6_P12ihipStream_tbENKUlT_T0_E_clISt17integral_constantIbLb0EESW_EEDaSR_SS_EUlSR_E_NS1_11comp_targetILNS1_3genE3ELNS1_11target_archE908ELNS1_3gpuE7ELNS1_3repE0EEENS1_30default_config_static_selectorELNS0_4arch9wavefront6targetE1EEEvT1_ ; -- Begin function _ZN7rocprim17ROCPRIM_400000_NS6detail17trampoline_kernelINS0_14default_configENS1_20scan_config_selectorIdEEZZNS1_9scan_implILNS1_25lookback_scan_determinismE0ELb0ELb0ES3_PKdPddZZZN2at6native31launch_logcumsumexp_cuda_kernelERKNSB_10TensorBaseESF_lENKUlvE_clEvENKUlvE_clEvEUlddE_dEEDaPvRmT3_T4_T5_mT6_P12ihipStream_tbENKUlT_T0_E_clISt17integral_constantIbLb0EESW_EEDaSR_SS_EUlSR_E_NS1_11comp_targetILNS1_3genE3ELNS1_11target_archE908ELNS1_3gpuE7ELNS1_3repE0EEENS1_30default_config_static_selectorELNS0_4arch9wavefront6targetE1EEEvT1_
	.p2align	8
	.type	_ZN7rocprim17ROCPRIM_400000_NS6detail17trampoline_kernelINS0_14default_configENS1_20scan_config_selectorIdEEZZNS1_9scan_implILNS1_25lookback_scan_determinismE0ELb0ELb0ES3_PKdPddZZZN2at6native31launch_logcumsumexp_cuda_kernelERKNSB_10TensorBaseESF_lENKUlvE_clEvENKUlvE_clEvEUlddE_dEEDaPvRmT3_T4_T5_mT6_P12ihipStream_tbENKUlT_T0_E_clISt17integral_constantIbLb0EESW_EEDaSR_SS_EUlSR_E_NS1_11comp_targetILNS1_3genE3ELNS1_11target_archE908ELNS1_3gpuE7ELNS1_3repE0EEENS1_30default_config_static_selectorELNS0_4arch9wavefront6targetE1EEEvT1_,@function
_ZN7rocprim17ROCPRIM_400000_NS6detail17trampoline_kernelINS0_14default_configENS1_20scan_config_selectorIdEEZZNS1_9scan_implILNS1_25lookback_scan_determinismE0ELb0ELb0ES3_PKdPddZZZN2at6native31launch_logcumsumexp_cuda_kernelERKNSB_10TensorBaseESF_lENKUlvE_clEvENKUlvE_clEvEUlddE_dEEDaPvRmT3_T4_T5_mT6_P12ihipStream_tbENKUlT_T0_E_clISt17integral_constantIbLb0EESW_EEDaSR_SS_EUlSR_E_NS1_11comp_targetILNS1_3genE3ELNS1_11target_archE908ELNS1_3gpuE7ELNS1_3repE0EEENS1_30default_config_static_selectorELNS0_4arch9wavefront6targetE1EEEvT1_: ; @_ZN7rocprim17ROCPRIM_400000_NS6detail17trampoline_kernelINS0_14default_configENS1_20scan_config_selectorIdEEZZNS1_9scan_implILNS1_25lookback_scan_determinismE0ELb0ELb0ES3_PKdPddZZZN2at6native31launch_logcumsumexp_cuda_kernelERKNSB_10TensorBaseESF_lENKUlvE_clEvENKUlvE_clEvEUlddE_dEEDaPvRmT3_T4_T5_mT6_P12ihipStream_tbENKUlT_T0_E_clISt17integral_constantIbLb0EESW_EEDaSR_SS_EUlSR_E_NS1_11comp_targetILNS1_3genE3ELNS1_11target_archE908ELNS1_3gpuE7ELNS1_3repE0EEENS1_30default_config_static_selectorELNS0_4arch9wavefront6targetE1EEEvT1_
; %bb.0:
	.section	.rodata,"a",@progbits
	.p2align	6, 0x0
	.amdhsa_kernel _ZN7rocprim17ROCPRIM_400000_NS6detail17trampoline_kernelINS0_14default_configENS1_20scan_config_selectorIdEEZZNS1_9scan_implILNS1_25lookback_scan_determinismE0ELb0ELb0ES3_PKdPddZZZN2at6native31launch_logcumsumexp_cuda_kernelERKNSB_10TensorBaseESF_lENKUlvE_clEvENKUlvE_clEvEUlddE_dEEDaPvRmT3_T4_T5_mT6_P12ihipStream_tbENKUlT_T0_E_clISt17integral_constantIbLb0EESW_EEDaSR_SS_EUlSR_E_NS1_11comp_targetILNS1_3genE3ELNS1_11target_archE908ELNS1_3gpuE7ELNS1_3repE0EEENS1_30default_config_static_selectorELNS0_4arch9wavefront6targetE1EEEvT1_
		.amdhsa_group_segment_fixed_size 0
		.amdhsa_private_segment_fixed_size 0
		.amdhsa_kernarg_size 104
		.amdhsa_user_sgpr_count 2
		.amdhsa_user_sgpr_dispatch_ptr 0
		.amdhsa_user_sgpr_queue_ptr 0
		.amdhsa_user_sgpr_kernarg_segment_ptr 1
		.amdhsa_user_sgpr_dispatch_id 0
		.amdhsa_user_sgpr_kernarg_preload_length 0
		.amdhsa_user_sgpr_kernarg_preload_offset 0
		.amdhsa_user_sgpr_private_segment_size 0
		.amdhsa_uses_dynamic_stack 0
		.amdhsa_enable_private_segment 0
		.amdhsa_system_sgpr_workgroup_id_x 1
		.amdhsa_system_sgpr_workgroup_id_y 0
		.amdhsa_system_sgpr_workgroup_id_z 0
		.amdhsa_system_sgpr_workgroup_info 0
		.amdhsa_system_vgpr_workitem_id 0
		.amdhsa_next_free_vgpr 1
		.amdhsa_next_free_sgpr 0
		.amdhsa_accum_offset 4
		.amdhsa_reserve_vcc 0
		.amdhsa_float_round_mode_32 0
		.amdhsa_float_round_mode_16_64 0
		.amdhsa_float_denorm_mode_32 3
		.amdhsa_float_denorm_mode_16_64 3
		.amdhsa_dx10_clamp 1
		.amdhsa_ieee_mode 1
		.amdhsa_fp16_overflow 0
		.amdhsa_tg_split 0
		.amdhsa_exception_fp_ieee_invalid_op 0
		.amdhsa_exception_fp_denorm_src 0
		.amdhsa_exception_fp_ieee_div_zero 0
		.amdhsa_exception_fp_ieee_overflow 0
		.amdhsa_exception_fp_ieee_underflow 0
		.amdhsa_exception_fp_ieee_inexact 0
		.amdhsa_exception_int_div_zero 0
	.end_amdhsa_kernel
	.section	.text._ZN7rocprim17ROCPRIM_400000_NS6detail17trampoline_kernelINS0_14default_configENS1_20scan_config_selectorIdEEZZNS1_9scan_implILNS1_25lookback_scan_determinismE0ELb0ELb0ES3_PKdPddZZZN2at6native31launch_logcumsumexp_cuda_kernelERKNSB_10TensorBaseESF_lENKUlvE_clEvENKUlvE_clEvEUlddE_dEEDaPvRmT3_T4_T5_mT6_P12ihipStream_tbENKUlT_T0_E_clISt17integral_constantIbLb0EESW_EEDaSR_SS_EUlSR_E_NS1_11comp_targetILNS1_3genE3ELNS1_11target_archE908ELNS1_3gpuE7ELNS1_3repE0EEENS1_30default_config_static_selectorELNS0_4arch9wavefront6targetE1EEEvT1_,"axG",@progbits,_ZN7rocprim17ROCPRIM_400000_NS6detail17trampoline_kernelINS0_14default_configENS1_20scan_config_selectorIdEEZZNS1_9scan_implILNS1_25lookback_scan_determinismE0ELb0ELb0ES3_PKdPddZZZN2at6native31launch_logcumsumexp_cuda_kernelERKNSB_10TensorBaseESF_lENKUlvE_clEvENKUlvE_clEvEUlddE_dEEDaPvRmT3_T4_T5_mT6_P12ihipStream_tbENKUlT_T0_E_clISt17integral_constantIbLb0EESW_EEDaSR_SS_EUlSR_E_NS1_11comp_targetILNS1_3genE3ELNS1_11target_archE908ELNS1_3gpuE7ELNS1_3repE0EEENS1_30default_config_static_selectorELNS0_4arch9wavefront6targetE1EEEvT1_,comdat
.Lfunc_end5:
	.size	_ZN7rocprim17ROCPRIM_400000_NS6detail17trampoline_kernelINS0_14default_configENS1_20scan_config_selectorIdEEZZNS1_9scan_implILNS1_25lookback_scan_determinismE0ELb0ELb0ES3_PKdPddZZZN2at6native31launch_logcumsumexp_cuda_kernelERKNSB_10TensorBaseESF_lENKUlvE_clEvENKUlvE_clEvEUlddE_dEEDaPvRmT3_T4_T5_mT6_P12ihipStream_tbENKUlT_T0_E_clISt17integral_constantIbLb0EESW_EEDaSR_SS_EUlSR_E_NS1_11comp_targetILNS1_3genE3ELNS1_11target_archE908ELNS1_3gpuE7ELNS1_3repE0EEENS1_30default_config_static_selectorELNS0_4arch9wavefront6targetE1EEEvT1_, .Lfunc_end5-_ZN7rocprim17ROCPRIM_400000_NS6detail17trampoline_kernelINS0_14default_configENS1_20scan_config_selectorIdEEZZNS1_9scan_implILNS1_25lookback_scan_determinismE0ELb0ELb0ES3_PKdPddZZZN2at6native31launch_logcumsumexp_cuda_kernelERKNSB_10TensorBaseESF_lENKUlvE_clEvENKUlvE_clEvEUlddE_dEEDaPvRmT3_T4_T5_mT6_P12ihipStream_tbENKUlT_T0_E_clISt17integral_constantIbLb0EESW_EEDaSR_SS_EUlSR_E_NS1_11comp_targetILNS1_3genE3ELNS1_11target_archE908ELNS1_3gpuE7ELNS1_3repE0EEENS1_30default_config_static_selectorELNS0_4arch9wavefront6targetE1EEEvT1_
                                        ; -- End function
	.section	.AMDGPU.csdata,"",@progbits
; Kernel info:
; codeLenInByte = 0
; NumSgprs: 6
; NumVgprs: 0
; NumAgprs: 0
; TotalNumVgprs: 0
; ScratchSize: 0
; MemoryBound: 0
; FloatMode: 240
; IeeeMode: 1
; LDSByteSize: 0 bytes/workgroup (compile time only)
; SGPRBlocks: 0
; VGPRBlocks: 0
; NumSGPRsForWavesPerEU: 6
; NumVGPRsForWavesPerEU: 1
; AccumOffset: 4
; Occupancy: 8
; WaveLimiterHint : 0
; COMPUTE_PGM_RSRC2:SCRATCH_EN: 0
; COMPUTE_PGM_RSRC2:USER_SGPR: 2
; COMPUTE_PGM_RSRC2:TRAP_HANDLER: 0
; COMPUTE_PGM_RSRC2:TGID_X_EN: 1
; COMPUTE_PGM_RSRC2:TGID_Y_EN: 0
; COMPUTE_PGM_RSRC2:TGID_Z_EN: 0
; COMPUTE_PGM_RSRC2:TIDIG_COMP_CNT: 0
; COMPUTE_PGM_RSRC3_GFX90A:ACCUM_OFFSET: 0
; COMPUTE_PGM_RSRC3_GFX90A:TG_SPLIT: 0
	.section	.text._ZN7rocprim17ROCPRIM_400000_NS6detail17trampoline_kernelINS0_14default_configENS1_20scan_config_selectorIdEEZZNS1_9scan_implILNS1_25lookback_scan_determinismE0ELb0ELb0ES3_PKdPddZZZN2at6native31launch_logcumsumexp_cuda_kernelERKNSB_10TensorBaseESF_lENKUlvE_clEvENKUlvE_clEvEUlddE_dEEDaPvRmT3_T4_T5_mT6_P12ihipStream_tbENKUlT_T0_E_clISt17integral_constantIbLb0EESW_EEDaSR_SS_EUlSR_E_NS1_11comp_targetILNS1_3genE2ELNS1_11target_archE906ELNS1_3gpuE6ELNS1_3repE0EEENS1_30default_config_static_selectorELNS0_4arch9wavefront6targetE1EEEvT1_,"axG",@progbits,_ZN7rocprim17ROCPRIM_400000_NS6detail17trampoline_kernelINS0_14default_configENS1_20scan_config_selectorIdEEZZNS1_9scan_implILNS1_25lookback_scan_determinismE0ELb0ELb0ES3_PKdPddZZZN2at6native31launch_logcumsumexp_cuda_kernelERKNSB_10TensorBaseESF_lENKUlvE_clEvENKUlvE_clEvEUlddE_dEEDaPvRmT3_T4_T5_mT6_P12ihipStream_tbENKUlT_T0_E_clISt17integral_constantIbLb0EESW_EEDaSR_SS_EUlSR_E_NS1_11comp_targetILNS1_3genE2ELNS1_11target_archE906ELNS1_3gpuE6ELNS1_3repE0EEENS1_30default_config_static_selectorELNS0_4arch9wavefront6targetE1EEEvT1_,comdat
	.globl	_ZN7rocprim17ROCPRIM_400000_NS6detail17trampoline_kernelINS0_14default_configENS1_20scan_config_selectorIdEEZZNS1_9scan_implILNS1_25lookback_scan_determinismE0ELb0ELb0ES3_PKdPddZZZN2at6native31launch_logcumsumexp_cuda_kernelERKNSB_10TensorBaseESF_lENKUlvE_clEvENKUlvE_clEvEUlddE_dEEDaPvRmT3_T4_T5_mT6_P12ihipStream_tbENKUlT_T0_E_clISt17integral_constantIbLb0EESW_EEDaSR_SS_EUlSR_E_NS1_11comp_targetILNS1_3genE2ELNS1_11target_archE906ELNS1_3gpuE6ELNS1_3repE0EEENS1_30default_config_static_selectorELNS0_4arch9wavefront6targetE1EEEvT1_ ; -- Begin function _ZN7rocprim17ROCPRIM_400000_NS6detail17trampoline_kernelINS0_14default_configENS1_20scan_config_selectorIdEEZZNS1_9scan_implILNS1_25lookback_scan_determinismE0ELb0ELb0ES3_PKdPddZZZN2at6native31launch_logcumsumexp_cuda_kernelERKNSB_10TensorBaseESF_lENKUlvE_clEvENKUlvE_clEvEUlddE_dEEDaPvRmT3_T4_T5_mT6_P12ihipStream_tbENKUlT_T0_E_clISt17integral_constantIbLb0EESW_EEDaSR_SS_EUlSR_E_NS1_11comp_targetILNS1_3genE2ELNS1_11target_archE906ELNS1_3gpuE6ELNS1_3repE0EEENS1_30default_config_static_selectorELNS0_4arch9wavefront6targetE1EEEvT1_
	.p2align	8
	.type	_ZN7rocprim17ROCPRIM_400000_NS6detail17trampoline_kernelINS0_14default_configENS1_20scan_config_selectorIdEEZZNS1_9scan_implILNS1_25lookback_scan_determinismE0ELb0ELb0ES3_PKdPddZZZN2at6native31launch_logcumsumexp_cuda_kernelERKNSB_10TensorBaseESF_lENKUlvE_clEvENKUlvE_clEvEUlddE_dEEDaPvRmT3_T4_T5_mT6_P12ihipStream_tbENKUlT_T0_E_clISt17integral_constantIbLb0EESW_EEDaSR_SS_EUlSR_E_NS1_11comp_targetILNS1_3genE2ELNS1_11target_archE906ELNS1_3gpuE6ELNS1_3repE0EEENS1_30default_config_static_selectorELNS0_4arch9wavefront6targetE1EEEvT1_,@function
_ZN7rocprim17ROCPRIM_400000_NS6detail17trampoline_kernelINS0_14default_configENS1_20scan_config_selectorIdEEZZNS1_9scan_implILNS1_25lookback_scan_determinismE0ELb0ELb0ES3_PKdPddZZZN2at6native31launch_logcumsumexp_cuda_kernelERKNSB_10TensorBaseESF_lENKUlvE_clEvENKUlvE_clEvEUlddE_dEEDaPvRmT3_T4_T5_mT6_P12ihipStream_tbENKUlT_T0_E_clISt17integral_constantIbLb0EESW_EEDaSR_SS_EUlSR_E_NS1_11comp_targetILNS1_3genE2ELNS1_11target_archE906ELNS1_3gpuE6ELNS1_3repE0EEENS1_30default_config_static_selectorELNS0_4arch9wavefront6targetE1EEEvT1_: ; @_ZN7rocprim17ROCPRIM_400000_NS6detail17trampoline_kernelINS0_14default_configENS1_20scan_config_selectorIdEEZZNS1_9scan_implILNS1_25lookback_scan_determinismE0ELb0ELb0ES3_PKdPddZZZN2at6native31launch_logcumsumexp_cuda_kernelERKNSB_10TensorBaseESF_lENKUlvE_clEvENKUlvE_clEvEUlddE_dEEDaPvRmT3_T4_T5_mT6_P12ihipStream_tbENKUlT_T0_E_clISt17integral_constantIbLb0EESW_EEDaSR_SS_EUlSR_E_NS1_11comp_targetILNS1_3genE2ELNS1_11target_archE906ELNS1_3gpuE6ELNS1_3repE0EEENS1_30default_config_static_selectorELNS0_4arch9wavefront6targetE1EEEvT1_
; %bb.0:
	.section	.rodata,"a",@progbits
	.p2align	6, 0x0
	.amdhsa_kernel _ZN7rocprim17ROCPRIM_400000_NS6detail17trampoline_kernelINS0_14default_configENS1_20scan_config_selectorIdEEZZNS1_9scan_implILNS1_25lookback_scan_determinismE0ELb0ELb0ES3_PKdPddZZZN2at6native31launch_logcumsumexp_cuda_kernelERKNSB_10TensorBaseESF_lENKUlvE_clEvENKUlvE_clEvEUlddE_dEEDaPvRmT3_T4_T5_mT6_P12ihipStream_tbENKUlT_T0_E_clISt17integral_constantIbLb0EESW_EEDaSR_SS_EUlSR_E_NS1_11comp_targetILNS1_3genE2ELNS1_11target_archE906ELNS1_3gpuE6ELNS1_3repE0EEENS1_30default_config_static_selectorELNS0_4arch9wavefront6targetE1EEEvT1_
		.amdhsa_group_segment_fixed_size 0
		.amdhsa_private_segment_fixed_size 0
		.amdhsa_kernarg_size 104
		.amdhsa_user_sgpr_count 2
		.amdhsa_user_sgpr_dispatch_ptr 0
		.amdhsa_user_sgpr_queue_ptr 0
		.amdhsa_user_sgpr_kernarg_segment_ptr 1
		.amdhsa_user_sgpr_dispatch_id 0
		.amdhsa_user_sgpr_kernarg_preload_length 0
		.amdhsa_user_sgpr_kernarg_preload_offset 0
		.amdhsa_user_sgpr_private_segment_size 0
		.amdhsa_uses_dynamic_stack 0
		.amdhsa_enable_private_segment 0
		.amdhsa_system_sgpr_workgroup_id_x 1
		.amdhsa_system_sgpr_workgroup_id_y 0
		.amdhsa_system_sgpr_workgroup_id_z 0
		.amdhsa_system_sgpr_workgroup_info 0
		.amdhsa_system_vgpr_workitem_id 0
		.amdhsa_next_free_vgpr 1
		.amdhsa_next_free_sgpr 0
		.amdhsa_accum_offset 4
		.amdhsa_reserve_vcc 0
		.amdhsa_float_round_mode_32 0
		.amdhsa_float_round_mode_16_64 0
		.amdhsa_float_denorm_mode_32 3
		.amdhsa_float_denorm_mode_16_64 3
		.amdhsa_dx10_clamp 1
		.amdhsa_ieee_mode 1
		.amdhsa_fp16_overflow 0
		.amdhsa_tg_split 0
		.amdhsa_exception_fp_ieee_invalid_op 0
		.amdhsa_exception_fp_denorm_src 0
		.amdhsa_exception_fp_ieee_div_zero 0
		.amdhsa_exception_fp_ieee_overflow 0
		.amdhsa_exception_fp_ieee_underflow 0
		.amdhsa_exception_fp_ieee_inexact 0
		.amdhsa_exception_int_div_zero 0
	.end_amdhsa_kernel
	.section	.text._ZN7rocprim17ROCPRIM_400000_NS6detail17trampoline_kernelINS0_14default_configENS1_20scan_config_selectorIdEEZZNS1_9scan_implILNS1_25lookback_scan_determinismE0ELb0ELb0ES3_PKdPddZZZN2at6native31launch_logcumsumexp_cuda_kernelERKNSB_10TensorBaseESF_lENKUlvE_clEvENKUlvE_clEvEUlddE_dEEDaPvRmT3_T4_T5_mT6_P12ihipStream_tbENKUlT_T0_E_clISt17integral_constantIbLb0EESW_EEDaSR_SS_EUlSR_E_NS1_11comp_targetILNS1_3genE2ELNS1_11target_archE906ELNS1_3gpuE6ELNS1_3repE0EEENS1_30default_config_static_selectorELNS0_4arch9wavefront6targetE1EEEvT1_,"axG",@progbits,_ZN7rocprim17ROCPRIM_400000_NS6detail17trampoline_kernelINS0_14default_configENS1_20scan_config_selectorIdEEZZNS1_9scan_implILNS1_25lookback_scan_determinismE0ELb0ELb0ES3_PKdPddZZZN2at6native31launch_logcumsumexp_cuda_kernelERKNSB_10TensorBaseESF_lENKUlvE_clEvENKUlvE_clEvEUlddE_dEEDaPvRmT3_T4_T5_mT6_P12ihipStream_tbENKUlT_T0_E_clISt17integral_constantIbLb0EESW_EEDaSR_SS_EUlSR_E_NS1_11comp_targetILNS1_3genE2ELNS1_11target_archE906ELNS1_3gpuE6ELNS1_3repE0EEENS1_30default_config_static_selectorELNS0_4arch9wavefront6targetE1EEEvT1_,comdat
.Lfunc_end6:
	.size	_ZN7rocprim17ROCPRIM_400000_NS6detail17trampoline_kernelINS0_14default_configENS1_20scan_config_selectorIdEEZZNS1_9scan_implILNS1_25lookback_scan_determinismE0ELb0ELb0ES3_PKdPddZZZN2at6native31launch_logcumsumexp_cuda_kernelERKNSB_10TensorBaseESF_lENKUlvE_clEvENKUlvE_clEvEUlddE_dEEDaPvRmT3_T4_T5_mT6_P12ihipStream_tbENKUlT_T0_E_clISt17integral_constantIbLb0EESW_EEDaSR_SS_EUlSR_E_NS1_11comp_targetILNS1_3genE2ELNS1_11target_archE906ELNS1_3gpuE6ELNS1_3repE0EEENS1_30default_config_static_selectorELNS0_4arch9wavefront6targetE1EEEvT1_, .Lfunc_end6-_ZN7rocprim17ROCPRIM_400000_NS6detail17trampoline_kernelINS0_14default_configENS1_20scan_config_selectorIdEEZZNS1_9scan_implILNS1_25lookback_scan_determinismE0ELb0ELb0ES3_PKdPddZZZN2at6native31launch_logcumsumexp_cuda_kernelERKNSB_10TensorBaseESF_lENKUlvE_clEvENKUlvE_clEvEUlddE_dEEDaPvRmT3_T4_T5_mT6_P12ihipStream_tbENKUlT_T0_E_clISt17integral_constantIbLb0EESW_EEDaSR_SS_EUlSR_E_NS1_11comp_targetILNS1_3genE2ELNS1_11target_archE906ELNS1_3gpuE6ELNS1_3repE0EEENS1_30default_config_static_selectorELNS0_4arch9wavefront6targetE1EEEvT1_
                                        ; -- End function
	.section	.AMDGPU.csdata,"",@progbits
; Kernel info:
; codeLenInByte = 0
; NumSgprs: 6
; NumVgprs: 0
; NumAgprs: 0
; TotalNumVgprs: 0
; ScratchSize: 0
; MemoryBound: 0
; FloatMode: 240
; IeeeMode: 1
; LDSByteSize: 0 bytes/workgroup (compile time only)
; SGPRBlocks: 0
; VGPRBlocks: 0
; NumSGPRsForWavesPerEU: 6
; NumVGPRsForWavesPerEU: 1
; AccumOffset: 4
; Occupancy: 8
; WaveLimiterHint : 0
; COMPUTE_PGM_RSRC2:SCRATCH_EN: 0
; COMPUTE_PGM_RSRC2:USER_SGPR: 2
; COMPUTE_PGM_RSRC2:TRAP_HANDLER: 0
; COMPUTE_PGM_RSRC2:TGID_X_EN: 1
; COMPUTE_PGM_RSRC2:TGID_Y_EN: 0
; COMPUTE_PGM_RSRC2:TGID_Z_EN: 0
; COMPUTE_PGM_RSRC2:TIDIG_COMP_CNT: 0
; COMPUTE_PGM_RSRC3_GFX90A:ACCUM_OFFSET: 0
; COMPUTE_PGM_RSRC3_GFX90A:TG_SPLIT: 0
	.section	.text._ZN7rocprim17ROCPRIM_400000_NS6detail17trampoline_kernelINS0_14default_configENS1_20scan_config_selectorIdEEZZNS1_9scan_implILNS1_25lookback_scan_determinismE0ELb0ELb0ES3_PKdPddZZZN2at6native31launch_logcumsumexp_cuda_kernelERKNSB_10TensorBaseESF_lENKUlvE_clEvENKUlvE_clEvEUlddE_dEEDaPvRmT3_T4_T5_mT6_P12ihipStream_tbENKUlT_T0_E_clISt17integral_constantIbLb0EESW_EEDaSR_SS_EUlSR_E_NS1_11comp_targetILNS1_3genE10ELNS1_11target_archE1201ELNS1_3gpuE5ELNS1_3repE0EEENS1_30default_config_static_selectorELNS0_4arch9wavefront6targetE1EEEvT1_,"axG",@progbits,_ZN7rocprim17ROCPRIM_400000_NS6detail17trampoline_kernelINS0_14default_configENS1_20scan_config_selectorIdEEZZNS1_9scan_implILNS1_25lookback_scan_determinismE0ELb0ELb0ES3_PKdPddZZZN2at6native31launch_logcumsumexp_cuda_kernelERKNSB_10TensorBaseESF_lENKUlvE_clEvENKUlvE_clEvEUlddE_dEEDaPvRmT3_T4_T5_mT6_P12ihipStream_tbENKUlT_T0_E_clISt17integral_constantIbLb0EESW_EEDaSR_SS_EUlSR_E_NS1_11comp_targetILNS1_3genE10ELNS1_11target_archE1201ELNS1_3gpuE5ELNS1_3repE0EEENS1_30default_config_static_selectorELNS0_4arch9wavefront6targetE1EEEvT1_,comdat
	.globl	_ZN7rocprim17ROCPRIM_400000_NS6detail17trampoline_kernelINS0_14default_configENS1_20scan_config_selectorIdEEZZNS1_9scan_implILNS1_25lookback_scan_determinismE0ELb0ELb0ES3_PKdPddZZZN2at6native31launch_logcumsumexp_cuda_kernelERKNSB_10TensorBaseESF_lENKUlvE_clEvENKUlvE_clEvEUlddE_dEEDaPvRmT3_T4_T5_mT6_P12ihipStream_tbENKUlT_T0_E_clISt17integral_constantIbLb0EESW_EEDaSR_SS_EUlSR_E_NS1_11comp_targetILNS1_3genE10ELNS1_11target_archE1201ELNS1_3gpuE5ELNS1_3repE0EEENS1_30default_config_static_selectorELNS0_4arch9wavefront6targetE1EEEvT1_ ; -- Begin function _ZN7rocprim17ROCPRIM_400000_NS6detail17trampoline_kernelINS0_14default_configENS1_20scan_config_selectorIdEEZZNS1_9scan_implILNS1_25lookback_scan_determinismE0ELb0ELb0ES3_PKdPddZZZN2at6native31launch_logcumsumexp_cuda_kernelERKNSB_10TensorBaseESF_lENKUlvE_clEvENKUlvE_clEvEUlddE_dEEDaPvRmT3_T4_T5_mT6_P12ihipStream_tbENKUlT_T0_E_clISt17integral_constantIbLb0EESW_EEDaSR_SS_EUlSR_E_NS1_11comp_targetILNS1_3genE10ELNS1_11target_archE1201ELNS1_3gpuE5ELNS1_3repE0EEENS1_30default_config_static_selectorELNS0_4arch9wavefront6targetE1EEEvT1_
	.p2align	8
	.type	_ZN7rocprim17ROCPRIM_400000_NS6detail17trampoline_kernelINS0_14default_configENS1_20scan_config_selectorIdEEZZNS1_9scan_implILNS1_25lookback_scan_determinismE0ELb0ELb0ES3_PKdPddZZZN2at6native31launch_logcumsumexp_cuda_kernelERKNSB_10TensorBaseESF_lENKUlvE_clEvENKUlvE_clEvEUlddE_dEEDaPvRmT3_T4_T5_mT6_P12ihipStream_tbENKUlT_T0_E_clISt17integral_constantIbLb0EESW_EEDaSR_SS_EUlSR_E_NS1_11comp_targetILNS1_3genE10ELNS1_11target_archE1201ELNS1_3gpuE5ELNS1_3repE0EEENS1_30default_config_static_selectorELNS0_4arch9wavefront6targetE1EEEvT1_,@function
_ZN7rocprim17ROCPRIM_400000_NS6detail17trampoline_kernelINS0_14default_configENS1_20scan_config_selectorIdEEZZNS1_9scan_implILNS1_25lookback_scan_determinismE0ELb0ELb0ES3_PKdPddZZZN2at6native31launch_logcumsumexp_cuda_kernelERKNSB_10TensorBaseESF_lENKUlvE_clEvENKUlvE_clEvEUlddE_dEEDaPvRmT3_T4_T5_mT6_P12ihipStream_tbENKUlT_T0_E_clISt17integral_constantIbLb0EESW_EEDaSR_SS_EUlSR_E_NS1_11comp_targetILNS1_3genE10ELNS1_11target_archE1201ELNS1_3gpuE5ELNS1_3repE0EEENS1_30default_config_static_selectorELNS0_4arch9wavefront6targetE1EEEvT1_: ; @_ZN7rocprim17ROCPRIM_400000_NS6detail17trampoline_kernelINS0_14default_configENS1_20scan_config_selectorIdEEZZNS1_9scan_implILNS1_25lookback_scan_determinismE0ELb0ELb0ES3_PKdPddZZZN2at6native31launch_logcumsumexp_cuda_kernelERKNSB_10TensorBaseESF_lENKUlvE_clEvENKUlvE_clEvEUlddE_dEEDaPvRmT3_T4_T5_mT6_P12ihipStream_tbENKUlT_T0_E_clISt17integral_constantIbLb0EESW_EEDaSR_SS_EUlSR_E_NS1_11comp_targetILNS1_3genE10ELNS1_11target_archE1201ELNS1_3gpuE5ELNS1_3repE0EEENS1_30default_config_static_selectorELNS0_4arch9wavefront6targetE1EEEvT1_
; %bb.0:
	.section	.rodata,"a",@progbits
	.p2align	6, 0x0
	.amdhsa_kernel _ZN7rocprim17ROCPRIM_400000_NS6detail17trampoline_kernelINS0_14default_configENS1_20scan_config_selectorIdEEZZNS1_9scan_implILNS1_25lookback_scan_determinismE0ELb0ELb0ES3_PKdPddZZZN2at6native31launch_logcumsumexp_cuda_kernelERKNSB_10TensorBaseESF_lENKUlvE_clEvENKUlvE_clEvEUlddE_dEEDaPvRmT3_T4_T5_mT6_P12ihipStream_tbENKUlT_T0_E_clISt17integral_constantIbLb0EESW_EEDaSR_SS_EUlSR_E_NS1_11comp_targetILNS1_3genE10ELNS1_11target_archE1201ELNS1_3gpuE5ELNS1_3repE0EEENS1_30default_config_static_selectorELNS0_4arch9wavefront6targetE1EEEvT1_
		.amdhsa_group_segment_fixed_size 0
		.amdhsa_private_segment_fixed_size 0
		.amdhsa_kernarg_size 104
		.amdhsa_user_sgpr_count 2
		.amdhsa_user_sgpr_dispatch_ptr 0
		.amdhsa_user_sgpr_queue_ptr 0
		.amdhsa_user_sgpr_kernarg_segment_ptr 1
		.amdhsa_user_sgpr_dispatch_id 0
		.amdhsa_user_sgpr_kernarg_preload_length 0
		.amdhsa_user_sgpr_kernarg_preload_offset 0
		.amdhsa_user_sgpr_private_segment_size 0
		.amdhsa_uses_dynamic_stack 0
		.amdhsa_enable_private_segment 0
		.amdhsa_system_sgpr_workgroup_id_x 1
		.amdhsa_system_sgpr_workgroup_id_y 0
		.amdhsa_system_sgpr_workgroup_id_z 0
		.amdhsa_system_sgpr_workgroup_info 0
		.amdhsa_system_vgpr_workitem_id 0
		.amdhsa_next_free_vgpr 1
		.amdhsa_next_free_sgpr 0
		.amdhsa_accum_offset 4
		.amdhsa_reserve_vcc 0
		.amdhsa_float_round_mode_32 0
		.amdhsa_float_round_mode_16_64 0
		.amdhsa_float_denorm_mode_32 3
		.amdhsa_float_denorm_mode_16_64 3
		.amdhsa_dx10_clamp 1
		.amdhsa_ieee_mode 1
		.amdhsa_fp16_overflow 0
		.amdhsa_tg_split 0
		.amdhsa_exception_fp_ieee_invalid_op 0
		.amdhsa_exception_fp_denorm_src 0
		.amdhsa_exception_fp_ieee_div_zero 0
		.amdhsa_exception_fp_ieee_overflow 0
		.amdhsa_exception_fp_ieee_underflow 0
		.amdhsa_exception_fp_ieee_inexact 0
		.amdhsa_exception_int_div_zero 0
	.end_amdhsa_kernel
	.section	.text._ZN7rocprim17ROCPRIM_400000_NS6detail17trampoline_kernelINS0_14default_configENS1_20scan_config_selectorIdEEZZNS1_9scan_implILNS1_25lookback_scan_determinismE0ELb0ELb0ES3_PKdPddZZZN2at6native31launch_logcumsumexp_cuda_kernelERKNSB_10TensorBaseESF_lENKUlvE_clEvENKUlvE_clEvEUlddE_dEEDaPvRmT3_T4_T5_mT6_P12ihipStream_tbENKUlT_T0_E_clISt17integral_constantIbLb0EESW_EEDaSR_SS_EUlSR_E_NS1_11comp_targetILNS1_3genE10ELNS1_11target_archE1201ELNS1_3gpuE5ELNS1_3repE0EEENS1_30default_config_static_selectorELNS0_4arch9wavefront6targetE1EEEvT1_,"axG",@progbits,_ZN7rocprim17ROCPRIM_400000_NS6detail17trampoline_kernelINS0_14default_configENS1_20scan_config_selectorIdEEZZNS1_9scan_implILNS1_25lookback_scan_determinismE0ELb0ELb0ES3_PKdPddZZZN2at6native31launch_logcumsumexp_cuda_kernelERKNSB_10TensorBaseESF_lENKUlvE_clEvENKUlvE_clEvEUlddE_dEEDaPvRmT3_T4_T5_mT6_P12ihipStream_tbENKUlT_T0_E_clISt17integral_constantIbLb0EESW_EEDaSR_SS_EUlSR_E_NS1_11comp_targetILNS1_3genE10ELNS1_11target_archE1201ELNS1_3gpuE5ELNS1_3repE0EEENS1_30default_config_static_selectorELNS0_4arch9wavefront6targetE1EEEvT1_,comdat
.Lfunc_end7:
	.size	_ZN7rocprim17ROCPRIM_400000_NS6detail17trampoline_kernelINS0_14default_configENS1_20scan_config_selectorIdEEZZNS1_9scan_implILNS1_25lookback_scan_determinismE0ELb0ELb0ES3_PKdPddZZZN2at6native31launch_logcumsumexp_cuda_kernelERKNSB_10TensorBaseESF_lENKUlvE_clEvENKUlvE_clEvEUlddE_dEEDaPvRmT3_T4_T5_mT6_P12ihipStream_tbENKUlT_T0_E_clISt17integral_constantIbLb0EESW_EEDaSR_SS_EUlSR_E_NS1_11comp_targetILNS1_3genE10ELNS1_11target_archE1201ELNS1_3gpuE5ELNS1_3repE0EEENS1_30default_config_static_selectorELNS0_4arch9wavefront6targetE1EEEvT1_, .Lfunc_end7-_ZN7rocprim17ROCPRIM_400000_NS6detail17trampoline_kernelINS0_14default_configENS1_20scan_config_selectorIdEEZZNS1_9scan_implILNS1_25lookback_scan_determinismE0ELb0ELb0ES3_PKdPddZZZN2at6native31launch_logcumsumexp_cuda_kernelERKNSB_10TensorBaseESF_lENKUlvE_clEvENKUlvE_clEvEUlddE_dEEDaPvRmT3_T4_T5_mT6_P12ihipStream_tbENKUlT_T0_E_clISt17integral_constantIbLb0EESW_EEDaSR_SS_EUlSR_E_NS1_11comp_targetILNS1_3genE10ELNS1_11target_archE1201ELNS1_3gpuE5ELNS1_3repE0EEENS1_30default_config_static_selectorELNS0_4arch9wavefront6targetE1EEEvT1_
                                        ; -- End function
	.section	.AMDGPU.csdata,"",@progbits
; Kernel info:
; codeLenInByte = 0
; NumSgprs: 6
; NumVgprs: 0
; NumAgprs: 0
; TotalNumVgprs: 0
; ScratchSize: 0
; MemoryBound: 0
; FloatMode: 240
; IeeeMode: 1
; LDSByteSize: 0 bytes/workgroup (compile time only)
; SGPRBlocks: 0
; VGPRBlocks: 0
; NumSGPRsForWavesPerEU: 6
; NumVGPRsForWavesPerEU: 1
; AccumOffset: 4
; Occupancy: 8
; WaveLimiterHint : 0
; COMPUTE_PGM_RSRC2:SCRATCH_EN: 0
; COMPUTE_PGM_RSRC2:USER_SGPR: 2
; COMPUTE_PGM_RSRC2:TRAP_HANDLER: 0
; COMPUTE_PGM_RSRC2:TGID_X_EN: 1
; COMPUTE_PGM_RSRC2:TGID_Y_EN: 0
; COMPUTE_PGM_RSRC2:TGID_Z_EN: 0
; COMPUTE_PGM_RSRC2:TIDIG_COMP_CNT: 0
; COMPUTE_PGM_RSRC3_GFX90A:ACCUM_OFFSET: 0
; COMPUTE_PGM_RSRC3_GFX90A:TG_SPLIT: 0
	.section	.text._ZN7rocprim17ROCPRIM_400000_NS6detail17trampoline_kernelINS0_14default_configENS1_20scan_config_selectorIdEEZZNS1_9scan_implILNS1_25lookback_scan_determinismE0ELb0ELb0ES3_PKdPddZZZN2at6native31launch_logcumsumexp_cuda_kernelERKNSB_10TensorBaseESF_lENKUlvE_clEvENKUlvE_clEvEUlddE_dEEDaPvRmT3_T4_T5_mT6_P12ihipStream_tbENKUlT_T0_E_clISt17integral_constantIbLb0EESW_EEDaSR_SS_EUlSR_E_NS1_11comp_targetILNS1_3genE10ELNS1_11target_archE1200ELNS1_3gpuE4ELNS1_3repE0EEENS1_30default_config_static_selectorELNS0_4arch9wavefront6targetE1EEEvT1_,"axG",@progbits,_ZN7rocprim17ROCPRIM_400000_NS6detail17trampoline_kernelINS0_14default_configENS1_20scan_config_selectorIdEEZZNS1_9scan_implILNS1_25lookback_scan_determinismE0ELb0ELb0ES3_PKdPddZZZN2at6native31launch_logcumsumexp_cuda_kernelERKNSB_10TensorBaseESF_lENKUlvE_clEvENKUlvE_clEvEUlddE_dEEDaPvRmT3_T4_T5_mT6_P12ihipStream_tbENKUlT_T0_E_clISt17integral_constantIbLb0EESW_EEDaSR_SS_EUlSR_E_NS1_11comp_targetILNS1_3genE10ELNS1_11target_archE1200ELNS1_3gpuE4ELNS1_3repE0EEENS1_30default_config_static_selectorELNS0_4arch9wavefront6targetE1EEEvT1_,comdat
	.globl	_ZN7rocprim17ROCPRIM_400000_NS6detail17trampoline_kernelINS0_14default_configENS1_20scan_config_selectorIdEEZZNS1_9scan_implILNS1_25lookback_scan_determinismE0ELb0ELb0ES3_PKdPddZZZN2at6native31launch_logcumsumexp_cuda_kernelERKNSB_10TensorBaseESF_lENKUlvE_clEvENKUlvE_clEvEUlddE_dEEDaPvRmT3_T4_T5_mT6_P12ihipStream_tbENKUlT_T0_E_clISt17integral_constantIbLb0EESW_EEDaSR_SS_EUlSR_E_NS1_11comp_targetILNS1_3genE10ELNS1_11target_archE1200ELNS1_3gpuE4ELNS1_3repE0EEENS1_30default_config_static_selectorELNS0_4arch9wavefront6targetE1EEEvT1_ ; -- Begin function _ZN7rocprim17ROCPRIM_400000_NS6detail17trampoline_kernelINS0_14default_configENS1_20scan_config_selectorIdEEZZNS1_9scan_implILNS1_25lookback_scan_determinismE0ELb0ELb0ES3_PKdPddZZZN2at6native31launch_logcumsumexp_cuda_kernelERKNSB_10TensorBaseESF_lENKUlvE_clEvENKUlvE_clEvEUlddE_dEEDaPvRmT3_T4_T5_mT6_P12ihipStream_tbENKUlT_T0_E_clISt17integral_constantIbLb0EESW_EEDaSR_SS_EUlSR_E_NS1_11comp_targetILNS1_3genE10ELNS1_11target_archE1200ELNS1_3gpuE4ELNS1_3repE0EEENS1_30default_config_static_selectorELNS0_4arch9wavefront6targetE1EEEvT1_
	.p2align	8
	.type	_ZN7rocprim17ROCPRIM_400000_NS6detail17trampoline_kernelINS0_14default_configENS1_20scan_config_selectorIdEEZZNS1_9scan_implILNS1_25lookback_scan_determinismE0ELb0ELb0ES3_PKdPddZZZN2at6native31launch_logcumsumexp_cuda_kernelERKNSB_10TensorBaseESF_lENKUlvE_clEvENKUlvE_clEvEUlddE_dEEDaPvRmT3_T4_T5_mT6_P12ihipStream_tbENKUlT_T0_E_clISt17integral_constantIbLb0EESW_EEDaSR_SS_EUlSR_E_NS1_11comp_targetILNS1_3genE10ELNS1_11target_archE1200ELNS1_3gpuE4ELNS1_3repE0EEENS1_30default_config_static_selectorELNS0_4arch9wavefront6targetE1EEEvT1_,@function
_ZN7rocprim17ROCPRIM_400000_NS6detail17trampoline_kernelINS0_14default_configENS1_20scan_config_selectorIdEEZZNS1_9scan_implILNS1_25lookback_scan_determinismE0ELb0ELb0ES3_PKdPddZZZN2at6native31launch_logcumsumexp_cuda_kernelERKNSB_10TensorBaseESF_lENKUlvE_clEvENKUlvE_clEvEUlddE_dEEDaPvRmT3_T4_T5_mT6_P12ihipStream_tbENKUlT_T0_E_clISt17integral_constantIbLb0EESW_EEDaSR_SS_EUlSR_E_NS1_11comp_targetILNS1_3genE10ELNS1_11target_archE1200ELNS1_3gpuE4ELNS1_3repE0EEENS1_30default_config_static_selectorELNS0_4arch9wavefront6targetE1EEEvT1_: ; @_ZN7rocprim17ROCPRIM_400000_NS6detail17trampoline_kernelINS0_14default_configENS1_20scan_config_selectorIdEEZZNS1_9scan_implILNS1_25lookback_scan_determinismE0ELb0ELb0ES3_PKdPddZZZN2at6native31launch_logcumsumexp_cuda_kernelERKNSB_10TensorBaseESF_lENKUlvE_clEvENKUlvE_clEvEUlddE_dEEDaPvRmT3_T4_T5_mT6_P12ihipStream_tbENKUlT_T0_E_clISt17integral_constantIbLb0EESW_EEDaSR_SS_EUlSR_E_NS1_11comp_targetILNS1_3genE10ELNS1_11target_archE1200ELNS1_3gpuE4ELNS1_3repE0EEENS1_30default_config_static_selectorELNS0_4arch9wavefront6targetE1EEEvT1_
; %bb.0:
	.section	.rodata,"a",@progbits
	.p2align	6, 0x0
	.amdhsa_kernel _ZN7rocprim17ROCPRIM_400000_NS6detail17trampoline_kernelINS0_14default_configENS1_20scan_config_selectorIdEEZZNS1_9scan_implILNS1_25lookback_scan_determinismE0ELb0ELb0ES3_PKdPddZZZN2at6native31launch_logcumsumexp_cuda_kernelERKNSB_10TensorBaseESF_lENKUlvE_clEvENKUlvE_clEvEUlddE_dEEDaPvRmT3_T4_T5_mT6_P12ihipStream_tbENKUlT_T0_E_clISt17integral_constantIbLb0EESW_EEDaSR_SS_EUlSR_E_NS1_11comp_targetILNS1_3genE10ELNS1_11target_archE1200ELNS1_3gpuE4ELNS1_3repE0EEENS1_30default_config_static_selectorELNS0_4arch9wavefront6targetE1EEEvT1_
		.amdhsa_group_segment_fixed_size 0
		.amdhsa_private_segment_fixed_size 0
		.amdhsa_kernarg_size 104
		.amdhsa_user_sgpr_count 2
		.amdhsa_user_sgpr_dispatch_ptr 0
		.amdhsa_user_sgpr_queue_ptr 0
		.amdhsa_user_sgpr_kernarg_segment_ptr 1
		.amdhsa_user_sgpr_dispatch_id 0
		.amdhsa_user_sgpr_kernarg_preload_length 0
		.amdhsa_user_sgpr_kernarg_preload_offset 0
		.amdhsa_user_sgpr_private_segment_size 0
		.amdhsa_uses_dynamic_stack 0
		.amdhsa_enable_private_segment 0
		.amdhsa_system_sgpr_workgroup_id_x 1
		.amdhsa_system_sgpr_workgroup_id_y 0
		.amdhsa_system_sgpr_workgroup_id_z 0
		.amdhsa_system_sgpr_workgroup_info 0
		.amdhsa_system_vgpr_workitem_id 0
		.amdhsa_next_free_vgpr 1
		.amdhsa_next_free_sgpr 0
		.amdhsa_accum_offset 4
		.amdhsa_reserve_vcc 0
		.amdhsa_float_round_mode_32 0
		.amdhsa_float_round_mode_16_64 0
		.amdhsa_float_denorm_mode_32 3
		.amdhsa_float_denorm_mode_16_64 3
		.amdhsa_dx10_clamp 1
		.amdhsa_ieee_mode 1
		.amdhsa_fp16_overflow 0
		.amdhsa_tg_split 0
		.amdhsa_exception_fp_ieee_invalid_op 0
		.amdhsa_exception_fp_denorm_src 0
		.amdhsa_exception_fp_ieee_div_zero 0
		.amdhsa_exception_fp_ieee_overflow 0
		.amdhsa_exception_fp_ieee_underflow 0
		.amdhsa_exception_fp_ieee_inexact 0
		.amdhsa_exception_int_div_zero 0
	.end_amdhsa_kernel
	.section	.text._ZN7rocprim17ROCPRIM_400000_NS6detail17trampoline_kernelINS0_14default_configENS1_20scan_config_selectorIdEEZZNS1_9scan_implILNS1_25lookback_scan_determinismE0ELb0ELb0ES3_PKdPddZZZN2at6native31launch_logcumsumexp_cuda_kernelERKNSB_10TensorBaseESF_lENKUlvE_clEvENKUlvE_clEvEUlddE_dEEDaPvRmT3_T4_T5_mT6_P12ihipStream_tbENKUlT_T0_E_clISt17integral_constantIbLb0EESW_EEDaSR_SS_EUlSR_E_NS1_11comp_targetILNS1_3genE10ELNS1_11target_archE1200ELNS1_3gpuE4ELNS1_3repE0EEENS1_30default_config_static_selectorELNS0_4arch9wavefront6targetE1EEEvT1_,"axG",@progbits,_ZN7rocprim17ROCPRIM_400000_NS6detail17trampoline_kernelINS0_14default_configENS1_20scan_config_selectorIdEEZZNS1_9scan_implILNS1_25lookback_scan_determinismE0ELb0ELb0ES3_PKdPddZZZN2at6native31launch_logcumsumexp_cuda_kernelERKNSB_10TensorBaseESF_lENKUlvE_clEvENKUlvE_clEvEUlddE_dEEDaPvRmT3_T4_T5_mT6_P12ihipStream_tbENKUlT_T0_E_clISt17integral_constantIbLb0EESW_EEDaSR_SS_EUlSR_E_NS1_11comp_targetILNS1_3genE10ELNS1_11target_archE1200ELNS1_3gpuE4ELNS1_3repE0EEENS1_30default_config_static_selectorELNS0_4arch9wavefront6targetE1EEEvT1_,comdat
.Lfunc_end8:
	.size	_ZN7rocprim17ROCPRIM_400000_NS6detail17trampoline_kernelINS0_14default_configENS1_20scan_config_selectorIdEEZZNS1_9scan_implILNS1_25lookback_scan_determinismE0ELb0ELb0ES3_PKdPddZZZN2at6native31launch_logcumsumexp_cuda_kernelERKNSB_10TensorBaseESF_lENKUlvE_clEvENKUlvE_clEvEUlddE_dEEDaPvRmT3_T4_T5_mT6_P12ihipStream_tbENKUlT_T0_E_clISt17integral_constantIbLb0EESW_EEDaSR_SS_EUlSR_E_NS1_11comp_targetILNS1_3genE10ELNS1_11target_archE1200ELNS1_3gpuE4ELNS1_3repE0EEENS1_30default_config_static_selectorELNS0_4arch9wavefront6targetE1EEEvT1_, .Lfunc_end8-_ZN7rocprim17ROCPRIM_400000_NS6detail17trampoline_kernelINS0_14default_configENS1_20scan_config_selectorIdEEZZNS1_9scan_implILNS1_25lookback_scan_determinismE0ELb0ELb0ES3_PKdPddZZZN2at6native31launch_logcumsumexp_cuda_kernelERKNSB_10TensorBaseESF_lENKUlvE_clEvENKUlvE_clEvEUlddE_dEEDaPvRmT3_T4_T5_mT6_P12ihipStream_tbENKUlT_T0_E_clISt17integral_constantIbLb0EESW_EEDaSR_SS_EUlSR_E_NS1_11comp_targetILNS1_3genE10ELNS1_11target_archE1200ELNS1_3gpuE4ELNS1_3repE0EEENS1_30default_config_static_selectorELNS0_4arch9wavefront6targetE1EEEvT1_
                                        ; -- End function
	.section	.AMDGPU.csdata,"",@progbits
; Kernel info:
; codeLenInByte = 0
; NumSgprs: 6
; NumVgprs: 0
; NumAgprs: 0
; TotalNumVgprs: 0
; ScratchSize: 0
; MemoryBound: 0
; FloatMode: 240
; IeeeMode: 1
; LDSByteSize: 0 bytes/workgroup (compile time only)
; SGPRBlocks: 0
; VGPRBlocks: 0
; NumSGPRsForWavesPerEU: 6
; NumVGPRsForWavesPerEU: 1
; AccumOffset: 4
; Occupancy: 8
; WaveLimiterHint : 0
; COMPUTE_PGM_RSRC2:SCRATCH_EN: 0
; COMPUTE_PGM_RSRC2:USER_SGPR: 2
; COMPUTE_PGM_RSRC2:TRAP_HANDLER: 0
; COMPUTE_PGM_RSRC2:TGID_X_EN: 1
; COMPUTE_PGM_RSRC2:TGID_Y_EN: 0
; COMPUTE_PGM_RSRC2:TGID_Z_EN: 0
; COMPUTE_PGM_RSRC2:TIDIG_COMP_CNT: 0
; COMPUTE_PGM_RSRC3_GFX90A:ACCUM_OFFSET: 0
; COMPUTE_PGM_RSRC3_GFX90A:TG_SPLIT: 0
	.section	.text._ZN7rocprim17ROCPRIM_400000_NS6detail17trampoline_kernelINS0_14default_configENS1_20scan_config_selectorIdEEZZNS1_9scan_implILNS1_25lookback_scan_determinismE0ELb0ELb0ES3_PKdPddZZZN2at6native31launch_logcumsumexp_cuda_kernelERKNSB_10TensorBaseESF_lENKUlvE_clEvENKUlvE_clEvEUlddE_dEEDaPvRmT3_T4_T5_mT6_P12ihipStream_tbENKUlT_T0_E_clISt17integral_constantIbLb0EESW_EEDaSR_SS_EUlSR_E_NS1_11comp_targetILNS1_3genE9ELNS1_11target_archE1100ELNS1_3gpuE3ELNS1_3repE0EEENS1_30default_config_static_selectorELNS0_4arch9wavefront6targetE1EEEvT1_,"axG",@progbits,_ZN7rocprim17ROCPRIM_400000_NS6detail17trampoline_kernelINS0_14default_configENS1_20scan_config_selectorIdEEZZNS1_9scan_implILNS1_25lookback_scan_determinismE0ELb0ELb0ES3_PKdPddZZZN2at6native31launch_logcumsumexp_cuda_kernelERKNSB_10TensorBaseESF_lENKUlvE_clEvENKUlvE_clEvEUlddE_dEEDaPvRmT3_T4_T5_mT6_P12ihipStream_tbENKUlT_T0_E_clISt17integral_constantIbLb0EESW_EEDaSR_SS_EUlSR_E_NS1_11comp_targetILNS1_3genE9ELNS1_11target_archE1100ELNS1_3gpuE3ELNS1_3repE0EEENS1_30default_config_static_selectorELNS0_4arch9wavefront6targetE1EEEvT1_,comdat
	.globl	_ZN7rocprim17ROCPRIM_400000_NS6detail17trampoline_kernelINS0_14default_configENS1_20scan_config_selectorIdEEZZNS1_9scan_implILNS1_25lookback_scan_determinismE0ELb0ELb0ES3_PKdPddZZZN2at6native31launch_logcumsumexp_cuda_kernelERKNSB_10TensorBaseESF_lENKUlvE_clEvENKUlvE_clEvEUlddE_dEEDaPvRmT3_T4_T5_mT6_P12ihipStream_tbENKUlT_T0_E_clISt17integral_constantIbLb0EESW_EEDaSR_SS_EUlSR_E_NS1_11comp_targetILNS1_3genE9ELNS1_11target_archE1100ELNS1_3gpuE3ELNS1_3repE0EEENS1_30default_config_static_selectorELNS0_4arch9wavefront6targetE1EEEvT1_ ; -- Begin function _ZN7rocprim17ROCPRIM_400000_NS6detail17trampoline_kernelINS0_14default_configENS1_20scan_config_selectorIdEEZZNS1_9scan_implILNS1_25lookback_scan_determinismE0ELb0ELb0ES3_PKdPddZZZN2at6native31launch_logcumsumexp_cuda_kernelERKNSB_10TensorBaseESF_lENKUlvE_clEvENKUlvE_clEvEUlddE_dEEDaPvRmT3_T4_T5_mT6_P12ihipStream_tbENKUlT_T0_E_clISt17integral_constantIbLb0EESW_EEDaSR_SS_EUlSR_E_NS1_11comp_targetILNS1_3genE9ELNS1_11target_archE1100ELNS1_3gpuE3ELNS1_3repE0EEENS1_30default_config_static_selectorELNS0_4arch9wavefront6targetE1EEEvT1_
	.p2align	8
	.type	_ZN7rocprim17ROCPRIM_400000_NS6detail17trampoline_kernelINS0_14default_configENS1_20scan_config_selectorIdEEZZNS1_9scan_implILNS1_25lookback_scan_determinismE0ELb0ELb0ES3_PKdPddZZZN2at6native31launch_logcumsumexp_cuda_kernelERKNSB_10TensorBaseESF_lENKUlvE_clEvENKUlvE_clEvEUlddE_dEEDaPvRmT3_T4_T5_mT6_P12ihipStream_tbENKUlT_T0_E_clISt17integral_constantIbLb0EESW_EEDaSR_SS_EUlSR_E_NS1_11comp_targetILNS1_3genE9ELNS1_11target_archE1100ELNS1_3gpuE3ELNS1_3repE0EEENS1_30default_config_static_selectorELNS0_4arch9wavefront6targetE1EEEvT1_,@function
_ZN7rocprim17ROCPRIM_400000_NS6detail17trampoline_kernelINS0_14default_configENS1_20scan_config_selectorIdEEZZNS1_9scan_implILNS1_25lookback_scan_determinismE0ELb0ELb0ES3_PKdPddZZZN2at6native31launch_logcumsumexp_cuda_kernelERKNSB_10TensorBaseESF_lENKUlvE_clEvENKUlvE_clEvEUlddE_dEEDaPvRmT3_T4_T5_mT6_P12ihipStream_tbENKUlT_T0_E_clISt17integral_constantIbLb0EESW_EEDaSR_SS_EUlSR_E_NS1_11comp_targetILNS1_3genE9ELNS1_11target_archE1100ELNS1_3gpuE3ELNS1_3repE0EEENS1_30default_config_static_selectorELNS0_4arch9wavefront6targetE1EEEvT1_: ; @_ZN7rocprim17ROCPRIM_400000_NS6detail17trampoline_kernelINS0_14default_configENS1_20scan_config_selectorIdEEZZNS1_9scan_implILNS1_25lookback_scan_determinismE0ELb0ELb0ES3_PKdPddZZZN2at6native31launch_logcumsumexp_cuda_kernelERKNSB_10TensorBaseESF_lENKUlvE_clEvENKUlvE_clEvEUlddE_dEEDaPvRmT3_T4_T5_mT6_P12ihipStream_tbENKUlT_T0_E_clISt17integral_constantIbLb0EESW_EEDaSR_SS_EUlSR_E_NS1_11comp_targetILNS1_3genE9ELNS1_11target_archE1100ELNS1_3gpuE3ELNS1_3repE0EEENS1_30default_config_static_selectorELNS0_4arch9wavefront6targetE1EEEvT1_
; %bb.0:
	.section	.rodata,"a",@progbits
	.p2align	6, 0x0
	.amdhsa_kernel _ZN7rocprim17ROCPRIM_400000_NS6detail17trampoline_kernelINS0_14default_configENS1_20scan_config_selectorIdEEZZNS1_9scan_implILNS1_25lookback_scan_determinismE0ELb0ELb0ES3_PKdPddZZZN2at6native31launch_logcumsumexp_cuda_kernelERKNSB_10TensorBaseESF_lENKUlvE_clEvENKUlvE_clEvEUlddE_dEEDaPvRmT3_T4_T5_mT6_P12ihipStream_tbENKUlT_T0_E_clISt17integral_constantIbLb0EESW_EEDaSR_SS_EUlSR_E_NS1_11comp_targetILNS1_3genE9ELNS1_11target_archE1100ELNS1_3gpuE3ELNS1_3repE0EEENS1_30default_config_static_selectorELNS0_4arch9wavefront6targetE1EEEvT1_
		.amdhsa_group_segment_fixed_size 0
		.amdhsa_private_segment_fixed_size 0
		.amdhsa_kernarg_size 104
		.amdhsa_user_sgpr_count 2
		.amdhsa_user_sgpr_dispatch_ptr 0
		.amdhsa_user_sgpr_queue_ptr 0
		.amdhsa_user_sgpr_kernarg_segment_ptr 1
		.amdhsa_user_sgpr_dispatch_id 0
		.amdhsa_user_sgpr_kernarg_preload_length 0
		.amdhsa_user_sgpr_kernarg_preload_offset 0
		.amdhsa_user_sgpr_private_segment_size 0
		.amdhsa_uses_dynamic_stack 0
		.amdhsa_enable_private_segment 0
		.amdhsa_system_sgpr_workgroup_id_x 1
		.amdhsa_system_sgpr_workgroup_id_y 0
		.amdhsa_system_sgpr_workgroup_id_z 0
		.amdhsa_system_sgpr_workgroup_info 0
		.amdhsa_system_vgpr_workitem_id 0
		.amdhsa_next_free_vgpr 1
		.amdhsa_next_free_sgpr 0
		.amdhsa_accum_offset 4
		.amdhsa_reserve_vcc 0
		.amdhsa_float_round_mode_32 0
		.amdhsa_float_round_mode_16_64 0
		.amdhsa_float_denorm_mode_32 3
		.amdhsa_float_denorm_mode_16_64 3
		.amdhsa_dx10_clamp 1
		.amdhsa_ieee_mode 1
		.amdhsa_fp16_overflow 0
		.amdhsa_tg_split 0
		.amdhsa_exception_fp_ieee_invalid_op 0
		.amdhsa_exception_fp_denorm_src 0
		.amdhsa_exception_fp_ieee_div_zero 0
		.amdhsa_exception_fp_ieee_overflow 0
		.amdhsa_exception_fp_ieee_underflow 0
		.amdhsa_exception_fp_ieee_inexact 0
		.amdhsa_exception_int_div_zero 0
	.end_amdhsa_kernel
	.section	.text._ZN7rocprim17ROCPRIM_400000_NS6detail17trampoline_kernelINS0_14default_configENS1_20scan_config_selectorIdEEZZNS1_9scan_implILNS1_25lookback_scan_determinismE0ELb0ELb0ES3_PKdPddZZZN2at6native31launch_logcumsumexp_cuda_kernelERKNSB_10TensorBaseESF_lENKUlvE_clEvENKUlvE_clEvEUlddE_dEEDaPvRmT3_T4_T5_mT6_P12ihipStream_tbENKUlT_T0_E_clISt17integral_constantIbLb0EESW_EEDaSR_SS_EUlSR_E_NS1_11comp_targetILNS1_3genE9ELNS1_11target_archE1100ELNS1_3gpuE3ELNS1_3repE0EEENS1_30default_config_static_selectorELNS0_4arch9wavefront6targetE1EEEvT1_,"axG",@progbits,_ZN7rocprim17ROCPRIM_400000_NS6detail17trampoline_kernelINS0_14default_configENS1_20scan_config_selectorIdEEZZNS1_9scan_implILNS1_25lookback_scan_determinismE0ELb0ELb0ES3_PKdPddZZZN2at6native31launch_logcumsumexp_cuda_kernelERKNSB_10TensorBaseESF_lENKUlvE_clEvENKUlvE_clEvEUlddE_dEEDaPvRmT3_T4_T5_mT6_P12ihipStream_tbENKUlT_T0_E_clISt17integral_constantIbLb0EESW_EEDaSR_SS_EUlSR_E_NS1_11comp_targetILNS1_3genE9ELNS1_11target_archE1100ELNS1_3gpuE3ELNS1_3repE0EEENS1_30default_config_static_selectorELNS0_4arch9wavefront6targetE1EEEvT1_,comdat
.Lfunc_end9:
	.size	_ZN7rocprim17ROCPRIM_400000_NS6detail17trampoline_kernelINS0_14default_configENS1_20scan_config_selectorIdEEZZNS1_9scan_implILNS1_25lookback_scan_determinismE0ELb0ELb0ES3_PKdPddZZZN2at6native31launch_logcumsumexp_cuda_kernelERKNSB_10TensorBaseESF_lENKUlvE_clEvENKUlvE_clEvEUlddE_dEEDaPvRmT3_T4_T5_mT6_P12ihipStream_tbENKUlT_T0_E_clISt17integral_constantIbLb0EESW_EEDaSR_SS_EUlSR_E_NS1_11comp_targetILNS1_3genE9ELNS1_11target_archE1100ELNS1_3gpuE3ELNS1_3repE0EEENS1_30default_config_static_selectorELNS0_4arch9wavefront6targetE1EEEvT1_, .Lfunc_end9-_ZN7rocprim17ROCPRIM_400000_NS6detail17trampoline_kernelINS0_14default_configENS1_20scan_config_selectorIdEEZZNS1_9scan_implILNS1_25lookback_scan_determinismE0ELb0ELb0ES3_PKdPddZZZN2at6native31launch_logcumsumexp_cuda_kernelERKNSB_10TensorBaseESF_lENKUlvE_clEvENKUlvE_clEvEUlddE_dEEDaPvRmT3_T4_T5_mT6_P12ihipStream_tbENKUlT_T0_E_clISt17integral_constantIbLb0EESW_EEDaSR_SS_EUlSR_E_NS1_11comp_targetILNS1_3genE9ELNS1_11target_archE1100ELNS1_3gpuE3ELNS1_3repE0EEENS1_30default_config_static_selectorELNS0_4arch9wavefront6targetE1EEEvT1_
                                        ; -- End function
	.section	.AMDGPU.csdata,"",@progbits
; Kernel info:
; codeLenInByte = 0
; NumSgprs: 6
; NumVgprs: 0
; NumAgprs: 0
; TotalNumVgprs: 0
; ScratchSize: 0
; MemoryBound: 0
; FloatMode: 240
; IeeeMode: 1
; LDSByteSize: 0 bytes/workgroup (compile time only)
; SGPRBlocks: 0
; VGPRBlocks: 0
; NumSGPRsForWavesPerEU: 6
; NumVGPRsForWavesPerEU: 1
; AccumOffset: 4
; Occupancy: 8
; WaveLimiterHint : 0
; COMPUTE_PGM_RSRC2:SCRATCH_EN: 0
; COMPUTE_PGM_RSRC2:USER_SGPR: 2
; COMPUTE_PGM_RSRC2:TRAP_HANDLER: 0
; COMPUTE_PGM_RSRC2:TGID_X_EN: 1
; COMPUTE_PGM_RSRC2:TGID_Y_EN: 0
; COMPUTE_PGM_RSRC2:TGID_Z_EN: 0
; COMPUTE_PGM_RSRC2:TIDIG_COMP_CNT: 0
; COMPUTE_PGM_RSRC3_GFX90A:ACCUM_OFFSET: 0
; COMPUTE_PGM_RSRC3_GFX90A:TG_SPLIT: 0
	.section	.text._ZN7rocprim17ROCPRIM_400000_NS6detail17trampoline_kernelINS0_14default_configENS1_20scan_config_selectorIdEEZZNS1_9scan_implILNS1_25lookback_scan_determinismE0ELb0ELb0ES3_PKdPddZZZN2at6native31launch_logcumsumexp_cuda_kernelERKNSB_10TensorBaseESF_lENKUlvE_clEvENKUlvE_clEvEUlddE_dEEDaPvRmT3_T4_T5_mT6_P12ihipStream_tbENKUlT_T0_E_clISt17integral_constantIbLb0EESW_EEDaSR_SS_EUlSR_E_NS1_11comp_targetILNS1_3genE8ELNS1_11target_archE1030ELNS1_3gpuE2ELNS1_3repE0EEENS1_30default_config_static_selectorELNS0_4arch9wavefront6targetE1EEEvT1_,"axG",@progbits,_ZN7rocprim17ROCPRIM_400000_NS6detail17trampoline_kernelINS0_14default_configENS1_20scan_config_selectorIdEEZZNS1_9scan_implILNS1_25lookback_scan_determinismE0ELb0ELb0ES3_PKdPddZZZN2at6native31launch_logcumsumexp_cuda_kernelERKNSB_10TensorBaseESF_lENKUlvE_clEvENKUlvE_clEvEUlddE_dEEDaPvRmT3_T4_T5_mT6_P12ihipStream_tbENKUlT_T0_E_clISt17integral_constantIbLb0EESW_EEDaSR_SS_EUlSR_E_NS1_11comp_targetILNS1_3genE8ELNS1_11target_archE1030ELNS1_3gpuE2ELNS1_3repE0EEENS1_30default_config_static_selectorELNS0_4arch9wavefront6targetE1EEEvT1_,comdat
	.globl	_ZN7rocprim17ROCPRIM_400000_NS6detail17trampoline_kernelINS0_14default_configENS1_20scan_config_selectorIdEEZZNS1_9scan_implILNS1_25lookback_scan_determinismE0ELb0ELb0ES3_PKdPddZZZN2at6native31launch_logcumsumexp_cuda_kernelERKNSB_10TensorBaseESF_lENKUlvE_clEvENKUlvE_clEvEUlddE_dEEDaPvRmT3_T4_T5_mT6_P12ihipStream_tbENKUlT_T0_E_clISt17integral_constantIbLb0EESW_EEDaSR_SS_EUlSR_E_NS1_11comp_targetILNS1_3genE8ELNS1_11target_archE1030ELNS1_3gpuE2ELNS1_3repE0EEENS1_30default_config_static_selectorELNS0_4arch9wavefront6targetE1EEEvT1_ ; -- Begin function _ZN7rocprim17ROCPRIM_400000_NS6detail17trampoline_kernelINS0_14default_configENS1_20scan_config_selectorIdEEZZNS1_9scan_implILNS1_25lookback_scan_determinismE0ELb0ELb0ES3_PKdPddZZZN2at6native31launch_logcumsumexp_cuda_kernelERKNSB_10TensorBaseESF_lENKUlvE_clEvENKUlvE_clEvEUlddE_dEEDaPvRmT3_T4_T5_mT6_P12ihipStream_tbENKUlT_T0_E_clISt17integral_constantIbLb0EESW_EEDaSR_SS_EUlSR_E_NS1_11comp_targetILNS1_3genE8ELNS1_11target_archE1030ELNS1_3gpuE2ELNS1_3repE0EEENS1_30default_config_static_selectorELNS0_4arch9wavefront6targetE1EEEvT1_
	.p2align	8
	.type	_ZN7rocprim17ROCPRIM_400000_NS6detail17trampoline_kernelINS0_14default_configENS1_20scan_config_selectorIdEEZZNS1_9scan_implILNS1_25lookback_scan_determinismE0ELb0ELb0ES3_PKdPddZZZN2at6native31launch_logcumsumexp_cuda_kernelERKNSB_10TensorBaseESF_lENKUlvE_clEvENKUlvE_clEvEUlddE_dEEDaPvRmT3_T4_T5_mT6_P12ihipStream_tbENKUlT_T0_E_clISt17integral_constantIbLb0EESW_EEDaSR_SS_EUlSR_E_NS1_11comp_targetILNS1_3genE8ELNS1_11target_archE1030ELNS1_3gpuE2ELNS1_3repE0EEENS1_30default_config_static_selectorELNS0_4arch9wavefront6targetE1EEEvT1_,@function
_ZN7rocprim17ROCPRIM_400000_NS6detail17trampoline_kernelINS0_14default_configENS1_20scan_config_selectorIdEEZZNS1_9scan_implILNS1_25lookback_scan_determinismE0ELb0ELb0ES3_PKdPddZZZN2at6native31launch_logcumsumexp_cuda_kernelERKNSB_10TensorBaseESF_lENKUlvE_clEvENKUlvE_clEvEUlddE_dEEDaPvRmT3_T4_T5_mT6_P12ihipStream_tbENKUlT_T0_E_clISt17integral_constantIbLb0EESW_EEDaSR_SS_EUlSR_E_NS1_11comp_targetILNS1_3genE8ELNS1_11target_archE1030ELNS1_3gpuE2ELNS1_3repE0EEENS1_30default_config_static_selectorELNS0_4arch9wavefront6targetE1EEEvT1_: ; @_ZN7rocprim17ROCPRIM_400000_NS6detail17trampoline_kernelINS0_14default_configENS1_20scan_config_selectorIdEEZZNS1_9scan_implILNS1_25lookback_scan_determinismE0ELb0ELb0ES3_PKdPddZZZN2at6native31launch_logcumsumexp_cuda_kernelERKNSB_10TensorBaseESF_lENKUlvE_clEvENKUlvE_clEvEUlddE_dEEDaPvRmT3_T4_T5_mT6_P12ihipStream_tbENKUlT_T0_E_clISt17integral_constantIbLb0EESW_EEDaSR_SS_EUlSR_E_NS1_11comp_targetILNS1_3genE8ELNS1_11target_archE1030ELNS1_3gpuE2ELNS1_3repE0EEENS1_30default_config_static_selectorELNS0_4arch9wavefront6targetE1EEEvT1_
; %bb.0:
	.section	.rodata,"a",@progbits
	.p2align	6, 0x0
	.amdhsa_kernel _ZN7rocprim17ROCPRIM_400000_NS6detail17trampoline_kernelINS0_14default_configENS1_20scan_config_selectorIdEEZZNS1_9scan_implILNS1_25lookback_scan_determinismE0ELb0ELb0ES3_PKdPddZZZN2at6native31launch_logcumsumexp_cuda_kernelERKNSB_10TensorBaseESF_lENKUlvE_clEvENKUlvE_clEvEUlddE_dEEDaPvRmT3_T4_T5_mT6_P12ihipStream_tbENKUlT_T0_E_clISt17integral_constantIbLb0EESW_EEDaSR_SS_EUlSR_E_NS1_11comp_targetILNS1_3genE8ELNS1_11target_archE1030ELNS1_3gpuE2ELNS1_3repE0EEENS1_30default_config_static_selectorELNS0_4arch9wavefront6targetE1EEEvT1_
		.amdhsa_group_segment_fixed_size 0
		.amdhsa_private_segment_fixed_size 0
		.amdhsa_kernarg_size 104
		.amdhsa_user_sgpr_count 2
		.amdhsa_user_sgpr_dispatch_ptr 0
		.amdhsa_user_sgpr_queue_ptr 0
		.amdhsa_user_sgpr_kernarg_segment_ptr 1
		.amdhsa_user_sgpr_dispatch_id 0
		.amdhsa_user_sgpr_kernarg_preload_length 0
		.amdhsa_user_sgpr_kernarg_preload_offset 0
		.amdhsa_user_sgpr_private_segment_size 0
		.amdhsa_uses_dynamic_stack 0
		.amdhsa_enable_private_segment 0
		.amdhsa_system_sgpr_workgroup_id_x 1
		.amdhsa_system_sgpr_workgroup_id_y 0
		.amdhsa_system_sgpr_workgroup_id_z 0
		.amdhsa_system_sgpr_workgroup_info 0
		.amdhsa_system_vgpr_workitem_id 0
		.amdhsa_next_free_vgpr 1
		.amdhsa_next_free_sgpr 0
		.amdhsa_accum_offset 4
		.amdhsa_reserve_vcc 0
		.amdhsa_float_round_mode_32 0
		.amdhsa_float_round_mode_16_64 0
		.amdhsa_float_denorm_mode_32 3
		.amdhsa_float_denorm_mode_16_64 3
		.amdhsa_dx10_clamp 1
		.amdhsa_ieee_mode 1
		.amdhsa_fp16_overflow 0
		.amdhsa_tg_split 0
		.amdhsa_exception_fp_ieee_invalid_op 0
		.amdhsa_exception_fp_denorm_src 0
		.amdhsa_exception_fp_ieee_div_zero 0
		.amdhsa_exception_fp_ieee_overflow 0
		.amdhsa_exception_fp_ieee_underflow 0
		.amdhsa_exception_fp_ieee_inexact 0
		.amdhsa_exception_int_div_zero 0
	.end_amdhsa_kernel
	.section	.text._ZN7rocprim17ROCPRIM_400000_NS6detail17trampoline_kernelINS0_14default_configENS1_20scan_config_selectorIdEEZZNS1_9scan_implILNS1_25lookback_scan_determinismE0ELb0ELb0ES3_PKdPddZZZN2at6native31launch_logcumsumexp_cuda_kernelERKNSB_10TensorBaseESF_lENKUlvE_clEvENKUlvE_clEvEUlddE_dEEDaPvRmT3_T4_T5_mT6_P12ihipStream_tbENKUlT_T0_E_clISt17integral_constantIbLb0EESW_EEDaSR_SS_EUlSR_E_NS1_11comp_targetILNS1_3genE8ELNS1_11target_archE1030ELNS1_3gpuE2ELNS1_3repE0EEENS1_30default_config_static_selectorELNS0_4arch9wavefront6targetE1EEEvT1_,"axG",@progbits,_ZN7rocprim17ROCPRIM_400000_NS6detail17trampoline_kernelINS0_14default_configENS1_20scan_config_selectorIdEEZZNS1_9scan_implILNS1_25lookback_scan_determinismE0ELb0ELb0ES3_PKdPddZZZN2at6native31launch_logcumsumexp_cuda_kernelERKNSB_10TensorBaseESF_lENKUlvE_clEvENKUlvE_clEvEUlddE_dEEDaPvRmT3_T4_T5_mT6_P12ihipStream_tbENKUlT_T0_E_clISt17integral_constantIbLb0EESW_EEDaSR_SS_EUlSR_E_NS1_11comp_targetILNS1_3genE8ELNS1_11target_archE1030ELNS1_3gpuE2ELNS1_3repE0EEENS1_30default_config_static_selectorELNS0_4arch9wavefront6targetE1EEEvT1_,comdat
.Lfunc_end10:
	.size	_ZN7rocprim17ROCPRIM_400000_NS6detail17trampoline_kernelINS0_14default_configENS1_20scan_config_selectorIdEEZZNS1_9scan_implILNS1_25lookback_scan_determinismE0ELb0ELb0ES3_PKdPddZZZN2at6native31launch_logcumsumexp_cuda_kernelERKNSB_10TensorBaseESF_lENKUlvE_clEvENKUlvE_clEvEUlddE_dEEDaPvRmT3_T4_T5_mT6_P12ihipStream_tbENKUlT_T0_E_clISt17integral_constantIbLb0EESW_EEDaSR_SS_EUlSR_E_NS1_11comp_targetILNS1_3genE8ELNS1_11target_archE1030ELNS1_3gpuE2ELNS1_3repE0EEENS1_30default_config_static_selectorELNS0_4arch9wavefront6targetE1EEEvT1_, .Lfunc_end10-_ZN7rocprim17ROCPRIM_400000_NS6detail17trampoline_kernelINS0_14default_configENS1_20scan_config_selectorIdEEZZNS1_9scan_implILNS1_25lookback_scan_determinismE0ELb0ELb0ES3_PKdPddZZZN2at6native31launch_logcumsumexp_cuda_kernelERKNSB_10TensorBaseESF_lENKUlvE_clEvENKUlvE_clEvEUlddE_dEEDaPvRmT3_T4_T5_mT6_P12ihipStream_tbENKUlT_T0_E_clISt17integral_constantIbLb0EESW_EEDaSR_SS_EUlSR_E_NS1_11comp_targetILNS1_3genE8ELNS1_11target_archE1030ELNS1_3gpuE2ELNS1_3repE0EEENS1_30default_config_static_selectorELNS0_4arch9wavefront6targetE1EEEvT1_
                                        ; -- End function
	.section	.AMDGPU.csdata,"",@progbits
; Kernel info:
; codeLenInByte = 0
; NumSgprs: 6
; NumVgprs: 0
; NumAgprs: 0
; TotalNumVgprs: 0
; ScratchSize: 0
; MemoryBound: 0
; FloatMode: 240
; IeeeMode: 1
; LDSByteSize: 0 bytes/workgroup (compile time only)
; SGPRBlocks: 0
; VGPRBlocks: 0
; NumSGPRsForWavesPerEU: 6
; NumVGPRsForWavesPerEU: 1
; AccumOffset: 4
; Occupancy: 8
; WaveLimiterHint : 0
; COMPUTE_PGM_RSRC2:SCRATCH_EN: 0
; COMPUTE_PGM_RSRC2:USER_SGPR: 2
; COMPUTE_PGM_RSRC2:TRAP_HANDLER: 0
; COMPUTE_PGM_RSRC2:TGID_X_EN: 1
; COMPUTE_PGM_RSRC2:TGID_Y_EN: 0
; COMPUTE_PGM_RSRC2:TGID_Z_EN: 0
; COMPUTE_PGM_RSRC2:TIDIG_COMP_CNT: 0
; COMPUTE_PGM_RSRC3_GFX90A:ACCUM_OFFSET: 0
; COMPUTE_PGM_RSRC3_GFX90A:TG_SPLIT: 0
	.section	.text._ZN7rocprim17ROCPRIM_400000_NS6detail17trampoline_kernelINS0_14default_configENS1_25transform_config_selectorIdLb1EEEZNS1_14transform_implILb1ES3_S5_PdS7_NS0_8identityIdEEEE10hipError_tT2_T3_mT4_P12ihipStream_tbEUlT_E_NS1_11comp_targetILNS1_3genE0ELNS1_11target_archE4294967295ELNS1_3gpuE0ELNS1_3repE0EEENS1_30default_config_static_selectorELNS0_4arch9wavefront6targetE1EEEvT1_,"axG",@progbits,_ZN7rocprim17ROCPRIM_400000_NS6detail17trampoline_kernelINS0_14default_configENS1_25transform_config_selectorIdLb1EEEZNS1_14transform_implILb1ES3_S5_PdS7_NS0_8identityIdEEEE10hipError_tT2_T3_mT4_P12ihipStream_tbEUlT_E_NS1_11comp_targetILNS1_3genE0ELNS1_11target_archE4294967295ELNS1_3gpuE0ELNS1_3repE0EEENS1_30default_config_static_selectorELNS0_4arch9wavefront6targetE1EEEvT1_,comdat
	.protected	_ZN7rocprim17ROCPRIM_400000_NS6detail17trampoline_kernelINS0_14default_configENS1_25transform_config_selectorIdLb1EEEZNS1_14transform_implILb1ES3_S5_PdS7_NS0_8identityIdEEEE10hipError_tT2_T3_mT4_P12ihipStream_tbEUlT_E_NS1_11comp_targetILNS1_3genE0ELNS1_11target_archE4294967295ELNS1_3gpuE0ELNS1_3repE0EEENS1_30default_config_static_selectorELNS0_4arch9wavefront6targetE1EEEvT1_ ; -- Begin function _ZN7rocprim17ROCPRIM_400000_NS6detail17trampoline_kernelINS0_14default_configENS1_25transform_config_selectorIdLb1EEEZNS1_14transform_implILb1ES3_S5_PdS7_NS0_8identityIdEEEE10hipError_tT2_T3_mT4_P12ihipStream_tbEUlT_E_NS1_11comp_targetILNS1_3genE0ELNS1_11target_archE4294967295ELNS1_3gpuE0ELNS1_3repE0EEENS1_30default_config_static_selectorELNS0_4arch9wavefront6targetE1EEEvT1_
	.globl	_ZN7rocprim17ROCPRIM_400000_NS6detail17trampoline_kernelINS0_14default_configENS1_25transform_config_selectorIdLb1EEEZNS1_14transform_implILb1ES3_S5_PdS7_NS0_8identityIdEEEE10hipError_tT2_T3_mT4_P12ihipStream_tbEUlT_E_NS1_11comp_targetILNS1_3genE0ELNS1_11target_archE4294967295ELNS1_3gpuE0ELNS1_3repE0EEENS1_30default_config_static_selectorELNS0_4arch9wavefront6targetE1EEEvT1_
	.p2align	8
	.type	_ZN7rocprim17ROCPRIM_400000_NS6detail17trampoline_kernelINS0_14default_configENS1_25transform_config_selectorIdLb1EEEZNS1_14transform_implILb1ES3_S5_PdS7_NS0_8identityIdEEEE10hipError_tT2_T3_mT4_P12ihipStream_tbEUlT_E_NS1_11comp_targetILNS1_3genE0ELNS1_11target_archE4294967295ELNS1_3gpuE0ELNS1_3repE0EEENS1_30default_config_static_selectorELNS0_4arch9wavefront6targetE1EEEvT1_,@function
_ZN7rocprim17ROCPRIM_400000_NS6detail17trampoline_kernelINS0_14default_configENS1_25transform_config_selectorIdLb1EEEZNS1_14transform_implILb1ES3_S5_PdS7_NS0_8identityIdEEEE10hipError_tT2_T3_mT4_P12ihipStream_tbEUlT_E_NS1_11comp_targetILNS1_3genE0ELNS1_11target_archE4294967295ELNS1_3gpuE0ELNS1_3repE0EEENS1_30default_config_static_selectorELNS0_4arch9wavefront6targetE1EEEvT1_: ; @_ZN7rocprim17ROCPRIM_400000_NS6detail17trampoline_kernelINS0_14default_configENS1_25transform_config_selectorIdLb1EEEZNS1_14transform_implILb1ES3_S5_PdS7_NS0_8identityIdEEEE10hipError_tT2_T3_mT4_P12ihipStream_tbEUlT_E_NS1_11comp_targetILNS1_3genE0ELNS1_11target_archE4294967295ELNS1_3gpuE0ELNS1_3repE0EEENS1_30default_config_static_selectorELNS0_4arch9wavefront6targetE1EEEvT1_
; %bb.0:
	.section	.rodata,"a",@progbits
	.p2align	6, 0x0
	.amdhsa_kernel _ZN7rocprim17ROCPRIM_400000_NS6detail17trampoline_kernelINS0_14default_configENS1_25transform_config_selectorIdLb1EEEZNS1_14transform_implILb1ES3_S5_PdS7_NS0_8identityIdEEEE10hipError_tT2_T3_mT4_P12ihipStream_tbEUlT_E_NS1_11comp_targetILNS1_3genE0ELNS1_11target_archE4294967295ELNS1_3gpuE0ELNS1_3repE0EEENS1_30default_config_static_selectorELNS0_4arch9wavefront6targetE1EEEvT1_
		.amdhsa_group_segment_fixed_size 0
		.amdhsa_private_segment_fixed_size 0
		.amdhsa_kernarg_size 40
		.amdhsa_user_sgpr_count 2
		.amdhsa_user_sgpr_dispatch_ptr 0
		.amdhsa_user_sgpr_queue_ptr 0
		.amdhsa_user_sgpr_kernarg_segment_ptr 1
		.amdhsa_user_sgpr_dispatch_id 0
		.amdhsa_user_sgpr_kernarg_preload_length 0
		.amdhsa_user_sgpr_kernarg_preload_offset 0
		.amdhsa_user_sgpr_private_segment_size 0
		.amdhsa_uses_dynamic_stack 0
		.amdhsa_enable_private_segment 0
		.amdhsa_system_sgpr_workgroup_id_x 1
		.amdhsa_system_sgpr_workgroup_id_y 0
		.amdhsa_system_sgpr_workgroup_id_z 0
		.amdhsa_system_sgpr_workgroup_info 0
		.amdhsa_system_vgpr_workitem_id 0
		.amdhsa_next_free_vgpr 1
		.amdhsa_next_free_sgpr 0
		.amdhsa_accum_offset 4
		.amdhsa_reserve_vcc 0
		.amdhsa_float_round_mode_32 0
		.amdhsa_float_round_mode_16_64 0
		.amdhsa_float_denorm_mode_32 3
		.amdhsa_float_denorm_mode_16_64 3
		.amdhsa_dx10_clamp 1
		.amdhsa_ieee_mode 1
		.amdhsa_fp16_overflow 0
		.amdhsa_tg_split 0
		.amdhsa_exception_fp_ieee_invalid_op 0
		.amdhsa_exception_fp_denorm_src 0
		.amdhsa_exception_fp_ieee_div_zero 0
		.amdhsa_exception_fp_ieee_overflow 0
		.amdhsa_exception_fp_ieee_underflow 0
		.amdhsa_exception_fp_ieee_inexact 0
		.amdhsa_exception_int_div_zero 0
	.end_amdhsa_kernel
	.section	.text._ZN7rocprim17ROCPRIM_400000_NS6detail17trampoline_kernelINS0_14default_configENS1_25transform_config_selectorIdLb1EEEZNS1_14transform_implILb1ES3_S5_PdS7_NS0_8identityIdEEEE10hipError_tT2_T3_mT4_P12ihipStream_tbEUlT_E_NS1_11comp_targetILNS1_3genE0ELNS1_11target_archE4294967295ELNS1_3gpuE0ELNS1_3repE0EEENS1_30default_config_static_selectorELNS0_4arch9wavefront6targetE1EEEvT1_,"axG",@progbits,_ZN7rocprim17ROCPRIM_400000_NS6detail17trampoline_kernelINS0_14default_configENS1_25transform_config_selectorIdLb1EEEZNS1_14transform_implILb1ES3_S5_PdS7_NS0_8identityIdEEEE10hipError_tT2_T3_mT4_P12ihipStream_tbEUlT_E_NS1_11comp_targetILNS1_3genE0ELNS1_11target_archE4294967295ELNS1_3gpuE0ELNS1_3repE0EEENS1_30default_config_static_selectorELNS0_4arch9wavefront6targetE1EEEvT1_,comdat
.Lfunc_end11:
	.size	_ZN7rocprim17ROCPRIM_400000_NS6detail17trampoline_kernelINS0_14default_configENS1_25transform_config_selectorIdLb1EEEZNS1_14transform_implILb1ES3_S5_PdS7_NS0_8identityIdEEEE10hipError_tT2_T3_mT4_P12ihipStream_tbEUlT_E_NS1_11comp_targetILNS1_3genE0ELNS1_11target_archE4294967295ELNS1_3gpuE0ELNS1_3repE0EEENS1_30default_config_static_selectorELNS0_4arch9wavefront6targetE1EEEvT1_, .Lfunc_end11-_ZN7rocprim17ROCPRIM_400000_NS6detail17trampoline_kernelINS0_14default_configENS1_25transform_config_selectorIdLb1EEEZNS1_14transform_implILb1ES3_S5_PdS7_NS0_8identityIdEEEE10hipError_tT2_T3_mT4_P12ihipStream_tbEUlT_E_NS1_11comp_targetILNS1_3genE0ELNS1_11target_archE4294967295ELNS1_3gpuE0ELNS1_3repE0EEENS1_30default_config_static_selectorELNS0_4arch9wavefront6targetE1EEEvT1_
                                        ; -- End function
	.section	.AMDGPU.csdata,"",@progbits
; Kernel info:
; codeLenInByte = 0
; NumSgprs: 6
; NumVgprs: 0
; NumAgprs: 0
; TotalNumVgprs: 0
; ScratchSize: 0
; MemoryBound: 0
; FloatMode: 240
; IeeeMode: 1
; LDSByteSize: 0 bytes/workgroup (compile time only)
; SGPRBlocks: 0
; VGPRBlocks: 0
; NumSGPRsForWavesPerEU: 6
; NumVGPRsForWavesPerEU: 1
; AccumOffset: 4
; Occupancy: 8
; WaveLimiterHint : 0
; COMPUTE_PGM_RSRC2:SCRATCH_EN: 0
; COMPUTE_PGM_RSRC2:USER_SGPR: 2
; COMPUTE_PGM_RSRC2:TRAP_HANDLER: 0
; COMPUTE_PGM_RSRC2:TGID_X_EN: 1
; COMPUTE_PGM_RSRC2:TGID_Y_EN: 0
; COMPUTE_PGM_RSRC2:TGID_Z_EN: 0
; COMPUTE_PGM_RSRC2:TIDIG_COMP_CNT: 0
; COMPUTE_PGM_RSRC3_GFX90A:ACCUM_OFFSET: 0
; COMPUTE_PGM_RSRC3_GFX90A:TG_SPLIT: 0
	.section	.text._ZN7rocprim17ROCPRIM_400000_NS6detail17trampoline_kernelINS0_14default_configENS1_25transform_config_selectorIdLb1EEEZNS1_14transform_implILb1ES3_S5_PdS7_NS0_8identityIdEEEE10hipError_tT2_T3_mT4_P12ihipStream_tbEUlT_E_NS1_11comp_targetILNS1_3genE10ELNS1_11target_archE1201ELNS1_3gpuE5ELNS1_3repE0EEENS1_30default_config_static_selectorELNS0_4arch9wavefront6targetE1EEEvT1_,"axG",@progbits,_ZN7rocprim17ROCPRIM_400000_NS6detail17trampoline_kernelINS0_14default_configENS1_25transform_config_selectorIdLb1EEEZNS1_14transform_implILb1ES3_S5_PdS7_NS0_8identityIdEEEE10hipError_tT2_T3_mT4_P12ihipStream_tbEUlT_E_NS1_11comp_targetILNS1_3genE10ELNS1_11target_archE1201ELNS1_3gpuE5ELNS1_3repE0EEENS1_30default_config_static_selectorELNS0_4arch9wavefront6targetE1EEEvT1_,comdat
	.protected	_ZN7rocprim17ROCPRIM_400000_NS6detail17trampoline_kernelINS0_14default_configENS1_25transform_config_selectorIdLb1EEEZNS1_14transform_implILb1ES3_S5_PdS7_NS0_8identityIdEEEE10hipError_tT2_T3_mT4_P12ihipStream_tbEUlT_E_NS1_11comp_targetILNS1_3genE10ELNS1_11target_archE1201ELNS1_3gpuE5ELNS1_3repE0EEENS1_30default_config_static_selectorELNS0_4arch9wavefront6targetE1EEEvT1_ ; -- Begin function _ZN7rocprim17ROCPRIM_400000_NS6detail17trampoline_kernelINS0_14default_configENS1_25transform_config_selectorIdLb1EEEZNS1_14transform_implILb1ES3_S5_PdS7_NS0_8identityIdEEEE10hipError_tT2_T3_mT4_P12ihipStream_tbEUlT_E_NS1_11comp_targetILNS1_3genE10ELNS1_11target_archE1201ELNS1_3gpuE5ELNS1_3repE0EEENS1_30default_config_static_selectorELNS0_4arch9wavefront6targetE1EEEvT1_
	.globl	_ZN7rocprim17ROCPRIM_400000_NS6detail17trampoline_kernelINS0_14default_configENS1_25transform_config_selectorIdLb1EEEZNS1_14transform_implILb1ES3_S5_PdS7_NS0_8identityIdEEEE10hipError_tT2_T3_mT4_P12ihipStream_tbEUlT_E_NS1_11comp_targetILNS1_3genE10ELNS1_11target_archE1201ELNS1_3gpuE5ELNS1_3repE0EEENS1_30default_config_static_selectorELNS0_4arch9wavefront6targetE1EEEvT1_
	.p2align	8
	.type	_ZN7rocprim17ROCPRIM_400000_NS6detail17trampoline_kernelINS0_14default_configENS1_25transform_config_selectorIdLb1EEEZNS1_14transform_implILb1ES3_S5_PdS7_NS0_8identityIdEEEE10hipError_tT2_T3_mT4_P12ihipStream_tbEUlT_E_NS1_11comp_targetILNS1_3genE10ELNS1_11target_archE1201ELNS1_3gpuE5ELNS1_3repE0EEENS1_30default_config_static_selectorELNS0_4arch9wavefront6targetE1EEEvT1_,@function
_ZN7rocprim17ROCPRIM_400000_NS6detail17trampoline_kernelINS0_14default_configENS1_25transform_config_selectorIdLb1EEEZNS1_14transform_implILb1ES3_S5_PdS7_NS0_8identityIdEEEE10hipError_tT2_T3_mT4_P12ihipStream_tbEUlT_E_NS1_11comp_targetILNS1_3genE10ELNS1_11target_archE1201ELNS1_3gpuE5ELNS1_3repE0EEENS1_30default_config_static_selectorELNS0_4arch9wavefront6targetE1EEEvT1_: ; @_ZN7rocprim17ROCPRIM_400000_NS6detail17trampoline_kernelINS0_14default_configENS1_25transform_config_selectorIdLb1EEEZNS1_14transform_implILb1ES3_S5_PdS7_NS0_8identityIdEEEE10hipError_tT2_T3_mT4_P12ihipStream_tbEUlT_E_NS1_11comp_targetILNS1_3genE10ELNS1_11target_archE1201ELNS1_3gpuE5ELNS1_3repE0EEENS1_30default_config_static_selectorELNS0_4arch9wavefront6targetE1EEEvT1_
; %bb.0:
	.section	.rodata,"a",@progbits
	.p2align	6, 0x0
	.amdhsa_kernel _ZN7rocprim17ROCPRIM_400000_NS6detail17trampoline_kernelINS0_14default_configENS1_25transform_config_selectorIdLb1EEEZNS1_14transform_implILb1ES3_S5_PdS7_NS0_8identityIdEEEE10hipError_tT2_T3_mT4_P12ihipStream_tbEUlT_E_NS1_11comp_targetILNS1_3genE10ELNS1_11target_archE1201ELNS1_3gpuE5ELNS1_3repE0EEENS1_30default_config_static_selectorELNS0_4arch9wavefront6targetE1EEEvT1_
		.amdhsa_group_segment_fixed_size 0
		.amdhsa_private_segment_fixed_size 0
		.amdhsa_kernarg_size 40
		.amdhsa_user_sgpr_count 2
		.amdhsa_user_sgpr_dispatch_ptr 0
		.amdhsa_user_sgpr_queue_ptr 0
		.amdhsa_user_sgpr_kernarg_segment_ptr 1
		.amdhsa_user_sgpr_dispatch_id 0
		.amdhsa_user_sgpr_kernarg_preload_length 0
		.amdhsa_user_sgpr_kernarg_preload_offset 0
		.amdhsa_user_sgpr_private_segment_size 0
		.amdhsa_uses_dynamic_stack 0
		.amdhsa_enable_private_segment 0
		.amdhsa_system_sgpr_workgroup_id_x 1
		.amdhsa_system_sgpr_workgroup_id_y 0
		.amdhsa_system_sgpr_workgroup_id_z 0
		.amdhsa_system_sgpr_workgroup_info 0
		.amdhsa_system_vgpr_workitem_id 0
		.amdhsa_next_free_vgpr 1
		.amdhsa_next_free_sgpr 0
		.amdhsa_accum_offset 4
		.amdhsa_reserve_vcc 0
		.amdhsa_float_round_mode_32 0
		.amdhsa_float_round_mode_16_64 0
		.amdhsa_float_denorm_mode_32 3
		.amdhsa_float_denorm_mode_16_64 3
		.amdhsa_dx10_clamp 1
		.amdhsa_ieee_mode 1
		.amdhsa_fp16_overflow 0
		.amdhsa_tg_split 0
		.amdhsa_exception_fp_ieee_invalid_op 0
		.amdhsa_exception_fp_denorm_src 0
		.amdhsa_exception_fp_ieee_div_zero 0
		.amdhsa_exception_fp_ieee_overflow 0
		.amdhsa_exception_fp_ieee_underflow 0
		.amdhsa_exception_fp_ieee_inexact 0
		.amdhsa_exception_int_div_zero 0
	.end_amdhsa_kernel
	.section	.text._ZN7rocprim17ROCPRIM_400000_NS6detail17trampoline_kernelINS0_14default_configENS1_25transform_config_selectorIdLb1EEEZNS1_14transform_implILb1ES3_S5_PdS7_NS0_8identityIdEEEE10hipError_tT2_T3_mT4_P12ihipStream_tbEUlT_E_NS1_11comp_targetILNS1_3genE10ELNS1_11target_archE1201ELNS1_3gpuE5ELNS1_3repE0EEENS1_30default_config_static_selectorELNS0_4arch9wavefront6targetE1EEEvT1_,"axG",@progbits,_ZN7rocprim17ROCPRIM_400000_NS6detail17trampoline_kernelINS0_14default_configENS1_25transform_config_selectorIdLb1EEEZNS1_14transform_implILb1ES3_S5_PdS7_NS0_8identityIdEEEE10hipError_tT2_T3_mT4_P12ihipStream_tbEUlT_E_NS1_11comp_targetILNS1_3genE10ELNS1_11target_archE1201ELNS1_3gpuE5ELNS1_3repE0EEENS1_30default_config_static_selectorELNS0_4arch9wavefront6targetE1EEEvT1_,comdat
.Lfunc_end12:
	.size	_ZN7rocprim17ROCPRIM_400000_NS6detail17trampoline_kernelINS0_14default_configENS1_25transform_config_selectorIdLb1EEEZNS1_14transform_implILb1ES3_S5_PdS7_NS0_8identityIdEEEE10hipError_tT2_T3_mT4_P12ihipStream_tbEUlT_E_NS1_11comp_targetILNS1_3genE10ELNS1_11target_archE1201ELNS1_3gpuE5ELNS1_3repE0EEENS1_30default_config_static_selectorELNS0_4arch9wavefront6targetE1EEEvT1_, .Lfunc_end12-_ZN7rocprim17ROCPRIM_400000_NS6detail17trampoline_kernelINS0_14default_configENS1_25transform_config_selectorIdLb1EEEZNS1_14transform_implILb1ES3_S5_PdS7_NS0_8identityIdEEEE10hipError_tT2_T3_mT4_P12ihipStream_tbEUlT_E_NS1_11comp_targetILNS1_3genE10ELNS1_11target_archE1201ELNS1_3gpuE5ELNS1_3repE0EEENS1_30default_config_static_selectorELNS0_4arch9wavefront6targetE1EEEvT1_
                                        ; -- End function
	.section	.AMDGPU.csdata,"",@progbits
; Kernel info:
; codeLenInByte = 0
; NumSgprs: 6
; NumVgprs: 0
; NumAgprs: 0
; TotalNumVgprs: 0
; ScratchSize: 0
; MemoryBound: 0
; FloatMode: 240
; IeeeMode: 1
; LDSByteSize: 0 bytes/workgroup (compile time only)
; SGPRBlocks: 0
; VGPRBlocks: 0
; NumSGPRsForWavesPerEU: 6
; NumVGPRsForWavesPerEU: 1
; AccumOffset: 4
; Occupancy: 8
; WaveLimiterHint : 0
; COMPUTE_PGM_RSRC2:SCRATCH_EN: 0
; COMPUTE_PGM_RSRC2:USER_SGPR: 2
; COMPUTE_PGM_RSRC2:TRAP_HANDLER: 0
; COMPUTE_PGM_RSRC2:TGID_X_EN: 1
; COMPUTE_PGM_RSRC2:TGID_Y_EN: 0
; COMPUTE_PGM_RSRC2:TGID_Z_EN: 0
; COMPUTE_PGM_RSRC2:TIDIG_COMP_CNT: 0
; COMPUTE_PGM_RSRC3_GFX90A:ACCUM_OFFSET: 0
; COMPUTE_PGM_RSRC3_GFX90A:TG_SPLIT: 0
	.section	.text._ZN7rocprim17ROCPRIM_400000_NS6detail17trampoline_kernelINS0_14default_configENS1_25transform_config_selectorIdLb1EEEZNS1_14transform_implILb1ES3_S5_PdS7_NS0_8identityIdEEEE10hipError_tT2_T3_mT4_P12ihipStream_tbEUlT_E_NS1_11comp_targetILNS1_3genE5ELNS1_11target_archE942ELNS1_3gpuE9ELNS1_3repE0EEENS1_30default_config_static_selectorELNS0_4arch9wavefront6targetE1EEEvT1_,"axG",@progbits,_ZN7rocprim17ROCPRIM_400000_NS6detail17trampoline_kernelINS0_14default_configENS1_25transform_config_selectorIdLb1EEEZNS1_14transform_implILb1ES3_S5_PdS7_NS0_8identityIdEEEE10hipError_tT2_T3_mT4_P12ihipStream_tbEUlT_E_NS1_11comp_targetILNS1_3genE5ELNS1_11target_archE942ELNS1_3gpuE9ELNS1_3repE0EEENS1_30default_config_static_selectorELNS0_4arch9wavefront6targetE1EEEvT1_,comdat
	.protected	_ZN7rocprim17ROCPRIM_400000_NS6detail17trampoline_kernelINS0_14default_configENS1_25transform_config_selectorIdLb1EEEZNS1_14transform_implILb1ES3_S5_PdS7_NS0_8identityIdEEEE10hipError_tT2_T3_mT4_P12ihipStream_tbEUlT_E_NS1_11comp_targetILNS1_3genE5ELNS1_11target_archE942ELNS1_3gpuE9ELNS1_3repE0EEENS1_30default_config_static_selectorELNS0_4arch9wavefront6targetE1EEEvT1_ ; -- Begin function _ZN7rocprim17ROCPRIM_400000_NS6detail17trampoline_kernelINS0_14default_configENS1_25transform_config_selectorIdLb1EEEZNS1_14transform_implILb1ES3_S5_PdS7_NS0_8identityIdEEEE10hipError_tT2_T3_mT4_P12ihipStream_tbEUlT_E_NS1_11comp_targetILNS1_3genE5ELNS1_11target_archE942ELNS1_3gpuE9ELNS1_3repE0EEENS1_30default_config_static_selectorELNS0_4arch9wavefront6targetE1EEEvT1_
	.globl	_ZN7rocprim17ROCPRIM_400000_NS6detail17trampoline_kernelINS0_14default_configENS1_25transform_config_selectorIdLb1EEEZNS1_14transform_implILb1ES3_S5_PdS7_NS0_8identityIdEEEE10hipError_tT2_T3_mT4_P12ihipStream_tbEUlT_E_NS1_11comp_targetILNS1_3genE5ELNS1_11target_archE942ELNS1_3gpuE9ELNS1_3repE0EEENS1_30default_config_static_selectorELNS0_4arch9wavefront6targetE1EEEvT1_
	.p2align	8
	.type	_ZN7rocprim17ROCPRIM_400000_NS6detail17trampoline_kernelINS0_14default_configENS1_25transform_config_selectorIdLb1EEEZNS1_14transform_implILb1ES3_S5_PdS7_NS0_8identityIdEEEE10hipError_tT2_T3_mT4_P12ihipStream_tbEUlT_E_NS1_11comp_targetILNS1_3genE5ELNS1_11target_archE942ELNS1_3gpuE9ELNS1_3repE0EEENS1_30default_config_static_selectorELNS0_4arch9wavefront6targetE1EEEvT1_,@function
_ZN7rocprim17ROCPRIM_400000_NS6detail17trampoline_kernelINS0_14default_configENS1_25transform_config_selectorIdLb1EEEZNS1_14transform_implILb1ES3_S5_PdS7_NS0_8identityIdEEEE10hipError_tT2_T3_mT4_P12ihipStream_tbEUlT_E_NS1_11comp_targetILNS1_3genE5ELNS1_11target_archE942ELNS1_3gpuE9ELNS1_3repE0EEENS1_30default_config_static_selectorELNS0_4arch9wavefront6targetE1EEEvT1_: ; @_ZN7rocprim17ROCPRIM_400000_NS6detail17trampoline_kernelINS0_14default_configENS1_25transform_config_selectorIdLb1EEEZNS1_14transform_implILb1ES3_S5_PdS7_NS0_8identityIdEEEE10hipError_tT2_T3_mT4_P12ihipStream_tbEUlT_E_NS1_11comp_targetILNS1_3genE5ELNS1_11target_archE942ELNS1_3gpuE9ELNS1_3repE0EEENS1_30default_config_static_selectorELNS0_4arch9wavefront6targetE1EEEvT1_
; %bb.0:
	s_load_dwordx8 s[4:11], s[0:1], 0x0
	s_load_dword s3, s[0:1], 0x28
	s_waitcnt lgkmcnt(0)
	s_lshl_b64 s[0:1], s[6:7], 3
	s_add_u32 s6, s4, s0
	s_addc_u32 s7, s5, s1
	s_add_u32 s9, s10, s0
	s_addc_u32 s10, s11, s1
	s_lshl_b32 s0, s2, 11
	s_mov_b32 s1, 0
	s_add_i32 s3, s3, -1
	s_lshl_b64 s[4:5], s[0:1], 3
	s_add_u32 s6, s6, s4
	s_addc_u32 s7, s7, s5
	s_cmp_lg_u32 s2, s3
	s_mov_b64 s[2:3], -1
	s_cbranch_scc0 .LBB13_2
; %bb.1:
	v_lshlrev_b32_e32 v1, 4, v0
	global_load_dwordx4 v[2:5], v1, s[6:7] nt
	s_add_u32 s2, s9, s4
	s_addc_u32 s3, s10, s5
	s_waitcnt vmcnt(0)
	global_store_dwordx4 v1, v[2:5], s[2:3]
	s_mov_b64 s[2:3], 0
.LBB13_2:
	s_andn2_b64 vcc, exec, s[2:3]
	s_cbranch_vccnz .LBB13_11
; %bb.3:
	s_sub_i32 s2, s8, s0
	v_cmp_gt_u32_e32 vcc, s2, v0
	v_lshlrev_b32_e32 v6, 3, v0
                                        ; implicit-def: $vgpr2_vgpr3_vgpr4_vgpr5
	s_and_saveexec_b64 s[0:1], vcc
	s_cbranch_execz .LBB13_5
; %bb.4:
	global_load_dwordx2 v[2:3], v6, s[6:7]
.LBB13_5:
	s_or_b64 exec, exec, s[0:1]
	v_or_b32_e32 v0, 0x400, v0
	v_cmp_gt_u32_e64 s[0:1], s2, v0
	s_and_saveexec_b64 s[2:3], s[0:1]
	s_cbranch_execz .LBB13_7
; %bb.6:
	v_lshlrev_b32_e32 v0, 3, v0
	global_load_dwordx2 v[4:5], v0, s[6:7]
.LBB13_7:
	s_or_b64 exec, exec, s[2:3]
	s_add_u32 s2, s9, s4
	s_addc_u32 s3, s10, s5
	v_mov_b32_e32 v7, 0
	v_lshl_add_u64 v[0:1], s[2:3], 0, v[6:7]
	s_and_saveexec_b64 s[2:3], vcc
	s_cbranch_execz .LBB13_9
; %bb.8:
	s_waitcnt vmcnt(0)
	global_store_dwordx2 v[0:1], v[2:3], off
.LBB13_9:
	s_or_b64 exec, exec, s[2:3]
	s_and_saveexec_b64 s[2:3], s[0:1]
	s_cbranch_execz .LBB13_11
; %bb.10:
	v_add_co_u32_e32 v0, vcc, 0x2000, v0
	s_nop 1
	v_addc_co_u32_e32 v1, vcc, 0, v1, vcc
	s_waitcnt vmcnt(0)
	global_store_dwordx2 v[0:1], v[4:5], off
.LBB13_11:
	s_endpgm
	.section	.rodata,"a",@progbits
	.p2align	6, 0x0
	.amdhsa_kernel _ZN7rocprim17ROCPRIM_400000_NS6detail17trampoline_kernelINS0_14default_configENS1_25transform_config_selectorIdLb1EEEZNS1_14transform_implILb1ES3_S5_PdS7_NS0_8identityIdEEEE10hipError_tT2_T3_mT4_P12ihipStream_tbEUlT_E_NS1_11comp_targetILNS1_3genE5ELNS1_11target_archE942ELNS1_3gpuE9ELNS1_3repE0EEENS1_30default_config_static_selectorELNS0_4arch9wavefront6targetE1EEEvT1_
		.amdhsa_group_segment_fixed_size 0
		.amdhsa_private_segment_fixed_size 0
		.amdhsa_kernarg_size 296
		.amdhsa_user_sgpr_count 2
		.amdhsa_user_sgpr_dispatch_ptr 0
		.amdhsa_user_sgpr_queue_ptr 0
		.amdhsa_user_sgpr_kernarg_segment_ptr 1
		.amdhsa_user_sgpr_dispatch_id 0
		.amdhsa_user_sgpr_kernarg_preload_length 0
		.amdhsa_user_sgpr_kernarg_preload_offset 0
		.amdhsa_user_sgpr_private_segment_size 0
		.amdhsa_uses_dynamic_stack 0
		.amdhsa_enable_private_segment 0
		.amdhsa_system_sgpr_workgroup_id_x 1
		.amdhsa_system_sgpr_workgroup_id_y 0
		.amdhsa_system_sgpr_workgroup_id_z 0
		.amdhsa_system_sgpr_workgroup_info 0
		.amdhsa_system_vgpr_workitem_id 0
		.amdhsa_next_free_vgpr 8
		.amdhsa_next_free_sgpr 12
		.amdhsa_accum_offset 8
		.amdhsa_reserve_vcc 1
		.amdhsa_float_round_mode_32 0
		.amdhsa_float_round_mode_16_64 0
		.amdhsa_float_denorm_mode_32 3
		.amdhsa_float_denorm_mode_16_64 3
		.amdhsa_dx10_clamp 1
		.amdhsa_ieee_mode 1
		.amdhsa_fp16_overflow 0
		.amdhsa_tg_split 0
		.amdhsa_exception_fp_ieee_invalid_op 0
		.amdhsa_exception_fp_denorm_src 0
		.amdhsa_exception_fp_ieee_div_zero 0
		.amdhsa_exception_fp_ieee_overflow 0
		.amdhsa_exception_fp_ieee_underflow 0
		.amdhsa_exception_fp_ieee_inexact 0
		.amdhsa_exception_int_div_zero 0
	.end_amdhsa_kernel
	.section	.text._ZN7rocprim17ROCPRIM_400000_NS6detail17trampoline_kernelINS0_14default_configENS1_25transform_config_selectorIdLb1EEEZNS1_14transform_implILb1ES3_S5_PdS7_NS0_8identityIdEEEE10hipError_tT2_T3_mT4_P12ihipStream_tbEUlT_E_NS1_11comp_targetILNS1_3genE5ELNS1_11target_archE942ELNS1_3gpuE9ELNS1_3repE0EEENS1_30default_config_static_selectorELNS0_4arch9wavefront6targetE1EEEvT1_,"axG",@progbits,_ZN7rocprim17ROCPRIM_400000_NS6detail17trampoline_kernelINS0_14default_configENS1_25transform_config_selectorIdLb1EEEZNS1_14transform_implILb1ES3_S5_PdS7_NS0_8identityIdEEEE10hipError_tT2_T3_mT4_P12ihipStream_tbEUlT_E_NS1_11comp_targetILNS1_3genE5ELNS1_11target_archE942ELNS1_3gpuE9ELNS1_3repE0EEENS1_30default_config_static_selectorELNS0_4arch9wavefront6targetE1EEEvT1_,comdat
.Lfunc_end13:
	.size	_ZN7rocprim17ROCPRIM_400000_NS6detail17trampoline_kernelINS0_14default_configENS1_25transform_config_selectorIdLb1EEEZNS1_14transform_implILb1ES3_S5_PdS7_NS0_8identityIdEEEE10hipError_tT2_T3_mT4_P12ihipStream_tbEUlT_E_NS1_11comp_targetILNS1_3genE5ELNS1_11target_archE942ELNS1_3gpuE9ELNS1_3repE0EEENS1_30default_config_static_selectorELNS0_4arch9wavefront6targetE1EEEvT1_, .Lfunc_end13-_ZN7rocprim17ROCPRIM_400000_NS6detail17trampoline_kernelINS0_14default_configENS1_25transform_config_selectorIdLb1EEEZNS1_14transform_implILb1ES3_S5_PdS7_NS0_8identityIdEEEE10hipError_tT2_T3_mT4_P12ihipStream_tbEUlT_E_NS1_11comp_targetILNS1_3genE5ELNS1_11target_archE942ELNS1_3gpuE9ELNS1_3repE0EEENS1_30default_config_static_selectorELNS0_4arch9wavefront6targetE1EEEvT1_
                                        ; -- End function
	.section	.AMDGPU.csdata,"",@progbits
; Kernel info:
; codeLenInByte = 276
; NumSgprs: 18
; NumVgprs: 8
; NumAgprs: 0
; TotalNumVgprs: 8
; ScratchSize: 0
; MemoryBound: 1
; FloatMode: 240
; IeeeMode: 1
; LDSByteSize: 0 bytes/workgroup (compile time only)
; SGPRBlocks: 2
; VGPRBlocks: 0
; NumSGPRsForWavesPerEU: 18
; NumVGPRsForWavesPerEU: 8
; AccumOffset: 8
; Occupancy: 8
; WaveLimiterHint : 0
; COMPUTE_PGM_RSRC2:SCRATCH_EN: 0
; COMPUTE_PGM_RSRC2:USER_SGPR: 2
; COMPUTE_PGM_RSRC2:TRAP_HANDLER: 0
; COMPUTE_PGM_RSRC2:TGID_X_EN: 1
; COMPUTE_PGM_RSRC2:TGID_Y_EN: 0
; COMPUTE_PGM_RSRC2:TGID_Z_EN: 0
; COMPUTE_PGM_RSRC2:TIDIG_COMP_CNT: 0
; COMPUTE_PGM_RSRC3_GFX90A:ACCUM_OFFSET: 1
; COMPUTE_PGM_RSRC3_GFX90A:TG_SPLIT: 0
	.section	.text._ZN7rocprim17ROCPRIM_400000_NS6detail17trampoline_kernelINS0_14default_configENS1_25transform_config_selectorIdLb1EEEZNS1_14transform_implILb1ES3_S5_PdS7_NS0_8identityIdEEEE10hipError_tT2_T3_mT4_P12ihipStream_tbEUlT_E_NS1_11comp_targetILNS1_3genE4ELNS1_11target_archE910ELNS1_3gpuE8ELNS1_3repE0EEENS1_30default_config_static_selectorELNS0_4arch9wavefront6targetE1EEEvT1_,"axG",@progbits,_ZN7rocprim17ROCPRIM_400000_NS6detail17trampoline_kernelINS0_14default_configENS1_25transform_config_selectorIdLb1EEEZNS1_14transform_implILb1ES3_S5_PdS7_NS0_8identityIdEEEE10hipError_tT2_T3_mT4_P12ihipStream_tbEUlT_E_NS1_11comp_targetILNS1_3genE4ELNS1_11target_archE910ELNS1_3gpuE8ELNS1_3repE0EEENS1_30default_config_static_selectorELNS0_4arch9wavefront6targetE1EEEvT1_,comdat
	.protected	_ZN7rocprim17ROCPRIM_400000_NS6detail17trampoline_kernelINS0_14default_configENS1_25transform_config_selectorIdLb1EEEZNS1_14transform_implILb1ES3_S5_PdS7_NS0_8identityIdEEEE10hipError_tT2_T3_mT4_P12ihipStream_tbEUlT_E_NS1_11comp_targetILNS1_3genE4ELNS1_11target_archE910ELNS1_3gpuE8ELNS1_3repE0EEENS1_30default_config_static_selectorELNS0_4arch9wavefront6targetE1EEEvT1_ ; -- Begin function _ZN7rocprim17ROCPRIM_400000_NS6detail17trampoline_kernelINS0_14default_configENS1_25transform_config_selectorIdLb1EEEZNS1_14transform_implILb1ES3_S5_PdS7_NS0_8identityIdEEEE10hipError_tT2_T3_mT4_P12ihipStream_tbEUlT_E_NS1_11comp_targetILNS1_3genE4ELNS1_11target_archE910ELNS1_3gpuE8ELNS1_3repE0EEENS1_30default_config_static_selectorELNS0_4arch9wavefront6targetE1EEEvT1_
	.globl	_ZN7rocprim17ROCPRIM_400000_NS6detail17trampoline_kernelINS0_14default_configENS1_25transform_config_selectorIdLb1EEEZNS1_14transform_implILb1ES3_S5_PdS7_NS0_8identityIdEEEE10hipError_tT2_T3_mT4_P12ihipStream_tbEUlT_E_NS1_11comp_targetILNS1_3genE4ELNS1_11target_archE910ELNS1_3gpuE8ELNS1_3repE0EEENS1_30default_config_static_selectorELNS0_4arch9wavefront6targetE1EEEvT1_
	.p2align	8
	.type	_ZN7rocprim17ROCPRIM_400000_NS6detail17trampoline_kernelINS0_14default_configENS1_25transform_config_selectorIdLb1EEEZNS1_14transform_implILb1ES3_S5_PdS7_NS0_8identityIdEEEE10hipError_tT2_T3_mT4_P12ihipStream_tbEUlT_E_NS1_11comp_targetILNS1_3genE4ELNS1_11target_archE910ELNS1_3gpuE8ELNS1_3repE0EEENS1_30default_config_static_selectorELNS0_4arch9wavefront6targetE1EEEvT1_,@function
_ZN7rocprim17ROCPRIM_400000_NS6detail17trampoline_kernelINS0_14default_configENS1_25transform_config_selectorIdLb1EEEZNS1_14transform_implILb1ES3_S5_PdS7_NS0_8identityIdEEEE10hipError_tT2_T3_mT4_P12ihipStream_tbEUlT_E_NS1_11comp_targetILNS1_3genE4ELNS1_11target_archE910ELNS1_3gpuE8ELNS1_3repE0EEENS1_30default_config_static_selectorELNS0_4arch9wavefront6targetE1EEEvT1_: ; @_ZN7rocprim17ROCPRIM_400000_NS6detail17trampoline_kernelINS0_14default_configENS1_25transform_config_selectorIdLb1EEEZNS1_14transform_implILb1ES3_S5_PdS7_NS0_8identityIdEEEE10hipError_tT2_T3_mT4_P12ihipStream_tbEUlT_E_NS1_11comp_targetILNS1_3genE4ELNS1_11target_archE910ELNS1_3gpuE8ELNS1_3repE0EEENS1_30default_config_static_selectorELNS0_4arch9wavefront6targetE1EEEvT1_
; %bb.0:
	.section	.rodata,"a",@progbits
	.p2align	6, 0x0
	.amdhsa_kernel _ZN7rocprim17ROCPRIM_400000_NS6detail17trampoline_kernelINS0_14default_configENS1_25transform_config_selectorIdLb1EEEZNS1_14transform_implILb1ES3_S5_PdS7_NS0_8identityIdEEEE10hipError_tT2_T3_mT4_P12ihipStream_tbEUlT_E_NS1_11comp_targetILNS1_3genE4ELNS1_11target_archE910ELNS1_3gpuE8ELNS1_3repE0EEENS1_30default_config_static_selectorELNS0_4arch9wavefront6targetE1EEEvT1_
		.amdhsa_group_segment_fixed_size 0
		.amdhsa_private_segment_fixed_size 0
		.amdhsa_kernarg_size 40
		.amdhsa_user_sgpr_count 2
		.amdhsa_user_sgpr_dispatch_ptr 0
		.amdhsa_user_sgpr_queue_ptr 0
		.amdhsa_user_sgpr_kernarg_segment_ptr 1
		.amdhsa_user_sgpr_dispatch_id 0
		.amdhsa_user_sgpr_kernarg_preload_length 0
		.amdhsa_user_sgpr_kernarg_preload_offset 0
		.amdhsa_user_sgpr_private_segment_size 0
		.amdhsa_uses_dynamic_stack 0
		.amdhsa_enable_private_segment 0
		.amdhsa_system_sgpr_workgroup_id_x 1
		.amdhsa_system_sgpr_workgroup_id_y 0
		.amdhsa_system_sgpr_workgroup_id_z 0
		.amdhsa_system_sgpr_workgroup_info 0
		.amdhsa_system_vgpr_workitem_id 0
		.amdhsa_next_free_vgpr 1
		.amdhsa_next_free_sgpr 0
		.amdhsa_accum_offset 4
		.amdhsa_reserve_vcc 0
		.amdhsa_float_round_mode_32 0
		.amdhsa_float_round_mode_16_64 0
		.amdhsa_float_denorm_mode_32 3
		.amdhsa_float_denorm_mode_16_64 3
		.amdhsa_dx10_clamp 1
		.amdhsa_ieee_mode 1
		.amdhsa_fp16_overflow 0
		.amdhsa_tg_split 0
		.amdhsa_exception_fp_ieee_invalid_op 0
		.amdhsa_exception_fp_denorm_src 0
		.amdhsa_exception_fp_ieee_div_zero 0
		.amdhsa_exception_fp_ieee_overflow 0
		.amdhsa_exception_fp_ieee_underflow 0
		.amdhsa_exception_fp_ieee_inexact 0
		.amdhsa_exception_int_div_zero 0
	.end_amdhsa_kernel
	.section	.text._ZN7rocprim17ROCPRIM_400000_NS6detail17trampoline_kernelINS0_14default_configENS1_25transform_config_selectorIdLb1EEEZNS1_14transform_implILb1ES3_S5_PdS7_NS0_8identityIdEEEE10hipError_tT2_T3_mT4_P12ihipStream_tbEUlT_E_NS1_11comp_targetILNS1_3genE4ELNS1_11target_archE910ELNS1_3gpuE8ELNS1_3repE0EEENS1_30default_config_static_selectorELNS0_4arch9wavefront6targetE1EEEvT1_,"axG",@progbits,_ZN7rocprim17ROCPRIM_400000_NS6detail17trampoline_kernelINS0_14default_configENS1_25transform_config_selectorIdLb1EEEZNS1_14transform_implILb1ES3_S5_PdS7_NS0_8identityIdEEEE10hipError_tT2_T3_mT4_P12ihipStream_tbEUlT_E_NS1_11comp_targetILNS1_3genE4ELNS1_11target_archE910ELNS1_3gpuE8ELNS1_3repE0EEENS1_30default_config_static_selectorELNS0_4arch9wavefront6targetE1EEEvT1_,comdat
.Lfunc_end14:
	.size	_ZN7rocprim17ROCPRIM_400000_NS6detail17trampoline_kernelINS0_14default_configENS1_25transform_config_selectorIdLb1EEEZNS1_14transform_implILb1ES3_S5_PdS7_NS0_8identityIdEEEE10hipError_tT2_T3_mT4_P12ihipStream_tbEUlT_E_NS1_11comp_targetILNS1_3genE4ELNS1_11target_archE910ELNS1_3gpuE8ELNS1_3repE0EEENS1_30default_config_static_selectorELNS0_4arch9wavefront6targetE1EEEvT1_, .Lfunc_end14-_ZN7rocprim17ROCPRIM_400000_NS6detail17trampoline_kernelINS0_14default_configENS1_25transform_config_selectorIdLb1EEEZNS1_14transform_implILb1ES3_S5_PdS7_NS0_8identityIdEEEE10hipError_tT2_T3_mT4_P12ihipStream_tbEUlT_E_NS1_11comp_targetILNS1_3genE4ELNS1_11target_archE910ELNS1_3gpuE8ELNS1_3repE0EEENS1_30default_config_static_selectorELNS0_4arch9wavefront6targetE1EEEvT1_
                                        ; -- End function
	.section	.AMDGPU.csdata,"",@progbits
; Kernel info:
; codeLenInByte = 0
; NumSgprs: 6
; NumVgprs: 0
; NumAgprs: 0
; TotalNumVgprs: 0
; ScratchSize: 0
; MemoryBound: 0
; FloatMode: 240
; IeeeMode: 1
; LDSByteSize: 0 bytes/workgroup (compile time only)
; SGPRBlocks: 0
; VGPRBlocks: 0
; NumSGPRsForWavesPerEU: 6
; NumVGPRsForWavesPerEU: 1
; AccumOffset: 4
; Occupancy: 8
; WaveLimiterHint : 0
; COMPUTE_PGM_RSRC2:SCRATCH_EN: 0
; COMPUTE_PGM_RSRC2:USER_SGPR: 2
; COMPUTE_PGM_RSRC2:TRAP_HANDLER: 0
; COMPUTE_PGM_RSRC2:TGID_X_EN: 1
; COMPUTE_PGM_RSRC2:TGID_Y_EN: 0
; COMPUTE_PGM_RSRC2:TGID_Z_EN: 0
; COMPUTE_PGM_RSRC2:TIDIG_COMP_CNT: 0
; COMPUTE_PGM_RSRC3_GFX90A:ACCUM_OFFSET: 0
; COMPUTE_PGM_RSRC3_GFX90A:TG_SPLIT: 0
	.section	.text._ZN7rocprim17ROCPRIM_400000_NS6detail17trampoline_kernelINS0_14default_configENS1_25transform_config_selectorIdLb1EEEZNS1_14transform_implILb1ES3_S5_PdS7_NS0_8identityIdEEEE10hipError_tT2_T3_mT4_P12ihipStream_tbEUlT_E_NS1_11comp_targetILNS1_3genE3ELNS1_11target_archE908ELNS1_3gpuE7ELNS1_3repE0EEENS1_30default_config_static_selectorELNS0_4arch9wavefront6targetE1EEEvT1_,"axG",@progbits,_ZN7rocprim17ROCPRIM_400000_NS6detail17trampoline_kernelINS0_14default_configENS1_25transform_config_selectorIdLb1EEEZNS1_14transform_implILb1ES3_S5_PdS7_NS0_8identityIdEEEE10hipError_tT2_T3_mT4_P12ihipStream_tbEUlT_E_NS1_11comp_targetILNS1_3genE3ELNS1_11target_archE908ELNS1_3gpuE7ELNS1_3repE0EEENS1_30default_config_static_selectorELNS0_4arch9wavefront6targetE1EEEvT1_,comdat
	.protected	_ZN7rocprim17ROCPRIM_400000_NS6detail17trampoline_kernelINS0_14default_configENS1_25transform_config_selectorIdLb1EEEZNS1_14transform_implILb1ES3_S5_PdS7_NS0_8identityIdEEEE10hipError_tT2_T3_mT4_P12ihipStream_tbEUlT_E_NS1_11comp_targetILNS1_3genE3ELNS1_11target_archE908ELNS1_3gpuE7ELNS1_3repE0EEENS1_30default_config_static_selectorELNS0_4arch9wavefront6targetE1EEEvT1_ ; -- Begin function _ZN7rocprim17ROCPRIM_400000_NS6detail17trampoline_kernelINS0_14default_configENS1_25transform_config_selectorIdLb1EEEZNS1_14transform_implILb1ES3_S5_PdS7_NS0_8identityIdEEEE10hipError_tT2_T3_mT4_P12ihipStream_tbEUlT_E_NS1_11comp_targetILNS1_3genE3ELNS1_11target_archE908ELNS1_3gpuE7ELNS1_3repE0EEENS1_30default_config_static_selectorELNS0_4arch9wavefront6targetE1EEEvT1_
	.globl	_ZN7rocprim17ROCPRIM_400000_NS6detail17trampoline_kernelINS0_14default_configENS1_25transform_config_selectorIdLb1EEEZNS1_14transform_implILb1ES3_S5_PdS7_NS0_8identityIdEEEE10hipError_tT2_T3_mT4_P12ihipStream_tbEUlT_E_NS1_11comp_targetILNS1_3genE3ELNS1_11target_archE908ELNS1_3gpuE7ELNS1_3repE0EEENS1_30default_config_static_selectorELNS0_4arch9wavefront6targetE1EEEvT1_
	.p2align	8
	.type	_ZN7rocprim17ROCPRIM_400000_NS6detail17trampoline_kernelINS0_14default_configENS1_25transform_config_selectorIdLb1EEEZNS1_14transform_implILb1ES3_S5_PdS7_NS0_8identityIdEEEE10hipError_tT2_T3_mT4_P12ihipStream_tbEUlT_E_NS1_11comp_targetILNS1_3genE3ELNS1_11target_archE908ELNS1_3gpuE7ELNS1_3repE0EEENS1_30default_config_static_selectorELNS0_4arch9wavefront6targetE1EEEvT1_,@function
_ZN7rocprim17ROCPRIM_400000_NS6detail17trampoline_kernelINS0_14default_configENS1_25transform_config_selectorIdLb1EEEZNS1_14transform_implILb1ES3_S5_PdS7_NS0_8identityIdEEEE10hipError_tT2_T3_mT4_P12ihipStream_tbEUlT_E_NS1_11comp_targetILNS1_3genE3ELNS1_11target_archE908ELNS1_3gpuE7ELNS1_3repE0EEENS1_30default_config_static_selectorELNS0_4arch9wavefront6targetE1EEEvT1_: ; @_ZN7rocprim17ROCPRIM_400000_NS6detail17trampoline_kernelINS0_14default_configENS1_25transform_config_selectorIdLb1EEEZNS1_14transform_implILb1ES3_S5_PdS7_NS0_8identityIdEEEE10hipError_tT2_T3_mT4_P12ihipStream_tbEUlT_E_NS1_11comp_targetILNS1_3genE3ELNS1_11target_archE908ELNS1_3gpuE7ELNS1_3repE0EEENS1_30default_config_static_selectorELNS0_4arch9wavefront6targetE1EEEvT1_
; %bb.0:
	.section	.rodata,"a",@progbits
	.p2align	6, 0x0
	.amdhsa_kernel _ZN7rocprim17ROCPRIM_400000_NS6detail17trampoline_kernelINS0_14default_configENS1_25transform_config_selectorIdLb1EEEZNS1_14transform_implILb1ES3_S5_PdS7_NS0_8identityIdEEEE10hipError_tT2_T3_mT4_P12ihipStream_tbEUlT_E_NS1_11comp_targetILNS1_3genE3ELNS1_11target_archE908ELNS1_3gpuE7ELNS1_3repE0EEENS1_30default_config_static_selectorELNS0_4arch9wavefront6targetE1EEEvT1_
		.amdhsa_group_segment_fixed_size 0
		.amdhsa_private_segment_fixed_size 0
		.amdhsa_kernarg_size 40
		.amdhsa_user_sgpr_count 2
		.amdhsa_user_sgpr_dispatch_ptr 0
		.amdhsa_user_sgpr_queue_ptr 0
		.amdhsa_user_sgpr_kernarg_segment_ptr 1
		.amdhsa_user_sgpr_dispatch_id 0
		.amdhsa_user_sgpr_kernarg_preload_length 0
		.amdhsa_user_sgpr_kernarg_preload_offset 0
		.amdhsa_user_sgpr_private_segment_size 0
		.amdhsa_uses_dynamic_stack 0
		.amdhsa_enable_private_segment 0
		.amdhsa_system_sgpr_workgroup_id_x 1
		.amdhsa_system_sgpr_workgroup_id_y 0
		.amdhsa_system_sgpr_workgroup_id_z 0
		.amdhsa_system_sgpr_workgroup_info 0
		.amdhsa_system_vgpr_workitem_id 0
		.amdhsa_next_free_vgpr 1
		.amdhsa_next_free_sgpr 0
		.amdhsa_accum_offset 4
		.amdhsa_reserve_vcc 0
		.amdhsa_float_round_mode_32 0
		.amdhsa_float_round_mode_16_64 0
		.amdhsa_float_denorm_mode_32 3
		.amdhsa_float_denorm_mode_16_64 3
		.amdhsa_dx10_clamp 1
		.amdhsa_ieee_mode 1
		.amdhsa_fp16_overflow 0
		.amdhsa_tg_split 0
		.amdhsa_exception_fp_ieee_invalid_op 0
		.amdhsa_exception_fp_denorm_src 0
		.amdhsa_exception_fp_ieee_div_zero 0
		.amdhsa_exception_fp_ieee_overflow 0
		.amdhsa_exception_fp_ieee_underflow 0
		.amdhsa_exception_fp_ieee_inexact 0
		.amdhsa_exception_int_div_zero 0
	.end_amdhsa_kernel
	.section	.text._ZN7rocprim17ROCPRIM_400000_NS6detail17trampoline_kernelINS0_14default_configENS1_25transform_config_selectorIdLb1EEEZNS1_14transform_implILb1ES3_S5_PdS7_NS0_8identityIdEEEE10hipError_tT2_T3_mT4_P12ihipStream_tbEUlT_E_NS1_11comp_targetILNS1_3genE3ELNS1_11target_archE908ELNS1_3gpuE7ELNS1_3repE0EEENS1_30default_config_static_selectorELNS0_4arch9wavefront6targetE1EEEvT1_,"axG",@progbits,_ZN7rocprim17ROCPRIM_400000_NS6detail17trampoline_kernelINS0_14default_configENS1_25transform_config_selectorIdLb1EEEZNS1_14transform_implILb1ES3_S5_PdS7_NS0_8identityIdEEEE10hipError_tT2_T3_mT4_P12ihipStream_tbEUlT_E_NS1_11comp_targetILNS1_3genE3ELNS1_11target_archE908ELNS1_3gpuE7ELNS1_3repE0EEENS1_30default_config_static_selectorELNS0_4arch9wavefront6targetE1EEEvT1_,comdat
.Lfunc_end15:
	.size	_ZN7rocprim17ROCPRIM_400000_NS6detail17trampoline_kernelINS0_14default_configENS1_25transform_config_selectorIdLb1EEEZNS1_14transform_implILb1ES3_S5_PdS7_NS0_8identityIdEEEE10hipError_tT2_T3_mT4_P12ihipStream_tbEUlT_E_NS1_11comp_targetILNS1_3genE3ELNS1_11target_archE908ELNS1_3gpuE7ELNS1_3repE0EEENS1_30default_config_static_selectorELNS0_4arch9wavefront6targetE1EEEvT1_, .Lfunc_end15-_ZN7rocprim17ROCPRIM_400000_NS6detail17trampoline_kernelINS0_14default_configENS1_25transform_config_selectorIdLb1EEEZNS1_14transform_implILb1ES3_S5_PdS7_NS0_8identityIdEEEE10hipError_tT2_T3_mT4_P12ihipStream_tbEUlT_E_NS1_11comp_targetILNS1_3genE3ELNS1_11target_archE908ELNS1_3gpuE7ELNS1_3repE0EEENS1_30default_config_static_selectorELNS0_4arch9wavefront6targetE1EEEvT1_
                                        ; -- End function
	.section	.AMDGPU.csdata,"",@progbits
; Kernel info:
; codeLenInByte = 0
; NumSgprs: 6
; NumVgprs: 0
; NumAgprs: 0
; TotalNumVgprs: 0
; ScratchSize: 0
; MemoryBound: 0
; FloatMode: 240
; IeeeMode: 1
; LDSByteSize: 0 bytes/workgroup (compile time only)
; SGPRBlocks: 0
; VGPRBlocks: 0
; NumSGPRsForWavesPerEU: 6
; NumVGPRsForWavesPerEU: 1
; AccumOffset: 4
; Occupancy: 8
; WaveLimiterHint : 0
; COMPUTE_PGM_RSRC2:SCRATCH_EN: 0
; COMPUTE_PGM_RSRC2:USER_SGPR: 2
; COMPUTE_PGM_RSRC2:TRAP_HANDLER: 0
; COMPUTE_PGM_RSRC2:TGID_X_EN: 1
; COMPUTE_PGM_RSRC2:TGID_Y_EN: 0
; COMPUTE_PGM_RSRC2:TGID_Z_EN: 0
; COMPUTE_PGM_RSRC2:TIDIG_COMP_CNT: 0
; COMPUTE_PGM_RSRC3_GFX90A:ACCUM_OFFSET: 0
; COMPUTE_PGM_RSRC3_GFX90A:TG_SPLIT: 0
	.section	.text._ZN7rocprim17ROCPRIM_400000_NS6detail17trampoline_kernelINS0_14default_configENS1_25transform_config_selectorIdLb1EEEZNS1_14transform_implILb1ES3_S5_PdS7_NS0_8identityIdEEEE10hipError_tT2_T3_mT4_P12ihipStream_tbEUlT_E_NS1_11comp_targetILNS1_3genE2ELNS1_11target_archE906ELNS1_3gpuE6ELNS1_3repE0EEENS1_30default_config_static_selectorELNS0_4arch9wavefront6targetE1EEEvT1_,"axG",@progbits,_ZN7rocprim17ROCPRIM_400000_NS6detail17trampoline_kernelINS0_14default_configENS1_25transform_config_selectorIdLb1EEEZNS1_14transform_implILb1ES3_S5_PdS7_NS0_8identityIdEEEE10hipError_tT2_T3_mT4_P12ihipStream_tbEUlT_E_NS1_11comp_targetILNS1_3genE2ELNS1_11target_archE906ELNS1_3gpuE6ELNS1_3repE0EEENS1_30default_config_static_selectorELNS0_4arch9wavefront6targetE1EEEvT1_,comdat
	.protected	_ZN7rocprim17ROCPRIM_400000_NS6detail17trampoline_kernelINS0_14default_configENS1_25transform_config_selectorIdLb1EEEZNS1_14transform_implILb1ES3_S5_PdS7_NS0_8identityIdEEEE10hipError_tT2_T3_mT4_P12ihipStream_tbEUlT_E_NS1_11comp_targetILNS1_3genE2ELNS1_11target_archE906ELNS1_3gpuE6ELNS1_3repE0EEENS1_30default_config_static_selectorELNS0_4arch9wavefront6targetE1EEEvT1_ ; -- Begin function _ZN7rocprim17ROCPRIM_400000_NS6detail17trampoline_kernelINS0_14default_configENS1_25transform_config_selectorIdLb1EEEZNS1_14transform_implILb1ES3_S5_PdS7_NS0_8identityIdEEEE10hipError_tT2_T3_mT4_P12ihipStream_tbEUlT_E_NS1_11comp_targetILNS1_3genE2ELNS1_11target_archE906ELNS1_3gpuE6ELNS1_3repE0EEENS1_30default_config_static_selectorELNS0_4arch9wavefront6targetE1EEEvT1_
	.globl	_ZN7rocprim17ROCPRIM_400000_NS6detail17trampoline_kernelINS0_14default_configENS1_25transform_config_selectorIdLb1EEEZNS1_14transform_implILb1ES3_S5_PdS7_NS0_8identityIdEEEE10hipError_tT2_T3_mT4_P12ihipStream_tbEUlT_E_NS1_11comp_targetILNS1_3genE2ELNS1_11target_archE906ELNS1_3gpuE6ELNS1_3repE0EEENS1_30default_config_static_selectorELNS0_4arch9wavefront6targetE1EEEvT1_
	.p2align	8
	.type	_ZN7rocprim17ROCPRIM_400000_NS6detail17trampoline_kernelINS0_14default_configENS1_25transform_config_selectorIdLb1EEEZNS1_14transform_implILb1ES3_S5_PdS7_NS0_8identityIdEEEE10hipError_tT2_T3_mT4_P12ihipStream_tbEUlT_E_NS1_11comp_targetILNS1_3genE2ELNS1_11target_archE906ELNS1_3gpuE6ELNS1_3repE0EEENS1_30default_config_static_selectorELNS0_4arch9wavefront6targetE1EEEvT1_,@function
_ZN7rocprim17ROCPRIM_400000_NS6detail17trampoline_kernelINS0_14default_configENS1_25transform_config_selectorIdLb1EEEZNS1_14transform_implILb1ES3_S5_PdS7_NS0_8identityIdEEEE10hipError_tT2_T3_mT4_P12ihipStream_tbEUlT_E_NS1_11comp_targetILNS1_3genE2ELNS1_11target_archE906ELNS1_3gpuE6ELNS1_3repE0EEENS1_30default_config_static_selectorELNS0_4arch9wavefront6targetE1EEEvT1_: ; @_ZN7rocprim17ROCPRIM_400000_NS6detail17trampoline_kernelINS0_14default_configENS1_25transform_config_selectorIdLb1EEEZNS1_14transform_implILb1ES3_S5_PdS7_NS0_8identityIdEEEE10hipError_tT2_T3_mT4_P12ihipStream_tbEUlT_E_NS1_11comp_targetILNS1_3genE2ELNS1_11target_archE906ELNS1_3gpuE6ELNS1_3repE0EEENS1_30default_config_static_selectorELNS0_4arch9wavefront6targetE1EEEvT1_
; %bb.0:
	.section	.rodata,"a",@progbits
	.p2align	6, 0x0
	.amdhsa_kernel _ZN7rocprim17ROCPRIM_400000_NS6detail17trampoline_kernelINS0_14default_configENS1_25transform_config_selectorIdLb1EEEZNS1_14transform_implILb1ES3_S5_PdS7_NS0_8identityIdEEEE10hipError_tT2_T3_mT4_P12ihipStream_tbEUlT_E_NS1_11comp_targetILNS1_3genE2ELNS1_11target_archE906ELNS1_3gpuE6ELNS1_3repE0EEENS1_30default_config_static_selectorELNS0_4arch9wavefront6targetE1EEEvT1_
		.amdhsa_group_segment_fixed_size 0
		.amdhsa_private_segment_fixed_size 0
		.amdhsa_kernarg_size 40
		.amdhsa_user_sgpr_count 2
		.amdhsa_user_sgpr_dispatch_ptr 0
		.amdhsa_user_sgpr_queue_ptr 0
		.amdhsa_user_sgpr_kernarg_segment_ptr 1
		.amdhsa_user_sgpr_dispatch_id 0
		.amdhsa_user_sgpr_kernarg_preload_length 0
		.amdhsa_user_sgpr_kernarg_preload_offset 0
		.amdhsa_user_sgpr_private_segment_size 0
		.amdhsa_uses_dynamic_stack 0
		.amdhsa_enable_private_segment 0
		.amdhsa_system_sgpr_workgroup_id_x 1
		.amdhsa_system_sgpr_workgroup_id_y 0
		.amdhsa_system_sgpr_workgroup_id_z 0
		.amdhsa_system_sgpr_workgroup_info 0
		.amdhsa_system_vgpr_workitem_id 0
		.amdhsa_next_free_vgpr 1
		.amdhsa_next_free_sgpr 0
		.amdhsa_accum_offset 4
		.amdhsa_reserve_vcc 0
		.amdhsa_float_round_mode_32 0
		.amdhsa_float_round_mode_16_64 0
		.amdhsa_float_denorm_mode_32 3
		.amdhsa_float_denorm_mode_16_64 3
		.amdhsa_dx10_clamp 1
		.amdhsa_ieee_mode 1
		.amdhsa_fp16_overflow 0
		.amdhsa_tg_split 0
		.amdhsa_exception_fp_ieee_invalid_op 0
		.amdhsa_exception_fp_denorm_src 0
		.amdhsa_exception_fp_ieee_div_zero 0
		.amdhsa_exception_fp_ieee_overflow 0
		.amdhsa_exception_fp_ieee_underflow 0
		.amdhsa_exception_fp_ieee_inexact 0
		.amdhsa_exception_int_div_zero 0
	.end_amdhsa_kernel
	.section	.text._ZN7rocprim17ROCPRIM_400000_NS6detail17trampoline_kernelINS0_14default_configENS1_25transform_config_selectorIdLb1EEEZNS1_14transform_implILb1ES3_S5_PdS7_NS0_8identityIdEEEE10hipError_tT2_T3_mT4_P12ihipStream_tbEUlT_E_NS1_11comp_targetILNS1_3genE2ELNS1_11target_archE906ELNS1_3gpuE6ELNS1_3repE0EEENS1_30default_config_static_selectorELNS0_4arch9wavefront6targetE1EEEvT1_,"axG",@progbits,_ZN7rocprim17ROCPRIM_400000_NS6detail17trampoline_kernelINS0_14default_configENS1_25transform_config_selectorIdLb1EEEZNS1_14transform_implILb1ES3_S5_PdS7_NS0_8identityIdEEEE10hipError_tT2_T3_mT4_P12ihipStream_tbEUlT_E_NS1_11comp_targetILNS1_3genE2ELNS1_11target_archE906ELNS1_3gpuE6ELNS1_3repE0EEENS1_30default_config_static_selectorELNS0_4arch9wavefront6targetE1EEEvT1_,comdat
.Lfunc_end16:
	.size	_ZN7rocprim17ROCPRIM_400000_NS6detail17trampoline_kernelINS0_14default_configENS1_25transform_config_selectorIdLb1EEEZNS1_14transform_implILb1ES3_S5_PdS7_NS0_8identityIdEEEE10hipError_tT2_T3_mT4_P12ihipStream_tbEUlT_E_NS1_11comp_targetILNS1_3genE2ELNS1_11target_archE906ELNS1_3gpuE6ELNS1_3repE0EEENS1_30default_config_static_selectorELNS0_4arch9wavefront6targetE1EEEvT1_, .Lfunc_end16-_ZN7rocprim17ROCPRIM_400000_NS6detail17trampoline_kernelINS0_14default_configENS1_25transform_config_selectorIdLb1EEEZNS1_14transform_implILb1ES3_S5_PdS7_NS0_8identityIdEEEE10hipError_tT2_T3_mT4_P12ihipStream_tbEUlT_E_NS1_11comp_targetILNS1_3genE2ELNS1_11target_archE906ELNS1_3gpuE6ELNS1_3repE0EEENS1_30default_config_static_selectorELNS0_4arch9wavefront6targetE1EEEvT1_
                                        ; -- End function
	.section	.AMDGPU.csdata,"",@progbits
; Kernel info:
; codeLenInByte = 0
; NumSgprs: 6
; NumVgprs: 0
; NumAgprs: 0
; TotalNumVgprs: 0
; ScratchSize: 0
; MemoryBound: 0
; FloatMode: 240
; IeeeMode: 1
; LDSByteSize: 0 bytes/workgroup (compile time only)
; SGPRBlocks: 0
; VGPRBlocks: 0
; NumSGPRsForWavesPerEU: 6
; NumVGPRsForWavesPerEU: 1
; AccumOffset: 4
; Occupancy: 8
; WaveLimiterHint : 0
; COMPUTE_PGM_RSRC2:SCRATCH_EN: 0
; COMPUTE_PGM_RSRC2:USER_SGPR: 2
; COMPUTE_PGM_RSRC2:TRAP_HANDLER: 0
; COMPUTE_PGM_RSRC2:TGID_X_EN: 1
; COMPUTE_PGM_RSRC2:TGID_Y_EN: 0
; COMPUTE_PGM_RSRC2:TGID_Z_EN: 0
; COMPUTE_PGM_RSRC2:TIDIG_COMP_CNT: 0
; COMPUTE_PGM_RSRC3_GFX90A:ACCUM_OFFSET: 0
; COMPUTE_PGM_RSRC3_GFX90A:TG_SPLIT: 0
	.section	.text._ZN7rocprim17ROCPRIM_400000_NS6detail17trampoline_kernelINS0_14default_configENS1_25transform_config_selectorIdLb1EEEZNS1_14transform_implILb1ES3_S5_PdS7_NS0_8identityIdEEEE10hipError_tT2_T3_mT4_P12ihipStream_tbEUlT_E_NS1_11comp_targetILNS1_3genE9ELNS1_11target_archE1100ELNS1_3gpuE3ELNS1_3repE0EEENS1_30default_config_static_selectorELNS0_4arch9wavefront6targetE1EEEvT1_,"axG",@progbits,_ZN7rocprim17ROCPRIM_400000_NS6detail17trampoline_kernelINS0_14default_configENS1_25transform_config_selectorIdLb1EEEZNS1_14transform_implILb1ES3_S5_PdS7_NS0_8identityIdEEEE10hipError_tT2_T3_mT4_P12ihipStream_tbEUlT_E_NS1_11comp_targetILNS1_3genE9ELNS1_11target_archE1100ELNS1_3gpuE3ELNS1_3repE0EEENS1_30default_config_static_selectorELNS0_4arch9wavefront6targetE1EEEvT1_,comdat
	.protected	_ZN7rocprim17ROCPRIM_400000_NS6detail17trampoline_kernelINS0_14default_configENS1_25transform_config_selectorIdLb1EEEZNS1_14transform_implILb1ES3_S5_PdS7_NS0_8identityIdEEEE10hipError_tT2_T3_mT4_P12ihipStream_tbEUlT_E_NS1_11comp_targetILNS1_3genE9ELNS1_11target_archE1100ELNS1_3gpuE3ELNS1_3repE0EEENS1_30default_config_static_selectorELNS0_4arch9wavefront6targetE1EEEvT1_ ; -- Begin function _ZN7rocprim17ROCPRIM_400000_NS6detail17trampoline_kernelINS0_14default_configENS1_25transform_config_selectorIdLb1EEEZNS1_14transform_implILb1ES3_S5_PdS7_NS0_8identityIdEEEE10hipError_tT2_T3_mT4_P12ihipStream_tbEUlT_E_NS1_11comp_targetILNS1_3genE9ELNS1_11target_archE1100ELNS1_3gpuE3ELNS1_3repE0EEENS1_30default_config_static_selectorELNS0_4arch9wavefront6targetE1EEEvT1_
	.globl	_ZN7rocprim17ROCPRIM_400000_NS6detail17trampoline_kernelINS0_14default_configENS1_25transform_config_selectorIdLb1EEEZNS1_14transform_implILb1ES3_S5_PdS7_NS0_8identityIdEEEE10hipError_tT2_T3_mT4_P12ihipStream_tbEUlT_E_NS1_11comp_targetILNS1_3genE9ELNS1_11target_archE1100ELNS1_3gpuE3ELNS1_3repE0EEENS1_30default_config_static_selectorELNS0_4arch9wavefront6targetE1EEEvT1_
	.p2align	8
	.type	_ZN7rocprim17ROCPRIM_400000_NS6detail17trampoline_kernelINS0_14default_configENS1_25transform_config_selectorIdLb1EEEZNS1_14transform_implILb1ES3_S5_PdS7_NS0_8identityIdEEEE10hipError_tT2_T3_mT4_P12ihipStream_tbEUlT_E_NS1_11comp_targetILNS1_3genE9ELNS1_11target_archE1100ELNS1_3gpuE3ELNS1_3repE0EEENS1_30default_config_static_selectorELNS0_4arch9wavefront6targetE1EEEvT1_,@function
_ZN7rocprim17ROCPRIM_400000_NS6detail17trampoline_kernelINS0_14default_configENS1_25transform_config_selectorIdLb1EEEZNS1_14transform_implILb1ES3_S5_PdS7_NS0_8identityIdEEEE10hipError_tT2_T3_mT4_P12ihipStream_tbEUlT_E_NS1_11comp_targetILNS1_3genE9ELNS1_11target_archE1100ELNS1_3gpuE3ELNS1_3repE0EEENS1_30default_config_static_selectorELNS0_4arch9wavefront6targetE1EEEvT1_: ; @_ZN7rocprim17ROCPRIM_400000_NS6detail17trampoline_kernelINS0_14default_configENS1_25transform_config_selectorIdLb1EEEZNS1_14transform_implILb1ES3_S5_PdS7_NS0_8identityIdEEEE10hipError_tT2_T3_mT4_P12ihipStream_tbEUlT_E_NS1_11comp_targetILNS1_3genE9ELNS1_11target_archE1100ELNS1_3gpuE3ELNS1_3repE0EEENS1_30default_config_static_selectorELNS0_4arch9wavefront6targetE1EEEvT1_
; %bb.0:
	.section	.rodata,"a",@progbits
	.p2align	6, 0x0
	.amdhsa_kernel _ZN7rocprim17ROCPRIM_400000_NS6detail17trampoline_kernelINS0_14default_configENS1_25transform_config_selectorIdLb1EEEZNS1_14transform_implILb1ES3_S5_PdS7_NS0_8identityIdEEEE10hipError_tT2_T3_mT4_P12ihipStream_tbEUlT_E_NS1_11comp_targetILNS1_3genE9ELNS1_11target_archE1100ELNS1_3gpuE3ELNS1_3repE0EEENS1_30default_config_static_selectorELNS0_4arch9wavefront6targetE1EEEvT1_
		.amdhsa_group_segment_fixed_size 0
		.amdhsa_private_segment_fixed_size 0
		.amdhsa_kernarg_size 40
		.amdhsa_user_sgpr_count 2
		.amdhsa_user_sgpr_dispatch_ptr 0
		.amdhsa_user_sgpr_queue_ptr 0
		.amdhsa_user_sgpr_kernarg_segment_ptr 1
		.amdhsa_user_sgpr_dispatch_id 0
		.amdhsa_user_sgpr_kernarg_preload_length 0
		.amdhsa_user_sgpr_kernarg_preload_offset 0
		.amdhsa_user_sgpr_private_segment_size 0
		.amdhsa_uses_dynamic_stack 0
		.amdhsa_enable_private_segment 0
		.amdhsa_system_sgpr_workgroup_id_x 1
		.amdhsa_system_sgpr_workgroup_id_y 0
		.amdhsa_system_sgpr_workgroup_id_z 0
		.amdhsa_system_sgpr_workgroup_info 0
		.amdhsa_system_vgpr_workitem_id 0
		.amdhsa_next_free_vgpr 1
		.amdhsa_next_free_sgpr 0
		.amdhsa_accum_offset 4
		.amdhsa_reserve_vcc 0
		.amdhsa_float_round_mode_32 0
		.amdhsa_float_round_mode_16_64 0
		.amdhsa_float_denorm_mode_32 3
		.amdhsa_float_denorm_mode_16_64 3
		.amdhsa_dx10_clamp 1
		.amdhsa_ieee_mode 1
		.amdhsa_fp16_overflow 0
		.amdhsa_tg_split 0
		.amdhsa_exception_fp_ieee_invalid_op 0
		.amdhsa_exception_fp_denorm_src 0
		.amdhsa_exception_fp_ieee_div_zero 0
		.amdhsa_exception_fp_ieee_overflow 0
		.amdhsa_exception_fp_ieee_underflow 0
		.amdhsa_exception_fp_ieee_inexact 0
		.amdhsa_exception_int_div_zero 0
	.end_amdhsa_kernel
	.section	.text._ZN7rocprim17ROCPRIM_400000_NS6detail17trampoline_kernelINS0_14default_configENS1_25transform_config_selectorIdLb1EEEZNS1_14transform_implILb1ES3_S5_PdS7_NS0_8identityIdEEEE10hipError_tT2_T3_mT4_P12ihipStream_tbEUlT_E_NS1_11comp_targetILNS1_3genE9ELNS1_11target_archE1100ELNS1_3gpuE3ELNS1_3repE0EEENS1_30default_config_static_selectorELNS0_4arch9wavefront6targetE1EEEvT1_,"axG",@progbits,_ZN7rocprim17ROCPRIM_400000_NS6detail17trampoline_kernelINS0_14default_configENS1_25transform_config_selectorIdLb1EEEZNS1_14transform_implILb1ES3_S5_PdS7_NS0_8identityIdEEEE10hipError_tT2_T3_mT4_P12ihipStream_tbEUlT_E_NS1_11comp_targetILNS1_3genE9ELNS1_11target_archE1100ELNS1_3gpuE3ELNS1_3repE0EEENS1_30default_config_static_selectorELNS0_4arch9wavefront6targetE1EEEvT1_,comdat
.Lfunc_end17:
	.size	_ZN7rocprim17ROCPRIM_400000_NS6detail17trampoline_kernelINS0_14default_configENS1_25transform_config_selectorIdLb1EEEZNS1_14transform_implILb1ES3_S5_PdS7_NS0_8identityIdEEEE10hipError_tT2_T3_mT4_P12ihipStream_tbEUlT_E_NS1_11comp_targetILNS1_3genE9ELNS1_11target_archE1100ELNS1_3gpuE3ELNS1_3repE0EEENS1_30default_config_static_selectorELNS0_4arch9wavefront6targetE1EEEvT1_, .Lfunc_end17-_ZN7rocprim17ROCPRIM_400000_NS6detail17trampoline_kernelINS0_14default_configENS1_25transform_config_selectorIdLb1EEEZNS1_14transform_implILb1ES3_S5_PdS7_NS0_8identityIdEEEE10hipError_tT2_T3_mT4_P12ihipStream_tbEUlT_E_NS1_11comp_targetILNS1_3genE9ELNS1_11target_archE1100ELNS1_3gpuE3ELNS1_3repE0EEENS1_30default_config_static_selectorELNS0_4arch9wavefront6targetE1EEEvT1_
                                        ; -- End function
	.section	.AMDGPU.csdata,"",@progbits
; Kernel info:
; codeLenInByte = 0
; NumSgprs: 6
; NumVgprs: 0
; NumAgprs: 0
; TotalNumVgprs: 0
; ScratchSize: 0
; MemoryBound: 0
; FloatMode: 240
; IeeeMode: 1
; LDSByteSize: 0 bytes/workgroup (compile time only)
; SGPRBlocks: 0
; VGPRBlocks: 0
; NumSGPRsForWavesPerEU: 6
; NumVGPRsForWavesPerEU: 1
; AccumOffset: 4
; Occupancy: 8
; WaveLimiterHint : 0
; COMPUTE_PGM_RSRC2:SCRATCH_EN: 0
; COMPUTE_PGM_RSRC2:USER_SGPR: 2
; COMPUTE_PGM_RSRC2:TRAP_HANDLER: 0
; COMPUTE_PGM_RSRC2:TGID_X_EN: 1
; COMPUTE_PGM_RSRC2:TGID_Y_EN: 0
; COMPUTE_PGM_RSRC2:TGID_Z_EN: 0
; COMPUTE_PGM_RSRC2:TIDIG_COMP_CNT: 0
; COMPUTE_PGM_RSRC3_GFX90A:ACCUM_OFFSET: 0
; COMPUTE_PGM_RSRC3_GFX90A:TG_SPLIT: 0
	.section	.text._ZN7rocprim17ROCPRIM_400000_NS6detail17trampoline_kernelINS0_14default_configENS1_25transform_config_selectorIdLb1EEEZNS1_14transform_implILb1ES3_S5_PdS7_NS0_8identityIdEEEE10hipError_tT2_T3_mT4_P12ihipStream_tbEUlT_E_NS1_11comp_targetILNS1_3genE8ELNS1_11target_archE1030ELNS1_3gpuE2ELNS1_3repE0EEENS1_30default_config_static_selectorELNS0_4arch9wavefront6targetE1EEEvT1_,"axG",@progbits,_ZN7rocprim17ROCPRIM_400000_NS6detail17trampoline_kernelINS0_14default_configENS1_25transform_config_selectorIdLb1EEEZNS1_14transform_implILb1ES3_S5_PdS7_NS0_8identityIdEEEE10hipError_tT2_T3_mT4_P12ihipStream_tbEUlT_E_NS1_11comp_targetILNS1_3genE8ELNS1_11target_archE1030ELNS1_3gpuE2ELNS1_3repE0EEENS1_30default_config_static_selectorELNS0_4arch9wavefront6targetE1EEEvT1_,comdat
	.protected	_ZN7rocprim17ROCPRIM_400000_NS6detail17trampoline_kernelINS0_14default_configENS1_25transform_config_selectorIdLb1EEEZNS1_14transform_implILb1ES3_S5_PdS7_NS0_8identityIdEEEE10hipError_tT2_T3_mT4_P12ihipStream_tbEUlT_E_NS1_11comp_targetILNS1_3genE8ELNS1_11target_archE1030ELNS1_3gpuE2ELNS1_3repE0EEENS1_30default_config_static_selectorELNS0_4arch9wavefront6targetE1EEEvT1_ ; -- Begin function _ZN7rocprim17ROCPRIM_400000_NS6detail17trampoline_kernelINS0_14default_configENS1_25transform_config_selectorIdLb1EEEZNS1_14transform_implILb1ES3_S5_PdS7_NS0_8identityIdEEEE10hipError_tT2_T3_mT4_P12ihipStream_tbEUlT_E_NS1_11comp_targetILNS1_3genE8ELNS1_11target_archE1030ELNS1_3gpuE2ELNS1_3repE0EEENS1_30default_config_static_selectorELNS0_4arch9wavefront6targetE1EEEvT1_
	.globl	_ZN7rocprim17ROCPRIM_400000_NS6detail17trampoline_kernelINS0_14default_configENS1_25transform_config_selectorIdLb1EEEZNS1_14transform_implILb1ES3_S5_PdS7_NS0_8identityIdEEEE10hipError_tT2_T3_mT4_P12ihipStream_tbEUlT_E_NS1_11comp_targetILNS1_3genE8ELNS1_11target_archE1030ELNS1_3gpuE2ELNS1_3repE0EEENS1_30default_config_static_selectorELNS0_4arch9wavefront6targetE1EEEvT1_
	.p2align	8
	.type	_ZN7rocprim17ROCPRIM_400000_NS6detail17trampoline_kernelINS0_14default_configENS1_25transform_config_selectorIdLb1EEEZNS1_14transform_implILb1ES3_S5_PdS7_NS0_8identityIdEEEE10hipError_tT2_T3_mT4_P12ihipStream_tbEUlT_E_NS1_11comp_targetILNS1_3genE8ELNS1_11target_archE1030ELNS1_3gpuE2ELNS1_3repE0EEENS1_30default_config_static_selectorELNS0_4arch9wavefront6targetE1EEEvT1_,@function
_ZN7rocprim17ROCPRIM_400000_NS6detail17trampoline_kernelINS0_14default_configENS1_25transform_config_selectorIdLb1EEEZNS1_14transform_implILb1ES3_S5_PdS7_NS0_8identityIdEEEE10hipError_tT2_T3_mT4_P12ihipStream_tbEUlT_E_NS1_11comp_targetILNS1_3genE8ELNS1_11target_archE1030ELNS1_3gpuE2ELNS1_3repE0EEENS1_30default_config_static_selectorELNS0_4arch9wavefront6targetE1EEEvT1_: ; @_ZN7rocprim17ROCPRIM_400000_NS6detail17trampoline_kernelINS0_14default_configENS1_25transform_config_selectorIdLb1EEEZNS1_14transform_implILb1ES3_S5_PdS7_NS0_8identityIdEEEE10hipError_tT2_T3_mT4_P12ihipStream_tbEUlT_E_NS1_11comp_targetILNS1_3genE8ELNS1_11target_archE1030ELNS1_3gpuE2ELNS1_3repE0EEENS1_30default_config_static_selectorELNS0_4arch9wavefront6targetE1EEEvT1_
; %bb.0:
	.section	.rodata,"a",@progbits
	.p2align	6, 0x0
	.amdhsa_kernel _ZN7rocprim17ROCPRIM_400000_NS6detail17trampoline_kernelINS0_14default_configENS1_25transform_config_selectorIdLb1EEEZNS1_14transform_implILb1ES3_S5_PdS7_NS0_8identityIdEEEE10hipError_tT2_T3_mT4_P12ihipStream_tbEUlT_E_NS1_11comp_targetILNS1_3genE8ELNS1_11target_archE1030ELNS1_3gpuE2ELNS1_3repE0EEENS1_30default_config_static_selectorELNS0_4arch9wavefront6targetE1EEEvT1_
		.amdhsa_group_segment_fixed_size 0
		.amdhsa_private_segment_fixed_size 0
		.amdhsa_kernarg_size 40
		.amdhsa_user_sgpr_count 2
		.amdhsa_user_sgpr_dispatch_ptr 0
		.amdhsa_user_sgpr_queue_ptr 0
		.amdhsa_user_sgpr_kernarg_segment_ptr 1
		.amdhsa_user_sgpr_dispatch_id 0
		.amdhsa_user_sgpr_kernarg_preload_length 0
		.amdhsa_user_sgpr_kernarg_preload_offset 0
		.amdhsa_user_sgpr_private_segment_size 0
		.amdhsa_uses_dynamic_stack 0
		.amdhsa_enable_private_segment 0
		.amdhsa_system_sgpr_workgroup_id_x 1
		.amdhsa_system_sgpr_workgroup_id_y 0
		.amdhsa_system_sgpr_workgroup_id_z 0
		.amdhsa_system_sgpr_workgroup_info 0
		.amdhsa_system_vgpr_workitem_id 0
		.amdhsa_next_free_vgpr 1
		.amdhsa_next_free_sgpr 0
		.amdhsa_accum_offset 4
		.amdhsa_reserve_vcc 0
		.amdhsa_float_round_mode_32 0
		.amdhsa_float_round_mode_16_64 0
		.amdhsa_float_denorm_mode_32 3
		.amdhsa_float_denorm_mode_16_64 3
		.amdhsa_dx10_clamp 1
		.amdhsa_ieee_mode 1
		.amdhsa_fp16_overflow 0
		.amdhsa_tg_split 0
		.amdhsa_exception_fp_ieee_invalid_op 0
		.amdhsa_exception_fp_denorm_src 0
		.amdhsa_exception_fp_ieee_div_zero 0
		.amdhsa_exception_fp_ieee_overflow 0
		.amdhsa_exception_fp_ieee_underflow 0
		.amdhsa_exception_fp_ieee_inexact 0
		.amdhsa_exception_int_div_zero 0
	.end_amdhsa_kernel
	.section	.text._ZN7rocprim17ROCPRIM_400000_NS6detail17trampoline_kernelINS0_14default_configENS1_25transform_config_selectorIdLb1EEEZNS1_14transform_implILb1ES3_S5_PdS7_NS0_8identityIdEEEE10hipError_tT2_T3_mT4_P12ihipStream_tbEUlT_E_NS1_11comp_targetILNS1_3genE8ELNS1_11target_archE1030ELNS1_3gpuE2ELNS1_3repE0EEENS1_30default_config_static_selectorELNS0_4arch9wavefront6targetE1EEEvT1_,"axG",@progbits,_ZN7rocprim17ROCPRIM_400000_NS6detail17trampoline_kernelINS0_14default_configENS1_25transform_config_selectorIdLb1EEEZNS1_14transform_implILb1ES3_S5_PdS7_NS0_8identityIdEEEE10hipError_tT2_T3_mT4_P12ihipStream_tbEUlT_E_NS1_11comp_targetILNS1_3genE8ELNS1_11target_archE1030ELNS1_3gpuE2ELNS1_3repE0EEENS1_30default_config_static_selectorELNS0_4arch9wavefront6targetE1EEEvT1_,comdat
.Lfunc_end18:
	.size	_ZN7rocprim17ROCPRIM_400000_NS6detail17trampoline_kernelINS0_14default_configENS1_25transform_config_selectorIdLb1EEEZNS1_14transform_implILb1ES3_S5_PdS7_NS0_8identityIdEEEE10hipError_tT2_T3_mT4_P12ihipStream_tbEUlT_E_NS1_11comp_targetILNS1_3genE8ELNS1_11target_archE1030ELNS1_3gpuE2ELNS1_3repE0EEENS1_30default_config_static_selectorELNS0_4arch9wavefront6targetE1EEEvT1_, .Lfunc_end18-_ZN7rocprim17ROCPRIM_400000_NS6detail17trampoline_kernelINS0_14default_configENS1_25transform_config_selectorIdLb1EEEZNS1_14transform_implILb1ES3_S5_PdS7_NS0_8identityIdEEEE10hipError_tT2_T3_mT4_P12ihipStream_tbEUlT_E_NS1_11comp_targetILNS1_3genE8ELNS1_11target_archE1030ELNS1_3gpuE2ELNS1_3repE0EEENS1_30default_config_static_selectorELNS0_4arch9wavefront6targetE1EEEvT1_
                                        ; -- End function
	.section	.AMDGPU.csdata,"",@progbits
; Kernel info:
; codeLenInByte = 0
; NumSgprs: 6
; NumVgprs: 0
; NumAgprs: 0
; TotalNumVgprs: 0
; ScratchSize: 0
; MemoryBound: 0
; FloatMode: 240
; IeeeMode: 1
; LDSByteSize: 0 bytes/workgroup (compile time only)
; SGPRBlocks: 0
; VGPRBlocks: 0
; NumSGPRsForWavesPerEU: 6
; NumVGPRsForWavesPerEU: 1
; AccumOffset: 4
; Occupancy: 8
; WaveLimiterHint : 0
; COMPUTE_PGM_RSRC2:SCRATCH_EN: 0
; COMPUTE_PGM_RSRC2:USER_SGPR: 2
; COMPUTE_PGM_RSRC2:TRAP_HANDLER: 0
; COMPUTE_PGM_RSRC2:TGID_X_EN: 1
; COMPUTE_PGM_RSRC2:TGID_Y_EN: 0
; COMPUTE_PGM_RSRC2:TGID_Z_EN: 0
; COMPUTE_PGM_RSRC2:TIDIG_COMP_CNT: 0
; COMPUTE_PGM_RSRC3_GFX90A:ACCUM_OFFSET: 0
; COMPUTE_PGM_RSRC3_GFX90A:TG_SPLIT: 0
	.section	.text._ZN7rocprim17ROCPRIM_400000_NS6detail17trampoline_kernelINS0_14default_configENS1_20scan_config_selectorIdEEZZNS1_9scan_implILNS1_25lookback_scan_determinismE0ELb0ELb0ES3_PKdPddZZZN2at6native31launch_logcumsumexp_cuda_kernelERKNSB_10TensorBaseESF_lENKUlvE_clEvENKUlvE_clEvEUlddE_dEEDaPvRmT3_T4_T5_mT6_P12ihipStream_tbENKUlT_T0_E_clISt17integral_constantIbLb0EESW_EEDaSR_SS_EUlSR_E0_NS1_11comp_targetILNS1_3genE0ELNS1_11target_archE4294967295ELNS1_3gpuE0ELNS1_3repE0EEENS1_30default_config_static_selectorELNS0_4arch9wavefront6targetE1EEEvT1_,"axG",@progbits,_ZN7rocprim17ROCPRIM_400000_NS6detail17trampoline_kernelINS0_14default_configENS1_20scan_config_selectorIdEEZZNS1_9scan_implILNS1_25lookback_scan_determinismE0ELb0ELb0ES3_PKdPddZZZN2at6native31launch_logcumsumexp_cuda_kernelERKNSB_10TensorBaseESF_lENKUlvE_clEvENKUlvE_clEvEUlddE_dEEDaPvRmT3_T4_T5_mT6_P12ihipStream_tbENKUlT_T0_E_clISt17integral_constantIbLb0EESW_EEDaSR_SS_EUlSR_E0_NS1_11comp_targetILNS1_3genE0ELNS1_11target_archE4294967295ELNS1_3gpuE0ELNS1_3repE0EEENS1_30default_config_static_selectorELNS0_4arch9wavefront6targetE1EEEvT1_,comdat
	.globl	_ZN7rocprim17ROCPRIM_400000_NS6detail17trampoline_kernelINS0_14default_configENS1_20scan_config_selectorIdEEZZNS1_9scan_implILNS1_25lookback_scan_determinismE0ELb0ELb0ES3_PKdPddZZZN2at6native31launch_logcumsumexp_cuda_kernelERKNSB_10TensorBaseESF_lENKUlvE_clEvENKUlvE_clEvEUlddE_dEEDaPvRmT3_T4_T5_mT6_P12ihipStream_tbENKUlT_T0_E_clISt17integral_constantIbLb0EESW_EEDaSR_SS_EUlSR_E0_NS1_11comp_targetILNS1_3genE0ELNS1_11target_archE4294967295ELNS1_3gpuE0ELNS1_3repE0EEENS1_30default_config_static_selectorELNS0_4arch9wavefront6targetE1EEEvT1_ ; -- Begin function _ZN7rocprim17ROCPRIM_400000_NS6detail17trampoline_kernelINS0_14default_configENS1_20scan_config_selectorIdEEZZNS1_9scan_implILNS1_25lookback_scan_determinismE0ELb0ELb0ES3_PKdPddZZZN2at6native31launch_logcumsumexp_cuda_kernelERKNSB_10TensorBaseESF_lENKUlvE_clEvENKUlvE_clEvEUlddE_dEEDaPvRmT3_T4_T5_mT6_P12ihipStream_tbENKUlT_T0_E_clISt17integral_constantIbLb0EESW_EEDaSR_SS_EUlSR_E0_NS1_11comp_targetILNS1_3genE0ELNS1_11target_archE4294967295ELNS1_3gpuE0ELNS1_3repE0EEENS1_30default_config_static_selectorELNS0_4arch9wavefront6targetE1EEEvT1_
	.p2align	8
	.type	_ZN7rocprim17ROCPRIM_400000_NS6detail17trampoline_kernelINS0_14default_configENS1_20scan_config_selectorIdEEZZNS1_9scan_implILNS1_25lookback_scan_determinismE0ELb0ELb0ES3_PKdPddZZZN2at6native31launch_logcumsumexp_cuda_kernelERKNSB_10TensorBaseESF_lENKUlvE_clEvENKUlvE_clEvEUlddE_dEEDaPvRmT3_T4_T5_mT6_P12ihipStream_tbENKUlT_T0_E_clISt17integral_constantIbLb0EESW_EEDaSR_SS_EUlSR_E0_NS1_11comp_targetILNS1_3genE0ELNS1_11target_archE4294967295ELNS1_3gpuE0ELNS1_3repE0EEENS1_30default_config_static_selectorELNS0_4arch9wavefront6targetE1EEEvT1_,@function
_ZN7rocprim17ROCPRIM_400000_NS6detail17trampoline_kernelINS0_14default_configENS1_20scan_config_selectorIdEEZZNS1_9scan_implILNS1_25lookback_scan_determinismE0ELb0ELb0ES3_PKdPddZZZN2at6native31launch_logcumsumexp_cuda_kernelERKNSB_10TensorBaseESF_lENKUlvE_clEvENKUlvE_clEvEUlddE_dEEDaPvRmT3_T4_T5_mT6_P12ihipStream_tbENKUlT_T0_E_clISt17integral_constantIbLb0EESW_EEDaSR_SS_EUlSR_E0_NS1_11comp_targetILNS1_3genE0ELNS1_11target_archE4294967295ELNS1_3gpuE0ELNS1_3repE0EEENS1_30default_config_static_selectorELNS0_4arch9wavefront6targetE1EEEvT1_: ; @_ZN7rocprim17ROCPRIM_400000_NS6detail17trampoline_kernelINS0_14default_configENS1_20scan_config_selectorIdEEZZNS1_9scan_implILNS1_25lookback_scan_determinismE0ELb0ELb0ES3_PKdPddZZZN2at6native31launch_logcumsumexp_cuda_kernelERKNSB_10TensorBaseESF_lENKUlvE_clEvENKUlvE_clEvEUlddE_dEEDaPvRmT3_T4_T5_mT6_P12ihipStream_tbENKUlT_T0_E_clISt17integral_constantIbLb0EESW_EEDaSR_SS_EUlSR_E0_NS1_11comp_targetILNS1_3genE0ELNS1_11target_archE4294967295ELNS1_3gpuE0ELNS1_3repE0EEENS1_30default_config_static_selectorELNS0_4arch9wavefront6targetE1EEEvT1_
; %bb.0:
	.section	.rodata,"a",@progbits
	.p2align	6, 0x0
	.amdhsa_kernel _ZN7rocprim17ROCPRIM_400000_NS6detail17trampoline_kernelINS0_14default_configENS1_20scan_config_selectorIdEEZZNS1_9scan_implILNS1_25lookback_scan_determinismE0ELb0ELb0ES3_PKdPddZZZN2at6native31launch_logcumsumexp_cuda_kernelERKNSB_10TensorBaseESF_lENKUlvE_clEvENKUlvE_clEvEUlddE_dEEDaPvRmT3_T4_T5_mT6_P12ihipStream_tbENKUlT_T0_E_clISt17integral_constantIbLb0EESW_EEDaSR_SS_EUlSR_E0_NS1_11comp_targetILNS1_3genE0ELNS1_11target_archE4294967295ELNS1_3gpuE0ELNS1_3repE0EEENS1_30default_config_static_selectorELNS0_4arch9wavefront6targetE1EEEvT1_
		.amdhsa_group_segment_fixed_size 0
		.amdhsa_private_segment_fixed_size 0
		.amdhsa_kernarg_size 40
		.amdhsa_user_sgpr_count 2
		.amdhsa_user_sgpr_dispatch_ptr 0
		.amdhsa_user_sgpr_queue_ptr 0
		.amdhsa_user_sgpr_kernarg_segment_ptr 1
		.amdhsa_user_sgpr_dispatch_id 0
		.amdhsa_user_sgpr_kernarg_preload_length 0
		.amdhsa_user_sgpr_kernarg_preload_offset 0
		.amdhsa_user_sgpr_private_segment_size 0
		.amdhsa_uses_dynamic_stack 0
		.amdhsa_enable_private_segment 0
		.amdhsa_system_sgpr_workgroup_id_x 1
		.amdhsa_system_sgpr_workgroup_id_y 0
		.amdhsa_system_sgpr_workgroup_id_z 0
		.amdhsa_system_sgpr_workgroup_info 0
		.amdhsa_system_vgpr_workitem_id 0
		.amdhsa_next_free_vgpr 1
		.amdhsa_next_free_sgpr 0
		.amdhsa_accum_offset 4
		.amdhsa_reserve_vcc 0
		.amdhsa_float_round_mode_32 0
		.amdhsa_float_round_mode_16_64 0
		.amdhsa_float_denorm_mode_32 3
		.amdhsa_float_denorm_mode_16_64 3
		.amdhsa_dx10_clamp 1
		.amdhsa_ieee_mode 1
		.amdhsa_fp16_overflow 0
		.amdhsa_tg_split 0
		.amdhsa_exception_fp_ieee_invalid_op 0
		.amdhsa_exception_fp_denorm_src 0
		.amdhsa_exception_fp_ieee_div_zero 0
		.amdhsa_exception_fp_ieee_overflow 0
		.amdhsa_exception_fp_ieee_underflow 0
		.amdhsa_exception_fp_ieee_inexact 0
		.amdhsa_exception_int_div_zero 0
	.end_amdhsa_kernel
	.section	.text._ZN7rocprim17ROCPRIM_400000_NS6detail17trampoline_kernelINS0_14default_configENS1_20scan_config_selectorIdEEZZNS1_9scan_implILNS1_25lookback_scan_determinismE0ELb0ELb0ES3_PKdPddZZZN2at6native31launch_logcumsumexp_cuda_kernelERKNSB_10TensorBaseESF_lENKUlvE_clEvENKUlvE_clEvEUlddE_dEEDaPvRmT3_T4_T5_mT6_P12ihipStream_tbENKUlT_T0_E_clISt17integral_constantIbLb0EESW_EEDaSR_SS_EUlSR_E0_NS1_11comp_targetILNS1_3genE0ELNS1_11target_archE4294967295ELNS1_3gpuE0ELNS1_3repE0EEENS1_30default_config_static_selectorELNS0_4arch9wavefront6targetE1EEEvT1_,"axG",@progbits,_ZN7rocprim17ROCPRIM_400000_NS6detail17trampoline_kernelINS0_14default_configENS1_20scan_config_selectorIdEEZZNS1_9scan_implILNS1_25lookback_scan_determinismE0ELb0ELb0ES3_PKdPddZZZN2at6native31launch_logcumsumexp_cuda_kernelERKNSB_10TensorBaseESF_lENKUlvE_clEvENKUlvE_clEvEUlddE_dEEDaPvRmT3_T4_T5_mT6_P12ihipStream_tbENKUlT_T0_E_clISt17integral_constantIbLb0EESW_EEDaSR_SS_EUlSR_E0_NS1_11comp_targetILNS1_3genE0ELNS1_11target_archE4294967295ELNS1_3gpuE0ELNS1_3repE0EEENS1_30default_config_static_selectorELNS0_4arch9wavefront6targetE1EEEvT1_,comdat
.Lfunc_end19:
	.size	_ZN7rocprim17ROCPRIM_400000_NS6detail17trampoline_kernelINS0_14default_configENS1_20scan_config_selectorIdEEZZNS1_9scan_implILNS1_25lookback_scan_determinismE0ELb0ELb0ES3_PKdPddZZZN2at6native31launch_logcumsumexp_cuda_kernelERKNSB_10TensorBaseESF_lENKUlvE_clEvENKUlvE_clEvEUlddE_dEEDaPvRmT3_T4_T5_mT6_P12ihipStream_tbENKUlT_T0_E_clISt17integral_constantIbLb0EESW_EEDaSR_SS_EUlSR_E0_NS1_11comp_targetILNS1_3genE0ELNS1_11target_archE4294967295ELNS1_3gpuE0ELNS1_3repE0EEENS1_30default_config_static_selectorELNS0_4arch9wavefront6targetE1EEEvT1_, .Lfunc_end19-_ZN7rocprim17ROCPRIM_400000_NS6detail17trampoline_kernelINS0_14default_configENS1_20scan_config_selectorIdEEZZNS1_9scan_implILNS1_25lookback_scan_determinismE0ELb0ELb0ES3_PKdPddZZZN2at6native31launch_logcumsumexp_cuda_kernelERKNSB_10TensorBaseESF_lENKUlvE_clEvENKUlvE_clEvEUlddE_dEEDaPvRmT3_T4_T5_mT6_P12ihipStream_tbENKUlT_T0_E_clISt17integral_constantIbLb0EESW_EEDaSR_SS_EUlSR_E0_NS1_11comp_targetILNS1_3genE0ELNS1_11target_archE4294967295ELNS1_3gpuE0ELNS1_3repE0EEENS1_30default_config_static_selectorELNS0_4arch9wavefront6targetE1EEEvT1_
                                        ; -- End function
	.section	.AMDGPU.csdata,"",@progbits
; Kernel info:
; codeLenInByte = 0
; NumSgprs: 6
; NumVgprs: 0
; NumAgprs: 0
; TotalNumVgprs: 0
; ScratchSize: 0
; MemoryBound: 0
; FloatMode: 240
; IeeeMode: 1
; LDSByteSize: 0 bytes/workgroup (compile time only)
; SGPRBlocks: 0
; VGPRBlocks: 0
; NumSGPRsForWavesPerEU: 6
; NumVGPRsForWavesPerEU: 1
; AccumOffset: 4
; Occupancy: 8
; WaveLimiterHint : 0
; COMPUTE_PGM_RSRC2:SCRATCH_EN: 0
; COMPUTE_PGM_RSRC2:USER_SGPR: 2
; COMPUTE_PGM_RSRC2:TRAP_HANDLER: 0
; COMPUTE_PGM_RSRC2:TGID_X_EN: 1
; COMPUTE_PGM_RSRC2:TGID_Y_EN: 0
; COMPUTE_PGM_RSRC2:TGID_Z_EN: 0
; COMPUTE_PGM_RSRC2:TIDIG_COMP_CNT: 0
; COMPUTE_PGM_RSRC3_GFX90A:ACCUM_OFFSET: 0
; COMPUTE_PGM_RSRC3_GFX90A:TG_SPLIT: 0
	.section	.text._ZN7rocprim17ROCPRIM_400000_NS6detail17trampoline_kernelINS0_14default_configENS1_20scan_config_selectorIdEEZZNS1_9scan_implILNS1_25lookback_scan_determinismE0ELb0ELb0ES3_PKdPddZZZN2at6native31launch_logcumsumexp_cuda_kernelERKNSB_10TensorBaseESF_lENKUlvE_clEvENKUlvE_clEvEUlddE_dEEDaPvRmT3_T4_T5_mT6_P12ihipStream_tbENKUlT_T0_E_clISt17integral_constantIbLb0EESW_EEDaSR_SS_EUlSR_E0_NS1_11comp_targetILNS1_3genE5ELNS1_11target_archE942ELNS1_3gpuE9ELNS1_3repE0EEENS1_30default_config_static_selectorELNS0_4arch9wavefront6targetE1EEEvT1_,"axG",@progbits,_ZN7rocprim17ROCPRIM_400000_NS6detail17trampoline_kernelINS0_14default_configENS1_20scan_config_selectorIdEEZZNS1_9scan_implILNS1_25lookback_scan_determinismE0ELb0ELb0ES3_PKdPddZZZN2at6native31launch_logcumsumexp_cuda_kernelERKNSB_10TensorBaseESF_lENKUlvE_clEvENKUlvE_clEvEUlddE_dEEDaPvRmT3_T4_T5_mT6_P12ihipStream_tbENKUlT_T0_E_clISt17integral_constantIbLb0EESW_EEDaSR_SS_EUlSR_E0_NS1_11comp_targetILNS1_3genE5ELNS1_11target_archE942ELNS1_3gpuE9ELNS1_3repE0EEENS1_30default_config_static_selectorELNS0_4arch9wavefront6targetE1EEEvT1_,comdat
	.globl	_ZN7rocprim17ROCPRIM_400000_NS6detail17trampoline_kernelINS0_14default_configENS1_20scan_config_selectorIdEEZZNS1_9scan_implILNS1_25lookback_scan_determinismE0ELb0ELb0ES3_PKdPddZZZN2at6native31launch_logcumsumexp_cuda_kernelERKNSB_10TensorBaseESF_lENKUlvE_clEvENKUlvE_clEvEUlddE_dEEDaPvRmT3_T4_T5_mT6_P12ihipStream_tbENKUlT_T0_E_clISt17integral_constantIbLb0EESW_EEDaSR_SS_EUlSR_E0_NS1_11comp_targetILNS1_3genE5ELNS1_11target_archE942ELNS1_3gpuE9ELNS1_3repE0EEENS1_30default_config_static_selectorELNS0_4arch9wavefront6targetE1EEEvT1_ ; -- Begin function _ZN7rocprim17ROCPRIM_400000_NS6detail17trampoline_kernelINS0_14default_configENS1_20scan_config_selectorIdEEZZNS1_9scan_implILNS1_25lookback_scan_determinismE0ELb0ELb0ES3_PKdPddZZZN2at6native31launch_logcumsumexp_cuda_kernelERKNSB_10TensorBaseESF_lENKUlvE_clEvENKUlvE_clEvEUlddE_dEEDaPvRmT3_T4_T5_mT6_P12ihipStream_tbENKUlT_T0_E_clISt17integral_constantIbLb0EESW_EEDaSR_SS_EUlSR_E0_NS1_11comp_targetILNS1_3genE5ELNS1_11target_archE942ELNS1_3gpuE9ELNS1_3repE0EEENS1_30default_config_static_selectorELNS0_4arch9wavefront6targetE1EEEvT1_
	.p2align	8
	.type	_ZN7rocprim17ROCPRIM_400000_NS6detail17trampoline_kernelINS0_14default_configENS1_20scan_config_selectorIdEEZZNS1_9scan_implILNS1_25lookback_scan_determinismE0ELb0ELb0ES3_PKdPddZZZN2at6native31launch_logcumsumexp_cuda_kernelERKNSB_10TensorBaseESF_lENKUlvE_clEvENKUlvE_clEvEUlddE_dEEDaPvRmT3_T4_T5_mT6_P12ihipStream_tbENKUlT_T0_E_clISt17integral_constantIbLb0EESW_EEDaSR_SS_EUlSR_E0_NS1_11comp_targetILNS1_3genE5ELNS1_11target_archE942ELNS1_3gpuE9ELNS1_3repE0EEENS1_30default_config_static_selectorELNS0_4arch9wavefront6targetE1EEEvT1_,@function
_ZN7rocprim17ROCPRIM_400000_NS6detail17trampoline_kernelINS0_14default_configENS1_20scan_config_selectorIdEEZZNS1_9scan_implILNS1_25lookback_scan_determinismE0ELb0ELb0ES3_PKdPddZZZN2at6native31launch_logcumsumexp_cuda_kernelERKNSB_10TensorBaseESF_lENKUlvE_clEvENKUlvE_clEvEUlddE_dEEDaPvRmT3_T4_T5_mT6_P12ihipStream_tbENKUlT_T0_E_clISt17integral_constantIbLb0EESW_EEDaSR_SS_EUlSR_E0_NS1_11comp_targetILNS1_3genE5ELNS1_11target_archE942ELNS1_3gpuE9ELNS1_3repE0EEENS1_30default_config_static_selectorELNS0_4arch9wavefront6targetE1EEEvT1_: ; @_ZN7rocprim17ROCPRIM_400000_NS6detail17trampoline_kernelINS0_14default_configENS1_20scan_config_selectorIdEEZZNS1_9scan_implILNS1_25lookback_scan_determinismE0ELb0ELb0ES3_PKdPddZZZN2at6native31launch_logcumsumexp_cuda_kernelERKNSB_10TensorBaseESF_lENKUlvE_clEvENKUlvE_clEvEUlddE_dEEDaPvRmT3_T4_T5_mT6_P12ihipStream_tbENKUlT_T0_E_clISt17integral_constantIbLb0EESW_EEDaSR_SS_EUlSR_E0_NS1_11comp_targetILNS1_3genE5ELNS1_11target_archE942ELNS1_3gpuE9ELNS1_3repE0EEENS1_30default_config_static_selectorELNS0_4arch9wavefront6targetE1EEEvT1_
; %bb.0:
	s_load_dwordx4 s[28:31], s[0:1], 0x0
	v_lshlrev_b32_e32 v34, 3, v0
	s_waitcnt lgkmcnt(0)
	s_load_dwordx2 s[34:35], s[28:29], 0x0
	v_cmp_gt_u32_e32 vcc, s30, v0
	s_waitcnt lgkmcnt(0)
	v_mov_b64_e32 v[2:3], s[34:35]
	s_and_saveexec_b64 s[2:3], vcc
	s_cbranch_execz .LBB20_2
; %bb.1:
	global_load_dwordx2 v[2:3], v34, s[28:29]
.LBB20_2:
	s_or_b64 exec, exec, s[2:3]
	v_or_b32_e32 v1, 0x100, v0
	v_cmp_gt_u32_e64 s[58:59], s30, v1
	v_mov_b64_e32 v[4:5], s[34:35]
	s_and_saveexec_b64 s[2:3], s[58:59]
	s_cbranch_execz .LBB20_4
; %bb.3:
	global_load_dwordx2 v[4:5], v34, s[28:29] offset:2048
.LBB20_4:
	s_or_b64 exec, exec, s[2:3]
	v_or_b32_e32 v1, 0x200, v0
	v_cmp_gt_u32_e64 s[2:3], s30, v1
	v_mov_b64_e32 v[6:7], s[34:35]
	s_and_saveexec_b64 s[4:5], s[2:3]
	s_cbranch_execz .LBB20_6
; %bb.5:
	v_lshlrev_b32_e32 v1, 3, v1
	global_load_dwordx2 v[6:7], v1, s[28:29]
.LBB20_6:
	s_or_b64 exec, exec, s[4:5]
	v_or_b32_e32 v1, 0x300, v0
	v_cmp_gt_u32_e64 s[4:5], s30, v1
	v_mov_b64_e32 v[8:9], s[34:35]
	s_and_saveexec_b64 s[6:7], s[4:5]
	s_cbranch_execz .LBB20_8
; %bb.7:
	v_lshlrev_b32_e32 v1, 3, v1
	global_load_dwordx2 v[8:9], v1, s[28:29]
.LBB20_8:
	;; [unrolled: 10-line block ×13, first 2 shown]
	s_or_b64 exec, exec, s[30:31]
	s_movk_i32 s28, 0x70
	v_mad_u32_u24 v1, v0, s28, v34
	s_waitcnt vmcnt(0)
	ds_write2st64_b64 v34, v[2:3], v[4:5] offset1:4
	ds_write2st64_b64 v34, v[6:7], v[8:9] offset0:8 offset1:12
	ds_write2st64_b64 v34, v[10:11], v[12:13] offset0:16 offset1:20
	ds_write2st64_b64 v34, v[14:15], v[16:17] offset0:24 offset1:28
	ds_write2st64_b64 v34, v[18:19], v[20:21] offset0:32 offset1:36
	ds_write2st64_b64 v34, v[22:23], v[24:25] offset0:40 offset1:44
	ds_write2st64_b64 v34, v[26:27], v[28:29] offset0:48 offset1:52
	ds_write_b64 v34, v[30:31] offset:28672
	s_waitcnt lgkmcnt(0)
	s_barrier
	ds_read2_b64 v[2:5], v1 offset1:1
	ds_read2_b64 v[26:29], v1 offset0:2 offset1:3
	ds_read2_b64 v[22:25], v1 offset0:4 offset1:5
	;; [unrolled: 1-line block ×6, first 2 shown]
	ds_read_b64 v[36:37], v1 offset:112
	s_waitcnt lgkmcnt(7)
	v_max_f64 v[42:43], v[4:5], v[4:5]
	v_max_f64 v[68:69], v[2:3], v[2:3]
	v_min_f64 v[66:67], v[68:69], v[42:43]
	v_cmp_u_f64_e64 s[60:61], v[2:3], v[2:3]
	v_cmp_u_f64_e64 s[28:29], v[4:5], v[4:5]
	v_max_f64 v[70:71], v[68:69], v[42:43]
	v_cndmask_b32_e64 v1, v66, v2, s[60:61]
	v_cndmask_b32_e64 v30, v67, v3, s[60:61]
	;; [unrolled: 1-line block ×8, first 2 shown]
	s_movk_i32 s33, 0x1f8
	v_cmp_neq_f64_e64 s[30:31], v[32:33], v[30:31]
	v_cmp_class_f64_e64 s[34:35], v[32:33], s33
	s_or_b64 s[30:31], s[30:31], s[34:35]
	v_mov_b64_e32 v[72:73], v[2:3]
	s_waitcnt lgkmcnt(0)
	s_barrier
	s_and_saveexec_b64 s[36:37], s[30:31]
	s_cbranch_execz .LBB20_32
; %bb.31:
	s_mov_b32 s30, 0x652b82fe
	v_add_f64 v[32:33], v[32:33], -v[30:31]
	s_mov_b32 s31, 0x3ff71547
	v_mul_f64 v[38:39], v[32:33], s[30:31]
	v_rndne_f64_e32 v[38:39], v[38:39]
	s_mov_b32 s39, 0xbfe62e42
	s_mov_b32 s38, 0xfefa39ef
	v_fma_f64 v[40:41], s[38:39], v[38:39], v[32:33]
	s_mov_b32 s41, 0xbc7abc9e
	s_mov_b32 s40, 0x3b39803f
	;; [unrolled: 1-line block ×3, first 2 shown]
	v_fmac_f64_e32 v[40:41], s[40:41], v[38:39]
	v_mov_b32_e32 v44, 0xfca7ab0c
	v_mov_b32_e32 v45, 0x3e928af3
	s_mov_b32 s31, 0x3e5ade15
	v_fmac_f64_e32 v[44:45], s[30:31], v[40:41]
	v_mov_b32_e32 v46, 0x623fde64
	v_mov_b32_e32 v47, 0x3ec71dee
	v_fmac_f64_e32 v[46:47], v[40:41], v[44:45]
	v_mov_b32_e32 v44, 0x7c89e6b0
	v_mov_b32_e32 v45, 0x3efa0199
	;; [unrolled: 3-line block ×8, first 2 shown]
	v_fmac_f64_e32 v[44:45], v[40:41], v[46:47]
	v_fma_f64 v[44:45], v[40:41], v[44:45], 1.0
	s_mov_b32 s30, 0
	s_mov_b32 s34, 0
	v_fma_f64 v[40:41], v[40:41], v[44:45], 1.0
	v_cvt_i32_f64_e32 v1, v[38:39]
	s_mov_b32 s31, 0x40900000
	s_mov_b32 s35, 0xc090cc00
	v_ldexp_f64 v[38:39], v[40:41], v1
	v_mov_b32_e32 v1, 0x7ff00000
	v_cmp_nlt_f64_e64 s[30:31], s[30:31], v[32:33]
	v_cmp_ngt_f64_e64 s[34:35], s[34:35], v[32:33]
	s_mov_b32 s39, 0x3fe62e42
	v_cndmask_b32_e64 v1, v1, v39, s[30:31]
	s_and_b64 s[30:31], s[34:35], s[30:31]
	v_cndmask_b32_e64 v33, 0, v1, s[34:35]
	v_cndmask_b32_e64 v32, 0, v38, s[30:31]
	v_add_f64 v[38:39], v[32:33], 1.0
	v_add_f64 v[40:41], v[38:39], -1.0
	v_add_f64 v[44:45], v[40:41], -v[38:39]
	v_add_f64 v[44:45], v[44:45], 1.0
	v_add_f64 v[40:41], v[32:33], -v[40:41]
	s_mov_b32 s30, 0x55555555
	v_add_f64 v[40:41], v[40:41], v[44:45]
	v_frexp_mant_f64_e32 v[44:45], v[38:39]
	s_mov_b32 s31, 0x3fe55555
	v_frexp_exp_i32_f64_e32 v1, v[38:39]
	v_cmp_gt_f64_e64 s[30:31], s[30:31], v[44:45]
	s_mov_b32 s41, 0x3c7abc9e
	s_nop 0
	v_subbrev_co_u32_e64 v1, s[30:31], 0, v1, s[30:31]
	v_sub_u32_e32 v35, 0, v1
	v_ldexp_f64 v[38:39], v[38:39], v35
	v_add_f64 v[44:45], v[38:39], -1.0
	v_add_f64 v[50:51], v[38:39], 1.0
	v_add_f64 v[46:47], v[44:45], 1.0
	v_add_f64 v[52:53], v[50:51], -1.0
	v_ldexp_f64 v[40:41], v[40:41], v35
	v_add_f64 v[46:47], v[38:39], -v[46:47]
	v_add_f64 v[38:39], v[38:39], -v[52:53]
	v_add_f64 v[38:39], v[40:41], v[38:39]
	v_add_f64 v[46:47], v[40:41], v[46:47]
	;; [unrolled: 1-line block ×3, first 2 shown]
	v_rcp_f64_e32 v[52:53], v[40:41]
	v_add_f64 v[48:49], v[44:45], v[46:47]
	v_add_f64 v[44:45], v[48:49], -v[44:45]
	v_add_f64 v[44:45], v[46:47], -v[44:45]
	;; [unrolled: 1-line block ×4, first 2 shown]
	v_fma_f64 v[46:47], -v[40:41], v[52:53], 1.0
	v_fmac_f64_e32 v[52:53], v[46:47], v[52:53]
	v_fma_f64 v[46:47], -v[40:41], v[52:53], 1.0
	v_fmac_f64_e32 v[52:53], v[46:47], v[52:53]
	v_mul_f64 v[46:47], v[48:49], v[52:53]
	v_mul_f64 v[50:51], v[40:41], v[46:47]
	v_fma_f64 v[54:55], v[46:47], v[40:41], -v[50:51]
	v_fmac_f64_e32 v[54:55], v[46:47], v[38:39]
	v_add_f64 v[56:57], v[50:51], v[54:55]
	v_add_f64 v[58:59], v[48:49], -v[56:57]
	v_add_f64 v[48:49], v[48:49], -v[58:59]
	;; [unrolled: 1-line block ×4, first 2 shown]
	v_add_f64 v[44:45], v[44:45], v[48:49]
	v_add_f64 v[48:49], v[50:51], -v[54:55]
	v_add_f64 v[44:45], v[48:49], v[44:45]
	v_add_f64 v[48:49], v[58:59], v[44:45]
	v_add_f64 v[50:51], v[58:59], -v[48:49]
	v_add_f64 v[44:45], v[44:45], v[50:51]
	v_mul_f64 v[50:51], v[52:53], v[48:49]
	v_mul_f64 v[54:55], v[40:41], v[50:51]
	v_fma_f64 v[40:41], v[50:51], v[40:41], -v[54:55]
	v_fmac_f64_e32 v[40:41], v[50:51], v[38:39]
	v_add_f64 v[38:39], v[54:55], v[40:41]
	v_add_f64 v[56:57], v[48:49], -v[38:39]
	v_add_f64 v[48:49], v[48:49], -v[56:57]
	;; [unrolled: 1-line block ×4, first 2 shown]
	v_add_f64 v[38:39], v[44:45], v[38:39]
	v_add_f64 v[40:41], v[54:55], -v[40:41]
	v_add_f64 v[38:39], v[40:41], v[38:39]
	v_add_f64 v[40:41], v[46:47], v[50:51]
	;; [unrolled: 1-line block ×3, first 2 shown]
	v_add_f64 v[44:45], v[40:41], -v[46:47]
	v_mul_f64 v[38:39], v[52:53], v[38:39]
	v_add_f64 v[44:45], v[50:51], -v[44:45]
	v_add_f64 v[38:39], v[44:45], v[38:39]
	v_add_f64 v[44:45], v[40:41], v[38:39]
	v_add_f64 v[40:41], v[44:45], -v[40:41]
	s_mov_b32 s30, 0xbf559e2b
	v_add_f64 v[38:39], v[38:39], -v[40:41]
	v_mul_f64 v[40:41], v[44:45], v[44:45]
	v_mov_b32_e32 v46, 0x6b47b09a
	v_mov_b32_e32 v47, 0x3fc38538
	s_mov_b32 s31, 0x3fc3ab76
	v_fmac_f64_e32 v[46:47], s[30:31], v[40:41]
	v_mov_b32_e32 v48, 0xd7f4df2e
	v_mov_b32_e32 v49, 0x3fc7474d
	v_fmac_f64_e32 v[48:49], v[40:41], v[46:47]
	v_mov_b32_e32 v46, 0x16291751
	v_mov_b32_e32 v47, 0x3fcc71c0
	v_fmac_f64_e32 v[46:47], v[40:41], v[48:49]
	v_mov_b32_e32 v48, 0x9b27acf1
	v_mov_b32_e32 v49, 0x3fd24924
	v_fmac_f64_e32 v[48:49], v[40:41], v[46:47]
	v_mov_b32_e32 v46, 0x998ef7b6
	v_mov_b32_e32 v47, 0x3fd99999
	v_fmac_f64_e32 v[46:47], v[40:41], v[48:49]
	v_mov_b32_e32 v48, 0x55555780
	v_mov_b32_e32 v49, 0x3fe55555
	v_fmac_f64_e32 v[48:49], v[40:41], v[46:47]
	v_cvt_f64_i32_e32 v[46:47], v1
	v_mul_f64 v[50:51], v[46:47], s[38:39]
	v_fma_f64 v[52:53], v[46:47], s[38:39], -v[50:51]
	v_fmac_f64_e32 v[52:53], s[40:41], v[46:47]
	v_add_f64 v[46:47], v[50:51], v[52:53]
	v_add_f64 v[50:51], v[46:47], -v[50:51]
	v_mul_f64 v[40:41], v[44:45], v[40:41]
	v_add_f64 v[50:51], v[52:53], -v[50:51]
	v_ldexp_f64 v[52:53], v[44:45], 1
	v_mul_f64 v[40:41], v[40:41], v[48:49]
	v_add_f64 v[44:45], v[52:53], v[40:41]
	v_add_f64 v[48:49], v[44:45], -v[52:53]
	v_ldexp_f64 v[38:39], v[38:39], 1
	v_add_f64 v[40:41], v[40:41], -v[48:49]
	v_add_f64 v[38:39], v[38:39], v[40:41]
	v_add_f64 v[40:41], v[44:45], v[38:39]
	v_add_f64 v[44:45], v[40:41], -v[44:45]
	v_add_f64 v[38:39], v[38:39], -v[44:45]
	v_add_f64 v[44:45], v[46:47], v[40:41]
	v_add_f64 v[48:49], v[44:45], -v[46:47]
	v_add_f64 v[52:53], v[44:45], -v[48:49]
	v_add_f64 v[46:47], v[46:47], -v[52:53]
	v_add_f64 v[40:41], v[40:41], -v[48:49]
	v_add_f64 v[40:41], v[40:41], v[46:47]
	v_add_f64 v[46:47], v[50:51], v[38:39]
	v_add_f64 v[48:49], v[46:47], -v[50:51]
	v_add_f64 v[40:41], v[46:47], v[40:41]
	v_add_f64 v[52:53], v[46:47], -v[48:49]
	;; [unrolled: 2-line block ×3, first 2 shown]
	v_add_f64 v[38:39], v[38:39], -v[48:49]
	v_add_f64 v[44:45], v[46:47], -v[44:45]
	v_add_f64 v[38:39], v[38:39], v[50:51]
	v_add_f64 v[40:41], v[40:41], -v[44:45]
	s_mov_b32 s30, 0
	v_add_f64 v[38:39], v[38:39], v[40:41]
	s_mov_b32 s31, 0x7ff00000
	v_add_f64 v[38:39], v[46:47], v[38:39]
	v_cmp_eq_f64_e64 s[30:31], s[30:31], v[32:33]
	s_nop 1
	v_cndmask_b32_e64 v1, v38, v32, s[30:31]
	v_cndmask_b32_e64 v35, v39, v33, s[30:31]
	v_mov_b32_e32 v38, 0x7ff80000
	v_cmp_ngt_f64_e64 s[30:31], -1.0, v[32:33]
	s_nop 1
	v_cndmask_b32_e64 v35, v38, v35, s[30:31]
	v_cmp_nge_f64_e64 s[30:31], -1.0, v[32:33]
	s_nop 1
	v_cndmask_b32_e64 v38, 0, v1, s[30:31]
	v_mov_b32_e32 v1, 0xfff00000
	v_cmp_neq_f64_e64 s[30:31], -1.0, v[32:33]
	s_nop 1
	v_cndmask_b32_e64 v39, v1, v35, s[30:31]
	v_add_f64 v[72:73], v[30:31], v[38:39]
.LBB20_32:
	s_or_b64 exec, exec, s[36:37]
	v_max_f64 v[38:39], v[26:27], v[26:27]
	v_max_f64 v[30:31], v[72:73], v[72:73]
	v_min_f64 v[32:33], v[30:31], v[38:39]
	v_cmp_u_f64_e64 s[34:35], v[72:73], v[72:73]
	v_cmp_u_f64_e64 s[30:31], v[26:27], v[26:27]
	v_max_f64 v[30:31], v[30:31], v[38:39]
	v_cndmask_b32_e64 v1, v32, v72, s[34:35]
	v_cndmask_b32_e64 v32, v33, v73, s[34:35]
	;; [unrolled: 1-line block ×8, first 2 shown]
	v_cmp_neq_f64_e64 s[34:35], v[32:33], v[30:31]
	v_cmp_class_f64_e64 s[36:37], v[32:33], s33
	s_or_b64 s[34:35], s[34:35], s[36:37]
	s_and_saveexec_b64 s[38:39], s[34:35]
	s_cbranch_execz .LBB20_34
; %bb.33:
	s_mov_b32 s34, 0x652b82fe
	v_add_f64 v[32:33], v[32:33], -v[30:31]
	s_mov_b32 s35, 0x3ff71547
	v_mul_f64 v[40:41], v[32:33], s[34:35]
	v_rndne_f64_e32 v[40:41], v[40:41]
	s_mov_b32 s41, 0xbfe62e42
	s_mov_b32 s40, 0xfefa39ef
	v_fma_f64 v[44:45], s[40:41], v[40:41], v[32:33]
	s_mov_b32 s43, 0xbc7abc9e
	s_mov_b32 s42, 0x3b39803f
	;; [unrolled: 1-line block ×3, first 2 shown]
	v_fmac_f64_e32 v[44:45], s[42:43], v[40:41]
	v_mov_b32_e32 v46, 0xfca7ab0c
	v_mov_b32_e32 v47, 0x3e928af3
	s_mov_b32 s35, 0x3e5ade15
	v_fmac_f64_e32 v[46:47], s[34:35], v[44:45]
	v_mov_b32_e32 v48, 0x623fde64
	v_mov_b32_e32 v49, 0x3ec71dee
	v_fmac_f64_e32 v[48:49], v[44:45], v[46:47]
	v_mov_b32_e32 v46, 0x7c89e6b0
	v_mov_b32_e32 v47, 0x3efa0199
	;; [unrolled: 3-line block ×8, first 2 shown]
	v_fmac_f64_e32 v[46:47], v[44:45], v[48:49]
	v_fma_f64 v[46:47], v[44:45], v[46:47], 1.0
	s_mov_b32 s34, 0
	s_mov_b32 s36, 0
	v_fma_f64 v[44:45], v[44:45], v[46:47], 1.0
	v_cvt_i32_f64_e32 v1, v[40:41]
	s_mov_b32 s35, 0x40900000
	s_mov_b32 s37, 0xc090cc00
	v_ldexp_f64 v[40:41], v[44:45], v1
	v_mov_b32_e32 v1, 0x7ff00000
	v_cmp_nlt_f64_e64 s[34:35], s[34:35], v[32:33]
	v_cmp_ngt_f64_e64 s[36:37], s[36:37], v[32:33]
	s_mov_b32 s41, 0x3fe62e42
	v_cndmask_b32_e64 v1, v1, v41, s[34:35]
	s_and_b64 s[34:35], s[36:37], s[34:35]
	v_cndmask_b32_e64 v33, 0, v1, s[36:37]
	v_cndmask_b32_e64 v32, 0, v40, s[34:35]
	v_add_f64 v[40:41], v[32:33], 1.0
	v_add_f64 v[44:45], v[40:41], -1.0
	v_add_f64 v[46:47], v[44:45], -v[40:41]
	v_add_f64 v[46:47], v[46:47], 1.0
	v_add_f64 v[44:45], v[32:33], -v[44:45]
	s_mov_b32 s34, 0x55555555
	v_add_f64 v[44:45], v[44:45], v[46:47]
	v_frexp_mant_f64_e32 v[46:47], v[40:41]
	s_mov_b32 s35, 0x3fe55555
	v_frexp_exp_i32_f64_e32 v1, v[40:41]
	v_cmp_gt_f64_e64 s[34:35], s[34:35], v[46:47]
	s_mov_b32 s43, 0x3c7abc9e
	s_nop 0
	v_subbrev_co_u32_e64 v1, s[34:35], 0, v1, s[34:35]
	v_sub_u32_e32 v35, 0, v1
	v_ldexp_f64 v[40:41], v[40:41], v35
	v_add_f64 v[46:47], v[40:41], -1.0
	v_add_f64 v[52:53], v[40:41], 1.0
	v_add_f64 v[48:49], v[46:47], 1.0
	v_add_f64 v[54:55], v[52:53], -1.0
	v_ldexp_f64 v[44:45], v[44:45], v35
	v_add_f64 v[48:49], v[40:41], -v[48:49]
	v_add_f64 v[40:41], v[40:41], -v[54:55]
	v_add_f64 v[40:41], v[44:45], v[40:41]
	v_add_f64 v[48:49], v[44:45], v[48:49]
	;; [unrolled: 1-line block ×3, first 2 shown]
	v_rcp_f64_e32 v[54:55], v[44:45]
	v_add_f64 v[50:51], v[46:47], v[48:49]
	v_add_f64 v[46:47], v[50:51], -v[46:47]
	v_add_f64 v[46:47], v[48:49], -v[46:47]
	;; [unrolled: 1-line block ×4, first 2 shown]
	v_fma_f64 v[48:49], -v[44:45], v[54:55], 1.0
	v_fmac_f64_e32 v[54:55], v[48:49], v[54:55]
	v_fma_f64 v[48:49], -v[44:45], v[54:55], 1.0
	v_fmac_f64_e32 v[54:55], v[48:49], v[54:55]
	v_mul_f64 v[48:49], v[50:51], v[54:55]
	v_mul_f64 v[52:53], v[44:45], v[48:49]
	v_fma_f64 v[56:57], v[48:49], v[44:45], -v[52:53]
	v_fmac_f64_e32 v[56:57], v[48:49], v[40:41]
	v_add_f64 v[58:59], v[52:53], v[56:57]
	v_add_f64 v[60:61], v[50:51], -v[58:59]
	v_add_f64 v[50:51], v[50:51], -v[60:61]
	;; [unrolled: 1-line block ×4, first 2 shown]
	v_add_f64 v[46:47], v[46:47], v[50:51]
	v_add_f64 v[50:51], v[52:53], -v[56:57]
	v_add_f64 v[46:47], v[50:51], v[46:47]
	v_add_f64 v[50:51], v[60:61], v[46:47]
	v_add_f64 v[52:53], v[60:61], -v[50:51]
	v_add_f64 v[46:47], v[46:47], v[52:53]
	v_mul_f64 v[52:53], v[54:55], v[50:51]
	v_mul_f64 v[56:57], v[44:45], v[52:53]
	v_fma_f64 v[44:45], v[52:53], v[44:45], -v[56:57]
	v_fmac_f64_e32 v[44:45], v[52:53], v[40:41]
	v_add_f64 v[40:41], v[56:57], v[44:45]
	v_add_f64 v[58:59], v[50:51], -v[40:41]
	v_add_f64 v[50:51], v[50:51], -v[58:59]
	v_add_f64 v[56:57], v[40:41], -v[56:57]
	v_add_f64 v[40:41], v[50:51], -v[40:41]
	v_add_f64 v[40:41], v[46:47], v[40:41]
	v_add_f64 v[44:45], v[56:57], -v[44:45]
	v_add_f64 v[40:41], v[44:45], v[40:41]
	v_add_f64 v[44:45], v[48:49], v[52:53]
	;; [unrolled: 1-line block ×3, first 2 shown]
	v_add_f64 v[46:47], v[44:45], -v[48:49]
	v_mul_f64 v[40:41], v[54:55], v[40:41]
	v_add_f64 v[46:47], v[52:53], -v[46:47]
	v_add_f64 v[40:41], v[46:47], v[40:41]
	v_add_f64 v[46:47], v[44:45], v[40:41]
	v_add_f64 v[44:45], v[46:47], -v[44:45]
	s_mov_b32 s34, 0xbf559e2b
	v_add_f64 v[40:41], v[40:41], -v[44:45]
	v_mul_f64 v[44:45], v[46:47], v[46:47]
	v_mov_b32_e32 v48, 0x6b47b09a
	v_mov_b32_e32 v49, 0x3fc38538
	s_mov_b32 s35, 0x3fc3ab76
	v_fmac_f64_e32 v[48:49], s[34:35], v[44:45]
	v_mov_b32_e32 v50, 0xd7f4df2e
	v_mov_b32_e32 v51, 0x3fc7474d
	v_fmac_f64_e32 v[50:51], v[44:45], v[48:49]
	v_mov_b32_e32 v48, 0x16291751
	v_mov_b32_e32 v49, 0x3fcc71c0
	v_fmac_f64_e32 v[48:49], v[44:45], v[50:51]
	v_mov_b32_e32 v50, 0x9b27acf1
	v_mov_b32_e32 v51, 0x3fd24924
	v_fmac_f64_e32 v[50:51], v[44:45], v[48:49]
	v_mov_b32_e32 v48, 0x998ef7b6
	v_mov_b32_e32 v49, 0x3fd99999
	v_fmac_f64_e32 v[48:49], v[44:45], v[50:51]
	v_mov_b32_e32 v50, 0x55555780
	v_mov_b32_e32 v51, 0x3fe55555
	v_fmac_f64_e32 v[50:51], v[44:45], v[48:49]
	v_cvt_f64_i32_e32 v[48:49], v1
	v_mul_f64 v[52:53], v[48:49], s[40:41]
	v_fma_f64 v[54:55], v[48:49], s[40:41], -v[52:53]
	v_fmac_f64_e32 v[54:55], s[42:43], v[48:49]
	v_add_f64 v[48:49], v[52:53], v[54:55]
	v_add_f64 v[52:53], v[48:49], -v[52:53]
	v_mul_f64 v[44:45], v[46:47], v[44:45]
	v_add_f64 v[52:53], v[54:55], -v[52:53]
	v_ldexp_f64 v[54:55], v[46:47], 1
	v_mul_f64 v[44:45], v[44:45], v[50:51]
	v_add_f64 v[46:47], v[54:55], v[44:45]
	v_add_f64 v[50:51], v[46:47], -v[54:55]
	v_ldexp_f64 v[40:41], v[40:41], 1
	v_add_f64 v[44:45], v[44:45], -v[50:51]
	v_add_f64 v[40:41], v[40:41], v[44:45]
	v_add_f64 v[44:45], v[46:47], v[40:41]
	v_add_f64 v[46:47], v[44:45], -v[46:47]
	v_add_f64 v[40:41], v[40:41], -v[46:47]
	v_add_f64 v[46:47], v[48:49], v[44:45]
	v_add_f64 v[50:51], v[46:47], -v[48:49]
	v_add_f64 v[54:55], v[46:47], -v[50:51]
	;; [unrolled: 1-line block ×4, first 2 shown]
	v_add_f64 v[44:45], v[44:45], v[48:49]
	v_add_f64 v[48:49], v[52:53], v[40:41]
	v_add_f64 v[50:51], v[48:49], -v[52:53]
	v_add_f64 v[44:45], v[48:49], v[44:45]
	v_add_f64 v[54:55], v[48:49], -v[50:51]
	;; [unrolled: 2-line block ×3, first 2 shown]
	v_add_f64 v[40:41], v[40:41], -v[50:51]
	v_add_f64 v[46:47], v[48:49], -v[46:47]
	v_add_f64 v[40:41], v[40:41], v[52:53]
	v_add_f64 v[44:45], v[44:45], -v[46:47]
	s_mov_b32 s34, 0
	v_add_f64 v[40:41], v[40:41], v[44:45]
	s_mov_b32 s35, 0x7ff00000
	v_add_f64 v[40:41], v[48:49], v[40:41]
	v_cmp_eq_f64_e64 s[34:35], s[34:35], v[32:33]
	s_nop 1
	v_cndmask_b32_e64 v1, v40, v32, s[34:35]
	v_cndmask_b32_e64 v35, v41, v33, s[34:35]
	v_mov_b32_e32 v40, 0x7ff80000
	v_cmp_ngt_f64_e64 s[34:35], -1.0, v[32:33]
	s_nop 1
	v_cndmask_b32_e64 v35, v40, v35, s[34:35]
	v_cmp_nge_f64_e64 s[34:35], -1.0, v[32:33]
	s_nop 1
	v_cndmask_b32_e64 v40, 0, v1, s[34:35]
	v_mov_b32_e32 v1, 0xfff00000
	v_cmp_neq_f64_e64 s[34:35], -1.0, v[32:33]
	s_nop 1
	v_cndmask_b32_e64 v41, v1, v35, s[34:35]
	v_add_f64 v[72:73], v[30:31], v[40:41]
.LBB20_34:
	s_or_b64 exec, exec, s[38:39]
	v_max_f64 v[40:41], v[28:29], v[28:29]
	v_max_f64 v[30:31], v[72:73], v[72:73]
	v_min_f64 v[32:33], v[30:31], v[40:41]
	v_cmp_u_f64_e64 s[36:37], v[72:73], v[72:73]
	v_cmp_u_f64_e64 s[34:35], v[28:29], v[28:29]
	v_max_f64 v[30:31], v[30:31], v[40:41]
	v_cndmask_b32_e64 v1, v32, v72, s[36:37]
	v_cndmask_b32_e64 v32, v33, v73, s[36:37]
	;; [unrolled: 1-line block ×8, first 2 shown]
	v_cmp_neq_f64_e64 s[36:37], v[32:33], v[30:31]
	v_cmp_class_f64_e64 s[38:39], v[32:33], s33
	s_or_b64 s[36:37], s[36:37], s[38:39]
	s_and_saveexec_b64 s[40:41], s[36:37]
	s_cbranch_execz .LBB20_36
; %bb.35:
	s_mov_b32 s36, 0x652b82fe
	v_add_f64 v[32:33], v[32:33], -v[30:31]
	s_mov_b32 s37, 0x3ff71547
	v_mul_f64 v[44:45], v[32:33], s[36:37]
	v_rndne_f64_e32 v[44:45], v[44:45]
	s_mov_b32 s43, 0xbfe62e42
	s_mov_b32 s42, 0xfefa39ef
	v_fma_f64 v[46:47], s[42:43], v[44:45], v[32:33]
	s_mov_b32 s45, 0xbc7abc9e
	s_mov_b32 s44, 0x3b39803f
	;; [unrolled: 1-line block ×3, first 2 shown]
	v_fmac_f64_e32 v[46:47], s[44:45], v[44:45]
	v_mov_b32_e32 v48, 0xfca7ab0c
	v_mov_b32_e32 v49, 0x3e928af3
	s_mov_b32 s37, 0x3e5ade15
	v_fmac_f64_e32 v[48:49], s[36:37], v[46:47]
	v_mov_b32_e32 v50, 0x623fde64
	v_mov_b32_e32 v51, 0x3ec71dee
	v_fmac_f64_e32 v[50:51], v[46:47], v[48:49]
	v_mov_b32_e32 v48, 0x7c89e6b0
	v_mov_b32_e32 v49, 0x3efa0199
	;; [unrolled: 3-line block ×8, first 2 shown]
	v_fmac_f64_e32 v[48:49], v[46:47], v[50:51]
	v_fma_f64 v[48:49], v[46:47], v[48:49], 1.0
	s_mov_b32 s36, 0
	s_mov_b32 s38, 0
	v_fma_f64 v[46:47], v[46:47], v[48:49], 1.0
	v_cvt_i32_f64_e32 v1, v[44:45]
	s_mov_b32 s37, 0x40900000
	s_mov_b32 s39, 0xc090cc00
	v_ldexp_f64 v[44:45], v[46:47], v1
	v_mov_b32_e32 v1, 0x7ff00000
	v_cmp_nlt_f64_e64 s[36:37], s[36:37], v[32:33]
	v_cmp_ngt_f64_e64 s[38:39], s[38:39], v[32:33]
	s_mov_b32 s43, 0x3fe62e42
	v_cndmask_b32_e64 v1, v1, v45, s[36:37]
	s_and_b64 s[36:37], s[38:39], s[36:37]
	v_cndmask_b32_e64 v33, 0, v1, s[38:39]
	v_cndmask_b32_e64 v32, 0, v44, s[36:37]
	v_add_f64 v[44:45], v[32:33], 1.0
	v_add_f64 v[46:47], v[44:45], -1.0
	v_add_f64 v[48:49], v[46:47], -v[44:45]
	v_add_f64 v[48:49], v[48:49], 1.0
	v_add_f64 v[46:47], v[32:33], -v[46:47]
	s_mov_b32 s36, 0x55555555
	v_add_f64 v[46:47], v[46:47], v[48:49]
	v_frexp_mant_f64_e32 v[48:49], v[44:45]
	s_mov_b32 s37, 0x3fe55555
	v_frexp_exp_i32_f64_e32 v1, v[44:45]
	v_cmp_gt_f64_e64 s[36:37], s[36:37], v[48:49]
	s_mov_b32 s45, 0x3c7abc9e
	s_nop 0
	v_subbrev_co_u32_e64 v1, s[36:37], 0, v1, s[36:37]
	v_sub_u32_e32 v35, 0, v1
	v_ldexp_f64 v[44:45], v[44:45], v35
	v_add_f64 v[48:49], v[44:45], -1.0
	v_add_f64 v[54:55], v[44:45], 1.0
	v_add_f64 v[50:51], v[48:49], 1.0
	v_add_f64 v[56:57], v[54:55], -1.0
	v_ldexp_f64 v[46:47], v[46:47], v35
	v_add_f64 v[50:51], v[44:45], -v[50:51]
	v_add_f64 v[44:45], v[44:45], -v[56:57]
	v_add_f64 v[44:45], v[46:47], v[44:45]
	v_add_f64 v[50:51], v[46:47], v[50:51]
	;; [unrolled: 1-line block ×3, first 2 shown]
	v_rcp_f64_e32 v[56:57], v[46:47]
	v_add_f64 v[52:53], v[48:49], v[50:51]
	v_add_f64 v[48:49], v[52:53], -v[48:49]
	v_add_f64 v[48:49], v[50:51], -v[48:49]
	;; [unrolled: 1-line block ×4, first 2 shown]
	v_fma_f64 v[50:51], -v[46:47], v[56:57], 1.0
	v_fmac_f64_e32 v[56:57], v[50:51], v[56:57]
	v_fma_f64 v[50:51], -v[46:47], v[56:57], 1.0
	v_fmac_f64_e32 v[56:57], v[50:51], v[56:57]
	v_mul_f64 v[50:51], v[52:53], v[56:57]
	v_mul_f64 v[54:55], v[46:47], v[50:51]
	v_fma_f64 v[58:59], v[50:51], v[46:47], -v[54:55]
	v_fmac_f64_e32 v[58:59], v[50:51], v[44:45]
	v_add_f64 v[60:61], v[54:55], v[58:59]
	v_add_f64 v[62:63], v[52:53], -v[60:61]
	v_add_f64 v[52:53], v[52:53], -v[62:63]
	;; [unrolled: 1-line block ×4, first 2 shown]
	v_add_f64 v[48:49], v[48:49], v[52:53]
	v_add_f64 v[52:53], v[54:55], -v[58:59]
	v_add_f64 v[48:49], v[52:53], v[48:49]
	v_add_f64 v[52:53], v[62:63], v[48:49]
	v_add_f64 v[54:55], v[62:63], -v[52:53]
	v_add_f64 v[48:49], v[48:49], v[54:55]
	v_mul_f64 v[54:55], v[56:57], v[52:53]
	v_mul_f64 v[58:59], v[46:47], v[54:55]
	v_fma_f64 v[46:47], v[54:55], v[46:47], -v[58:59]
	v_fmac_f64_e32 v[46:47], v[54:55], v[44:45]
	v_add_f64 v[44:45], v[58:59], v[46:47]
	v_add_f64 v[60:61], v[52:53], -v[44:45]
	v_add_f64 v[52:53], v[52:53], -v[60:61]
	;; [unrolled: 1-line block ×4, first 2 shown]
	v_add_f64 v[44:45], v[48:49], v[44:45]
	v_add_f64 v[46:47], v[58:59], -v[46:47]
	v_add_f64 v[44:45], v[46:47], v[44:45]
	v_add_f64 v[46:47], v[50:51], v[54:55]
	v_add_f64 v[44:45], v[60:61], v[44:45]
	v_add_f64 v[48:49], v[46:47], -v[50:51]
	v_mul_f64 v[44:45], v[56:57], v[44:45]
	v_add_f64 v[48:49], v[54:55], -v[48:49]
	v_add_f64 v[44:45], v[48:49], v[44:45]
	v_add_f64 v[48:49], v[46:47], v[44:45]
	v_add_f64 v[46:47], v[48:49], -v[46:47]
	s_mov_b32 s36, 0xbf559e2b
	v_add_f64 v[44:45], v[44:45], -v[46:47]
	v_mul_f64 v[46:47], v[48:49], v[48:49]
	v_mov_b32_e32 v50, 0x6b47b09a
	v_mov_b32_e32 v51, 0x3fc38538
	s_mov_b32 s37, 0x3fc3ab76
	v_fmac_f64_e32 v[50:51], s[36:37], v[46:47]
	v_mov_b32_e32 v52, 0xd7f4df2e
	v_mov_b32_e32 v53, 0x3fc7474d
	v_fmac_f64_e32 v[52:53], v[46:47], v[50:51]
	v_mov_b32_e32 v50, 0x16291751
	v_mov_b32_e32 v51, 0x3fcc71c0
	;; [unrolled: 3-line block ×5, first 2 shown]
	v_fmac_f64_e32 v[52:53], v[46:47], v[50:51]
	v_cvt_f64_i32_e32 v[50:51], v1
	v_mul_f64 v[54:55], v[50:51], s[42:43]
	v_fma_f64 v[56:57], v[50:51], s[42:43], -v[54:55]
	v_fmac_f64_e32 v[56:57], s[44:45], v[50:51]
	v_add_f64 v[50:51], v[54:55], v[56:57]
	v_add_f64 v[54:55], v[50:51], -v[54:55]
	v_mul_f64 v[46:47], v[48:49], v[46:47]
	v_add_f64 v[54:55], v[56:57], -v[54:55]
	v_ldexp_f64 v[56:57], v[48:49], 1
	v_mul_f64 v[46:47], v[46:47], v[52:53]
	v_add_f64 v[48:49], v[56:57], v[46:47]
	v_add_f64 v[52:53], v[48:49], -v[56:57]
	v_ldexp_f64 v[44:45], v[44:45], 1
	v_add_f64 v[46:47], v[46:47], -v[52:53]
	v_add_f64 v[44:45], v[44:45], v[46:47]
	v_add_f64 v[46:47], v[48:49], v[44:45]
	v_add_f64 v[48:49], v[46:47], -v[48:49]
	v_add_f64 v[44:45], v[44:45], -v[48:49]
	v_add_f64 v[48:49], v[50:51], v[46:47]
	v_add_f64 v[52:53], v[48:49], -v[50:51]
	v_add_f64 v[56:57], v[48:49], -v[52:53]
	;; [unrolled: 1-line block ×4, first 2 shown]
	v_add_f64 v[46:47], v[46:47], v[50:51]
	v_add_f64 v[50:51], v[54:55], v[44:45]
	v_add_f64 v[52:53], v[50:51], -v[54:55]
	v_add_f64 v[46:47], v[50:51], v[46:47]
	v_add_f64 v[56:57], v[50:51], -v[52:53]
	;; [unrolled: 2-line block ×3, first 2 shown]
	v_add_f64 v[44:45], v[44:45], -v[52:53]
	v_add_f64 v[48:49], v[50:51], -v[48:49]
	v_add_f64 v[44:45], v[44:45], v[54:55]
	v_add_f64 v[46:47], v[46:47], -v[48:49]
	s_mov_b32 s36, 0
	v_add_f64 v[44:45], v[44:45], v[46:47]
	s_mov_b32 s37, 0x7ff00000
	v_add_f64 v[44:45], v[50:51], v[44:45]
	v_cmp_eq_f64_e64 s[36:37], s[36:37], v[32:33]
	s_nop 1
	v_cndmask_b32_e64 v1, v44, v32, s[36:37]
	v_cndmask_b32_e64 v35, v45, v33, s[36:37]
	v_mov_b32_e32 v44, 0x7ff80000
	v_cmp_ngt_f64_e64 s[36:37], -1.0, v[32:33]
	s_nop 1
	v_cndmask_b32_e64 v35, v44, v35, s[36:37]
	v_cmp_nge_f64_e64 s[36:37], -1.0, v[32:33]
	s_nop 1
	v_cndmask_b32_e64 v44, 0, v1, s[36:37]
	v_mov_b32_e32 v1, 0xfff00000
	v_cmp_neq_f64_e64 s[36:37], -1.0, v[32:33]
	s_nop 1
	v_cndmask_b32_e64 v45, v1, v35, s[36:37]
	v_add_f64 v[72:73], v[30:31], v[44:45]
.LBB20_36:
	s_or_b64 exec, exec, s[40:41]
	v_max_f64 v[44:45], v[22:23], v[22:23]
	v_max_f64 v[30:31], v[72:73], v[72:73]
	v_min_f64 v[32:33], v[30:31], v[44:45]
	v_cmp_u_f64_e64 s[38:39], v[72:73], v[72:73]
	v_cmp_u_f64_e64 s[36:37], v[22:23], v[22:23]
	v_max_f64 v[30:31], v[30:31], v[44:45]
	v_cndmask_b32_e64 v1, v32, v72, s[38:39]
	v_cndmask_b32_e64 v32, v33, v73, s[38:39]
	;; [unrolled: 1-line block ×8, first 2 shown]
	v_cmp_neq_f64_e64 s[38:39], v[32:33], v[30:31]
	v_cmp_class_f64_e64 s[40:41], v[32:33], s33
	s_or_b64 s[38:39], s[38:39], s[40:41]
	s_and_saveexec_b64 s[42:43], s[38:39]
	s_cbranch_execz .LBB20_38
; %bb.37:
	s_mov_b32 s38, 0x652b82fe
	v_add_f64 v[32:33], v[32:33], -v[30:31]
	s_mov_b32 s39, 0x3ff71547
	v_mul_f64 v[46:47], v[32:33], s[38:39]
	v_rndne_f64_e32 v[46:47], v[46:47]
	s_mov_b32 s45, 0xbfe62e42
	s_mov_b32 s44, 0xfefa39ef
	v_fma_f64 v[48:49], s[44:45], v[46:47], v[32:33]
	s_mov_b32 s47, 0xbc7abc9e
	s_mov_b32 s46, 0x3b39803f
	;; [unrolled: 1-line block ×3, first 2 shown]
	v_fmac_f64_e32 v[48:49], s[46:47], v[46:47]
	v_mov_b32_e32 v50, 0xfca7ab0c
	v_mov_b32_e32 v51, 0x3e928af3
	s_mov_b32 s39, 0x3e5ade15
	v_fmac_f64_e32 v[50:51], s[38:39], v[48:49]
	v_mov_b32_e32 v52, 0x623fde64
	v_mov_b32_e32 v53, 0x3ec71dee
	v_fmac_f64_e32 v[52:53], v[48:49], v[50:51]
	v_mov_b32_e32 v50, 0x7c89e6b0
	v_mov_b32_e32 v51, 0x3efa0199
	v_fmac_f64_e32 v[50:51], v[48:49], v[52:53]
	v_mov_b32_e32 v52, 0x14761f6e
	v_mov_b32_e32 v53, 0x3f2a01a0
	v_fmac_f64_e32 v[52:53], v[48:49], v[50:51]
	v_mov_b32_e32 v50, 0x1852b7b0
	v_mov_b32_e32 v51, 0x3f56c16c
	v_fmac_f64_e32 v[50:51], v[48:49], v[52:53]
	v_mov_b32_e32 v52, 0x11122322
	v_mov_b32_e32 v53, 0x3f811111
	v_fmac_f64_e32 v[52:53], v[48:49], v[50:51]
	v_mov_b32_e32 v50, 0x555502a1
	v_mov_b32_e32 v51, 0x3fa55555
	v_fmac_f64_e32 v[50:51], v[48:49], v[52:53]
	v_mov_b32_e32 v52, 0x55555511
	v_mov_b32_e32 v53, 0x3fc55555
	v_fmac_f64_e32 v[52:53], v[48:49], v[50:51]
	v_mov_b32_e32 v50, 11
	v_mov_b32_e32 v51, 0x3fe00000
	v_fmac_f64_e32 v[50:51], v[48:49], v[52:53]
	v_fma_f64 v[50:51], v[48:49], v[50:51], 1.0
	s_mov_b32 s38, 0
	s_mov_b32 s40, 0
	v_fma_f64 v[48:49], v[48:49], v[50:51], 1.0
	v_cvt_i32_f64_e32 v1, v[46:47]
	s_mov_b32 s39, 0x40900000
	s_mov_b32 s41, 0xc090cc00
	v_ldexp_f64 v[46:47], v[48:49], v1
	v_mov_b32_e32 v1, 0x7ff00000
	v_cmp_nlt_f64_e64 s[38:39], s[38:39], v[32:33]
	v_cmp_ngt_f64_e64 s[40:41], s[40:41], v[32:33]
	s_mov_b32 s45, 0x3fe62e42
	v_cndmask_b32_e64 v1, v1, v47, s[38:39]
	s_and_b64 s[38:39], s[40:41], s[38:39]
	v_cndmask_b32_e64 v33, 0, v1, s[40:41]
	v_cndmask_b32_e64 v32, 0, v46, s[38:39]
	v_add_f64 v[46:47], v[32:33], 1.0
	v_add_f64 v[48:49], v[46:47], -1.0
	v_add_f64 v[50:51], v[48:49], -v[46:47]
	v_add_f64 v[50:51], v[50:51], 1.0
	v_add_f64 v[48:49], v[32:33], -v[48:49]
	s_mov_b32 s38, 0x55555555
	v_add_f64 v[48:49], v[48:49], v[50:51]
	v_frexp_mant_f64_e32 v[50:51], v[46:47]
	s_mov_b32 s39, 0x3fe55555
	v_frexp_exp_i32_f64_e32 v1, v[46:47]
	v_cmp_gt_f64_e64 s[38:39], s[38:39], v[50:51]
	s_mov_b32 s47, 0x3c7abc9e
	s_nop 0
	v_subbrev_co_u32_e64 v1, s[38:39], 0, v1, s[38:39]
	v_sub_u32_e32 v35, 0, v1
	v_ldexp_f64 v[46:47], v[46:47], v35
	v_add_f64 v[50:51], v[46:47], -1.0
	v_add_f64 v[56:57], v[46:47], 1.0
	v_add_f64 v[52:53], v[50:51], 1.0
	v_add_f64 v[58:59], v[56:57], -1.0
	v_ldexp_f64 v[48:49], v[48:49], v35
	v_add_f64 v[52:53], v[46:47], -v[52:53]
	v_add_f64 v[46:47], v[46:47], -v[58:59]
	v_add_f64 v[46:47], v[48:49], v[46:47]
	v_add_f64 v[52:53], v[48:49], v[52:53]
	;; [unrolled: 1-line block ×3, first 2 shown]
	v_rcp_f64_e32 v[58:59], v[48:49]
	v_add_f64 v[54:55], v[50:51], v[52:53]
	v_add_f64 v[50:51], v[54:55], -v[50:51]
	v_add_f64 v[50:51], v[52:53], -v[50:51]
	;; [unrolled: 1-line block ×4, first 2 shown]
	v_fma_f64 v[52:53], -v[48:49], v[58:59], 1.0
	v_fmac_f64_e32 v[58:59], v[52:53], v[58:59]
	v_fma_f64 v[52:53], -v[48:49], v[58:59], 1.0
	v_fmac_f64_e32 v[58:59], v[52:53], v[58:59]
	v_mul_f64 v[52:53], v[54:55], v[58:59]
	v_mul_f64 v[56:57], v[48:49], v[52:53]
	v_fma_f64 v[60:61], v[52:53], v[48:49], -v[56:57]
	v_fmac_f64_e32 v[60:61], v[52:53], v[46:47]
	v_add_f64 v[62:63], v[56:57], v[60:61]
	v_add_f64 v[64:65], v[54:55], -v[62:63]
	v_add_f64 v[54:55], v[54:55], -v[64:65]
	;; [unrolled: 1-line block ×4, first 2 shown]
	v_add_f64 v[50:51], v[50:51], v[54:55]
	v_add_f64 v[54:55], v[56:57], -v[60:61]
	v_add_f64 v[50:51], v[54:55], v[50:51]
	v_add_f64 v[54:55], v[64:65], v[50:51]
	v_add_f64 v[56:57], v[64:65], -v[54:55]
	v_add_f64 v[50:51], v[50:51], v[56:57]
	v_mul_f64 v[56:57], v[58:59], v[54:55]
	v_mul_f64 v[60:61], v[48:49], v[56:57]
	v_fma_f64 v[48:49], v[56:57], v[48:49], -v[60:61]
	v_fmac_f64_e32 v[48:49], v[56:57], v[46:47]
	v_add_f64 v[46:47], v[60:61], v[48:49]
	v_add_f64 v[62:63], v[54:55], -v[46:47]
	v_add_f64 v[54:55], v[54:55], -v[62:63]
	v_add_f64 v[60:61], v[46:47], -v[60:61]
	v_add_f64 v[46:47], v[54:55], -v[46:47]
	v_add_f64 v[46:47], v[50:51], v[46:47]
	v_add_f64 v[48:49], v[60:61], -v[48:49]
	v_add_f64 v[46:47], v[48:49], v[46:47]
	v_add_f64 v[48:49], v[52:53], v[56:57]
	v_add_f64 v[46:47], v[62:63], v[46:47]
	v_add_f64 v[50:51], v[48:49], -v[52:53]
	v_mul_f64 v[46:47], v[58:59], v[46:47]
	v_add_f64 v[50:51], v[56:57], -v[50:51]
	v_add_f64 v[46:47], v[50:51], v[46:47]
	v_add_f64 v[50:51], v[48:49], v[46:47]
	v_add_f64 v[48:49], v[50:51], -v[48:49]
	s_mov_b32 s38, 0xbf559e2b
	v_add_f64 v[46:47], v[46:47], -v[48:49]
	v_mul_f64 v[48:49], v[50:51], v[50:51]
	v_mov_b32_e32 v52, 0x6b47b09a
	v_mov_b32_e32 v53, 0x3fc38538
	s_mov_b32 s39, 0x3fc3ab76
	v_fmac_f64_e32 v[52:53], s[38:39], v[48:49]
	v_mov_b32_e32 v54, 0xd7f4df2e
	v_mov_b32_e32 v55, 0x3fc7474d
	v_fmac_f64_e32 v[54:55], v[48:49], v[52:53]
	v_mov_b32_e32 v52, 0x16291751
	v_mov_b32_e32 v53, 0x3fcc71c0
	;; [unrolled: 3-line block ×5, first 2 shown]
	v_fmac_f64_e32 v[54:55], v[48:49], v[52:53]
	v_cvt_f64_i32_e32 v[52:53], v1
	v_mul_f64 v[56:57], v[52:53], s[44:45]
	v_fma_f64 v[58:59], v[52:53], s[44:45], -v[56:57]
	v_fmac_f64_e32 v[58:59], s[46:47], v[52:53]
	v_add_f64 v[52:53], v[56:57], v[58:59]
	v_add_f64 v[56:57], v[52:53], -v[56:57]
	v_mul_f64 v[48:49], v[50:51], v[48:49]
	v_add_f64 v[56:57], v[58:59], -v[56:57]
	v_ldexp_f64 v[58:59], v[50:51], 1
	v_mul_f64 v[48:49], v[48:49], v[54:55]
	v_add_f64 v[50:51], v[58:59], v[48:49]
	v_add_f64 v[54:55], v[50:51], -v[58:59]
	v_ldexp_f64 v[46:47], v[46:47], 1
	v_add_f64 v[48:49], v[48:49], -v[54:55]
	v_add_f64 v[46:47], v[46:47], v[48:49]
	v_add_f64 v[48:49], v[50:51], v[46:47]
	v_add_f64 v[50:51], v[48:49], -v[50:51]
	v_add_f64 v[46:47], v[46:47], -v[50:51]
	v_add_f64 v[50:51], v[52:53], v[48:49]
	v_add_f64 v[54:55], v[50:51], -v[52:53]
	v_add_f64 v[58:59], v[50:51], -v[54:55]
	;; [unrolled: 1-line block ×4, first 2 shown]
	v_add_f64 v[48:49], v[48:49], v[52:53]
	v_add_f64 v[52:53], v[56:57], v[46:47]
	v_add_f64 v[54:55], v[52:53], -v[56:57]
	v_add_f64 v[48:49], v[52:53], v[48:49]
	v_add_f64 v[58:59], v[52:53], -v[54:55]
	;; [unrolled: 2-line block ×3, first 2 shown]
	v_add_f64 v[46:47], v[46:47], -v[54:55]
	v_add_f64 v[50:51], v[52:53], -v[50:51]
	v_add_f64 v[46:47], v[46:47], v[56:57]
	v_add_f64 v[48:49], v[48:49], -v[50:51]
	s_mov_b32 s38, 0
	v_add_f64 v[46:47], v[46:47], v[48:49]
	s_mov_b32 s39, 0x7ff00000
	v_add_f64 v[46:47], v[52:53], v[46:47]
	v_cmp_eq_f64_e64 s[38:39], s[38:39], v[32:33]
	s_nop 1
	v_cndmask_b32_e64 v1, v46, v32, s[38:39]
	v_cndmask_b32_e64 v35, v47, v33, s[38:39]
	v_mov_b32_e32 v46, 0x7ff80000
	v_cmp_ngt_f64_e64 s[38:39], -1.0, v[32:33]
	s_nop 1
	v_cndmask_b32_e64 v35, v46, v35, s[38:39]
	v_cmp_nge_f64_e64 s[38:39], -1.0, v[32:33]
	s_nop 1
	v_cndmask_b32_e64 v46, 0, v1, s[38:39]
	v_mov_b32_e32 v1, 0xfff00000
	v_cmp_neq_f64_e64 s[38:39], -1.0, v[32:33]
	s_nop 1
	v_cndmask_b32_e64 v47, v1, v35, s[38:39]
	v_add_f64 v[72:73], v[30:31], v[46:47]
.LBB20_38:
	s_or_b64 exec, exec, s[42:43]
	v_max_f64 v[46:47], v[24:25], v[24:25]
	v_max_f64 v[30:31], v[72:73], v[72:73]
	v_min_f64 v[32:33], v[30:31], v[46:47]
	v_cmp_u_f64_e64 s[40:41], v[72:73], v[72:73]
	v_cmp_u_f64_e64 s[38:39], v[24:25], v[24:25]
	v_max_f64 v[30:31], v[30:31], v[46:47]
	v_cndmask_b32_e64 v1, v32, v72, s[40:41]
	v_cndmask_b32_e64 v32, v33, v73, s[40:41]
	;; [unrolled: 1-line block ×8, first 2 shown]
	v_cmp_neq_f64_e64 s[40:41], v[32:33], v[30:31]
	v_cmp_class_f64_e64 s[42:43], v[32:33], s33
	s_or_b64 s[40:41], s[40:41], s[42:43]
	s_and_saveexec_b64 s[44:45], s[40:41]
	s_cbranch_execz .LBB20_40
; %bb.39:
	s_mov_b32 s40, 0x652b82fe
	v_add_f64 v[32:33], v[32:33], -v[30:31]
	s_mov_b32 s41, 0x3ff71547
	v_mul_f64 v[48:49], v[32:33], s[40:41]
	v_rndne_f64_e32 v[48:49], v[48:49]
	s_mov_b32 s47, 0xbfe62e42
	s_mov_b32 s46, 0xfefa39ef
	v_fma_f64 v[50:51], s[46:47], v[48:49], v[32:33]
	s_mov_b32 s49, 0xbc7abc9e
	s_mov_b32 s48, 0x3b39803f
	;; [unrolled: 1-line block ×3, first 2 shown]
	v_fmac_f64_e32 v[50:51], s[48:49], v[48:49]
	v_mov_b32_e32 v52, 0xfca7ab0c
	v_mov_b32_e32 v53, 0x3e928af3
	s_mov_b32 s41, 0x3e5ade15
	v_fmac_f64_e32 v[52:53], s[40:41], v[50:51]
	v_mov_b32_e32 v54, 0x623fde64
	v_mov_b32_e32 v55, 0x3ec71dee
	v_fmac_f64_e32 v[54:55], v[50:51], v[52:53]
	v_mov_b32_e32 v52, 0x7c89e6b0
	v_mov_b32_e32 v53, 0x3efa0199
	v_fmac_f64_e32 v[52:53], v[50:51], v[54:55]
	v_mov_b32_e32 v54, 0x14761f6e
	v_mov_b32_e32 v55, 0x3f2a01a0
	v_fmac_f64_e32 v[54:55], v[50:51], v[52:53]
	v_mov_b32_e32 v52, 0x1852b7b0
	v_mov_b32_e32 v53, 0x3f56c16c
	v_fmac_f64_e32 v[52:53], v[50:51], v[54:55]
	v_mov_b32_e32 v54, 0x11122322
	v_mov_b32_e32 v55, 0x3f811111
	v_fmac_f64_e32 v[54:55], v[50:51], v[52:53]
	v_mov_b32_e32 v52, 0x555502a1
	v_mov_b32_e32 v53, 0x3fa55555
	v_fmac_f64_e32 v[52:53], v[50:51], v[54:55]
	v_mov_b32_e32 v54, 0x55555511
	v_mov_b32_e32 v55, 0x3fc55555
	v_fmac_f64_e32 v[54:55], v[50:51], v[52:53]
	v_mov_b32_e32 v52, 11
	v_mov_b32_e32 v53, 0x3fe00000
	v_fmac_f64_e32 v[52:53], v[50:51], v[54:55]
	v_fma_f64 v[52:53], v[50:51], v[52:53], 1.0
	s_mov_b32 s40, 0
	s_mov_b32 s42, 0
	v_fma_f64 v[50:51], v[50:51], v[52:53], 1.0
	v_cvt_i32_f64_e32 v1, v[48:49]
	s_mov_b32 s41, 0x40900000
	s_mov_b32 s43, 0xc090cc00
	v_ldexp_f64 v[48:49], v[50:51], v1
	v_mov_b32_e32 v1, 0x7ff00000
	v_cmp_nlt_f64_e64 s[40:41], s[40:41], v[32:33]
	v_cmp_ngt_f64_e64 s[42:43], s[42:43], v[32:33]
	s_mov_b32 s47, 0x3fe62e42
	v_cndmask_b32_e64 v1, v1, v49, s[40:41]
	s_and_b64 s[40:41], s[42:43], s[40:41]
	v_cndmask_b32_e64 v33, 0, v1, s[42:43]
	v_cndmask_b32_e64 v32, 0, v48, s[40:41]
	v_add_f64 v[48:49], v[32:33], 1.0
	v_add_f64 v[50:51], v[48:49], -1.0
	v_add_f64 v[52:53], v[50:51], -v[48:49]
	v_add_f64 v[52:53], v[52:53], 1.0
	v_add_f64 v[50:51], v[32:33], -v[50:51]
	s_mov_b32 s40, 0x55555555
	v_add_f64 v[50:51], v[50:51], v[52:53]
	v_frexp_mant_f64_e32 v[52:53], v[48:49]
	s_mov_b32 s41, 0x3fe55555
	v_frexp_exp_i32_f64_e32 v1, v[48:49]
	v_cmp_gt_f64_e64 s[40:41], s[40:41], v[52:53]
	s_mov_b32 s49, 0x3c7abc9e
	s_nop 0
	v_subbrev_co_u32_e64 v1, s[40:41], 0, v1, s[40:41]
	v_sub_u32_e32 v35, 0, v1
	v_ldexp_f64 v[48:49], v[48:49], v35
	v_add_f64 v[52:53], v[48:49], -1.0
	v_add_f64 v[58:59], v[48:49], 1.0
	v_add_f64 v[54:55], v[52:53], 1.0
	v_add_f64 v[60:61], v[58:59], -1.0
	v_ldexp_f64 v[50:51], v[50:51], v35
	v_add_f64 v[54:55], v[48:49], -v[54:55]
	v_add_f64 v[48:49], v[48:49], -v[60:61]
	v_add_f64 v[48:49], v[50:51], v[48:49]
	v_add_f64 v[54:55], v[50:51], v[54:55]
	;; [unrolled: 1-line block ×3, first 2 shown]
	v_rcp_f64_e32 v[60:61], v[50:51]
	v_add_f64 v[56:57], v[52:53], v[54:55]
	v_add_f64 v[52:53], v[56:57], -v[52:53]
	v_add_f64 v[52:53], v[54:55], -v[52:53]
	;; [unrolled: 1-line block ×4, first 2 shown]
	v_fma_f64 v[54:55], -v[50:51], v[60:61], 1.0
	v_fmac_f64_e32 v[60:61], v[54:55], v[60:61]
	v_fma_f64 v[54:55], -v[50:51], v[60:61], 1.0
	v_fmac_f64_e32 v[60:61], v[54:55], v[60:61]
	v_mul_f64 v[54:55], v[56:57], v[60:61]
	v_mul_f64 v[58:59], v[50:51], v[54:55]
	v_fma_f64 v[62:63], v[54:55], v[50:51], -v[58:59]
	v_fmac_f64_e32 v[62:63], v[54:55], v[48:49]
	v_add_f64 v[64:65], v[58:59], v[62:63]
	v_add_f64 v[72:73], v[56:57], -v[64:65]
	v_add_f64 v[56:57], v[56:57], -v[72:73]
	;; [unrolled: 1-line block ×4, first 2 shown]
	v_add_f64 v[52:53], v[52:53], v[56:57]
	v_add_f64 v[56:57], v[58:59], -v[62:63]
	v_add_f64 v[52:53], v[56:57], v[52:53]
	v_add_f64 v[56:57], v[72:73], v[52:53]
	v_add_f64 v[58:59], v[72:73], -v[56:57]
	v_add_f64 v[52:53], v[52:53], v[58:59]
	v_mul_f64 v[58:59], v[60:61], v[56:57]
	v_mul_f64 v[62:63], v[50:51], v[58:59]
	v_fma_f64 v[50:51], v[58:59], v[50:51], -v[62:63]
	v_fmac_f64_e32 v[50:51], v[58:59], v[48:49]
	v_add_f64 v[48:49], v[62:63], v[50:51]
	v_add_f64 v[64:65], v[56:57], -v[48:49]
	v_add_f64 v[56:57], v[56:57], -v[64:65]
	;; [unrolled: 1-line block ×4, first 2 shown]
	v_add_f64 v[48:49], v[52:53], v[48:49]
	v_add_f64 v[50:51], v[62:63], -v[50:51]
	v_add_f64 v[48:49], v[50:51], v[48:49]
	v_add_f64 v[50:51], v[54:55], v[58:59]
	;; [unrolled: 1-line block ×3, first 2 shown]
	v_add_f64 v[52:53], v[50:51], -v[54:55]
	v_mul_f64 v[48:49], v[60:61], v[48:49]
	v_add_f64 v[52:53], v[58:59], -v[52:53]
	v_add_f64 v[48:49], v[52:53], v[48:49]
	v_add_f64 v[52:53], v[50:51], v[48:49]
	v_add_f64 v[50:51], v[52:53], -v[50:51]
	s_mov_b32 s40, 0xbf559e2b
	v_add_f64 v[48:49], v[48:49], -v[50:51]
	v_mul_f64 v[50:51], v[52:53], v[52:53]
	v_mov_b32_e32 v54, 0x6b47b09a
	v_mov_b32_e32 v55, 0x3fc38538
	s_mov_b32 s41, 0x3fc3ab76
	v_fmac_f64_e32 v[54:55], s[40:41], v[50:51]
	v_mov_b32_e32 v56, 0xd7f4df2e
	v_mov_b32_e32 v57, 0x3fc7474d
	v_fmac_f64_e32 v[56:57], v[50:51], v[54:55]
	v_mov_b32_e32 v54, 0x16291751
	v_mov_b32_e32 v55, 0x3fcc71c0
	;; [unrolled: 3-line block ×5, first 2 shown]
	v_fmac_f64_e32 v[56:57], v[50:51], v[54:55]
	v_cvt_f64_i32_e32 v[54:55], v1
	v_mul_f64 v[58:59], v[54:55], s[46:47]
	v_fma_f64 v[60:61], v[54:55], s[46:47], -v[58:59]
	v_fmac_f64_e32 v[60:61], s[48:49], v[54:55]
	v_add_f64 v[54:55], v[58:59], v[60:61]
	v_add_f64 v[58:59], v[54:55], -v[58:59]
	v_mul_f64 v[50:51], v[52:53], v[50:51]
	v_add_f64 v[58:59], v[60:61], -v[58:59]
	v_ldexp_f64 v[60:61], v[52:53], 1
	v_mul_f64 v[50:51], v[50:51], v[56:57]
	v_add_f64 v[52:53], v[60:61], v[50:51]
	v_add_f64 v[56:57], v[52:53], -v[60:61]
	v_ldexp_f64 v[48:49], v[48:49], 1
	v_add_f64 v[50:51], v[50:51], -v[56:57]
	v_add_f64 v[48:49], v[48:49], v[50:51]
	v_add_f64 v[50:51], v[52:53], v[48:49]
	v_add_f64 v[52:53], v[50:51], -v[52:53]
	v_add_f64 v[48:49], v[48:49], -v[52:53]
	v_add_f64 v[52:53], v[54:55], v[50:51]
	v_add_f64 v[56:57], v[52:53], -v[54:55]
	v_add_f64 v[60:61], v[52:53], -v[56:57]
	;; [unrolled: 1-line block ×4, first 2 shown]
	v_add_f64 v[50:51], v[50:51], v[54:55]
	v_add_f64 v[54:55], v[58:59], v[48:49]
	v_add_f64 v[56:57], v[54:55], -v[58:59]
	v_add_f64 v[50:51], v[54:55], v[50:51]
	v_add_f64 v[60:61], v[54:55], -v[56:57]
	;; [unrolled: 2-line block ×3, first 2 shown]
	v_add_f64 v[48:49], v[48:49], -v[56:57]
	v_add_f64 v[52:53], v[54:55], -v[52:53]
	v_add_f64 v[48:49], v[48:49], v[58:59]
	v_add_f64 v[50:51], v[50:51], -v[52:53]
	s_mov_b32 s40, 0
	v_add_f64 v[48:49], v[48:49], v[50:51]
	s_mov_b32 s41, 0x7ff00000
	v_add_f64 v[48:49], v[54:55], v[48:49]
	v_cmp_eq_f64_e64 s[40:41], s[40:41], v[32:33]
	s_nop 1
	v_cndmask_b32_e64 v1, v48, v32, s[40:41]
	v_cndmask_b32_e64 v35, v49, v33, s[40:41]
	v_mov_b32_e32 v48, 0x7ff80000
	v_cmp_ngt_f64_e64 s[40:41], -1.0, v[32:33]
	s_nop 1
	v_cndmask_b32_e64 v35, v48, v35, s[40:41]
	v_cmp_nge_f64_e64 s[40:41], -1.0, v[32:33]
	s_nop 1
	v_cndmask_b32_e64 v48, 0, v1, s[40:41]
	v_mov_b32_e32 v1, 0xfff00000
	v_cmp_neq_f64_e64 s[40:41], -1.0, v[32:33]
	s_nop 1
	v_cndmask_b32_e64 v49, v1, v35, s[40:41]
	v_add_f64 v[72:73], v[30:31], v[48:49]
.LBB20_40:
	s_or_b64 exec, exec, s[44:45]
	v_max_f64 v[48:49], v[18:19], v[18:19]
	v_max_f64 v[30:31], v[72:73], v[72:73]
	v_min_f64 v[32:33], v[30:31], v[48:49]
	v_cmp_u_f64_e64 s[42:43], v[72:73], v[72:73]
	v_cmp_u_f64_e64 s[40:41], v[18:19], v[18:19]
	v_max_f64 v[30:31], v[30:31], v[48:49]
	v_cndmask_b32_e64 v1, v32, v72, s[42:43]
	v_cndmask_b32_e64 v32, v33, v73, s[42:43]
	;; [unrolled: 1-line block ×8, first 2 shown]
	v_cmp_neq_f64_e64 s[42:43], v[32:33], v[30:31]
	v_cmp_class_f64_e64 s[44:45], v[32:33], s33
	s_or_b64 s[42:43], s[42:43], s[44:45]
	s_and_saveexec_b64 s[46:47], s[42:43]
	s_cbranch_execz .LBB20_42
; %bb.41:
	s_mov_b32 s42, 0x652b82fe
	v_add_f64 v[32:33], v[32:33], -v[30:31]
	s_mov_b32 s43, 0x3ff71547
	v_mul_f64 v[50:51], v[32:33], s[42:43]
	v_rndne_f64_e32 v[50:51], v[50:51]
	s_mov_b32 s49, 0xbfe62e42
	s_mov_b32 s48, 0xfefa39ef
	v_fma_f64 v[52:53], s[48:49], v[50:51], v[32:33]
	s_mov_b32 s51, 0xbc7abc9e
	s_mov_b32 s50, 0x3b39803f
	s_mov_b32 s42, 0x6a5dcb37
	v_fmac_f64_e32 v[52:53], s[50:51], v[50:51]
	v_mov_b32_e32 v54, 0xfca7ab0c
	v_mov_b32_e32 v55, 0x3e928af3
	s_mov_b32 s43, 0x3e5ade15
	v_fmac_f64_e32 v[54:55], s[42:43], v[52:53]
	v_mov_b32_e32 v56, 0x623fde64
	v_mov_b32_e32 v57, 0x3ec71dee
	v_fmac_f64_e32 v[56:57], v[52:53], v[54:55]
	v_mov_b32_e32 v54, 0x7c89e6b0
	v_mov_b32_e32 v55, 0x3efa0199
	;; [unrolled: 3-line block ×8, first 2 shown]
	v_fmac_f64_e32 v[54:55], v[52:53], v[56:57]
	v_fma_f64 v[54:55], v[52:53], v[54:55], 1.0
	s_mov_b32 s42, 0
	s_mov_b32 s44, 0
	v_fma_f64 v[52:53], v[52:53], v[54:55], 1.0
	v_cvt_i32_f64_e32 v1, v[50:51]
	s_mov_b32 s43, 0x40900000
	s_mov_b32 s45, 0xc090cc00
	v_ldexp_f64 v[50:51], v[52:53], v1
	v_mov_b32_e32 v1, 0x7ff00000
	v_cmp_nlt_f64_e64 s[42:43], s[42:43], v[32:33]
	v_cmp_ngt_f64_e64 s[44:45], s[44:45], v[32:33]
	s_mov_b32 s49, 0x3fe62e42
	v_cndmask_b32_e64 v1, v1, v51, s[42:43]
	s_and_b64 s[42:43], s[44:45], s[42:43]
	v_cndmask_b32_e64 v33, 0, v1, s[44:45]
	v_cndmask_b32_e64 v32, 0, v50, s[42:43]
	v_add_f64 v[50:51], v[32:33], 1.0
	v_add_f64 v[52:53], v[50:51], -1.0
	v_add_f64 v[54:55], v[52:53], -v[50:51]
	v_add_f64 v[54:55], v[54:55], 1.0
	v_add_f64 v[52:53], v[32:33], -v[52:53]
	s_mov_b32 s42, 0x55555555
	v_add_f64 v[52:53], v[52:53], v[54:55]
	v_frexp_mant_f64_e32 v[54:55], v[50:51]
	s_mov_b32 s43, 0x3fe55555
	v_frexp_exp_i32_f64_e32 v1, v[50:51]
	v_cmp_gt_f64_e64 s[42:43], s[42:43], v[54:55]
	s_mov_b32 s51, 0x3c7abc9e
	s_nop 0
	v_subbrev_co_u32_e64 v1, s[42:43], 0, v1, s[42:43]
	v_sub_u32_e32 v35, 0, v1
	v_ldexp_f64 v[50:51], v[50:51], v35
	v_add_f64 v[54:55], v[50:51], -1.0
	v_add_f64 v[60:61], v[50:51], 1.0
	v_add_f64 v[56:57], v[54:55], 1.0
	v_add_f64 v[62:63], v[60:61], -1.0
	v_ldexp_f64 v[52:53], v[52:53], v35
	v_add_f64 v[56:57], v[50:51], -v[56:57]
	v_add_f64 v[50:51], v[50:51], -v[62:63]
	v_add_f64 v[50:51], v[52:53], v[50:51]
	v_add_f64 v[56:57], v[52:53], v[56:57]
	;; [unrolled: 1-line block ×3, first 2 shown]
	v_rcp_f64_e32 v[62:63], v[52:53]
	v_add_f64 v[58:59], v[54:55], v[56:57]
	v_add_f64 v[54:55], v[58:59], -v[54:55]
	v_add_f64 v[54:55], v[56:57], -v[54:55]
	;; [unrolled: 1-line block ×4, first 2 shown]
	v_fma_f64 v[56:57], -v[52:53], v[62:63], 1.0
	v_fmac_f64_e32 v[62:63], v[56:57], v[62:63]
	v_fma_f64 v[56:57], -v[52:53], v[62:63], 1.0
	v_fmac_f64_e32 v[62:63], v[56:57], v[62:63]
	v_mul_f64 v[56:57], v[58:59], v[62:63]
	v_mul_f64 v[60:61], v[52:53], v[56:57]
	v_fma_f64 v[64:65], v[56:57], v[52:53], -v[60:61]
	v_fmac_f64_e32 v[64:65], v[56:57], v[50:51]
	v_add_f64 v[72:73], v[60:61], v[64:65]
	v_add_f64 v[74:75], v[58:59], -v[72:73]
	v_add_f64 v[58:59], v[58:59], -v[74:75]
	;; [unrolled: 1-line block ×4, first 2 shown]
	v_add_f64 v[54:55], v[54:55], v[58:59]
	v_add_f64 v[58:59], v[60:61], -v[64:65]
	v_add_f64 v[54:55], v[58:59], v[54:55]
	v_add_f64 v[58:59], v[74:75], v[54:55]
	v_add_f64 v[60:61], v[74:75], -v[58:59]
	v_add_f64 v[54:55], v[54:55], v[60:61]
	v_mul_f64 v[60:61], v[62:63], v[58:59]
	v_mul_f64 v[64:65], v[52:53], v[60:61]
	v_fma_f64 v[52:53], v[60:61], v[52:53], -v[64:65]
	v_fmac_f64_e32 v[52:53], v[60:61], v[50:51]
	v_add_f64 v[50:51], v[64:65], v[52:53]
	v_add_f64 v[72:73], v[58:59], -v[50:51]
	v_add_f64 v[58:59], v[58:59], -v[72:73]
	v_add_f64 v[64:65], v[50:51], -v[64:65]
	v_add_f64 v[50:51], v[58:59], -v[50:51]
	v_add_f64 v[50:51], v[54:55], v[50:51]
	v_add_f64 v[52:53], v[64:65], -v[52:53]
	v_add_f64 v[50:51], v[52:53], v[50:51]
	v_add_f64 v[52:53], v[56:57], v[60:61]
	;; [unrolled: 1-line block ×3, first 2 shown]
	v_add_f64 v[54:55], v[52:53], -v[56:57]
	v_mul_f64 v[50:51], v[62:63], v[50:51]
	v_add_f64 v[54:55], v[60:61], -v[54:55]
	v_add_f64 v[50:51], v[54:55], v[50:51]
	v_add_f64 v[54:55], v[52:53], v[50:51]
	v_add_f64 v[52:53], v[54:55], -v[52:53]
	s_mov_b32 s42, 0xbf559e2b
	v_add_f64 v[50:51], v[50:51], -v[52:53]
	v_mul_f64 v[52:53], v[54:55], v[54:55]
	v_mov_b32_e32 v56, 0x6b47b09a
	v_mov_b32_e32 v57, 0x3fc38538
	s_mov_b32 s43, 0x3fc3ab76
	v_fmac_f64_e32 v[56:57], s[42:43], v[52:53]
	v_mov_b32_e32 v58, 0xd7f4df2e
	v_mov_b32_e32 v59, 0x3fc7474d
	v_fmac_f64_e32 v[58:59], v[52:53], v[56:57]
	v_mov_b32_e32 v56, 0x16291751
	v_mov_b32_e32 v57, 0x3fcc71c0
	;; [unrolled: 3-line block ×5, first 2 shown]
	v_fmac_f64_e32 v[58:59], v[52:53], v[56:57]
	v_cvt_f64_i32_e32 v[56:57], v1
	v_mul_f64 v[60:61], v[56:57], s[48:49]
	v_fma_f64 v[62:63], v[56:57], s[48:49], -v[60:61]
	v_fmac_f64_e32 v[62:63], s[50:51], v[56:57]
	v_add_f64 v[56:57], v[60:61], v[62:63]
	v_add_f64 v[60:61], v[56:57], -v[60:61]
	v_mul_f64 v[52:53], v[54:55], v[52:53]
	v_add_f64 v[60:61], v[62:63], -v[60:61]
	v_ldexp_f64 v[62:63], v[54:55], 1
	v_mul_f64 v[52:53], v[52:53], v[58:59]
	v_add_f64 v[54:55], v[62:63], v[52:53]
	v_add_f64 v[58:59], v[54:55], -v[62:63]
	v_ldexp_f64 v[50:51], v[50:51], 1
	v_add_f64 v[52:53], v[52:53], -v[58:59]
	v_add_f64 v[50:51], v[50:51], v[52:53]
	v_add_f64 v[52:53], v[54:55], v[50:51]
	v_add_f64 v[54:55], v[52:53], -v[54:55]
	v_add_f64 v[50:51], v[50:51], -v[54:55]
	v_add_f64 v[54:55], v[56:57], v[52:53]
	v_add_f64 v[58:59], v[54:55], -v[56:57]
	v_add_f64 v[62:63], v[54:55], -v[58:59]
	;; [unrolled: 1-line block ×4, first 2 shown]
	v_add_f64 v[52:53], v[52:53], v[56:57]
	v_add_f64 v[56:57], v[60:61], v[50:51]
	v_add_f64 v[58:59], v[56:57], -v[60:61]
	v_add_f64 v[52:53], v[56:57], v[52:53]
	v_add_f64 v[62:63], v[56:57], -v[58:59]
	;; [unrolled: 2-line block ×3, first 2 shown]
	v_add_f64 v[50:51], v[50:51], -v[58:59]
	v_add_f64 v[54:55], v[56:57], -v[54:55]
	v_add_f64 v[50:51], v[50:51], v[60:61]
	v_add_f64 v[52:53], v[52:53], -v[54:55]
	s_mov_b32 s42, 0
	v_add_f64 v[50:51], v[50:51], v[52:53]
	s_mov_b32 s43, 0x7ff00000
	v_add_f64 v[50:51], v[56:57], v[50:51]
	v_cmp_eq_f64_e64 s[42:43], s[42:43], v[32:33]
	s_nop 1
	v_cndmask_b32_e64 v1, v50, v32, s[42:43]
	v_cndmask_b32_e64 v35, v51, v33, s[42:43]
	v_mov_b32_e32 v50, 0x7ff80000
	v_cmp_ngt_f64_e64 s[42:43], -1.0, v[32:33]
	s_nop 1
	v_cndmask_b32_e64 v35, v50, v35, s[42:43]
	v_cmp_nge_f64_e64 s[42:43], -1.0, v[32:33]
	s_nop 1
	v_cndmask_b32_e64 v50, 0, v1, s[42:43]
	v_mov_b32_e32 v1, 0xfff00000
	v_cmp_neq_f64_e64 s[42:43], -1.0, v[32:33]
	s_nop 1
	v_cndmask_b32_e64 v51, v1, v35, s[42:43]
	v_add_f64 v[72:73], v[30:31], v[50:51]
.LBB20_42:
	s_or_b64 exec, exec, s[46:47]
	v_max_f64 v[50:51], v[20:21], v[20:21]
	v_max_f64 v[30:31], v[72:73], v[72:73]
	v_min_f64 v[32:33], v[30:31], v[50:51]
	v_cmp_u_f64_e64 s[44:45], v[72:73], v[72:73]
	v_cmp_u_f64_e64 s[42:43], v[20:21], v[20:21]
	v_max_f64 v[30:31], v[30:31], v[50:51]
	v_cndmask_b32_e64 v1, v32, v72, s[44:45]
	v_cndmask_b32_e64 v32, v33, v73, s[44:45]
	;; [unrolled: 1-line block ×8, first 2 shown]
	v_cmp_neq_f64_e64 s[44:45], v[32:33], v[30:31]
	v_cmp_class_f64_e64 s[46:47], v[32:33], s33
	s_or_b64 s[44:45], s[44:45], s[46:47]
	s_and_saveexec_b64 s[48:49], s[44:45]
	s_cbranch_execz .LBB20_44
; %bb.43:
	s_mov_b32 s44, 0x652b82fe
	v_add_f64 v[32:33], v[32:33], -v[30:31]
	s_mov_b32 s45, 0x3ff71547
	v_mul_f64 v[52:53], v[32:33], s[44:45]
	v_rndne_f64_e32 v[52:53], v[52:53]
	s_mov_b32 s51, 0xbfe62e42
	s_mov_b32 s50, 0xfefa39ef
	v_fma_f64 v[54:55], s[50:51], v[52:53], v[32:33]
	s_mov_b32 s53, 0xbc7abc9e
	s_mov_b32 s52, 0x3b39803f
	;; [unrolled: 1-line block ×3, first 2 shown]
	v_fmac_f64_e32 v[54:55], s[52:53], v[52:53]
	v_mov_b32_e32 v56, 0xfca7ab0c
	v_mov_b32_e32 v57, 0x3e928af3
	s_mov_b32 s45, 0x3e5ade15
	v_fmac_f64_e32 v[56:57], s[44:45], v[54:55]
	v_mov_b32_e32 v58, 0x623fde64
	v_mov_b32_e32 v59, 0x3ec71dee
	v_fmac_f64_e32 v[58:59], v[54:55], v[56:57]
	v_mov_b32_e32 v56, 0x7c89e6b0
	v_mov_b32_e32 v57, 0x3efa0199
	;; [unrolled: 3-line block ×8, first 2 shown]
	v_fmac_f64_e32 v[56:57], v[54:55], v[58:59]
	v_fma_f64 v[56:57], v[54:55], v[56:57], 1.0
	s_mov_b32 s44, 0
	s_mov_b32 s46, 0
	v_fma_f64 v[54:55], v[54:55], v[56:57], 1.0
	v_cvt_i32_f64_e32 v1, v[52:53]
	s_mov_b32 s45, 0x40900000
	s_mov_b32 s47, 0xc090cc00
	v_ldexp_f64 v[52:53], v[54:55], v1
	v_mov_b32_e32 v1, 0x7ff00000
	v_cmp_nlt_f64_e64 s[44:45], s[44:45], v[32:33]
	v_cmp_ngt_f64_e64 s[46:47], s[46:47], v[32:33]
	s_mov_b32 s51, 0x3fe62e42
	v_cndmask_b32_e64 v1, v1, v53, s[44:45]
	s_and_b64 s[44:45], s[46:47], s[44:45]
	v_cndmask_b32_e64 v33, 0, v1, s[46:47]
	v_cndmask_b32_e64 v32, 0, v52, s[44:45]
	v_add_f64 v[52:53], v[32:33], 1.0
	v_add_f64 v[54:55], v[52:53], -1.0
	v_add_f64 v[56:57], v[54:55], -v[52:53]
	v_add_f64 v[56:57], v[56:57], 1.0
	v_add_f64 v[54:55], v[32:33], -v[54:55]
	s_mov_b32 s44, 0x55555555
	v_add_f64 v[54:55], v[54:55], v[56:57]
	v_frexp_mant_f64_e32 v[56:57], v[52:53]
	s_mov_b32 s45, 0x3fe55555
	v_frexp_exp_i32_f64_e32 v1, v[52:53]
	v_cmp_gt_f64_e64 s[44:45], s[44:45], v[56:57]
	s_mov_b32 s53, 0x3c7abc9e
	s_nop 0
	v_subbrev_co_u32_e64 v1, s[44:45], 0, v1, s[44:45]
	v_sub_u32_e32 v35, 0, v1
	v_ldexp_f64 v[52:53], v[52:53], v35
	v_add_f64 v[56:57], v[52:53], -1.0
	v_add_f64 v[62:63], v[52:53], 1.0
	v_add_f64 v[58:59], v[56:57], 1.0
	v_add_f64 v[64:65], v[62:63], -1.0
	v_ldexp_f64 v[54:55], v[54:55], v35
	v_add_f64 v[58:59], v[52:53], -v[58:59]
	v_add_f64 v[52:53], v[52:53], -v[64:65]
	v_add_f64 v[52:53], v[54:55], v[52:53]
	v_add_f64 v[58:59], v[54:55], v[58:59]
	;; [unrolled: 1-line block ×3, first 2 shown]
	v_rcp_f64_e32 v[64:65], v[54:55]
	v_add_f64 v[60:61], v[56:57], v[58:59]
	v_add_f64 v[56:57], v[60:61], -v[56:57]
	v_add_f64 v[56:57], v[58:59], -v[56:57]
	;; [unrolled: 1-line block ×4, first 2 shown]
	v_fma_f64 v[58:59], -v[54:55], v[64:65], 1.0
	v_fmac_f64_e32 v[64:65], v[58:59], v[64:65]
	v_fma_f64 v[58:59], -v[54:55], v[64:65], 1.0
	v_fmac_f64_e32 v[64:65], v[58:59], v[64:65]
	v_mul_f64 v[58:59], v[60:61], v[64:65]
	v_mul_f64 v[62:63], v[54:55], v[58:59]
	v_fma_f64 v[72:73], v[58:59], v[54:55], -v[62:63]
	v_fmac_f64_e32 v[72:73], v[58:59], v[52:53]
	v_add_f64 v[74:75], v[62:63], v[72:73]
	v_add_f64 v[76:77], v[60:61], -v[74:75]
	v_add_f64 v[60:61], v[60:61], -v[76:77]
	;; [unrolled: 1-line block ×4, first 2 shown]
	v_add_f64 v[56:57], v[56:57], v[60:61]
	v_add_f64 v[60:61], v[62:63], -v[72:73]
	v_add_f64 v[56:57], v[60:61], v[56:57]
	v_add_f64 v[60:61], v[76:77], v[56:57]
	v_add_f64 v[62:63], v[76:77], -v[60:61]
	v_add_f64 v[56:57], v[56:57], v[62:63]
	v_mul_f64 v[62:63], v[64:65], v[60:61]
	v_mul_f64 v[72:73], v[54:55], v[62:63]
	v_fma_f64 v[54:55], v[62:63], v[54:55], -v[72:73]
	v_fmac_f64_e32 v[54:55], v[62:63], v[52:53]
	v_add_f64 v[52:53], v[72:73], v[54:55]
	v_add_f64 v[74:75], v[60:61], -v[52:53]
	v_add_f64 v[60:61], v[60:61], -v[74:75]
	;; [unrolled: 1-line block ×4, first 2 shown]
	v_add_f64 v[52:53], v[56:57], v[52:53]
	v_add_f64 v[54:55], v[72:73], -v[54:55]
	v_add_f64 v[52:53], v[54:55], v[52:53]
	v_add_f64 v[54:55], v[58:59], v[62:63]
	;; [unrolled: 1-line block ×3, first 2 shown]
	v_add_f64 v[56:57], v[54:55], -v[58:59]
	v_mul_f64 v[52:53], v[64:65], v[52:53]
	v_add_f64 v[56:57], v[62:63], -v[56:57]
	v_add_f64 v[52:53], v[56:57], v[52:53]
	v_add_f64 v[56:57], v[54:55], v[52:53]
	v_add_f64 v[54:55], v[56:57], -v[54:55]
	s_mov_b32 s44, 0xbf559e2b
	v_add_f64 v[52:53], v[52:53], -v[54:55]
	v_mul_f64 v[54:55], v[56:57], v[56:57]
	v_mov_b32_e32 v58, 0x6b47b09a
	v_mov_b32_e32 v59, 0x3fc38538
	s_mov_b32 s45, 0x3fc3ab76
	v_fmac_f64_e32 v[58:59], s[44:45], v[54:55]
	v_mov_b32_e32 v60, 0xd7f4df2e
	v_mov_b32_e32 v61, 0x3fc7474d
	v_fmac_f64_e32 v[60:61], v[54:55], v[58:59]
	v_mov_b32_e32 v58, 0x16291751
	v_mov_b32_e32 v59, 0x3fcc71c0
	;; [unrolled: 3-line block ×5, first 2 shown]
	v_fmac_f64_e32 v[60:61], v[54:55], v[58:59]
	v_cvt_f64_i32_e32 v[58:59], v1
	v_mul_f64 v[62:63], v[58:59], s[50:51]
	v_fma_f64 v[64:65], v[58:59], s[50:51], -v[62:63]
	v_fmac_f64_e32 v[64:65], s[52:53], v[58:59]
	v_add_f64 v[58:59], v[62:63], v[64:65]
	v_add_f64 v[62:63], v[58:59], -v[62:63]
	v_mul_f64 v[54:55], v[56:57], v[54:55]
	v_add_f64 v[62:63], v[64:65], -v[62:63]
	v_ldexp_f64 v[64:65], v[56:57], 1
	v_mul_f64 v[54:55], v[54:55], v[60:61]
	v_add_f64 v[56:57], v[64:65], v[54:55]
	v_add_f64 v[60:61], v[56:57], -v[64:65]
	v_ldexp_f64 v[52:53], v[52:53], 1
	v_add_f64 v[54:55], v[54:55], -v[60:61]
	v_add_f64 v[52:53], v[52:53], v[54:55]
	v_add_f64 v[54:55], v[56:57], v[52:53]
	v_add_f64 v[56:57], v[54:55], -v[56:57]
	v_add_f64 v[52:53], v[52:53], -v[56:57]
	v_add_f64 v[56:57], v[58:59], v[54:55]
	v_add_f64 v[60:61], v[56:57], -v[58:59]
	v_add_f64 v[64:65], v[56:57], -v[60:61]
	;; [unrolled: 1-line block ×4, first 2 shown]
	v_add_f64 v[54:55], v[54:55], v[58:59]
	v_add_f64 v[58:59], v[62:63], v[52:53]
	v_add_f64 v[60:61], v[58:59], -v[62:63]
	v_add_f64 v[54:55], v[58:59], v[54:55]
	v_add_f64 v[64:65], v[58:59], -v[60:61]
	;; [unrolled: 2-line block ×3, first 2 shown]
	v_add_f64 v[52:53], v[52:53], -v[60:61]
	v_add_f64 v[56:57], v[58:59], -v[56:57]
	v_add_f64 v[52:53], v[52:53], v[62:63]
	v_add_f64 v[54:55], v[54:55], -v[56:57]
	s_mov_b32 s44, 0
	v_add_f64 v[52:53], v[52:53], v[54:55]
	s_mov_b32 s45, 0x7ff00000
	v_add_f64 v[52:53], v[58:59], v[52:53]
	v_cmp_eq_f64_e64 s[44:45], s[44:45], v[32:33]
	s_nop 1
	v_cndmask_b32_e64 v1, v52, v32, s[44:45]
	v_cndmask_b32_e64 v35, v53, v33, s[44:45]
	v_mov_b32_e32 v52, 0x7ff80000
	v_cmp_ngt_f64_e64 s[44:45], -1.0, v[32:33]
	s_nop 1
	v_cndmask_b32_e64 v35, v52, v35, s[44:45]
	v_cmp_nge_f64_e64 s[44:45], -1.0, v[32:33]
	s_nop 1
	v_cndmask_b32_e64 v52, 0, v1, s[44:45]
	v_mov_b32_e32 v1, 0xfff00000
	v_cmp_neq_f64_e64 s[44:45], -1.0, v[32:33]
	s_nop 1
	v_cndmask_b32_e64 v53, v1, v35, s[44:45]
	v_add_f64 v[72:73], v[30:31], v[52:53]
.LBB20_44:
	s_or_b64 exec, exec, s[48:49]
	v_max_f64 v[52:53], v[14:15], v[14:15]
	v_max_f64 v[30:31], v[72:73], v[72:73]
	v_min_f64 v[32:33], v[30:31], v[52:53]
	v_cmp_u_f64_e64 s[46:47], v[72:73], v[72:73]
	v_cmp_u_f64_e64 s[44:45], v[14:15], v[14:15]
	v_max_f64 v[30:31], v[30:31], v[52:53]
	v_cndmask_b32_e64 v1, v32, v72, s[46:47]
	v_cndmask_b32_e64 v32, v33, v73, s[46:47]
	;; [unrolled: 1-line block ×8, first 2 shown]
	v_cmp_neq_f64_e64 s[46:47], v[32:33], v[30:31]
	v_cmp_class_f64_e64 s[48:49], v[32:33], s33
	s_or_b64 s[46:47], s[46:47], s[48:49]
	s_and_saveexec_b64 s[50:51], s[46:47]
	s_cbranch_execz .LBB20_46
; %bb.45:
	s_mov_b32 s46, 0x652b82fe
	v_add_f64 v[32:33], v[32:33], -v[30:31]
	s_mov_b32 s47, 0x3ff71547
	v_mul_f64 v[54:55], v[32:33], s[46:47]
	v_rndne_f64_e32 v[54:55], v[54:55]
	s_mov_b32 s53, 0xbfe62e42
	s_mov_b32 s52, 0xfefa39ef
	v_fma_f64 v[56:57], s[52:53], v[54:55], v[32:33]
	s_mov_b32 s55, 0xbc7abc9e
	s_mov_b32 s54, 0x3b39803f
	;; [unrolled: 1-line block ×3, first 2 shown]
	v_fmac_f64_e32 v[56:57], s[54:55], v[54:55]
	v_mov_b32_e32 v58, 0xfca7ab0c
	v_mov_b32_e32 v59, 0x3e928af3
	s_mov_b32 s47, 0x3e5ade15
	v_fmac_f64_e32 v[58:59], s[46:47], v[56:57]
	v_mov_b32_e32 v60, 0x623fde64
	v_mov_b32_e32 v61, 0x3ec71dee
	v_fmac_f64_e32 v[60:61], v[56:57], v[58:59]
	v_mov_b32_e32 v58, 0x7c89e6b0
	v_mov_b32_e32 v59, 0x3efa0199
	;; [unrolled: 3-line block ×8, first 2 shown]
	v_fmac_f64_e32 v[58:59], v[56:57], v[60:61]
	v_fma_f64 v[58:59], v[56:57], v[58:59], 1.0
	s_mov_b32 s46, 0
	s_mov_b32 s48, 0
	v_fma_f64 v[56:57], v[56:57], v[58:59], 1.0
	v_cvt_i32_f64_e32 v1, v[54:55]
	s_mov_b32 s47, 0x40900000
	s_mov_b32 s49, 0xc090cc00
	v_ldexp_f64 v[54:55], v[56:57], v1
	v_mov_b32_e32 v1, 0x7ff00000
	v_cmp_nlt_f64_e64 s[46:47], s[46:47], v[32:33]
	v_cmp_ngt_f64_e64 s[48:49], s[48:49], v[32:33]
	s_mov_b32 s53, 0x3fe62e42
	v_cndmask_b32_e64 v1, v1, v55, s[46:47]
	s_and_b64 s[46:47], s[48:49], s[46:47]
	v_cndmask_b32_e64 v33, 0, v1, s[48:49]
	v_cndmask_b32_e64 v32, 0, v54, s[46:47]
	v_add_f64 v[54:55], v[32:33], 1.0
	v_add_f64 v[56:57], v[54:55], -1.0
	v_add_f64 v[58:59], v[56:57], -v[54:55]
	v_add_f64 v[58:59], v[58:59], 1.0
	v_add_f64 v[56:57], v[32:33], -v[56:57]
	s_mov_b32 s46, 0x55555555
	v_add_f64 v[56:57], v[56:57], v[58:59]
	v_frexp_mant_f64_e32 v[58:59], v[54:55]
	s_mov_b32 s47, 0x3fe55555
	v_frexp_exp_i32_f64_e32 v1, v[54:55]
	v_cmp_gt_f64_e64 s[46:47], s[46:47], v[58:59]
	s_mov_b32 s55, 0x3c7abc9e
	s_nop 0
	v_subbrev_co_u32_e64 v1, s[46:47], 0, v1, s[46:47]
	v_sub_u32_e32 v35, 0, v1
	v_ldexp_f64 v[54:55], v[54:55], v35
	v_add_f64 v[58:59], v[54:55], -1.0
	v_add_f64 v[64:65], v[54:55], 1.0
	v_add_f64 v[60:61], v[58:59], 1.0
	v_add_f64 v[72:73], v[64:65], -1.0
	v_ldexp_f64 v[56:57], v[56:57], v35
	v_add_f64 v[60:61], v[54:55], -v[60:61]
	v_add_f64 v[54:55], v[54:55], -v[72:73]
	v_add_f64 v[54:55], v[56:57], v[54:55]
	v_add_f64 v[60:61], v[56:57], v[60:61]
	;; [unrolled: 1-line block ×3, first 2 shown]
	v_rcp_f64_e32 v[72:73], v[56:57]
	v_add_f64 v[62:63], v[58:59], v[60:61]
	v_add_f64 v[58:59], v[62:63], -v[58:59]
	v_add_f64 v[58:59], v[60:61], -v[58:59]
	;; [unrolled: 1-line block ×4, first 2 shown]
	v_fma_f64 v[60:61], -v[56:57], v[72:73], 1.0
	v_fmac_f64_e32 v[72:73], v[60:61], v[72:73]
	v_fma_f64 v[60:61], -v[56:57], v[72:73], 1.0
	v_fmac_f64_e32 v[72:73], v[60:61], v[72:73]
	v_mul_f64 v[60:61], v[62:63], v[72:73]
	v_mul_f64 v[64:65], v[56:57], v[60:61]
	v_fma_f64 v[74:75], v[60:61], v[56:57], -v[64:65]
	v_fmac_f64_e32 v[74:75], v[60:61], v[54:55]
	v_add_f64 v[76:77], v[64:65], v[74:75]
	v_add_f64 v[78:79], v[62:63], -v[76:77]
	v_add_f64 v[62:63], v[62:63], -v[78:79]
	;; [unrolled: 1-line block ×4, first 2 shown]
	v_add_f64 v[58:59], v[58:59], v[62:63]
	v_add_f64 v[62:63], v[64:65], -v[74:75]
	v_add_f64 v[58:59], v[62:63], v[58:59]
	v_add_f64 v[62:63], v[78:79], v[58:59]
	v_add_f64 v[64:65], v[78:79], -v[62:63]
	v_add_f64 v[58:59], v[58:59], v[64:65]
	v_mul_f64 v[64:65], v[72:73], v[62:63]
	v_mul_f64 v[74:75], v[56:57], v[64:65]
	v_fma_f64 v[56:57], v[64:65], v[56:57], -v[74:75]
	v_fmac_f64_e32 v[56:57], v[64:65], v[54:55]
	v_add_f64 v[54:55], v[74:75], v[56:57]
	v_add_f64 v[76:77], v[62:63], -v[54:55]
	v_add_f64 v[62:63], v[62:63], -v[76:77]
	;; [unrolled: 1-line block ×4, first 2 shown]
	v_add_f64 v[54:55], v[58:59], v[54:55]
	v_add_f64 v[56:57], v[74:75], -v[56:57]
	v_add_f64 v[54:55], v[56:57], v[54:55]
	v_add_f64 v[56:57], v[60:61], v[64:65]
	;; [unrolled: 1-line block ×3, first 2 shown]
	v_add_f64 v[58:59], v[56:57], -v[60:61]
	v_mul_f64 v[54:55], v[72:73], v[54:55]
	v_add_f64 v[58:59], v[64:65], -v[58:59]
	v_add_f64 v[54:55], v[58:59], v[54:55]
	v_add_f64 v[58:59], v[56:57], v[54:55]
	v_add_f64 v[56:57], v[58:59], -v[56:57]
	s_mov_b32 s46, 0xbf559e2b
	v_add_f64 v[54:55], v[54:55], -v[56:57]
	v_mul_f64 v[56:57], v[58:59], v[58:59]
	v_mov_b32_e32 v60, 0x6b47b09a
	v_mov_b32_e32 v61, 0x3fc38538
	s_mov_b32 s47, 0x3fc3ab76
	v_fmac_f64_e32 v[60:61], s[46:47], v[56:57]
	v_mov_b32_e32 v62, 0xd7f4df2e
	v_mov_b32_e32 v63, 0x3fc7474d
	v_fmac_f64_e32 v[62:63], v[56:57], v[60:61]
	v_mov_b32_e32 v60, 0x16291751
	v_mov_b32_e32 v61, 0x3fcc71c0
	;; [unrolled: 3-line block ×5, first 2 shown]
	v_fmac_f64_e32 v[62:63], v[56:57], v[60:61]
	v_cvt_f64_i32_e32 v[60:61], v1
	v_mul_f64 v[64:65], v[60:61], s[52:53]
	v_fma_f64 v[72:73], v[60:61], s[52:53], -v[64:65]
	v_fmac_f64_e32 v[72:73], s[54:55], v[60:61]
	v_add_f64 v[60:61], v[64:65], v[72:73]
	v_add_f64 v[64:65], v[60:61], -v[64:65]
	v_mul_f64 v[56:57], v[58:59], v[56:57]
	v_add_f64 v[64:65], v[72:73], -v[64:65]
	v_ldexp_f64 v[72:73], v[58:59], 1
	v_mul_f64 v[56:57], v[56:57], v[62:63]
	v_add_f64 v[58:59], v[72:73], v[56:57]
	v_add_f64 v[62:63], v[58:59], -v[72:73]
	v_ldexp_f64 v[54:55], v[54:55], 1
	v_add_f64 v[56:57], v[56:57], -v[62:63]
	v_add_f64 v[54:55], v[54:55], v[56:57]
	v_add_f64 v[56:57], v[58:59], v[54:55]
	v_add_f64 v[58:59], v[56:57], -v[58:59]
	v_add_f64 v[54:55], v[54:55], -v[58:59]
	v_add_f64 v[58:59], v[60:61], v[56:57]
	v_add_f64 v[62:63], v[58:59], -v[60:61]
	v_add_f64 v[72:73], v[58:59], -v[62:63]
	;; [unrolled: 1-line block ×4, first 2 shown]
	v_add_f64 v[56:57], v[56:57], v[60:61]
	v_add_f64 v[60:61], v[64:65], v[54:55]
	v_add_f64 v[62:63], v[60:61], -v[64:65]
	v_add_f64 v[56:57], v[60:61], v[56:57]
	v_add_f64 v[72:73], v[60:61], -v[62:63]
	;; [unrolled: 2-line block ×3, first 2 shown]
	v_add_f64 v[54:55], v[54:55], -v[62:63]
	v_add_f64 v[58:59], v[60:61], -v[58:59]
	v_add_f64 v[54:55], v[54:55], v[64:65]
	v_add_f64 v[56:57], v[56:57], -v[58:59]
	s_mov_b32 s46, 0
	v_add_f64 v[54:55], v[54:55], v[56:57]
	s_mov_b32 s47, 0x7ff00000
	v_add_f64 v[54:55], v[60:61], v[54:55]
	v_cmp_eq_f64_e64 s[46:47], s[46:47], v[32:33]
	s_nop 1
	v_cndmask_b32_e64 v1, v54, v32, s[46:47]
	v_cndmask_b32_e64 v35, v55, v33, s[46:47]
	v_mov_b32_e32 v54, 0x7ff80000
	v_cmp_ngt_f64_e64 s[46:47], -1.0, v[32:33]
	s_nop 1
	v_cndmask_b32_e64 v35, v54, v35, s[46:47]
	v_cmp_nge_f64_e64 s[46:47], -1.0, v[32:33]
	s_nop 1
	v_cndmask_b32_e64 v54, 0, v1, s[46:47]
	v_mov_b32_e32 v1, 0xfff00000
	v_cmp_neq_f64_e64 s[46:47], -1.0, v[32:33]
	s_nop 1
	v_cndmask_b32_e64 v55, v1, v35, s[46:47]
	v_add_f64 v[72:73], v[30:31], v[54:55]
.LBB20_46:
	s_or_b64 exec, exec, s[50:51]
	v_max_f64 v[54:55], v[16:17], v[16:17]
	v_max_f64 v[30:31], v[72:73], v[72:73]
	v_min_f64 v[32:33], v[30:31], v[54:55]
	v_cmp_u_f64_e64 s[48:49], v[72:73], v[72:73]
	v_cmp_u_f64_e64 s[46:47], v[16:17], v[16:17]
	v_max_f64 v[30:31], v[30:31], v[54:55]
	v_cndmask_b32_e64 v1, v32, v72, s[48:49]
	v_cndmask_b32_e64 v32, v33, v73, s[48:49]
	v_cndmask_b32_e64 v33, v32, v17, s[46:47]
	v_cndmask_b32_e64 v32, v1, v16, s[46:47]
	v_cndmask_b32_e64 v1, v30, v72, s[48:49]
	v_cndmask_b32_e64 v30, v31, v73, s[48:49]
	v_cndmask_b32_e64 v31, v30, v17, s[46:47]
	v_cndmask_b32_e64 v30, v1, v16, s[46:47]
	v_cmp_neq_f64_e64 s[48:49], v[32:33], v[30:31]
	v_cmp_class_f64_e64 s[50:51], v[32:33], s33
	s_or_b64 s[48:49], s[48:49], s[50:51]
	s_and_saveexec_b64 s[52:53], s[48:49]
	s_cbranch_execz .LBB20_48
; %bb.47:
	s_mov_b32 s48, 0x652b82fe
	v_add_f64 v[32:33], v[32:33], -v[30:31]
	s_mov_b32 s49, 0x3ff71547
	v_mul_f64 v[56:57], v[32:33], s[48:49]
	v_rndne_f64_e32 v[56:57], v[56:57]
	s_mov_b32 s55, 0xbfe62e42
	s_mov_b32 s54, 0xfefa39ef
	v_fma_f64 v[58:59], s[54:55], v[56:57], v[32:33]
	s_mov_b32 s57, 0xbc7abc9e
	s_mov_b32 s56, 0x3b39803f
	;; [unrolled: 1-line block ×3, first 2 shown]
	v_fmac_f64_e32 v[58:59], s[56:57], v[56:57]
	v_mov_b32_e32 v60, 0xfca7ab0c
	v_mov_b32_e32 v61, 0x3e928af3
	s_mov_b32 s49, 0x3e5ade15
	v_fmac_f64_e32 v[60:61], s[48:49], v[58:59]
	v_mov_b32_e32 v62, 0x623fde64
	v_mov_b32_e32 v63, 0x3ec71dee
	v_fmac_f64_e32 v[62:63], v[58:59], v[60:61]
	v_mov_b32_e32 v60, 0x7c89e6b0
	v_mov_b32_e32 v61, 0x3efa0199
	;; [unrolled: 3-line block ×8, first 2 shown]
	v_fmac_f64_e32 v[60:61], v[58:59], v[62:63]
	v_fma_f64 v[60:61], v[58:59], v[60:61], 1.0
	s_mov_b32 s48, 0
	s_mov_b32 s50, 0
	v_fma_f64 v[58:59], v[58:59], v[60:61], 1.0
	v_cvt_i32_f64_e32 v1, v[56:57]
	s_mov_b32 s49, 0x40900000
	s_mov_b32 s51, 0xc090cc00
	v_ldexp_f64 v[56:57], v[58:59], v1
	v_mov_b32_e32 v1, 0x7ff00000
	v_cmp_nlt_f64_e64 s[48:49], s[48:49], v[32:33]
	v_cmp_ngt_f64_e64 s[50:51], s[50:51], v[32:33]
	s_mov_b32 s55, 0x3fe62e42
	v_cndmask_b32_e64 v1, v1, v57, s[48:49]
	s_and_b64 s[48:49], s[50:51], s[48:49]
	v_cndmask_b32_e64 v33, 0, v1, s[50:51]
	v_cndmask_b32_e64 v32, 0, v56, s[48:49]
	v_add_f64 v[56:57], v[32:33], 1.0
	v_add_f64 v[58:59], v[56:57], -1.0
	v_add_f64 v[60:61], v[58:59], -v[56:57]
	v_add_f64 v[60:61], v[60:61], 1.0
	v_add_f64 v[58:59], v[32:33], -v[58:59]
	s_mov_b32 s48, 0x55555555
	v_add_f64 v[58:59], v[58:59], v[60:61]
	v_frexp_mant_f64_e32 v[60:61], v[56:57]
	s_mov_b32 s49, 0x3fe55555
	v_frexp_exp_i32_f64_e32 v1, v[56:57]
	v_cmp_gt_f64_e64 s[48:49], s[48:49], v[60:61]
	s_mov_b32 s57, 0x3c7abc9e
	s_nop 0
	v_subbrev_co_u32_e64 v1, s[48:49], 0, v1, s[48:49]
	v_sub_u32_e32 v35, 0, v1
	v_ldexp_f64 v[56:57], v[56:57], v35
	v_add_f64 v[60:61], v[56:57], -1.0
	v_add_f64 v[72:73], v[56:57], 1.0
	v_add_f64 v[62:63], v[60:61], 1.0
	v_add_f64 v[74:75], v[72:73], -1.0
	v_ldexp_f64 v[58:59], v[58:59], v35
	v_add_f64 v[62:63], v[56:57], -v[62:63]
	v_add_f64 v[56:57], v[56:57], -v[74:75]
	v_add_f64 v[56:57], v[58:59], v[56:57]
	v_add_f64 v[62:63], v[58:59], v[62:63]
	;; [unrolled: 1-line block ×3, first 2 shown]
	v_rcp_f64_e32 v[74:75], v[58:59]
	v_add_f64 v[64:65], v[60:61], v[62:63]
	v_add_f64 v[60:61], v[64:65], -v[60:61]
	v_add_f64 v[60:61], v[62:63], -v[60:61]
	;; [unrolled: 1-line block ×4, first 2 shown]
	v_fma_f64 v[62:63], -v[58:59], v[74:75], 1.0
	v_fmac_f64_e32 v[74:75], v[62:63], v[74:75]
	v_fma_f64 v[62:63], -v[58:59], v[74:75], 1.0
	v_fmac_f64_e32 v[74:75], v[62:63], v[74:75]
	v_mul_f64 v[62:63], v[64:65], v[74:75]
	v_mul_f64 v[72:73], v[58:59], v[62:63]
	v_fma_f64 v[76:77], v[62:63], v[58:59], -v[72:73]
	v_fmac_f64_e32 v[76:77], v[62:63], v[56:57]
	v_add_f64 v[78:79], v[72:73], v[76:77]
	v_add_f64 v[80:81], v[64:65], -v[78:79]
	v_add_f64 v[64:65], v[64:65], -v[80:81]
	;; [unrolled: 1-line block ×4, first 2 shown]
	v_add_f64 v[60:61], v[60:61], v[64:65]
	v_add_f64 v[64:65], v[72:73], -v[76:77]
	v_add_f64 v[60:61], v[64:65], v[60:61]
	v_add_f64 v[64:65], v[80:81], v[60:61]
	v_add_f64 v[72:73], v[80:81], -v[64:65]
	v_add_f64 v[60:61], v[60:61], v[72:73]
	v_mul_f64 v[72:73], v[74:75], v[64:65]
	v_mul_f64 v[76:77], v[58:59], v[72:73]
	v_fma_f64 v[58:59], v[72:73], v[58:59], -v[76:77]
	v_fmac_f64_e32 v[58:59], v[72:73], v[56:57]
	v_add_f64 v[56:57], v[76:77], v[58:59]
	v_add_f64 v[78:79], v[64:65], -v[56:57]
	v_add_f64 v[64:65], v[64:65], -v[78:79]
	;; [unrolled: 1-line block ×4, first 2 shown]
	v_add_f64 v[56:57], v[60:61], v[56:57]
	v_add_f64 v[58:59], v[76:77], -v[58:59]
	v_add_f64 v[56:57], v[58:59], v[56:57]
	v_add_f64 v[58:59], v[62:63], v[72:73]
	v_add_f64 v[56:57], v[78:79], v[56:57]
	v_add_f64 v[60:61], v[58:59], -v[62:63]
	v_mul_f64 v[56:57], v[74:75], v[56:57]
	v_add_f64 v[60:61], v[72:73], -v[60:61]
	v_add_f64 v[56:57], v[60:61], v[56:57]
	v_add_f64 v[60:61], v[58:59], v[56:57]
	v_add_f64 v[58:59], v[60:61], -v[58:59]
	s_mov_b32 s48, 0xbf559e2b
	v_add_f64 v[56:57], v[56:57], -v[58:59]
	v_mul_f64 v[58:59], v[60:61], v[60:61]
	v_mov_b32_e32 v62, 0x6b47b09a
	v_mov_b32_e32 v63, 0x3fc38538
	s_mov_b32 s49, 0x3fc3ab76
	v_fmac_f64_e32 v[62:63], s[48:49], v[58:59]
	v_mov_b32_e32 v64, 0xd7f4df2e
	v_mov_b32_e32 v65, 0x3fc7474d
	v_fmac_f64_e32 v[64:65], v[58:59], v[62:63]
	v_mov_b32_e32 v62, 0x16291751
	v_mov_b32_e32 v63, 0x3fcc71c0
	;; [unrolled: 3-line block ×5, first 2 shown]
	v_fmac_f64_e32 v[64:65], v[58:59], v[62:63]
	v_cvt_f64_i32_e32 v[62:63], v1
	v_mul_f64 v[72:73], v[62:63], s[54:55]
	v_fma_f64 v[74:75], v[62:63], s[54:55], -v[72:73]
	v_fmac_f64_e32 v[74:75], s[56:57], v[62:63]
	v_add_f64 v[62:63], v[72:73], v[74:75]
	v_add_f64 v[72:73], v[62:63], -v[72:73]
	v_mul_f64 v[58:59], v[60:61], v[58:59]
	v_add_f64 v[72:73], v[74:75], -v[72:73]
	v_ldexp_f64 v[74:75], v[60:61], 1
	v_mul_f64 v[58:59], v[58:59], v[64:65]
	v_add_f64 v[60:61], v[74:75], v[58:59]
	v_add_f64 v[64:65], v[60:61], -v[74:75]
	v_ldexp_f64 v[56:57], v[56:57], 1
	v_add_f64 v[58:59], v[58:59], -v[64:65]
	v_add_f64 v[56:57], v[56:57], v[58:59]
	v_add_f64 v[58:59], v[60:61], v[56:57]
	v_add_f64 v[60:61], v[58:59], -v[60:61]
	v_add_f64 v[56:57], v[56:57], -v[60:61]
	v_add_f64 v[60:61], v[62:63], v[58:59]
	v_add_f64 v[64:65], v[60:61], -v[62:63]
	v_add_f64 v[74:75], v[60:61], -v[64:65]
	v_add_f64 v[62:63], v[62:63], -v[74:75]
	v_add_f64 v[58:59], v[58:59], -v[64:65]
	v_add_f64 v[58:59], v[58:59], v[62:63]
	v_add_f64 v[62:63], v[72:73], v[56:57]
	v_add_f64 v[64:65], v[62:63], -v[72:73]
	v_add_f64 v[58:59], v[62:63], v[58:59]
	v_add_f64 v[74:75], v[62:63], -v[64:65]
	;; [unrolled: 2-line block ×3, first 2 shown]
	v_add_f64 v[56:57], v[56:57], -v[64:65]
	v_add_f64 v[60:61], v[62:63], -v[60:61]
	v_add_f64 v[56:57], v[56:57], v[72:73]
	v_add_f64 v[58:59], v[58:59], -v[60:61]
	s_mov_b32 s48, 0
	v_add_f64 v[56:57], v[56:57], v[58:59]
	s_mov_b32 s49, 0x7ff00000
	v_add_f64 v[56:57], v[62:63], v[56:57]
	v_cmp_eq_f64_e64 s[48:49], s[48:49], v[32:33]
	s_nop 1
	v_cndmask_b32_e64 v1, v56, v32, s[48:49]
	v_cndmask_b32_e64 v35, v57, v33, s[48:49]
	v_mov_b32_e32 v56, 0x7ff80000
	v_cmp_ngt_f64_e64 s[48:49], -1.0, v[32:33]
	s_nop 1
	v_cndmask_b32_e64 v35, v56, v35, s[48:49]
	v_cmp_nge_f64_e64 s[48:49], -1.0, v[32:33]
	s_nop 1
	v_cndmask_b32_e64 v56, 0, v1, s[48:49]
	v_mov_b32_e32 v1, 0xfff00000
	v_cmp_neq_f64_e64 s[48:49], -1.0, v[32:33]
	s_nop 1
	v_cndmask_b32_e64 v57, v1, v35, s[48:49]
	v_add_f64 v[72:73], v[30:31], v[56:57]
.LBB20_48:
	s_or_b64 exec, exec, s[52:53]
	v_max_f64 v[56:57], v[10:11], v[10:11]
	v_max_f64 v[30:31], v[72:73], v[72:73]
	v_min_f64 v[32:33], v[30:31], v[56:57]
	v_cmp_u_f64_e64 s[50:51], v[72:73], v[72:73]
	v_cmp_u_f64_e64 s[48:49], v[10:11], v[10:11]
	v_max_f64 v[30:31], v[30:31], v[56:57]
	v_cndmask_b32_e64 v1, v32, v72, s[50:51]
	v_cndmask_b32_e64 v32, v33, v73, s[50:51]
	;; [unrolled: 1-line block ×8, first 2 shown]
	v_cmp_neq_f64_e64 s[50:51], v[32:33], v[30:31]
	v_cmp_class_f64_e64 s[52:53], v[32:33], s33
	s_or_b64 s[50:51], s[50:51], s[52:53]
	s_and_saveexec_b64 s[54:55], s[50:51]
	s_cbranch_execz .LBB20_50
; %bb.49:
	s_mov_b32 s50, 0x652b82fe
	v_add_f64 v[32:33], v[32:33], -v[30:31]
	s_mov_b32 s51, 0x3ff71547
	v_mul_f64 v[58:59], v[32:33], s[50:51]
	v_rndne_f64_e32 v[58:59], v[58:59]
	s_mov_b32 s57, 0xbfe62e42
	s_mov_b32 s56, 0xfefa39ef
	v_fma_f64 v[60:61], s[56:57], v[58:59], v[32:33]
	s_mov_b32 s63, 0xbc7abc9e
	s_mov_b32 s62, 0x3b39803f
	;; [unrolled: 1-line block ×3, first 2 shown]
	v_fmac_f64_e32 v[60:61], s[62:63], v[58:59]
	v_mov_b32_e32 v62, 0xfca7ab0c
	v_mov_b32_e32 v63, 0x3e928af3
	s_mov_b32 s51, 0x3e5ade15
	v_fmac_f64_e32 v[62:63], s[50:51], v[60:61]
	v_mov_b32_e32 v64, 0x623fde64
	v_mov_b32_e32 v65, 0x3ec71dee
	v_fmac_f64_e32 v[64:65], v[60:61], v[62:63]
	v_mov_b32_e32 v62, 0x7c89e6b0
	v_mov_b32_e32 v63, 0x3efa0199
	;; [unrolled: 3-line block ×8, first 2 shown]
	v_fmac_f64_e32 v[62:63], v[60:61], v[64:65]
	v_fma_f64 v[62:63], v[60:61], v[62:63], 1.0
	s_mov_b32 s50, 0
	s_mov_b32 s52, 0
	v_fma_f64 v[60:61], v[60:61], v[62:63], 1.0
	v_cvt_i32_f64_e32 v1, v[58:59]
	s_mov_b32 s51, 0x40900000
	s_mov_b32 s53, 0xc090cc00
	v_ldexp_f64 v[58:59], v[60:61], v1
	v_mov_b32_e32 v1, 0x7ff00000
	v_cmp_nlt_f64_e64 s[50:51], s[50:51], v[32:33]
	v_cmp_ngt_f64_e64 s[52:53], s[52:53], v[32:33]
	s_mov_b32 s57, 0x3fe62e42
	v_cndmask_b32_e64 v1, v1, v59, s[50:51]
	s_and_b64 s[50:51], s[52:53], s[50:51]
	v_cndmask_b32_e64 v33, 0, v1, s[52:53]
	v_cndmask_b32_e64 v32, 0, v58, s[50:51]
	v_add_f64 v[58:59], v[32:33], 1.0
	v_add_f64 v[60:61], v[58:59], -1.0
	v_add_f64 v[62:63], v[60:61], -v[58:59]
	v_add_f64 v[62:63], v[62:63], 1.0
	v_add_f64 v[60:61], v[32:33], -v[60:61]
	s_mov_b32 s50, 0x55555555
	v_add_f64 v[60:61], v[60:61], v[62:63]
	v_frexp_mant_f64_e32 v[62:63], v[58:59]
	s_mov_b32 s51, 0x3fe55555
	v_frexp_exp_i32_f64_e32 v1, v[58:59]
	v_cmp_gt_f64_e64 s[50:51], s[50:51], v[62:63]
	s_mov_b32 s63, 0x3c7abc9e
	s_nop 0
	v_subbrev_co_u32_e64 v1, s[50:51], 0, v1, s[50:51]
	v_sub_u32_e32 v35, 0, v1
	v_ldexp_f64 v[58:59], v[58:59], v35
	v_add_f64 v[62:63], v[58:59], -1.0
	v_add_f64 v[74:75], v[58:59], 1.0
	v_add_f64 v[64:65], v[62:63], 1.0
	v_add_f64 v[76:77], v[74:75], -1.0
	v_ldexp_f64 v[60:61], v[60:61], v35
	v_add_f64 v[64:65], v[58:59], -v[64:65]
	v_add_f64 v[58:59], v[58:59], -v[76:77]
	v_add_f64 v[58:59], v[60:61], v[58:59]
	v_add_f64 v[64:65], v[60:61], v[64:65]
	;; [unrolled: 1-line block ×3, first 2 shown]
	v_rcp_f64_e32 v[76:77], v[60:61]
	v_add_f64 v[72:73], v[62:63], v[64:65]
	v_add_f64 v[62:63], v[72:73], -v[62:63]
	v_add_f64 v[62:63], v[64:65], -v[62:63]
	;; [unrolled: 1-line block ×4, first 2 shown]
	v_fma_f64 v[64:65], -v[60:61], v[76:77], 1.0
	v_fmac_f64_e32 v[76:77], v[64:65], v[76:77]
	v_fma_f64 v[64:65], -v[60:61], v[76:77], 1.0
	v_fmac_f64_e32 v[76:77], v[64:65], v[76:77]
	v_mul_f64 v[64:65], v[72:73], v[76:77]
	v_mul_f64 v[74:75], v[60:61], v[64:65]
	v_fma_f64 v[78:79], v[64:65], v[60:61], -v[74:75]
	v_fmac_f64_e32 v[78:79], v[64:65], v[58:59]
	v_add_f64 v[80:81], v[74:75], v[78:79]
	v_add_f64 v[82:83], v[72:73], -v[80:81]
	v_add_f64 v[72:73], v[72:73], -v[82:83]
	;; [unrolled: 1-line block ×4, first 2 shown]
	v_add_f64 v[62:63], v[62:63], v[72:73]
	v_add_f64 v[72:73], v[74:75], -v[78:79]
	v_add_f64 v[62:63], v[72:73], v[62:63]
	v_add_f64 v[72:73], v[82:83], v[62:63]
	v_add_f64 v[74:75], v[82:83], -v[72:73]
	v_add_f64 v[62:63], v[62:63], v[74:75]
	v_mul_f64 v[74:75], v[76:77], v[72:73]
	v_mul_f64 v[78:79], v[60:61], v[74:75]
	v_fma_f64 v[60:61], v[74:75], v[60:61], -v[78:79]
	v_fmac_f64_e32 v[60:61], v[74:75], v[58:59]
	v_add_f64 v[58:59], v[78:79], v[60:61]
	v_add_f64 v[80:81], v[72:73], -v[58:59]
	v_add_f64 v[72:73], v[72:73], -v[80:81]
	;; [unrolled: 1-line block ×4, first 2 shown]
	v_add_f64 v[58:59], v[62:63], v[58:59]
	v_add_f64 v[60:61], v[78:79], -v[60:61]
	v_add_f64 v[58:59], v[60:61], v[58:59]
	v_add_f64 v[60:61], v[64:65], v[74:75]
	;; [unrolled: 1-line block ×3, first 2 shown]
	v_add_f64 v[62:63], v[60:61], -v[64:65]
	v_mul_f64 v[58:59], v[76:77], v[58:59]
	v_add_f64 v[62:63], v[74:75], -v[62:63]
	v_add_f64 v[58:59], v[62:63], v[58:59]
	v_add_f64 v[62:63], v[60:61], v[58:59]
	v_add_f64 v[60:61], v[62:63], -v[60:61]
	s_mov_b32 s50, 0xbf559e2b
	v_add_f64 v[58:59], v[58:59], -v[60:61]
	v_mul_f64 v[60:61], v[62:63], v[62:63]
	v_mov_b32_e32 v64, 0x6b47b09a
	v_mov_b32_e32 v65, 0x3fc38538
	s_mov_b32 s51, 0x3fc3ab76
	v_fmac_f64_e32 v[64:65], s[50:51], v[60:61]
	v_mov_b32_e32 v72, 0xd7f4df2e
	v_mov_b32_e32 v73, 0x3fc7474d
	v_fmac_f64_e32 v[72:73], v[60:61], v[64:65]
	v_mov_b32_e32 v64, 0x16291751
	v_mov_b32_e32 v65, 0x3fcc71c0
	;; [unrolled: 3-line block ×5, first 2 shown]
	v_fmac_f64_e32 v[72:73], v[60:61], v[64:65]
	v_cvt_f64_i32_e32 v[64:65], v1
	v_mul_f64 v[74:75], v[64:65], s[56:57]
	v_fma_f64 v[76:77], v[64:65], s[56:57], -v[74:75]
	v_fmac_f64_e32 v[76:77], s[62:63], v[64:65]
	v_add_f64 v[64:65], v[74:75], v[76:77]
	v_add_f64 v[74:75], v[64:65], -v[74:75]
	v_mul_f64 v[60:61], v[62:63], v[60:61]
	v_add_f64 v[74:75], v[76:77], -v[74:75]
	v_ldexp_f64 v[76:77], v[62:63], 1
	v_mul_f64 v[60:61], v[60:61], v[72:73]
	v_add_f64 v[62:63], v[76:77], v[60:61]
	v_add_f64 v[72:73], v[62:63], -v[76:77]
	v_ldexp_f64 v[58:59], v[58:59], 1
	v_add_f64 v[60:61], v[60:61], -v[72:73]
	v_add_f64 v[58:59], v[58:59], v[60:61]
	v_add_f64 v[60:61], v[62:63], v[58:59]
	v_add_f64 v[62:63], v[60:61], -v[62:63]
	v_add_f64 v[58:59], v[58:59], -v[62:63]
	v_add_f64 v[62:63], v[64:65], v[60:61]
	v_add_f64 v[72:73], v[62:63], -v[64:65]
	v_add_f64 v[76:77], v[62:63], -v[72:73]
	v_add_f64 v[64:65], v[64:65], -v[76:77]
	v_add_f64 v[60:61], v[60:61], -v[72:73]
	v_add_f64 v[60:61], v[60:61], v[64:65]
	v_add_f64 v[64:65], v[74:75], v[58:59]
	v_add_f64 v[72:73], v[64:65], -v[74:75]
	v_add_f64 v[60:61], v[64:65], v[60:61]
	v_add_f64 v[76:77], v[64:65], -v[72:73]
	;; [unrolled: 2-line block ×3, first 2 shown]
	v_add_f64 v[58:59], v[58:59], -v[72:73]
	v_add_f64 v[62:63], v[64:65], -v[62:63]
	v_add_f64 v[58:59], v[58:59], v[74:75]
	v_add_f64 v[60:61], v[60:61], -v[62:63]
	s_mov_b32 s50, 0
	v_add_f64 v[58:59], v[58:59], v[60:61]
	s_mov_b32 s51, 0x7ff00000
	v_add_f64 v[58:59], v[64:65], v[58:59]
	v_cmp_eq_f64_e64 s[50:51], s[50:51], v[32:33]
	s_nop 1
	v_cndmask_b32_e64 v1, v58, v32, s[50:51]
	v_cndmask_b32_e64 v35, v59, v33, s[50:51]
	v_mov_b32_e32 v58, 0x7ff80000
	v_cmp_ngt_f64_e64 s[50:51], -1.0, v[32:33]
	s_nop 1
	v_cndmask_b32_e64 v35, v58, v35, s[50:51]
	v_cmp_nge_f64_e64 s[50:51], -1.0, v[32:33]
	s_nop 1
	v_cndmask_b32_e64 v58, 0, v1, s[50:51]
	v_mov_b32_e32 v1, 0xfff00000
	v_cmp_neq_f64_e64 s[50:51], -1.0, v[32:33]
	s_nop 1
	v_cndmask_b32_e64 v59, v1, v35, s[50:51]
	v_add_f64 v[72:73], v[30:31], v[58:59]
.LBB20_50:
	s_or_b64 exec, exec, s[54:55]
	v_max_f64 v[58:59], v[12:13], v[12:13]
	v_max_f64 v[30:31], v[72:73], v[72:73]
	v_min_f64 v[32:33], v[30:31], v[58:59]
	v_cmp_u_f64_e64 s[52:53], v[72:73], v[72:73]
	v_cmp_u_f64_e64 s[50:51], v[12:13], v[12:13]
	v_max_f64 v[30:31], v[30:31], v[58:59]
	v_cndmask_b32_e64 v1, v32, v72, s[52:53]
	v_cndmask_b32_e64 v32, v33, v73, s[52:53]
	;; [unrolled: 1-line block ×8, first 2 shown]
	v_cmp_neq_f64_e64 s[52:53], v[32:33], v[30:31]
	v_cmp_class_f64_e64 s[54:55], v[32:33], s33
	s_or_b64 s[52:53], s[52:53], s[54:55]
	s_and_saveexec_b64 s[56:57], s[52:53]
	s_cbranch_execz .LBB20_52
; %bb.51:
	s_mov_b32 s52, 0x652b82fe
	v_add_f64 v[32:33], v[32:33], -v[30:31]
	s_mov_b32 s53, 0x3ff71547
	v_mul_f64 v[60:61], v[32:33], s[52:53]
	v_rndne_f64_e32 v[60:61], v[60:61]
	s_mov_b32 s63, 0xbfe62e42
	s_mov_b32 s62, 0xfefa39ef
	v_fma_f64 v[62:63], s[62:63], v[60:61], v[32:33]
	s_mov_b32 s65, 0xbc7abc9e
	s_mov_b32 s64, 0x3b39803f
	;; [unrolled: 1-line block ×3, first 2 shown]
	v_fmac_f64_e32 v[62:63], s[64:65], v[60:61]
	v_mov_b32_e32 v64, 0xfca7ab0c
	v_mov_b32_e32 v65, 0x3e928af3
	s_mov_b32 s53, 0x3e5ade15
	v_fmac_f64_e32 v[64:65], s[52:53], v[62:63]
	v_mov_b32_e32 v72, 0x623fde64
	v_mov_b32_e32 v73, 0x3ec71dee
	v_fmac_f64_e32 v[72:73], v[62:63], v[64:65]
	v_mov_b32_e32 v64, 0x7c89e6b0
	v_mov_b32_e32 v65, 0x3efa0199
	;; [unrolled: 3-line block ×8, first 2 shown]
	v_fmac_f64_e32 v[64:65], v[62:63], v[72:73]
	v_fma_f64 v[64:65], v[62:63], v[64:65], 1.0
	s_mov_b32 s52, 0
	s_mov_b32 s54, 0
	v_fma_f64 v[62:63], v[62:63], v[64:65], 1.0
	v_cvt_i32_f64_e32 v1, v[60:61]
	s_mov_b32 s53, 0x40900000
	s_mov_b32 s55, 0xc090cc00
	v_ldexp_f64 v[60:61], v[62:63], v1
	v_mov_b32_e32 v1, 0x7ff00000
	v_cmp_nlt_f64_e64 s[52:53], s[52:53], v[32:33]
	v_cmp_ngt_f64_e64 s[54:55], s[54:55], v[32:33]
	s_mov_b32 s63, 0x3fe62e42
	v_cndmask_b32_e64 v1, v1, v61, s[52:53]
	s_and_b64 s[52:53], s[54:55], s[52:53]
	v_cndmask_b32_e64 v33, 0, v1, s[54:55]
	v_cndmask_b32_e64 v32, 0, v60, s[52:53]
	v_add_f64 v[60:61], v[32:33], 1.0
	v_add_f64 v[62:63], v[60:61], -1.0
	v_add_f64 v[64:65], v[62:63], -v[60:61]
	v_add_f64 v[64:65], v[64:65], 1.0
	v_add_f64 v[62:63], v[32:33], -v[62:63]
	s_mov_b32 s52, 0x55555555
	v_add_f64 v[62:63], v[62:63], v[64:65]
	v_frexp_mant_f64_e32 v[64:65], v[60:61]
	s_mov_b32 s53, 0x3fe55555
	v_frexp_exp_i32_f64_e32 v1, v[60:61]
	v_cmp_gt_f64_e64 s[52:53], s[52:53], v[64:65]
	s_mov_b32 s65, 0x3c7abc9e
	s_nop 0
	v_subbrev_co_u32_e64 v1, s[52:53], 0, v1, s[52:53]
	v_sub_u32_e32 v35, 0, v1
	v_ldexp_f64 v[60:61], v[60:61], v35
	v_add_f64 v[64:65], v[60:61], -1.0
	v_add_f64 v[76:77], v[60:61], 1.0
	v_add_f64 v[72:73], v[64:65], 1.0
	v_add_f64 v[78:79], v[76:77], -1.0
	v_ldexp_f64 v[62:63], v[62:63], v35
	v_add_f64 v[72:73], v[60:61], -v[72:73]
	v_add_f64 v[60:61], v[60:61], -v[78:79]
	v_add_f64 v[60:61], v[62:63], v[60:61]
	v_add_f64 v[72:73], v[62:63], v[72:73]
	;; [unrolled: 1-line block ×3, first 2 shown]
	v_rcp_f64_e32 v[78:79], v[62:63]
	v_add_f64 v[74:75], v[64:65], v[72:73]
	v_add_f64 v[64:65], v[74:75], -v[64:65]
	v_add_f64 v[64:65], v[72:73], -v[64:65]
	;; [unrolled: 1-line block ×4, first 2 shown]
	v_fma_f64 v[72:73], -v[62:63], v[78:79], 1.0
	v_fmac_f64_e32 v[78:79], v[72:73], v[78:79]
	v_fma_f64 v[72:73], -v[62:63], v[78:79], 1.0
	v_fmac_f64_e32 v[78:79], v[72:73], v[78:79]
	v_mul_f64 v[72:73], v[74:75], v[78:79]
	v_mul_f64 v[76:77], v[62:63], v[72:73]
	v_fma_f64 v[80:81], v[72:73], v[62:63], -v[76:77]
	v_fmac_f64_e32 v[80:81], v[72:73], v[60:61]
	v_add_f64 v[82:83], v[76:77], v[80:81]
	v_add_f64 v[84:85], v[74:75], -v[82:83]
	v_add_f64 v[74:75], v[74:75], -v[84:85]
	;; [unrolled: 1-line block ×4, first 2 shown]
	v_add_f64 v[64:65], v[64:65], v[74:75]
	v_add_f64 v[74:75], v[76:77], -v[80:81]
	v_add_f64 v[64:65], v[74:75], v[64:65]
	v_add_f64 v[74:75], v[84:85], v[64:65]
	v_add_f64 v[76:77], v[84:85], -v[74:75]
	v_add_f64 v[64:65], v[64:65], v[76:77]
	v_mul_f64 v[76:77], v[78:79], v[74:75]
	v_mul_f64 v[80:81], v[62:63], v[76:77]
	v_fma_f64 v[62:63], v[76:77], v[62:63], -v[80:81]
	v_fmac_f64_e32 v[62:63], v[76:77], v[60:61]
	v_add_f64 v[60:61], v[80:81], v[62:63]
	v_add_f64 v[82:83], v[74:75], -v[60:61]
	v_add_f64 v[74:75], v[74:75], -v[82:83]
	;; [unrolled: 1-line block ×4, first 2 shown]
	v_add_f64 v[60:61], v[64:65], v[60:61]
	v_add_f64 v[62:63], v[80:81], -v[62:63]
	v_add_f64 v[60:61], v[62:63], v[60:61]
	v_add_f64 v[62:63], v[72:73], v[76:77]
	;; [unrolled: 1-line block ×3, first 2 shown]
	v_add_f64 v[64:65], v[62:63], -v[72:73]
	v_mul_f64 v[60:61], v[78:79], v[60:61]
	v_add_f64 v[64:65], v[76:77], -v[64:65]
	v_add_f64 v[60:61], v[64:65], v[60:61]
	v_add_f64 v[64:65], v[62:63], v[60:61]
	v_add_f64 v[62:63], v[64:65], -v[62:63]
	s_mov_b32 s52, 0xbf559e2b
	v_add_f64 v[60:61], v[60:61], -v[62:63]
	v_mul_f64 v[62:63], v[64:65], v[64:65]
	v_mov_b32_e32 v72, 0x6b47b09a
	v_mov_b32_e32 v73, 0x3fc38538
	s_mov_b32 s53, 0x3fc3ab76
	v_fmac_f64_e32 v[72:73], s[52:53], v[62:63]
	v_mov_b32_e32 v74, 0xd7f4df2e
	v_mov_b32_e32 v75, 0x3fc7474d
	v_fmac_f64_e32 v[74:75], v[62:63], v[72:73]
	v_mov_b32_e32 v72, 0x16291751
	v_mov_b32_e32 v73, 0x3fcc71c0
	;; [unrolled: 3-line block ×5, first 2 shown]
	v_fmac_f64_e32 v[74:75], v[62:63], v[72:73]
	v_cvt_f64_i32_e32 v[72:73], v1
	v_mul_f64 v[76:77], v[72:73], s[62:63]
	v_fma_f64 v[78:79], v[72:73], s[62:63], -v[76:77]
	v_fmac_f64_e32 v[78:79], s[64:65], v[72:73]
	v_add_f64 v[72:73], v[76:77], v[78:79]
	v_add_f64 v[76:77], v[72:73], -v[76:77]
	v_mul_f64 v[62:63], v[64:65], v[62:63]
	v_add_f64 v[76:77], v[78:79], -v[76:77]
	v_ldexp_f64 v[78:79], v[64:65], 1
	v_mul_f64 v[62:63], v[62:63], v[74:75]
	v_add_f64 v[64:65], v[78:79], v[62:63]
	v_add_f64 v[74:75], v[64:65], -v[78:79]
	v_ldexp_f64 v[60:61], v[60:61], 1
	v_add_f64 v[62:63], v[62:63], -v[74:75]
	v_add_f64 v[60:61], v[60:61], v[62:63]
	v_add_f64 v[62:63], v[64:65], v[60:61]
	v_add_f64 v[64:65], v[62:63], -v[64:65]
	v_add_f64 v[60:61], v[60:61], -v[64:65]
	v_add_f64 v[64:65], v[72:73], v[62:63]
	v_add_f64 v[74:75], v[64:65], -v[72:73]
	v_add_f64 v[78:79], v[64:65], -v[74:75]
	;; [unrolled: 1-line block ×4, first 2 shown]
	v_add_f64 v[62:63], v[62:63], v[72:73]
	v_add_f64 v[72:73], v[76:77], v[60:61]
	v_add_f64 v[74:75], v[72:73], -v[76:77]
	v_add_f64 v[62:63], v[72:73], v[62:63]
	v_add_f64 v[78:79], v[72:73], -v[74:75]
	;; [unrolled: 2-line block ×3, first 2 shown]
	v_add_f64 v[60:61], v[60:61], -v[74:75]
	v_add_f64 v[64:65], v[72:73], -v[64:65]
	v_add_f64 v[60:61], v[60:61], v[76:77]
	v_add_f64 v[62:63], v[62:63], -v[64:65]
	s_mov_b32 s52, 0
	v_add_f64 v[60:61], v[60:61], v[62:63]
	s_mov_b32 s53, 0x7ff00000
	v_add_f64 v[60:61], v[72:73], v[60:61]
	v_cmp_eq_f64_e64 s[52:53], s[52:53], v[32:33]
	s_nop 1
	v_cndmask_b32_e64 v1, v60, v32, s[52:53]
	v_cndmask_b32_e64 v35, v61, v33, s[52:53]
	v_mov_b32_e32 v60, 0x7ff80000
	v_cmp_ngt_f64_e64 s[52:53], -1.0, v[32:33]
	s_nop 1
	v_cndmask_b32_e64 v35, v60, v35, s[52:53]
	v_cmp_nge_f64_e64 s[52:53], -1.0, v[32:33]
	s_nop 1
	v_cndmask_b32_e64 v60, 0, v1, s[52:53]
	v_mov_b32_e32 v1, 0xfff00000
	v_cmp_neq_f64_e64 s[52:53], -1.0, v[32:33]
	s_nop 1
	v_cndmask_b32_e64 v61, v1, v35, s[52:53]
	v_add_f64 v[72:73], v[30:31], v[60:61]
.LBB20_52:
	s_or_b64 exec, exec, s[56:57]
	v_max_f64 v[60:61], v[6:7], v[6:7]
	v_max_f64 v[30:31], v[72:73], v[72:73]
	v_min_f64 v[32:33], v[30:31], v[60:61]
	v_cmp_u_f64_e64 s[54:55], v[72:73], v[72:73]
	v_cmp_u_f64_e64 s[52:53], v[6:7], v[6:7]
	v_max_f64 v[30:31], v[30:31], v[60:61]
	v_cndmask_b32_e64 v1, v32, v72, s[54:55]
	v_cndmask_b32_e64 v32, v33, v73, s[54:55]
	;; [unrolled: 1-line block ×8, first 2 shown]
	v_cmp_neq_f64_e64 s[54:55], v[32:33], v[30:31]
	v_cmp_class_f64_e64 s[56:57], v[32:33], s33
	s_or_b64 s[54:55], s[54:55], s[56:57]
	s_and_saveexec_b64 s[62:63], s[54:55]
	s_cbranch_execz .LBB20_54
; %bb.53:
	s_mov_b32 s54, 0x652b82fe
	v_add_f64 v[32:33], v[32:33], -v[30:31]
	s_mov_b32 s55, 0x3ff71547
	v_mul_f64 v[62:63], v[32:33], s[54:55]
	v_rndne_f64_e32 v[62:63], v[62:63]
	s_mov_b32 s65, 0xbfe62e42
	s_mov_b32 s64, 0xfefa39ef
	v_fma_f64 v[64:65], s[64:65], v[62:63], v[32:33]
	s_mov_b32 s67, 0xbc7abc9e
	s_mov_b32 s66, 0x3b39803f
	;; [unrolled: 1-line block ×3, first 2 shown]
	v_fmac_f64_e32 v[64:65], s[66:67], v[62:63]
	v_mov_b32_e32 v72, 0xfca7ab0c
	v_mov_b32_e32 v73, 0x3e928af3
	s_mov_b32 s55, 0x3e5ade15
	v_fmac_f64_e32 v[72:73], s[54:55], v[64:65]
	v_mov_b32_e32 v74, 0x623fde64
	v_mov_b32_e32 v75, 0x3ec71dee
	v_fmac_f64_e32 v[74:75], v[64:65], v[72:73]
	v_mov_b32_e32 v72, 0x7c89e6b0
	v_mov_b32_e32 v73, 0x3efa0199
	;; [unrolled: 3-line block ×8, first 2 shown]
	v_fmac_f64_e32 v[72:73], v[64:65], v[74:75]
	v_fma_f64 v[72:73], v[64:65], v[72:73], 1.0
	s_mov_b32 s54, 0
	s_mov_b32 s56, 0
	v_fma_f64 v[64:65], v[64:65], v[72:73], 1.0
	v_cvt_i32_f64_e32 v1, v[62:63]
	s_mov_b32 s55, 0x40900000
	s_mov_b32 s57, 0xc090cc00
	v_ldexp_f64 v[62:63], v[64:65], v1
	v_mov_b32_e32 v1, 0x7ff00000
	v_cmp_nlt_f64_e64 s[54:55], s[54:55], v[32:33]
	v_cmp_ngt_f64_e64 s[56:57], s[56:57], v[32:33]
	s_mov_b32 s65, 0x3fe62e42
	v_cndmask_b32_e64 v1, v1, v63, s[54:55]
	s_and_b64 s[54:55], s[56:57], s[54:55]
	v_cndmask_b32_e64 v33, 0, v1, s[56:57]
	v_cndmask_b32_e64 v32, 0, v62, s[54:55]
	v_add_f64 v[62:63], v[32:33], 1.0
	v_add_f64 v[64:65], v[62:63], -1.0
	v_add_f64 v[72:73], v[64:65], -v[62:63]
	v_add_f64 v[72:73], v[72:73], 1.0
	v_add_f64 v[64:65], v[32:33], -v[64:65]
	s_mov_b32 s54, 0x55555555
	v_add_f64 v[64:65], v[64:65], v[72:73]
	v_frexp_mant_f64_e32 v[72:73], v[62:63]
	s_mov_b32 s55, 0x3fe55555
	v_frexp_exp_i32_f64_e32 v1, v[62:63]
	v_cmp_gt_f64_e64 s[54:55], s[54:55], v[72:73]
	s_mov_b32 s67, 0x3c7abc9e
	s_nop 0
	v_subbrev_co_u32_e64 v1, s[54:55], 0, v1, s[54:55]
	v_sub_u32_e32 v35, 0, v1
	v_ldexp_f64 v[62:63], v[62:63], v35
	v_add_f64 v[72:73], v[62:63], -1.0
	v_add_f64 v[78:79], v[62:63], 1.0
	v_add_f64 v[74:75], v[72:73], 1.0
	v_add_f64 v[80:81], v[78:79], -1.0
	v_ldexp_f64 v[64:65], v[64:65], v35
	v_add_f64 v[74:75], v[62:63], -v[74:75]
	v_add_f64 v[62:63], v[62:63], -v[80:81]
	v_add_f64 v[62:63], v[64:65], v[62:63]
	v_add_f64 v[74:75], v[64:65], v[74:75]
	v_add_f64 v[64:65], v[78:79], v[62:63]
	v_rcp_f64_e32 v[80:81], v[64:65]
	v_add_f64 v[76:77], v[72:73], v[74:75]
	v_add_f64 v[72:73], v[76:77], -v[72:73]
	v_add_f64 v[72:73], v[74:75], -v[72:73]
	v_add_f64 v[74:75], v[64:65], -v[78:79]
	v_add_f64 v[62:63], v[62:63], -v[74:75]
	v_fma_f64 v[74:75], -v[64:65], v[80:81], 1.0
	v_fmac_f64_e32 v[80:81], v[74:75], v[80:81]
	v_fma_f64 v[74:75], -v[64:65], v[80:81], 1.0
	v_fmac_f64_e32 v[80:81], v[74:75], v[80:81]
	v_mul_f64 v[74:75], v[76:77], v[80:81]
	v_mul_f64 v[78:79], v[64:65], v[74:75]
	v_fma_f64 v[82:83], v[74:75], v[64:65], -v[78:79]
	v_fmac_f64_e32 v[82:83], v[74:75], v[62:63]
	v_add_f64 v[84:85], v[78:79], v[82:83]
	v_add_f64 v[86:87], v[76:77], -v[84:85]
	v_add_f64 v[76:77], v[76:77], -v[86:87]
	;; [unrolled: 1-line block ×4, first 2 shown]
	v_add_f64 v[72:73], v[72:73], v[76:77]
	v_add_f64 v[76:77], v[78:79], -v[82:83]
	v_add_f64 v[72:73], v[76:77], v[72:73]
	v_add_f64 v[76:77], v[86:87], v[72:73]
	v_add_f64 v[78:79], v[86:87], -v[76:77]
	v_add_f64 v[72:73], v[72:73], v[78:79]
	v_mul_f64 v[78:79], v[80:81], v[76:77]
	v_mul_f64 v[82:83], v[64:65], v[78:79]
	v_fma_f64 v[64:65], v[78:79], v[64:65], -v[82:83]
	v_fmac_f64_e32 v[64:65], v[78:79], v[62:63]
	v_add_f64 v[62:63], v[82:83], v[64:65]
	v_add_f64 v[84:85], v[76:77], -v[62:63]
	v_add_f64 v[76:77], v[76:77], -v[84:85]
	;; [unrolled: 1-line block ×4, first 2 shown]
	v_add_f64 v[62:63], v[72:73], v[62:63]
	v_add_f64 v[64:65], v[82:83], -v[64:65]
	v_add_f64 v[62:63], v[64:65], v[62:63]
	v_add_f64 v[64:65], v[74:75], v[78:79]
	;; [unrolled: 1-line block ×3, first 2 shown]
	v_add_f64 v[72:73], v[64:65], -v[74:75]
	v_mul_f64 v[62:63], v[80:81], v[62:63]
	v_add_f64 v[72:73], v[78:79], -v[72:73]
	v_add_f64 v[62:63], v[72:73], v[62:63]
	v_add_f64 v[72:73], v[64:65], v[62:63]
	v_add_f64 v[64:65], v[72:73], -v[64:65]
	s_mov_b32 s54, 0xbf559e2b
	v_add_f64 v[62:63], v[62:63], -v[64:65]
	v_mul_f64 v[64:65], v[72:73], v[72:73]
	v_mov_b32_e32 v74, 0x6b47b09a
	v_mov_b32_e32 v75, 0x3fc38538
	s_mov_b32 s55, 0x3fc3ab76
	v_fmac_f64_e32 v[74:75], s[54:55], v[64:65]
	v_mov_b32_e32 v76, 0xd7f4df2e
	v_mov_b32_e32 v77, 0x3fc7474d
	v_fmac_f64_e32 v[76:77], v[64:65], v[74:75]
	v_mov_b32_e32 v74, 0x16291751
	v_mov_b32_e32 v75, 0x3fcc71c0
	v_fmac_f64_e32 v[74:75], v[64:65], v[76:77]
	v_mov_b32_e32 v76, 0x9b27acf1
	v_mov_b32_e32 v77, 0x3fd24924
	v_fmac_f64_e32 v[76:77], v[64:65], v[74:75]
	v_mov_b32_e32 v74, 0x998ef7b6
	v_mov_b32_e32 v75, 0x3fd99999
	v_fmac_f64_e32 v[74:75], v[64:65], v[76:77]
	v_mov_b32_e32 v76, 0x55555780
	v_mov_b32_e32 v77, 0x3fe55555
	v_fmac_f64_e32 v[76:77], v[64:65], v[74:75]
	v_cvt_f64_i32_e32 v[74:75], v1
	v_mul_f64 v[78:79], v[74:75], s[64:65]
	v_fma_f64 v[80:81], v[74:75], s[64:65], -v[78:79]
	v_fmac_f64_e32 v[80:81], s[66:67], v[74:75]
	v_add_f64 v[74:75], v[78:79], v[80:81]
	v_add_f64 v[78:79], v[74:75], -v[78:79]
	v_mul_f64 v[64:65], v[72:73], v[64:65]
	v_add_f64 v[78:79], v[80:81], -v[78:79]
	v_ldexp_f64 v[80:81], v[72:73], 1
	v_mul_f64 v[64:65], v[64:65], v[76:77]
	v_add_f64 v[72:73], v[80:81], v[64:65]
	v_add_f64 v[76:77], v[72:73], -v[80:81]
	v_ldexp_f64 v[62:63], v[62:63], 1
	v_add_f64 v[64:65], v[64:65], -v[76:77]
	v_add_f64 v[62:63], v[62:63], v[64:65]
	v_add_f64 v[64:65], v[72:73], v[62:63]
	v_add_f64 v[72:73], v[64:65], -v[72:73]
	v_add_f64 v[62:63], v[62:63], -v[72:73]
	v_add_f64 v[72:73], v[74:75], v[64:65]
	v_add_f64 v[76:77], v[72:73], -v[74:75]
	v_add_f64 v[80:81], v[72:73], -v[76:77]
	;; [unrolled: 1-line block ×4, first 2 shown]
	v_add_f64 v[64:65], v[64:65], v[74:75]
	v_add_f64 v[74:75], v[78:79], v[62:63]
	v_add_f64 v[76:77], v[74:75], -v[78:79]
	v_add_f64 v[64:65], v[74:75], v[64:65]
	v_add_f64 v[80:81], v[74:75], -v[76:77]
	;; [unrolled: 2-line block ×3, first 2 shown]
	v_add_f64 v[62:63], v[62:63], -v[76:77]
	v_add_f64 v[72:73], v[74:75], -v[72:73]
	v_add_f64 v[62:63], v[62:63], v[78:79]
	v_add_f64 v[64:65], v[64:65], -v[72:73]
	s_mov_b32 s54, 0
	v_add_f64 v[62:63], v[62:63], v[64:65]
	s_mov_b32 s55, 0x7ff00000
	v_add_f64 v[62:63], v[74:75], v[62:63]
	v_cmp_eq_f64_e64 s[54:55], s[54:55], v[32:33]
	s_nop 1
	v_cndmask_b32_e64 v1, v62, v32, s[54:55]
	v_cndmask_b32_e64 v35, v63, v33, s[54:55]
	v_mov_b32_e32 v62, 0x7ff80000
	v_cmp_ngt_f64_e64 s[54:55], -1.0, v[32:33]
	s_nop 1
	v_cndmask_b32_e64 v35, v62, v35, s[54:55]
	v_cmp_nge_f64_e64 s[54:55], -1.0, v[32:33]
	s_nop 1
	v_cndmask_b32_e64 v62, 0, v1, s[54:55]
	v_mov_b32_e32 v1, 0xfff00000
	v_cmp_neq_f64_e64 s[54:55], -1.0, v[32:33]
	s_nop 1
	v_cndmask_b32_e64 v63, v1, v35, s[54:55]
	v_add_f64 v[72:73], v[30:31], v[62:63]
.LBB20_54:
	s_or_b64 exec, exec, s[62:63]
	v_max_f64 v[62:63], v[8:9], v[8:9]
	v_max_f64 v[30:31], v[72:73], v[72:73]
	v_min_f64 v[32:33], v[30:31], v[62:63]
	v_cmp_u_f64_e64 s[56:57], v[72:73], v[72:73]
	v_cmp_u_f64_e64 s[54:55], v[8:9], v[8:9]
	v_max_f64 v[30:31], v[30:31], v[62:63]
	v_cndmask_b32_e64 v1, v32, v72, s[56:57]
	v_cndmask_b32_e64 v32, v33, v73, s[56:57]
	;; [unrolled: 1-line block ×8, first 2 shown]
	v_cmp_neq_f64_e64 s[56:57], v[32:33], v[30:31]
	v_cmp_class_f64_e64 s[62:63], v[32:33], s33
	s_or_b64 s[56:57], s[56:57], s[62:63]
	s_and_saveexec_b64 s[64:65], s[56:57]
	s_cbranch_execz .LBB20_56
; %bb.55:
	s_mov_b32 s56, 0x652b82fe
	v_add_f64 v[32:33], v[32:33], -v[30:31]
	s_mov_b32 s57, 0x3ff71547
	v_mul_f64 v[64:65], v[32:33], s[56:57]
	v_rndne_f64_e32 v[64:65], v[64:65]
	s_mov_b32 s67, 0xbfe62e42
	s_mov_b32 s66, 0xfefa39ef
	v_fma_f64 v[72:73], s[66:67], v[64:65], v[32:33]
	s_mov_b32 s69, 0xbc7abc9e
	s_mov_b32 s68, 0x3b39803f
	;; [unrolled: 1-line block ×3, first 2 shown]
	v_fmac_f64_e32 v[72:73], s[68:69], v[64:65]
	v_mov_b32_e32 v74, 0xfca7ab0c
	v_mov_b32_e32 v75, 0x3e928af3
	s_mov_b32 s57, 0x3e5ade15
	v_fmac_f64_e32 v[74:75], s[56:57], v[72:73]
	v_mov_b32_e32 v76, 0x623fde64
	v_mov_b32_e32 v77, 0x3ec71dee
	v_fmac_f64_e32 v[76:77], v[72:73], v[74:75]
	v_mov_b32_e32 v74, 0x7c89e6b0
	v_mov_b32_e32 v75, 0x3efa0199
	;; [unrolled: 3-line block ×8, first 2 shown]
	v_fmac_f64_e32 v[74:75], v[72:73], v[76:77]
	v_fma_f64 v[74:75], v[72:73], v[74:75], 1.0
	s_mov_b32 s56, 0
	s_mov_b32 s62, 0
	v_fma_f64 v[72:73], v[72:73], v[74:75], 1.0
	v_cvt_i32_f64_e32 v1, v[64:65]
	s_mov_b32 s57, 0x40900000
	s_mov_b32 s63, 0xc090cc00
	v_ldexp_f64 v[64:65], v[72:73], v1
	v_mov_b32_e32 v1, 0x7ff00000
	v_cmp_nlt_f64_e64 s[56:57], s[56:57], v[32:33]
	v_cmp_ngt_f64_e64 s[62:63], s[62:63], v[32:33]
	s_mov_b32 s67, 0x3fe62e42
	v_cndmask_b32_e64 v1, v1, v65, s[56:57]
	s_and_b64 s[56:57], s[62:63], s[56:57]
	v_cndmask_b32_e64 v33, 0, v1, s[62:63]
	v_cndmask_b32_e64 v32, 0, v64, s[56:57]
	v_add_f64 v[64:65], v[32:33], 1.0
	v_add_f64 v[72:73], v[64:65], -1.0
	v_add_f64 v[74:75], v[72:73], -v[64:65]
	v_add_f64 v[74:75], v[74:75], 1.0
	v_add_f64 v[72:73], v[32:33], -v[72:73]
	s_mov_b32 s56, 0x55555555
	v_add_f64 v[72:73], v[72:73], v[74:75]
	v_frexp_mant_f64_e32 v[74:75], v[64:65]
	s_mov_b32 s57, 0x3fe55555
	v_frexp_exp_i32_f64_e32 v1, v[64:65]
	v_cmp_gt_f64_e64 s[56:57], s[56:57], v[74:75]
	s_mov_b32 s69, 0x3c7abc9e
	s_nop 0
	v_subbrev_co_u32_e64 v1, s[56:57], 0, v1, s[56:57]
	v_sub_u32_e32 v35, 0, v1
	v_ldexp_f64 v[64:65], v[64:65], v35
	v_add_f64 v[74:75], v[64:65], -1.0
	v_add_f64 v[80:81], v[64:65], 1.0
	v_add_f64 v[76:77], v[74:75], 1.0
	v_add_f64 v[82:83], v[80:81], -1.0
	v_ldexp_f64 v[72:73], v[72:73], v35
	v_add_f64 v[76:77], v[64:65], -v[76:77]
	v_add_f64 v[64:65], v[64:65], -v[82:83]
	v_add_f64 v[64:65], v[72:73], v[64:65]
	v_add_f64 v[76:77], v[72:73], v[76:77]
	;; [unrolled: 1-line block ×3, first 2 shown]
	v_rcp_f64_e32 v[82:83], v[72:73]
	v_add_f64 v[78:79], v[74:75], v[76:77]
	v_add_f64 v[74:75], v[78:79], -v[74:75]
	v_add_f64 v[74:75], v[76:77], -v[74:75]
	;; [unrolled: 1-line block ×4, first 2 shown]
	v_fma_f64 v[76:77], -v[72:73], v[82:83], 1.0
	v_fmac_f64_e32 v[82:83], v[76:77], v[82:83]
	v_fma_f64 v[76:77], -v[72:73], v[82:83], 1.0
	v_fmac_f64_e32 v[82:83], v[76:77], v[82:83]
	v_mul_f64 v[76:77], v[78:79], v[82:83]
	v_mul_f64 v[80:81], v[72:73], v[76:77]
	v_fma_f64 v[84:85], v[76:77], v[72:73], -v[80:81]
	v_fmac_f64_e32 v[84:85], v[76:77], v[64:65]
	v_add_f64 v[86:87], v[80:81], v[84:85]
	v_add_f64 v[88:89], v[78:79], -v[86:87]
	v_add_f64 v[78:79], v[78:79], -v[88:89]
	;; [unrolled: 1-line block ×4, first 2 shown]
	v_add_f64 v[74:75], v[74:75], v[78:79]
	v_add_f64 v[78:79], v[80:81], -v[84:85]
	v_add_f64 v[74:75], v[78:79], v[74:75]
	v_add_f64 v[78:79], v[88:89], v[74:75]
	v_add_f64 v[80:81], v[88:89], -v[78:79]
	v_add_f64 v[74:75], v[74:75], v[80:81]
	v_mul_f64 v[80:81], v[82:83], v[78:79]
	v_mul_f64 v[84:85], v[72:73], v[80:81]
	v_fma_f64 v[72:73], v[80:81], v[72:73], -v[84:85]
	v_fmac_f64_e32 v[72:73], v[80:81], v[64:65]
	v_add_f64 v[64:65], v[84:85], v[72:73]
	v_add_f64 v[86:87], v[78:79], -v[64:65]
	v_add_f64 v[78:79], v[78:79], -v[86:87]
	v_add_f64 v[84:85], v[64:65], -v[84:85]
	v_add_f64 v[64:65], v[78:79], -v[64:65]
	v_add_f64 v[64:65], v[74:75], v[64:65]
	v_add_f64 v[72:73], v[84:85], -v[72:73]
	v_add_f64 v[64:65], v[72:73], v[64:65]
	v_add_f64 v[72:73], v[76:77], v[80:81]
	;; [unrolled: 1-line block ×3, first 2 shown]
	v_add_f64 v[74:75], v[72:73], -v[76:77]
	v_mul_f64 v[64:65], v[82:83], v[64:65]
	v_add_f64 v[74:75], v[80:81], -v[74:75]
	v_add_f64 v[64:65], v[74:75], v[64:65]
	v_add_f64 v[74:75], v[72:73], v[64:65]
	v_add_f64 v[72:73], v[74:75], -v[72:73]
	s_mov_b32 s56, 0xbf559e2b
	v_add_f64 v[64:65], v[64:65], -v[72:73]
	v_mul_f64 v[72:73], v[74:75], v[74:75]
	v_mov_b32_e32 v76, 0x6b47b09a
	v_mov_b32_e32 v77, 0x3fc38538
	s_mov_b32 s57, 0x3fc3ab76
	v_fmac_f64_e32 v[76:77], s[56:57], v[72:73]
	v_mov_b32_e32 v78, 0xd7f4df2e
	v_mov_b32_e32 v79, 0x3fc7474d
	v_fmac_f64_e32 v[78:79], v[72:73], v[76:77]
	v_mov_b32_e32 v76, 0x16291751
	v_mov_b32_e32 v77, 0x3fcc71c0
	;; [unrolled: 3-line block ×5, first 2 shown]
	v_fmac_f64_e32 v[78:79], v[72:73], v[76:77]
	v_cvt_f64_i32_e32 v[76:77], v1
	v_mul_f64 v[80:81], v[76:77], s[66:67]
	v_fma_f64 v[82:83], v[76:77], s[66:67], -v[80:81]
	v_fmac_f64_e32 v[82:83], s[68:69], v[76:77]
	v_add_f64 v[76:77], v[80:81], v[82:83]
	v_add_f64 v[80:81], v[76:77], -v[80:81]
	v_mul_f64 v[72:73], v[74:75], v[72:73]
	v_add_f64 v[80:81], v[82:83], -v[80:81]
	v_ldexp_f64 v[82:83], v[74:75], 1
	v_mul_f64 v[72:73], v[72:73], v[78:79]
	v_add_f64 v[74:75], v[82:83], v[72:73]
	v_add_f64 v[78:79], v[74:75], -v[82:83]
	v_ldexp_f64 v[64:65], v[64:65], 1
	v_add_f64 v[72:73], v[72:73], -v[78:79]
	v_add_f64 v[64:65], v[64:65], v[72:73]
	v_add_f64 v[72:73], v[74:75], v[64:65]
	v_add_f64 v[74:75], v[72:73], -v[74:75]
	v_add_f64 v[64:65], v[64:65], -v[74:75]
	v_add_f64 v[74:75], v[76:77], v[72:73]
	v_add_f64 v[78:79], v[74:75], -v[76:77]
	v_add_f64 v[82:83], v[74:75], -v[78:79]
	;; [unrolled: 1-line block ×4, first 2 shown]
	v_add_f64 v[72:73], v[72:73], v[76:77]
	v_add_f64 v[76:77], v[80:81], v[64:65]
	v_add_f64 v[78:79], v[76:77], -v[80:81]
	v_add_f64 v[72:73], v[76:77], v[72:73]
	v_add_f64 v[82:83], v[76:77], -v[78:79]
	;; [unrolled: 2-line block ×3, first 2 shown]
	v_add_f64 v[64:65], v[64:65], -v[78:79]
	v_add_f64 v[74:75], v[76:77], -v[74:75]
	v_add_f64 v[64:65], v[64:65], v[80:81]
	v_add_f64 v[72:73], v[72:73], -v[74:75]
	s_mov_b32 s56, 0
	v_add_f64 v[64:65], v[64:65], v[72:73]
	s_mov_b32 s57, 0x7ff00000
	v_add_f64 v[64:65], v[76:77], v[64:65]
	v_cmp_eq_f64_e64 s[56:57], s[56:57], v[32:33]
	s_nop 1
	v_cndmask_b32_e64 v1, v64, v32, s[56:57]
	v_cndmask_b32_e64 v35, v65, v33, s[56:57]
	v_mov_b32_e32 v64, 0x7ff80000
	v_cmp_ngt_f64_e64 s[56:57], -1.0, v[32:33]
	s_nop 1
	v_cndmask_b32_e64 v35, v64, v35, s[56:57]
	v_cmp_nge_f64_e64 s[56:57], -1.0, v[32:33]
	s_nop 1
	v_cndmask_b32_e64 v64, 0, v1, s[56:57]
	v_mov_b32_e32 v1, 0xfff00000
	v_cmp_neq_f64_e64 s[56:57], -1.0, v[32:33]
	s_nop 1
	v_cndmask_b32_e64 v65, v1, v35, s[56:57]
	v_add_f64 v[72:73], v[30:31], v[64:65]
.LBB20_56:
	s_or_b64 exec, exec, s[64:65]
	v_max_f64 v[64:65], v[36:37], v[36:37]
	v_max_f64 v[30:31], v[72:73], v[72:73]
	v_min_f64 v[32:33], v[30:31], v[64:65]
	v_cmp_u_f64_e64 s[62:63], v[72:73], v[72:73]
	v_cmp_u_f64_e64 s[56:57], v[36:37], v[36:37]
	v_max_f64 v[30:31], v[30:31], v[64:65]
	v_cndmask_b32_e64 v1, v32, v72, s[62:63]
	v_cndmask_b32_e64 v32, v33, v73, s[62:63]
	;; [unrolled: 1-line block ×8, first 2 shown]
	v_cmp_neq_f64_e64 s[62:63], v[32:33], v[30:31]
	v_cmp_class_f64_e64 s[64:65], v[32:33], s33
	s_or_b64 s[62:63], s[62:63], s[64:65]
	s_and_saveexec_b64 s[66:67], s[62:63]
	s_cbranch_execz .LBB20_58
; %bb.57:
	s_mov_b32 s62, 0x652b82fe
	v_add_f64 v[32:33], v[32:33], -v[30:31]
	s_mov_b32 s63, 0x3ff71547
	v_mul_f64 v[72:73], v[32:33], s[62:63]
	v_rndne_f64_e32 v[72:73], v[72:73]
	s_mov_b32 s69, 0xbfe62e42
	s_mov_b32 s68, 0xfefa39ef
	v_fma_f64 v[74:75], s[68:69], v[72:73], v[32:33]
	s_mov_b32 s71, 0xbc7abc9e
	s_mov_b32 s70, 0x3b39803f
	;; [unrolled: 1-line block ×3, first 2 shown]
	v_fmac_f64_e32 v[74:75], s[70:71], v[72:73]
	v_mov_b32_e32 v76, 0xfca7ab0c
	v_mov_b32_e32 v77, 0x3e928af3
	s_mov_b32 s63, 0x3e5ade15
	v_fmac_f64_e32 v[76:77], s[62:63], v[74:75]
	v_mov_b32_e32 v78, 0x623fde64
	v_mov_b32_e32 v79, 0x3ec71dee
	v_fmac_f64_e32 v[78:79], v[74:75], v[76:77]
	v_mov_b32_e32 v76, 0x7c89e6b0
	v_mov_b32_e32 v77, 0x3efa0199
	;; [unrolled: 3-line block ×8, first 2 shown]
	v_fmac_f64_e32 v[76:77], v[74:75], v[78:79]
	v_fma_f64 v[76:77], v[74:75], v[76:77], 1.0
	s_mov_b32 s62, 0
	s_mov_b32 s64, 0
	v_fma_f64 v[74:75], v[74:75], v[76:77], 1.0
	v_cvt_i32_f64_e32 v1, v[72:73]
	s_mov_b32 s63, 0x40900000
	s_mov_b32 s65, 0xc090cc00
	v_ldexp_f64 v[72:73], v[74:75], v1
	v_mov_b32_e32 v1, 0x7ff00000
	v_cmp_nlt_f64_e64 s[62:63], s[62:63], v[32:33]
	v_cmp_ngt_f64_e64 s[64:65], s[64:65], v[32:33]
	s_mov_b32 s69, 0x3fe62e42
	v_cndmask_b32_e64 v1, v1, v73, s[62:63]
	s_and_b64 s[62:63], s[64:65], s[62:63]
	v_cndmask_b32_e64 v33, 0, v1, s[64:65]
	v_cndmask_b32_e64 v32, 0, v72, s[62:63]
	v_add_f64 v[72:73], v[32:33], 1.0
	v_add_f64 v[74:75], v[72:73], -1.0
	v_add_f64 v[76:77], v[74:75], -v[72:73]
	v_add_f64 v[76:77], v[76:77], 1.0
	v_add_f64 v[74:75], v[32:33], -v[74:75]
	s_mov_b32 s62, 0x55555555
	v_add_f64 v[74:75], v[74:75], v[76:77]
	v_frexp_mant_f64_e32 v[76:77], v[72:73]
	s_mov_b32 s63, 0x3fe55555
	v_frexp_exp_i32_f64_e32 v1, v[72:73]
	v_cmp_gt_f64_e64 s[62:63], s[62:63], v[76:77]
	s_mov_b32 s71, 0x3c7abc9e
	s_nop 0
	v_subbrev_co_u32_e64 v1, s[62:63], 0, v1, s[62:63]
	v_sub_u32_e32 v35, 0, v1
	v_ldexp_f64 v[72:73], v[72:73], v35
	v_add_f64 v[76:77], v[72:73], -1.0
	v_add_f64 v[82:83], v[72:73], 1.0
	v_add_f64 v[78:79], v[76:77], 1.0
	v_add_f64 v[84:85], v[82:83], -1.0
	v_ldexp_f64 v[74:75], v[74:75], v35
	v_add_f64 v[78:79], v[72:73], -v[78:79]
	v_add_f64 v[72:73], v[72:73], -v[84:85]
	v_add_f64 v[72:73], v[74:75], v[72:73]
	v_add_f64 v[78:79], v[74:75], v[78:79]
	;; [unrolled: 1-line block ×3, first 2 shown]
	v_rcp_f64_e32 v[84:85], v[74:75]
	v_add_f64 v[80:81], v[76:77], v[78:79]
	v_add_f64 v[76:77], v[80:81], -v[76:77]
	v_add_f64 v[76:77], v[78:79], -v[76:77]
	;; [unrolled: 1-line block ×4, first 2 shown]
	v_fma_f64 v[78:79], -v[74:75], v[84:85], 1.0
	v_fmac_f64_e32 v[84:85], v[78:79], v[84:85]
	v_fma_f64 v[78:79], -v[74:75], v[84:85], 1.0
	v_fmac_f64_e32 v[84:85], v[78:79], v[84:85]
	v_mul_f64 v[78:79], v[80:81], v[84:85]
	v_mul_f64 v[82:83], v[74:75], v[78:79]
	v_fma_f64 v[86:87], v[78:79], v[74:75], -v[82:83]
	v_fmac_f64_e32 v[86:87], v[78:79], v[72:73]
	v_add_f64 v[88:89], v[82:83], v[86:87]
	v_add_f64 v[90:91], v[80:81], -v[88:89]
	v_add_f64 v[80:81], v[80:81], -v[90:91]
	;; [unrolled: 1-line block ×4, first 2 shown]
	v_add_f64 v[76:77], v[76:77], v[80:81]
	v_add_f64 v[80:81], v[82:83], -v[86:87]
	v_add_f64 v[76:77], v[80:81], v[76:77]
	v_add_f64 v[80:81], v[90:91], v[76:77]
	v_add_f64 v[82:83], v[90:91], -v[80:81]
	v_add_f64 v[76:77], v[76:77], v[82:83]
	v_mul_f64 v[82:83], v[84:85], v[80:81]
	v_mul_f64 v[86:87], v[74:75], v[82:83]
	v_fma_f64 v[74:75], v[82:83], v[74:75], -v[86:87]
	v_fmac_f64_e32 v[74:75], v[82:83], v[72:73]
	v_add_f64 v[72:73], v[86:87], v[74:75]
	v_add_f64 v[88:89], v[80:81], -v[72:73]
	v_add_f64 v[80:81], v[80:81], -v[88:89]
	;; [unrolled: 1-line block ×4, first 2 shown]
	v_add_f64 v[72:73], v[76:77], v[72:73]
	v_add_f64 v[74:75], v[86:87], -v[74:75]
	v_add_f64 v[72:73], v[74:75], v[72:73]
	v_add_f64 v[74:75], v[78:79], v[82:83]
	v_add_f64 v[72:73], v[88:89], v[72:73]
	v_add_f64 v[76:77], v[74:75], -v[78:79]
	v_mul_f64 v[72:73], v[84:85], v[72:73]
	v_add_f64 v[76:77], v[82:83], -v[76:77]
	v_add_f64 v[72:73], v[76:77], v[72:73]
	v_add_f64 v[76:77], v[74:75], v[72:73]
	v_add_f64 v[74:75], v[76:77], -v[74:75]
	s_mov_b32 s62, 0xbf559e2b
	v_add_f64 v[72:73], v[72:73], -v[74:75]
	v_mul_f64 v[74:75], v[76:77], v[76:77]
	v_mov_b32_e32 v78, 0x6b47b09a
	v_mov_b32_e32 v79, 0x3fc38538
	s_mov_b32 s63, 0x3fc3ab76
	v_fmac_f64_e32 v[78:79], s[62:63], v[74:75]
	v_mov_b32_e32 v80, 0xd7f4df2e
	v_mov_b32_e32 v81, 0x3fc7474d
	v_fmac_f64_e32 v[80:81], v[74:75], v[78:79]
	v_mov_b32_e32 v78, 0x16291751
	v_mov_b32_e32 v79, 0x3fcc71c0
	;; [unrolled: 3-line block ×5, first 2 shown]
	v_fmac_f64_e32 v[80:81], v[74:75], v[78:79]
	v_cvt_f64_i32_e32 v[78:79], v1
	v_mul_f64 v[82:83], v[78:79], s[68:69]
	v_fma_f64 v[84:85], v[78:79], s[68:69], -v[82:83]
	v_fmac_f64_e32 v[84:85], s[70:71], v[78:79]
	v_add_f64 v[78:79], v[82:83], v[84:85]
	v_add_f64 v[82:83], v[78:79], -v[82:83]
	v_mul_f64 v[74:75], v[76:77], v[74:75]
	v_add_f64 v[82:83], v[84:85], -v[82:83]
	v_ldexp_f64 v[84:85], v[76:77], 1
	v_mul_f64 v[74:75], v[74:75], v[80:81]
	v_add_f64 v[76:77], v[84:85], v[74:75]
	v_add_f64 v[80:81], v[76:77], -v[84:85]
	v_ldexp_f64 v[72:73], v[72:73], 1
	v_add_f64 v[74:75], v[74:75], -v[80:81]
	v_add_f64 v[72:73], v[72:73], v[74:75]
	v_add_f64 v[74:75], v[76:77], v[72:73]
	v_add_f64 v[76:77], v[74:75], -v[76:77]
	v_add_f64 v[72:73], v[72:73], -v[76:77]
	v_add_f64 v[76:77], v[78:79], v[74:75]
	v_add_f64 v[80:81], v[76:77], -v[78:79]
	v_add_f64 v[84:85], v[76:77], -v[80:81]
	;; [unrolled: 1-line block ×4, first 2 shown]
	v_add_f64 v[74:75], v[74:75], v[78:79]
	v_add_f64 v[78:79], v[82:83], v[72:73]
	v_add_f64 v[80:81], v[78:79], -v[82:83]
	v_add_f64 v[74:75], v[78:79], v[74:75]
	v_add_f64 v[84:85], v[78:79], -v[80:81]
	;; [unrolled: 2-line block ×3, first 2 shown]
	v_add_f64 v[72:73], v[72:73], -v[80:81]
	v_add_f64 v[76:77], v[78:79], -v[76:77]
	v_add_f64 v[72:73], v[72:73], v[82:83]
	v_add_f64 v[74:75], v[74:75], -v[76:77]
	s_mov_b32 s62, 0
	v_add_f64 v[72:73], v[72:73], v[74:75]
	s_mov_b32 s63, 0x7ff00000
	v_add_f64 v[72:73], v[78:79], v[72:73]
	v_cmp_eq_f64_e64 s[62:63], s[62:63], v[32:33]
	s_nop 1
	v_cndmask_b32_e64 v1, v72, v32, s[62:63]
	v_cndmask_b32_e64 v35, v73, v33, s[62:63]
	v_mov_b32_e32 v72, 0x7ff80000
	v_cmp_ngt_f64_e64 s[62:63], -1.0, v[32:33]
	s_nop 1
	v_cndmask_b32_e64 v35, v72, v35, s[62:63]
	v_cmp_nge_f64_e64 s[62:63], -1.0, v[32:33]
	s_nop 1
	v_cndmask_b32_e64 v72, 0, v1, s[62:63]
	v_mov_b32_e32 v1, 0xfff00000
	v_cmp_neq_f64_e64 s[62:63], -1.0, v[32:33]
	s_nop 1
	v_cndmask_b32_e64 v73, v1, v35, s[62:63]
	v_add_f64 v[72:73], v[30:31], v[72:73]
.LBB20_58:
	s_or_b64 exec, exec, s[66:67]
	v_lshrrev_b32_e32 v1, 2, v0
	v_and_b32_e32 v1, 56, v1
	v_add_u32_e32 v1, v34, v1
	v_cmp_gt_u32_e64 s[62:63], 64, v0
	ds_write_b64 v1, v[72:73]
	s_waitcnt lgkmcnt(0)
	s_barrier
	s_and_saveexec_b64 s[68:69], s[62:63]
	s_cbranch_execz .LBB20_98
; %bb.59:
	v_lshlrev_b32_e32 v1, 2, v0
	v_lshrrev_b32_e32 v30, 3, v0
	v_add_lshl_u32 v1, v30, v1, 3
	ds_read2_b64 v[30:33], v1 offset1:1
	s_waitcnt lgkmcnt(0)
	v_max_f64 v[76:77], v[32:33], v[32:33]
	v_max_f64 v[74:75], v[30:31], v[30:31]
	v_min_f64 v[78:79], v[74:75], v[76:77]
	v_cmp_u_f64_e64 s[62:63], v[30:31], v[30:31]
	v_cmp_u_f64_e64 s[64:65], v[32:33], v[32:33]
	v_max_f64 v[76:77], v[74:75], v[76:77]
	v_cndmask_b32_e64 v35, v78, v30, s[62:63]
	v_cndmask_b32_e64 v78, v79, v31, s[62:63]
	;; [unrolled: 1-line block ×8, first 2 shown]
	v_cmp_neq_f64_e64 s[64:65], v[78:79], v[76:77]
	v_cmp_class_f64_e64 s[66:67], v[78:79], s33
	s_or_b64 s[64:65], s[64:65], s[66:67]
	v_mov_b64_e32 v[32:33], v[30:31]
	s_and_saveexec_b64 s[70:71], s[64:65]
	s_cbranch_execz .LBB20_61
; %bb.60:
	s_mov_b32 s64, 0x652b82fe
	v_add_f64 v[32:33], v[78:79], -v[76:77]
	s_mov_b32 s65, 0x3ff71547
	v_mul_f64 v[78:79], v[32:33], s[64:65]
	v_rndne_f64_e32 v[78:79], v[78:79]
	s_mov_b32 s73, 0xbfe62e42
	s_mov_b32 s72, 0xfefa39ef
	v_fma_f64 v[80:81], s[72:73], v[78:79], v[32:33]
	s_mov_b32 s75, 0xbc7abc9e
	s_mov_b32 s74, 0x3b39803f
	;; [unrolled: 1-line block ×3, first 2 shown]
	v_fmac_f64_e32 v[80:81], s[74:75], v[78:79]
	v_mov_b32_e32 v82, 0xfca7ab0c
	v_mov_b32_e32 v83, 0x3e928af3
	s_mov_b32 s65, 0x3e5ade15
	v_fmac_f64_e32 v[82:83], s[64:65], v[80:81]
	v_mov_b32_e32 v84, 0x623fde64
	v_mov_b32_e32 v85, 0x3ec71dee
	v_fmac_f64_e32 v[84:85], v[80:81], v[82:83]
	v_mov_b32_e32 v82, 0x7c89e6b0
	v_mov_b32_e32 v83, 0x3efa0199
	;; [unrolled: 3-line block ×8, first 2 shown]
	v_fmac_f64_e32 v[82:83], v[80:81], v[84:85]
	v_fma_f64 v[82:83], v[80:81], v[82:83], 1.0
	s_mov_b32 s64, 0
	s_mov_b32 s66, 0
	v_fma_f64 v[80:81], v[80:81], v[82:83], 1.0
	v_cvt_i32_f64_e32 v35, v[78:79]
	s_mov_b32 s65, 0x40900000
	s_mov_b32 s67, 0xc090cc00
	v_ldexp_f64 v[78:79], v[80:81], v35
	v_mov_b32_e32 v35, 0x7ff00000
	v_cmp_nlt_f64_e64 s[64:65], s[64:65], v[32:33]
	v_cmp_ngt_f64_e64 s[66:67], s[66:67], v[32:33]
	s_mov_b32 s73, 0x3fe62e42
	v_cndmask_b32_e64 v35, v35, v79, s[64:65]
	s_and_b64 s[64:65], s[66:67], s[64:65]
	v_cndmask_b32_e64 v33, 0, v35, s[66:67]
	v_cndmask_b32_e64 v32, 0, v78, s[64:65]
	v_add_f64 v[78:79], v[32:33], 1.0
	v_add_f64 v[80:81], v[78:79], -1.0
	v_add_f64 v[82:83], v[80:81], -v[78:79]
	v_add_f64 v[82:83], v[82:83], 1.0
	v_add_f64 v[80:81], v[32:33], -v[80:81]
	s_mov_b32 s64, 0x55555555
	v_add_f64 v[80:81], v[80:81], v[82:83]
	v_frexp_mant_f64_e32 v[82:83], v[78:79]
	s_mov_b32 s65, 0x3fe55555
	v_frexp_exp_i32_f64_e32 v35, v[78:79]
	v_cmp_gt_f64_e64 s[64:65], s[64:65], v[82:83]
	s_mov_b32 s75, 0x3c7abc9e
	s_nop 0
	v_subbrev_co_u32_e64 v35, s[64:65], 0, v35, s[64:65]
	v_sub_u32_e32 v82, 0, v35
	v_ldexp_f64 v[78:79], v[78:79], v82
	v_ldexp_f64 v[80:81], v[80:81], v82
	v_add_f64 v[82:83], v[78:79], -1.0
	v_add_f64 v[88:89], v[78:79], 1.0
	v_add_f64 v[84:85], v[82:83], 1.0
	v_add_f64 v[90:91], v[88:89], -1.0
	v_add_f64 v[84:85], v[78:79], -v[84:85]
	v_add_f64 v[78:79], v[78:79], -v[90:91]
	v_add_f64 v[78:79], v[80:81], v[78:79]
	v_add_f64 v[84:85], v[80:81], v[84:85]
	v_add_f64 v[80:81], v[88:89], v[78:79]
	v_rcp_f64_e32 v[90:91], v[80:81]
	v_add_f64 v[86:87], v[82:83], v[84:85]
	v_add_f64 v[82:83], v[86:87], -v[82:83]
	v_add_f64 v[82:83], v[84:85], -v[82:83]
	;; [unrolled: 1-line block ×4, first 2 shown]
	v_fma_f64 v[84:85], -v[80:81], v[90:91], 1.0
	v_fmac_f64_e32 v[90:91], v[84:85], v[90:91]
	v_fma_f64 v[84:85], -v[80:81], v[90:91], 1.0
	v_fmac_f64_e32 v[90:91], v[84:85], v[90:91]
	v_mul_f64 v[84:85], v[86:87], v[90:91]
	v_mul_f64 v[88:89], v[80:81], v[84:85]
	v_fma_f64 v[92:93], v[84:85], v[80:81], -v[88:89]
	v_fmac_f64_e32 v[92:93], v[84:85], v[78:79]
	v_add_f64 v[94:95], v[88:89], v[92:93]
	v_add_f64 v[96:97], v[86:87], -v[94:95]
	v_add_f64 v[86:87], v[86:87], -v[96:97]
	;; [unrolled: 1-line block ×4, first 2 shown]
	v_add_f64 v[82:83], v[82:83], v[86:87]
	v_add_f64 v[86:87], v[88:89], -v[92:93]
	v_add_f64 v[82:83], v[86:87], v[82:83]
	v_add_f64 v[86:87], v[96:97], v[82:83]
	v_add_f64 v[88:89], v[96:97], -v[86:87]
	v_add_f64 v[82:83], v[82:83], v[88:89]
	v_mul_f64 v[88:89], v[90:91], v[86:87]
	v_mul_f64 v[92:93], v[80:81], v[88:89]
	v_fma_f64 v[80:81], v[88:89], v[80:81], -v[92:93]
	v_fmac_f64_e32 v[80:81], v[88:89], v[78:79]
	v_add_f64 v[78:79], v[92:93], v[80:81]
	v_add_f64 v[94:95], v[86:87], -v[78:79]
	v_add_f64 v[86:87], v[86:87], -v[94:95]
	;; [unrolled: 1-line block ×4, first 2 shown]
	v_add_f64 v[78:79], v[82:83], v[78:79]
	v_add_f64 v[80:81], v[92:93], -v[80:81]
	v_add_f64 v[78:79], v[80:81], v[78:79]
	v_add_f64 v[80:81], v[84:85], v[88:89]
	;; [unrolled: 1-line block ×3, first 2 shown]
	v_add_f64 v[82:83], v[80:81], -v[84:85]
	v_mul_f64 v[78:79], v[90:91], v[78:79]
	v_add_f64 v[82:83], v[88:89], -v[82:83]
	v_add_f64 v[78:79], v[82:83], v[78:79]
	v_add_f64 v[82:83], v[80:81], v[78:79]
	v_add_f64 v[80:81], v[82:83], -v[80:81]
	s_mov_b32 s64, 0xbf559e2b
	v_add_f64 v[78:79], v[78:79], -v[80:81]
	v_mul_f64 v[80:81], v[82:83], v[82:83]
	v_mov_b32_e32 v84, 0x6b47b09a
	v_mov_b32_e32 v85, 0x3fc38538
	s_mov_b32 s65, 0x3fc3ab76
	v_fmac_f64_e32 v[84:85], s[64:65], v[80:81]
	v_mov_b32_e32 v86, 0xd7f4df2e
	v_mov_b32_e32 v87, 0x3fc7474d
	v_fmac_f64_e32 v[86:87], v[80:81], v[84:85]
	v_mov_b32_e32 v84, 0x16291751
	v_mov_b32_e32 v85, 0x3fcc71c0
	v_fmac_f64_e32 v[84:85], v[80:81], v[86:87]
	v_mov_b32_e32 v86, 0x9b27acf1
	v_mov_b32_e32 v87, 0x3fd24924
	v_fmac_f64_e32 v[86:87], v[80:81], v[84:85]
	v_mov_b32_e32 v84, 0x998ef7b6
	v_mov_b32_e32 v85, 0x3fd99999
	v_fmac_f64_e32 v[84:85], v[80:81], v[86:87]
	v_mov_b32_e32 v86, 0x55555780
	v_mov_b32_e32 v87, 0x3fe55555
	v_fmac_f64_e32 v[86:87], v[80:81], v[84:85]
	v_cvt_f64_i32_e32 v[84:85], v35
	v_mul_f64 v[88:89], v[84:85], s[72:73]
	v_fma_f64 v[90:91], v[84:85], s[72:73], -v[88:89]
	v_fmac_f64_e32 v[90:91], s[74:75], v[84:85]
	v_add_f64 v[84:85], v[88:89], v[90:91]
	v_add_f64 v[88:89], v[84:85], -v[88:89]
	v_mul_f64 v[80:81], v[82:83], v[80:81]
	v_add_f64 v[88:89], v[90:91], -v[88:89]
	v_ldexp_f64 v[90:91], v[82:83], 1
	v_mul_f64 v[80:81], v[80:81], v[86:87]
	v_add_f64 v[82:83], v[90:91], v[80:81]
	v_add_f64 v[86:87], v[82:83], -v[90:91]
	v_ldexp_f64 v[78:79], v[78:79], 1
	v_add_f64 v[80:81], v[80:81], -v[86:87]
	v_add_f64 v[78:79], v[78:79], v[80:81]
	v_add_f64 v[80:81], v[82:83], v[78:79]
	v_add_f64 v[82:83], v[80:81], -v[82:83]
	v_add_f64 v[78:79], v[78:79], -v[82:83]
	v_add_f64 v[82:83], v[84:85], v[80:81]
	v_add_f64 v[86:87], v[82:83], -v[84:85]
	v_add_f64 v[90:91], v[82:83], -v[86:87]
	;; [unrolled: 1-line block ×4, first 2 shown]
	v_add_f64 v[80:81], v[80:81], v[84:85]
	v_add_f64 v[84:85], v[88:89], v[78:79]
	v_add_f64 v[86:87], v[84:85], -v[88:89]
	v_add_f64 v[80:81], v[84:85], v[80:81]
	v_add_f64 v[90:91], v[84:85], -v[86:87]
	;; [unrolled: 2-line block ×3, first 2 shown]
	v_add_f64 v[78:79], v[78:79], -v[86:87]
	v_add_f64 v[82:83], v[84:85], -v[82:83]
	v_add_f64 v[78:79], v[78:79], v[88:89]
	v_add_f64 v[80:81], v[80:81], -v[82:83]
	s_mov_b32 s64, 0
	v_add_f64 v[78:79], v[78:79], v[80:81]
	s_mov_b32 s65, 0x7ff00000
	v_add_f64 v[78:79], v[84:85], v[78:79]
	v_cmp_eq_f64_e64 s[64:65], s[64:65], v[32:33]
	s_nop 1
	v_cndmask_b32_e64 v35, v78, v32, s[64:65]
	v_cndmask_b32_e64 v78, v79, v33, s[64:65]
	v_mov_b32_e32 v79, 0x7ff80000
	v_cmp_ngt_f64_e64 s[64:65], -1.0, v[32:33]
	s_nop 1
	v_cndmask_b32_e64 v79, v79, v78, s[64:65]
	v_cmp_nge_f64_e64 s[64:65], -1.0, v[32:33]
	s_nop 1
	v_cndmask_b32_e64 v78, 0, v35, s[64:65]
	v_mov_b32_e32 v35, 0xfff00000
	v_cmp_neq_f64_e64 s[64:65], -1.0, v[32:33]
	s_nop 1
	v_cndmask_b32_e64 v79, v35, v79, s[64:65]
	v_add_f64 v[32:33], v[76:77], v[78:79]
.LBB20_61:
	s_or_b64 exec, exec, s[70:71]
	ds_read_b64 v[76:77], v1 offset:16
	v_max_f64 v[80:81], v[32:33], v[32:33]
	v_cmp_u_f64_e64 s[64:65], v[32:33], v[32:33]
	s_waitcnt lgkmcnt(0)
	v_max_f64 v[82:83], v[76:77], v[76:77]
	v_min_f64 v[78:79], v[80:81], v[82:83]
	v_cndmask_b32_e64 v35, v78, v32, s[64:65]
	v_cndmask_b32_e64 v78, v79, v33, s[64:65]
	v_cmp_u_f64_e64 s[66:67], v[76:77], v[76:77]
	v_max_f64 v[80:81], v[80:81], v[82:83]
	s_nop 0
	v_cndmask_b32_e64 v79, v78, v77, s[66:67]
	v_cndmask_b32_e64 v78, v35, v76, s[66:67]
	;; [unrolled: 1-line block ×6, first 2 shown]
	v_cmp_neq_f64_e64 s[64:65], v[78:79], v[76:77]
	v_cmp_class_f64_e64 s[66:67], v[78:79], s33
	s_or_b64 s[64:65], s[64:65], s[66:67]
	s_and_saveexec_b64 s[70:71], s[64:65]
	s_cbranch_execz .LBB20_63
; %bb.62:
	s_mov_b32 s64, 0x652b82fe
	v_add_f64 v[32:33], v[78:79], -v[76:77]
	s_mov_b32 s65, 0x3ff71547
	v_mul_f64 v[78:79], v[32:33], s[64:65]
	v_rndne_f64_e32 v[78:79], v[78:79]
	s_mov_b32 s73, 0xbfe62e42
	s_mov_b32 s72, 0xfefa39ef
	v_fma_f64 v[80:81], s[72:73], v[78:79], v[32:33]
	s_mov_b32 s75, 0xbc7abc9e
	s_mov_b32 s74, 0x3b39803f
	;; [unrolled: 1-line block ×3, first 2 shown]
	v_fmac_f64_e32 v[80:81], s[74:75], v[78:79]
	v_mov_b32_e32 v82, 0xfca7ab0c
	v_mov_b32_e32 v83, 0x3e928af3
	s_mov_b32 s65, 0x3e5ade15
	v_fmac_f64_e32 v[82:83], s[64:65], v[80:81]
	v_mov_b32_e32 v84, 0x623fde64
	v_mov_b32_e32 v85, 0x3ec71dee
	v_fmac_f64_e32 v[84:85], v[80:81], v[82:83]
	v_mov_b32_e32 v82, 0x7c89e6b0
	v_mov_b32_e32 v83, 0x3efa0199
	;; [unrolled: 3-line block ×8, first 2 shown]
	v_fmac_f64_e32 v[82:83], v[80:81], v[84:85]
	v_fma_f64 v[82:83], v[80:81], v[82:83], 1.0
	s_mov_b32 s64, 0
	s_mov_b32 s66, 0
	v_fma_f64 v[80:81], v[80:81], v[82:83], 1.0
	v_cvt_i32_f64_e32 v35, v[78:79]
	s_mov_b32 s65, 0x40900000
	s_mov_b32 s67, 0xc090cc00
	v_ldexp_f64 v[78:79], v[80:81], v35
	v_mov_b32_e32 v35, 0x7ff00000
	v_cmp_nlt_f64_e64 s[64:65], s[64:65], v[32:33]
	v_cmp_ngt_f64_e64 s[66:67], s[66:67], v[32:33]
	s_mov_b32 s73, 0x3fe62e42
	v_cndmask_b32_e64 v35, v35, v79, s[64:65]
	s_and_b64 s[64:65], s[66:67], s[64:65]
	v_cndmask_b32_e64 v33, 0, v35, s[66:67]
	v_cndmask_b32_e64 v32, 0, v78, s[64:65]
	v_add_f64 v[78:79], v[32:33], 1.0
	v_add_f64 v[80:81], v[78:79], -1.0
	v_add_f64 v[82:83], v[80:81], -v[78:79]
	v_add_f64 v[82:83], v[82:83], 1.0
	v_add_f64 v[80:81], v[32:33], -v[80:81]
	s_mov_b32 s64, 0x55555555
	v_add_f64 v[80:81], v[80:81], v[82:83]
	v_frexp_mant_f64_e32 v[82:83], v[78:79]
	s_mov_b32 s65, 0x3fe55555
	v_frexp_exp_i32_f64_e32 v35, v[78:79]
	v_cmp_gt_f64_e64 s[64:65], s[64:65], v[82:83]
	s_mov_b32 s75, 0x3c7abc9e
	s_nop 0
	v_subbrev_co_u32_e64 v35, s[64:65], 0, v35, s[64:65]
	v_sub_u32_e32 v82, 0, v35
	v_ldexp_f64 v[78:79], v[78:79], v82
	v_ldexp_f64 v[80:81], v[80:81], v82
	v_add_f64 v[82:83], v[78:79], -1.0
	v_add_f64 v[88:89], v[78:79], 1.0
	v_add_f64 v[84:85], v[82:83], 1.0
	v_add_f64 v[90:91], v[88:89], -1.0
	v_add_f64 v[84:85], v[78:79], -v[84:85]
	v_add_f64 v[78:79], v[78:79], -v[90:91]
	v_add_f64 v[78:79], v[80:81], v[78:79]
	v_add_f64 v[84:85], v[80:81], v[84:85]
	;; [unrolled: 1-line block ×3, first 2 shown]
	v_rcp_f64_e32 v[90:91], v[80:81]
	v_add_f64 v[86:87], v[82:83], v[84:85]
	v_add_f64 v[82:83], v[86:87], -v[82:83]
	v_add_f64 v[82:83], v[84:85], -v[82:83]
	;; [unrolled: 1-line block ×4, first 2 shown]
	v_fma_f64 v[84:85], -v[80:81], v[90:91], 1.0
	v_fmac_f64_e32 v[90:91], v[84:85], v[90:91]
	v_fma_f64 v[84:85], -v[80:81], v[90:91], 1.0
	v_fmac_f64_e32 v[90:91], v[84:85], v[90:91]
	v_mul_f64 v[84:85], v[86:87], v[90:91]
	v_mul_f64 v[88:89], v[80:81], v[84:85]
	v_fma_f64 v[92:93], v[84:85], v[80:81], -v[88:89]
	v_fmac_f64_e32 v[92:93], v[84:85], v[78:79]
	v_add_f64 v[94:95], v[88:89], v[92:93]
	v_add_f64 v[96:97], v[86:87], -v[94:95]
	v_add_f64 v[86:87], v[86:87], -v[96:97]
	;; [unrolled: 1-line block ×4, first 2 shown]
	v_add_f64 v[82:83], v[82:83], v[86:87]
	v_add_f64 v[86:87], v[88:89], -v[92:93]
	v_add_f64 v[82:83], v[86:87], v[82:83]
	v_add_f64 v[86:87], v[96:97], v[82:83]
	v_add_f64 v[88:89], v[96:97], -v[86:87]
	v_add_f64 v[82:83], v[82:83], v[88:89]
	v_mul_f64 v[88:89], v[90:91], v[86:87]
	v_mul_f64 v[92:93], v[80:81], v[88:89]
	v_fma_f64 v[80:81], v[88:89], v[80:81], -v[92:93]
	v_fmac_f64_e32 v[80:81], v[88:89], v[78:79]
	v_add_f64 v[78:79], v[92:93], v[80:81]
	v_add_f64 v[94:95], v[86:87], -v[78:79]
	v_add_f64 v[86:87], v[86:87], -v[94:95]
	;; [unrolled: 1-line block ×4, first 2 shown]
	v_add_f64 v[78:79], v[82:83], v[78:79]
	v_add_f64 v[80:81], v[92:93], -v[80:81]
	v_add_f64 v[78:79], v[80:81], v[78:79]
	v_add_f64 v[80:81], v[84:85], v[88:89]
	;; [unrolled: 1-line block ×3, first 2 shown]
	v_add_f64 v[82:83], v[80:81], -v[84:85]
	v_mul_f64 v[78:79], v[90:91], v[78:79]
	v_add_f64 v[82:83], v[88:89], -v[82:83]
	v_add_f64 v[78:79], v[82:83], v[78:79]
	v_add_f64 v[82:83], v[80:81], v[78:79]
	v_add_f64 v[80:81], v[82:83], -v[80:81]
	s_mov_b32 s64, 0xbf559e2b
	v_add_f64 v[78:79], v[78:79], -v[80:81]
	v_mul_f64 v[80:81], v[82:83], v[82:83]
	v_mov_b32_e32 v84, 0x6b47b09a
	v_mov_b32_e32 v85, 0x3fc38538
	s_mov_b32 s65, 0x3fc3ab76
	v_fmac_f64_e32 v[84:85], s[64:65], v[80:81]
	v_mov_b32_e32 v86, 0xd7f4df2e
	v_mov_b32_e32 v87, 0x3fc7474d
	v_fmac_f64_e32 v[86:87], v[80:81], v[84:85]
	v_mov_b32_e32 v84, 0x16291751
	v_mov_b32_e32 v85, 0x3fcc71c0
	;; [unrolled: 3-line block ×5, first 2 shown]
	v_fmac_f64_e32 v[86:87], v[80:81], v[84:85]
	v_cvt_f64_i32_e32 v[84:85], v35
	v_mul_f64 v[88:89], v[84:85], s[72:73]
	v_fma_f64 v[90:91], v[84:85], s[72:73], -v[88:89]
	v_fmac_f64_e32 v[90:91], s[74:75], v[84:85]
	v_add_f64 v[84:85], v[88:89], v[90:91]
	v_add_f64 v[88:89], v[84:85], -v[88:89]
	v_mul_f64 v[80:81], v[82:83], v[80:81]
	v_add_f64 v[88:89], v[90:91], -v[88:89]
	v_ldexp_f64 v[90:91], v[82:83], 1
	v_mul_f64 v[80:81], v[80:81], v[86:87]
	v_add_f64 v[82:83], v[90:91], v[80:81]
	v_add_f64 v[86:87], v[82:83], -v[90:91]
	v_ldexp_f64 v[78:79], v[78:79], 1
	v_add_f64 v[80:81], v[80:81], -v[86:87]
	v_add_f64 v[78:79], v[78:79], v[80:81]
	v_add_f64 v[80:81], v[82:83], v[78:79]
	v_add_f64 v[82:83], v[80:81], -v[82:83]
	v_add_f64 v[78:79], v[78:79], -v[82:83]
	v_add_f64 v[82:83], v[84:85], v[80:81]
	v_add_f64 v[86:87], v[82:83], -v[84:85]
	v_add_f64 v[90:91], v[82:83], -v[86:87]
	;; [unrolled: 1-line block ×4, first 2 shown]
	v_add_f64 v[80:81], v[80:81], v[84:85]
	v_add_f64 v[84:85], v[88:89], v[78:79]
	v_add_f64 v[86:87], v[84:85], -v[88:89]
	v_add_f64 v[80:81], v[84:85], v[80:81]
	v_add_f64 v[90:91], v[84:85], -v[86:87]
	;; [unrolled: 2-line block ×3, first 2 shown]
	v_add_f64 v[78:79], v[78:79], -v[86:87]
	v_add_f64 v[82:83], v[84:85], -v[82:83]
	v_add_f64 v[78:79], v[78:79], v[88:89]
	v_add_f64 v[80:81], v[80:81], -v[82:83]
	s_mov_b32 s64, 0
	v_add_f64 v[78:79], v[78:79], v[80:81]
	s_mov_b32 s65, 0x7ff00000
	v_add_f64 v[78:79], v[84:85], v[78:79]
	v_cmp_eq_f64_e64 s[64:65], s[64:65], v[32:33]
	s_nop 1
	v_cndmask_b32_e64 v35, v78, v32, s[64:65]
	v_cndmask_b32_e64 v78, v79, v33, s[64:65]
	v_mov_b32_e32 v79, 0x7ff80000
	v_cmp_ngt_f64_e64 s[64:65], -1.0, v[32:33]
	s_nop 1
	v_cndmask_b32_e64 v79, v79, v78, s[64:65]
	v_cmp_nge_f64_e64 s[64:65], -1.0, v[32:33]
	s_nop 1
	v_cndmask_b32_e64 v78, 0, v35, s[64:65]
	v_mov_b32_e32 v35, 0xfff00000
	v_cmp_neq_f64_e64 s[64:65], -1.0, v[32:33]
	s_nop 1
	v_cndmask_b32_e64 v79, v35, v79, s[64:65]
	v_add_f64 v[32:33], v[76:77], v[78:79]
.LBB20_63:
	s_or_b64 exec, exec, s[70:71]
	ds_read_b64 v[76:77], v1 offset:24
	v_max_f64 v[80:81], v[32:33], v[32:33]
	v_cmp_u_f64_e64 s[64:65], v[32:33], v[32:33]
	s_waitcnt lgkmcnt(0)
	v_max_f64 v[82:83], v[76:77], v[76:77]
	v_min_f64 v[78:79], v[80:81], v[82:83]
	v_cndmask_b32_e64 v35, v78, v32, s[64:65]
	v_cndmask_b32_e64 v78, v79, v33, s[64:65]
	v_cmp_u_f64_e64 s[66:67], v[76:77], v[76:77]
	v_max_f64 v[80:81], v[80:81], v[82:83]
	s_nop 0
	v_cndmask_b32_e64 v79, v78, v77, s[66:67]
	v_cndmask_b32_e64 v78, v35, v76, s[66:67]
	v_cndmask_b32_e64 v35, v80, v32, s[64:65]
	v_cndmask_b32_e64 v80, v81, v33, s[64:65]
	v_cndmask_b32_e64 v77, v80, v77, s[66:67]
	v_cndmask_b32_e64 v76, v35, v76, s[66:67]
	v_cmp_neq_f64_e64 s[64:65], v[78:79], v[76:77]
	v_cmp_class_f64_e64 s[66:67], v[78:79], s33
	s_or_b64 s[64:65], s[64:65], s[66:67]
	s_and_saveexec_b64 s[70:71], s[64:65]
	s_cbranch_execz .LBB20_65
; %bb.64:
	s_mov_b32 s64, 0x652b82fe
	v_add_f64 v[32:33], v[78:79], -v[76:77]
	s_mov_b32 s65, 0x3ff71547
	v_mul_f64 v[78:79], v[32:33], s[64:65]
	v_rndne_f64_e32 v[78:79], v[78:79]
	s_mov_b32 s73, 0xbfe62e42
	s_mov_b32 s72, 0xfefa39ef
	v_fma_f64 v[80:81], s[72:73], v[78:79], v[32:33]
	s_mov_b32 s75, 0xbc7abc9e
	s_mov_b32 s74, 0x3b39803f
	;; [unrolled: 1-line block ×3, first 2 shown]
	v_fmac_f64_e32 v[80:81], s[74:75], v[78:79]
	v_mov_b32_e32 v82, 0xfca7ab0c
	v_mov_b32_e32 v83, 0x3e928af3
	s_mov_b32 s65, 0x3e5ade15
	v_fmac_f64_e32 v[82:83], s[64:65], v[80:81]
	v_mov_b32_e32 v84, 0x623fde64
	v_mov_b32_e32 v85, 0x3ec71dee
	v_fmac_f64_e32 v[84:85], v[80:81], v[82:83]
	v_mov_b32_e32 v82, 0x7c89e6b0
	v_mov_b32_e32 v83, 0x3efa0199
	;; [unrolled: 3-line block ×8, first 2 shown]
	v_fmac_f64_e32 v[82:83], v[80:81], v[84:85]
	v_fma_f64 v[82:83], v[80:81], v[82:83], 1.0
	s_mov_b32 s64, 0
	s_mov_b32 s66, 0
	v_fma_f64 v[80:81], v[80:81], v[82:83], 1.0
	v_cvt_i32_f64_e32 v35, v[78:79]
	s_mov_b32 s65, 0x40900000
	s_mov_b32 s67, 0xc090cc00
	v_ldexp_f64 v[78:79], v[80:81], v35
	v_mov_b32_e32 v35, 0x7ff00000
	v_cmp_nlt_f64_e64 s[64:65], s[64:65], v[32:33]
	v_cmp_ngt_f64_e64 s[66:67], s[66:67], v[32:33]
	s_mov_b32 s73, 0x3fe62e42
	v_cndmask_b32_e64 v35, v35, v79, s[64:65]
	s_and_b64 s[64:65], s[66:67], s[64:65]
	v_cndmask_b32_e64 v33, 0, v35, s[66:67]
	v_cndmask_b32_e64 v32, 0, v78, s[64:65]
	v_add_f64 v[78:79], v[32:33], 1.0
	v_add_f64 v[80:81], v[78:79], -1.0
	v_add_f64 v[82:83], v[80:81], -v[78:79]
	v_add_f64 v[82:83], v[82:83], 1.0
	v_add_f64 v[80:81], v[32:33], -v[80:81]
	s_mov_b32 s64, 0x55555555
	v_add_f64 v[80:81], v[80:81], v[82:83]
	v_frexp_mant_f64_e32 v[82:83], v[78:79]
	s_mov_b32 s65, 0x3fe55555
	v_frexp_exp_i32_f64_e32 v35, v[78:79]
	v_cmp_gt_f64_e64 s[64:65], s[64:65], v[82:83]
	s_mov_b32 s75, 0x3c7abc9e
	s_nop 0
	v_subbrev_co_u32_e64 v35, s[64:65], 0, v35, s[64:65]
	v_sub_u32_e32 v82, 0, v35
	v_ldexp_f64 v[78:79], v[78:79], v82
	v_ldexp_f64 v[80:81], v[80:81], v82
	v_add_f64 v[82:83], v[78:79], -1.0
	v_add_f64 v[88:89], v[78:79], 1.0
	v_add_f64 v[84:85], v[82:83], 1.0
	v_add_f64 v[90:91], v[88:89], -1.0
	v_add_f64 v[84:85], v[78:79], -v[84:85]
	v_add_f64 v[78:79], v[78:79], -v[90:91]
	v_add_f64 v[78:79], v[80:81], v[78:79]
	v_add_f64 v[84:85], v[80:81], v[84:85]
	;; [unrolled: 1-line block ×3, first 2 shown]
	v_rcp_f64_e32 v[90:91], v[80:81]
	v_add_f64 v[86:87], v[82:83], v[84:85]
	v_add_f64 v[82:83], v[86:87], -v[82:83]
	v_add_f64 v[82:83], v[84:85], -v[82:83]
	;; [unrolled: 1-line block ×4, first 2 shown]
	v_fma_f64 v[84:85], -v[80:81], v[90:91], 1.0
	v_fmac_f64_e32 v[90:91], v[84:85], v[90:91]
	v_fma_f64 v[84:85], -v[80:81], v[90:91], 1.0
	v_fmac_f64_e32 v[90:91], v[84:85], v[90:91]
	v_mul_f64 v[84:85], v[86:87], v[90:91]
	v_mul_f64 v[88:89], v[80:81], v[84:85]
	v_fma_f64 v[92:93], v[84:85], v[80:81], -v[88:89]
	v_fmac_f64_e32 v[92:93], v[84:85], v[78:79]
	v_add_f64 v[94:95], v[88:89], v[92:93]
	v_add_f64 v[96:97], v[86:87], -v[94:95]
	v_add_f64 v[86:87], v[86:87], -v[96:97]
	;; [unrolled: 1-line block ×4, first 2 shown]
	v_add_f64 v[82:83], v[82:83], v[86:87]
	v_add_f64 v[86:87], v[88:89], -v[92:93]
	v_add_f64 v[82:83], v[86:87], v[82:83]
	v_add_f64 v[86:87], v[96:97], v[82:83]
	v_add_f64 v[88:89], v[96:97], -v[86:87]
	v_add_f64 v[82:83], v[82:83], v[88:89]
	v_mul_f64 v[88:89], v[90:91], v[86:87]
	v_mul_f64 v[92:93], v[80:81], v[88:89]
	v_fma_f64 v[80:81], v[88:89], v[80:81], -v[92:93]
	v_fmac_f64_e32 v[80:81], v[88:89], v[78:79]
	v_add_f64 v[78:79], v[92:93], v[80:81]
	v_add_f64 v[94:95], v[86:87], -v[78:79]
	v_add_f64 v[86:87], v[86:87], -v[94:95]
	;; [unrolled: 1-line block ×4, first 2 shown]
	v_add_f64 v[78:79], v[82:83], v[78:79]
	v_add_f64 v[80:81], v[92:93], -v[80:81]
	v_add_f64 v[78:79], v[80:81], v[78:79]
	v_add_f64 v[80:81], v[84:85], v[88:89]
	;; [unrolled: 1-line block ×3, first 2 shown]
	v_add_f64 v[82:83], v[80:81], -v[84:85]
	v_mul_f64 v[78:79], v[90:91], v[78:79]
	v_add_f64 v[82:83], v[88:89], -v[82:83]
	v_add_f64 v[78:79], v[82:83], v[78:79]
	v_add_f64 v[82:83], v[80:81], v[78:79]
	v_add_f64 v[80:81], v[82:83], -v[80:81]
	s_mov_b32 s64, 0xbf559e2b
	v_add_f64 v[78:79], v[78:79], -v[80:81]
	v_mul_f64 v[80:81], v[82:83], v[82:83]
	v_mov_b32_e32 v84, 0x6b47b09a
	v_mov_b32_e32 v85, 0x3fc38538
	s_mov_b32 s65, 0x3fc3ab76
	v_fmac_f64_e32 v[84:85], s[64:65], v[80:81]
	v_mov_b32_e32 v86, 0xd7f4df2e
	v_mov_b32_e32 v87, 0x3fc7474d
	v_fmac_f64_e32 v[86:87], v[80:81], v[84:85]
	v_mov_b32_e32 v84, 0x16291751
	v_mov_b32_e32 v85, 0x3fcc71c0
	;; [unrolled: 3-line block ×5, first 2 shown]
	v_fmac_f64_e32 v[86:87], v[80:81], v[84:85]
	v_cvt_f64_i32_e32 v[84:85], v35
	v_mul_f64 v[88:89], v[84:85], s[72:73]
	v_fma_f64 v[90:91], v[84:85], s[72:73], -v[88:89]
	v_fmac_f64_e32 v[90:91], s[74:75], v[84:85]
	v_add_f64 v[84:85], v[88:89], v[90:91]
	v_add_f64 v[88:89], v[84:85], -v[88:89]
	v_mul_f64 v[80:81], v[82:83], v[80:81]
	v_add_f64 v[88:89], v[90:91], -v[88:89]
	v_ldexp_f64 v[90:91], v[82:83], 1
	v_mul_f64 v[80:81], v[80:81], v[86:87]
	v_add_f64 v[82:83], v[90:91], v[80:81]
	v_add_f64 v[86:87], v[82:83], -v[90:91]
	v_ldexp_f64 v[78:79], v[78:79], 1
	v_add_f64 v[80:81], v[80:81], -v[86:87]
	v_add_f64 v[78:79], v[78:79], v[80:81]
	v_add_f64 v[80:81], v[82:83], v[78:79]
	v_add_f64 v[82:83], v[80:81], -v[82:83]
	v_add_f64 v[78:79], v[78:79], -v[82:83]
	v_add_f64 v[82:83], v[84:85], v[80:81]
	v_add_f64 v[86:87], v[82:83], -v[84:85]
	v_add_f64 v[90:91], v[82:83], -v[86:87]
	;; [unrolled: 1-line block ×4, first 2 shown]
	v_add_f64 v[80:81], v[80:81], v[84:85]
	v_add_f64 v[84:85], v[88:89], v[78:79]
	v_add_f64 v[86:87], v[84:85], -v[88:89]
	v_add_f64 v[80:81], v[84:85], v[80:81]
	v_add_f64 v[90:91], v[84:85], -v[86:87]
	;; [unrolled: 2-line block ×3, first 2 shown]
	v_add_f64 v[78:79], v[78:79], -v[86:87]
	v_add_f64 v[82:83], v[84:85], -v[82:83]
	v_add_f64 v[78:79], v[78:79], v[88:89]
	v_add_f64 v[80:81], v[80:81], -v[82:83]
	s_mov_b32 s64, 0
	v_add_f64 v[78:79], v[78:79], v[80:81]
	s_mov_b32 s65, 0x7ff00000
	v_add_f64 v[78:79], v[84:85], v[78:79]
	v_cmp_eq_f64_e64 s[64:65], s[64:65], v[32:33]
	s_nop 1
	v_cndmask_b32_e64 v35, v78, v32, s[64:65]
	v_cndmask_b32_e64 v78, v79, v33, s[64:65]
	v_mov_b32_e32 v79, 0x7ff80000
	v_cmp_ngt_f64_e64 s[64:65], -1.0, v[32:33]
	s_nop 1
	v_cndmask_b32_e64 v79, v79, v78, s[64:65]
	v_cmp_nge_f64_e64 s[64:65], -1.0, v[32:33]
	s_nop 1
	v_cndmask_b32_e64 v78, 0, v35, s[64:65]
	v_mov_b32_e32 v35, 0xfff00000
	v_cmp_neq_f64_e64 s[64:65], -1.0, v[32:33]
	s_nop 1
	v_cndmask_b32_e64 v79, v35, v79, s[64:65]
	v_add_f64 v[32:33], v[76:77], v[78:79]
.LBB20_65:
	s_or_b64 exec, exec, s[70:71]
	v_mbcnt_lo_u32_b32 v35, -1, 0
	v_mbcnt_hi_u32_b32 v35, -1, v35
	v_and_b32_e32 v80, 15, v35
	v_mov_b32_dpp v76, v32 row_shr:1 row_mask:0xf bank_mask:0xf
	v_mov_b32_dpp v77, v33 row_shr:1 row_mask:0xf bank_mask:0xf
	v_cmp_ne_u32_e64 s[64:65], 0, v80
	v_mov_b32_e32 v78, v32
	v_mov_b32_e32 v79, v33
	s_and_saveexec_b64 s[66:67], s[64:65]
	s_xor_b64 s[70:71], exec, s[66:67]
	s_cbranch_execz .LBB20_69
; %bb.66:
	v_max_f64 v[82:83], v[76:77], v[76:77]
	v_max_f64 v[84:85], v[32:33], v[32:33]
	v_min_f64 v[78:79], v[82:83], v[84:85]
	v_cmp_u_f64_e64 s[64:65], v[76:77], v[76:77]
	v_max_f64 v[82:83], v[82:83], v[84:85]
	v_cmp_u_f64_e64 s[66:67], v[32:33], v[32:33]
	v_cndmask_b32_e64 v78, v78, v76, s[64:65]
	v_cndmask_b32_e64 v79, v79, v77, s[64:65]
	;; [unrolled: 1-line block ×8, first 2 shown]
	v_cmp_neq_f64_e64 s[64:65], v[78:79], v[32:33]
	v_cmp_class_f64_e64 s[66:67], v[78:79], s33
	s_or_b64 s[64:65], s[64:65], s[66:67]
	s_and_saveexec_b64 s[72:73], s[64:65]
	s_cbranch_execz .LBB20_68
; %bb.67:
	s_mov_b32 s64, 0x652b82fe
	v_add_f64 v[76:77], v[78:79], -v[32:33]
	s_mov_b32 s65, 0x3ff71547
	v_mul_f64 v[78:79], v[76:77], s[64:65]
	v_rndne_f64_e32 v[78:79], v[78:79]
	s_mov_b32 s75, 0xbfe62e42
	s_mov_b32 s74, 0xfefa39ef
	v_fma_f64 v[82:83], s[74:75], v[78:79], v[76:77]
	s_mov_b32 s77, 0xbc7abc9e
	s_mov_b32 s76, 0x3b39803f
	;; [unrolled: 1-line block ×3, first 2 shown]
	v_fmac_f64_e32 v[82:83], s[76:77], v[78:79]
	v_mov_b32_e32 v84, 0xfca7ab0c
	v_mov_b32_e32 v85, 0x3e928af3
	s_mov_b32 s65, 0x3e5ade15
	v_fmac_f64_e32 v[84:85], s[64:65], v[82:83]
	v_mov_b32_e32 v86, 0x623fde64
	v_mov_b32_e32 v87, 0x3ec71dee
	v_fmac_f64_e32 v[86:87], v[82:83], v[84:85]
	v_mov_b32_e32 v84, 0x7c89e6b0
	v_mov_b32_e32 v85, 0x3efa0199
	;; [unrolled: 3-line block ×8, first 2 shown]
	v_fmac_f64_e32 v[84:85], v[82:83], v[86:87]
	v_fma_f64 v[84:85], v[82:83], v[84:85], 1.0
	s_mov_b32 s64, 0
	s_mov_b32 s66, 0
	v_fma_f64 v[82:83], v[82:83], v[84:85], 1.0
	v_cvt_i32_f64_e32 v78, v[78:79]
	s_mov_b32 s65, 0x40900000
	s_mov_b32 s67, 0xc090cc00
	v_ldexp_f64 v[78:79], v[82:83], v78
	v_mov_b32_e32 v81, 0x7ff00000
	v_cmp_nlt_f64_e64 s[64:65], s[64:65], v[76:77]
	v_cmp_ngt_f64_e64 s[66:67], s[66:67], v[76:77]
	s_mov_b32 s75, 0x3fe62e42
	v_cndmask_b32_e64 v79, v81, v79, s[64:65]
	s_and_b64 s[64:65], s[66:67], s[64:65]
	v_cndmask_b32_e64 v77, 0, v79, s[66:67]
	v_cndmask_b32_e64 v76, 0, v78, s[64:65]
	v_add_f64 v[78:79], v[76:77], 1.0
	v_add_f64 v[82:83], v[78:79], -1.0
	v_add_f64 v[84:85], v[82:83], -v[78:79]
	v_add_f64 v[84:85], v[84:85], 1.0
	v_add_f64 v[82:83], v[76:77], -v[82:83]
	s_mov_b32 s64, 0x55555555
	v_add_f64 v[82:83], v[82:83], v[84:85]
	v_frexp_mant_f64_e32 v[84:85], v[78:79]
	s_mov_b32 s65, 0x3fe55555
	v_frexp_exp_i32_f64_e32 v81, v[78:79]
	v_cmp_gt_f64_e64 s[64:65], s[64:65], v[84:85]
	s_mov_b32 s77, 0x3c7abc9e
	s_nop 0
	v_subbrev_co_u32_e64 v81, s[64:65], 0, v81, s[64:65]
	v_sub_u32_e32 v84, 0, v81
	v_ldexp_f64 v[78:79], v[78:79], v84
	v_ldexp_f64 v[82:83], v[82:83], v84
	v_add_f64 v[84:85], v[78:79], -1.0
	v_add_f64 v[90:91], v[78:79], 1.0
	v_add_f64 v[86:87], v[84:85], 1.0
	v_add_f64 v[92:93], v[90:91], -1.0
	v_add_f64 v[86:87], v[78:79], -v[86:87]
	v_add_f64 v[78:79], v[78:79], -v[92:93]
	v_add_f64 v[78:79], v[82:83], v[78:79]
	v_add_f64 v[86:87], v[82:83], v[86:87]
	;; [unrolled: 1-line block ×3, first 2 shown]
	v_rcp_f64_e32 v[92:93], v[82:83]
	v_add_f64 v[88:89], v[84:85], v[86:87]
	v_add_f64 v[84:85], v[88:89], -v[84:85]
	v_add_f64 v[84:85], v[86:87], -v[84:85]
	;; [unrolled: 1-line block ×4, first 2 shown]
	v_fma_f64 v[86:87], -v[82:83], v[92:93], 1.0
	v_fmac_f64_e32 v[92:93], v[86:87], v[92:93]
	v_fma_f64 v[86:87], -v[82:83], v[92:93], 1.0
	v_fmac_f64_e32 v[92:93], v[86:87], v[92:93]
	v_mul_f64 v[86:87], v[88:89], v[92:93]
	v_mul_f64 v[90:91], v[82:83], v[86:87]
	v_fma_f64 v[94:95], v[86:87], v[82:83], -v[90:91]
	v_fmac_f64_e32 v[94:95], v[86:87], v[78:79]
	v_add_f64 v[96:97], v[90:91], v[94:95]
	v_add_f64 v[98:99], v[88:89], -v[96:97]
	v_add_f64 v[88:89], v[88:89], -v[98:99]
	;; [unrolled: 1-line block ×4, first 2 shown]
	v_add_f64 v[84:85], v[84:85], v[88:89]
	v_add_f64 v[88:89], v[90:91], -v[94:95]
	v_add_f64 v[84:85], v[88:89], v[84:85]
	v_add_f64 v[88:89], v[98:99], v[84:85]
	v_add_f64 v[90:91], v[98:99], -v[88:89]
	v_add_f64 v[84:85], v[84:85], v[90:91]
	v_mul_f64 v[90:91], v[92:93], v[88:89]
	v_mul_f64 v[94:95], v[82:83], v[90:91]
	v_fma_f64 v[82:83], v[90:91], v[82:83], -v[94:95]
	v_fmac_f64_e32 v[82:83], v[90:91], v[78:79]
	v_add_f64 v[78:79], v[94:95], v[82:83]
	v_add_f64 v[96:97], v[88:89], -v[78:79]
	v_add_f64 v[88:89], v[88:89], -v[96:97]
	;; [unrolled: 1-line block ×4, first 2 shown]
	v_add_f64 v[78:79], v[84:85], v[78:79]
	v_add_f64 v[82:83], v[94:95], -v[82:83]
	v_add_f64 v[78:79], v[82:83], v[78:79]
	v_add_f64 v[82:83], v[86:87], v[90:91]
	;; [unrolled: 1-line block ×3, first 2 shown]
	v_add_f64 v[84:85], v[82:83], -v[86:87]
	v_mul_f64 v[78:79], v[92:93], v[78:79]
	v_add_f64 v[84:85], v[90:91], -v[84:85]
	v_add_f64 v[78:79], v[84:85], v[78:79]
	v_add_f64 v[84:85], v[82:83], v[78:79]
	v_add_f64 v[82:83], v[84:85], -v[82:83]
	s_mov_b32 s64, 0xbf559e2b
	v_add_f64 v[78:79], v[78:79], -v[82:83]
	v_mul_f64 v[82:83], v[84:85], v[84:85]
	v_mov_b32_e32 v86, 0x6b47b09a
	v_mov_b32_e32 v87, 0x3fc38538
	s_mov_b32 s65, 0x3fc3ab76
	v_fmac_f64_e32 v[86:87], s[64:65], v[82:83]
	v_mov_b32_e32 v88, 0xd7f4df2e
	v_mov_b32_e32 v89, 0x3fc7474d
	v_fmac_f64_e32 v[88:89], v[82:83], v[86:87]
	v_mov_b32_e32 v86, 0x16291751
	v_mov_b32_e32 v87, 0x3fcc71c0
	;; [unrolled: 3-line block ×5, first 2 shown]
	v_fmac_f64_e32 v[88:89], v[82:83], v[86:87]
	v_cvt_f64_i32_e32 v[86:87], v81
	v_mul_f64 v[90:91], v[86:87], s[74:75]
	v_fma_f64 v[92:93], v[86:87], s[74:75], -v[90:91]
	v_fmac_f64_e32 v[92:93], s[76:77], v[86:87]
	v_add_f64 v[86:87], v[90:91], v[92:93]
	v_add_f64 v[90:91], v[86:87], -v[90:91]
	v_mul_f64 v[82:83], v[84:85], v[82:83]
	v_add_f64 v[90:91], v[92:93], -v[90:91]
	v_ldexp_f64 v[92:93], v[84:85], 1
	v_mul_f64 v[82:83], v[82:83], v[88:89]
	v_add_f64 v[84:85], v[92:93], v[82:83]
	v_add_f64 v[88:89], v[84:85], -v[92:93]
	v_ldexp_f64 v[78:79], v[78:79], 1
	v_add_f64 v[82:83], v[82:83], -v[88:89]
	v_add_f64 v[78:79], v[78:79], v[82:83]
	v_add_f64 v[82:83], v[84:85], v[78:79]
	v_add_f64 v[84:85], v[82:83], -v[84:85]
	v_add_f64 v[78:79], v[78:79], -v[84:85]
	v_add_f64 v[84:85], v[86:87], v[82:83]
	v_add_f64 v[88:89], v[84:85], -v[86:87]
	v_add_f64 v[92:93], v[84:85], -v[88:89]
	;; [unrolled: 1-line block ×4, first 2 shown]
	v_add_f64 v[82:83], v[82:83], v[86:87]
	v_add_f64 v[86:87], v[90:91], v[78:79]
	v_add_f64 v[88:89], v[86:87], -v[90:91]
	v_add_f64 v[82:83], v[86:87], v[82:83]
	v_add_f64 v[92:93], v[86:87], -v[88:89]
	;; [unrolled: 2-line block ×3, first 2 shown]
	v_add_f64 v[78:79], v[78:79], -v[88:89]
	v_add_f64 v[84:85], v[86:87], -v[84:85]
	v_add_f64 v[78:79], v[78:79], v[90:91]
	v_add_f64 v[82:83], v[82:83], -v[84:85]
	s_mov_b32 s64, 0
	v_add_f64 v[78:79], v[78:79], v[82:83]
	s_mov_b32 s65, 0x7ff00000
	v_add_f64 v[78:79], v[86:87], v[78:79]
	v_cmp_eq_f64_e64 s[64:65], s[64:65], v[76:77]
	v_mov_b32_e32 v81, 0x7ff80000
	s_nop 0
	v_cndmask_b32_e64 v78, v78, v76, s[64:65]
	v_cndmask_b32_e64 v79, v79, v77, s[64:65]
	v_cmp_ngt_f64_e64 s[64:65], -1.0, v[76:77]
	s_nop 1
	v_cndmask_b32_e64 v79, v81, v79, s[64:65]
	v_cmp_nge_f64_e64 s[64:65], -1.0, v[76:77]
	v_mov_b32_e32 v81, 0xfff00000
	s_nop 0
	v_cndmask_b32_e64 v78, 0, v78, s[64:65]
	v_cmp_neq_f64_e64 s[64:65], -1.0, v[76:77]
	s_nop 1
	v_cndmask_b32_e64 v79, v81, v79, s[64:65]
	v_add_f64 v[76:77], v[32:33], v[78:79]
.LBB20_68:
	s_or_b64 exec, exec, s[72:73]
	v_mov_b32_e32 v78, v76
	v_mov_b32_e32 v79, v77
	v_mov_b64_e32 v[32:33], v[76:77]
.LBB20_69:
	s_or_b64 exec, exec, s[70:71]
	v_mov_b32_dpp v76, v78 row_shr:2 row_mask:0xf bank_mask:0xf
	v_mov_b32_dpp v77, v79 row_shr:2 row_mask:0xf bank_mask:0xf
	v_cmp_lt_u32_e64 s[64:65], 1, v80
	s_and_saveexec_b64 s[70:71], s[64:65]
	s_cbranch_execz .LBB20_73
; %bb.70:
	v_max_f64 v[82:83], v[76:77], v[76:77]
	v_max_f64 v[84:85], v[32:33], v[32:33]
	v_min_f64 v[78:79], v[82:83], v[84:85]
	v_cmp_u_f64_e64 s[64:65], v[76:77], v[76:77]
	v_max_f64 v[82:83], v[82:83], v[84:85]
	v_cmp_u_f64_e64 s[66:67], v[32:33], v[32:33]
	v_cndmask_b32_e64 v78, v78, v76, s[64:65]
	v_cndmask_b32_e64 v79, v79, v77, s[64:65]
	;; [unrolled: 1-line block ×8, first 2 shown]
	v_cmp_neq_f64_e64 s[64:65], v[78:79], v[32:33]
	v_cmp_class_f64_e64 s[66:67], v[78:79], s33
	s_or_b64 s[64:65], s[64:65], s[66:67]
	s_and_saveexec_b64 s[72:73], s[64:65]
	s_cbranch_execz .LBB20_72
; %bb.71:
	s_mov_b32 s64, 0x652b82fe
	v_add_f64 v[76:77], v[78:79], -v[32:33]
	s_mov_b32 s65, 0x3ff71547
	v_mul_f64 v[78:79], v[76:77], s[64:65]
	v_rndne_f64_e32 v[78:79], v[78:79]
	s_mov_b32 s75, 0xbfe62e42
	s_mov_b32 s74, 0xfefa39ef
	v_fma_f64 v[82:83], s[74:75], v[78:79], v[76:77]
	s_mov_b32 s77, 0xbc7abc9e
	s_mov_b32 s76, 0x3b39803f
	;; [unrolled: 1-line block ×3, first 2 shown]
	v_fmac_f64_e32 v[82:83], s[76:77], v[78:79]
	v_mov_b32_e32 v84, 0xfca7ab0c
	v_mov_b32_e32 v85, 0x3e928af3
	s_mov_b32 s65, 0x3e5ade15
	v_fmac_f64_e32 v[84:85], s[64:65], v[82:83]
	v_mov_b32_e32 v86, 0x623fde64
	v_mov_b32_e32 v87, 0x3ec71dee
	v_fmac_f64_e32 v[86:87], v[82:83], v[84:85]
	v_mov_b32_e32 v84, 0x7c89e6b0
	v_mov_b32_e32 v85, 0x3efa0199
	;; [unrolled: 3-line block ×8, first 2 shown]
	v_fmac_f64_e32 v[84:85], v[82:83], v[86:87]
	v_fma_f64 v[84:85], v[82:83], v[84:85], 1.0
	s_mov_b32 s64, 0
	s_mov_b32 s66, 0
	v_fma_f64 v[82:83], v[82:83], v[84:85], 1.0
	v_cvt_i32_f64_e32 v78, v[78:79]
	s_mov_b32 s65, 0x40900000
	s_mov_b32 s67, 0xc090cc00
	v_ldexp_f64 v[78:79], v[82:83], v78
	v_mov_b32_e32 v81, 0x7ff00000
	v_cmp_nlt_f64_e64 s[64:65], s[64:65], v[76:77]
	v_cmp_ngt_f64_e64 s[66:67], s[66:67], v[76:77]
	s_mov_b32 s75, 0x3fe62e42
	v_cndmask_b32_e64 v79, v81, v79, s[64:65]
	s_and_b64 s[64:65], s[66:67], s[64:65]
	v_cndmask_b32_e64 v77, 0, v79, s[66:67]
	v_cndmask_b32_e64 v76, 0, v78, s[64:65]
	v_add_f64 v[78:79], v[76:77], 1.0
	v_add_f64 v[82:83], v[78:79], -1.0
	v_add_f64 v[84:85], v[82:83], -v[78:79]
	v_add_f64 v[84:85], v[84:85], 1.0
	v_add_f64 v[82:83], v[76:77], -v[82:83]
	s_mov_b32 s64, 0x55555555
	v_add_f64 v[82:83], v[82:83], v[84:85]
	v_frexp_mant_f64_e32 v[84:85], v[78:79]
	s_mov_b32 s65, 0x3fe55555
	v_frexp_exp_i32_f64_e32 v81, v[78:79]
	v_cmp_gt_f64_e64 s[64:65], s[64:65], v[84:85]
	s_mov_b32 s77, 0x3c7abc9e
	s_nop 0
	v_subbrev_co_u32_e64 v81, s[64:65], 0, v81, s[64:65]
	v_sub_u32_e32 v84, 0, v81
	v_ldexp_f64 v[78:79], v[78:79], v84
	v_ldexp_f64 v[82:83], v[82:83], v84
	v_add_f64 v[84:85], v[78:79], -1.0
	v_add_f64 v[90:91], v[78:79], 1.0
	v_add_f64 v[86:87], v[84:85], 1.0
	v_add_f64 v[92:93], v[90:91], -1.0
	v_add_f64 v[86:87], v[78:79], -v[86:87]
	v_add_f64 v[78:79], v[78:79], -v[92:93]
	v_add_f64 v[78:79], v[82:83], v[78:79]
	v_add_f64 v[86:87], v[82:83], v[86:87]
	;; [unrolled: 1-line block ×3, first 2 shown]
	v_rcp_f64_e32 v[92:93], v[82:83]
	v_add_f64 v[88:89], v[84:85], v[86:87]
	v_add_f64 v[84:85], v[88:89], -v[84:85]
	v_add_f64 v[84:85], v[86:87], -v[84:85]
	;; [unrolled: 1-line block ×4, first 2 shown]
	v_fma_f64 v[86:87], -v[82:83], v[92:93], 1.0
	v_fmac_f64_e32 v[92:93], v[86:87], v[92:93]
	v_fma_f64 v[86:87], -v[82:83], v[92:93], 1.0
	v_fmac_f64_e32 v[92:93], v[86:87], v[92:93]
	v_mul_f64 v[86:87], v[88:89], v[92:93]
	v_mul_f64 v[90:91], v[82:83], v[86:87]
	v_fma_f64 v[94:95], v[86:87], v[82:83], -v[90:91]
	v_fmac_f64_e32 v[94:95], v[86:87], v[78:79]
	v_add_f64 v[96:97], v[90:91], v[94:95]
	v_add_f64 v[98:99], v[88:89], -v[96:97]
	v_add_f64 v[88:89], v[88:89], -v[98:99]
	;; [unrolled: 1-line block ×4, first 2 shown]
	v_add_f64 v[84:85], v[84:85], v[88:89]
	v_add_f64 v[88:89], v[90:91], -v[94:95]
	v_add_f64 v[84:85], v[88:89], v[84:85]
	v_add_f64 v[88:89], v[98:99], v[84:85]
	v_add_f64 v[90:91], v[98:99], -v[88:89]
	v_add_f64 v[84:85], v[84:85], v[90:91]
	v_mul_f64 v[90:91], v[92:93], v[88:89]
	v_mul_f64 v[94:95], v[82:83], v[90:91]
	v_fma_f64 v[82:83], v[90:91], v[82:83], -v[94:95]
	v_fmac_f64_e32 v[82:83], v[90:91], v[78:79]
	v_add_f64 v[78:79], v[94:95], v[82:83]
	v_add_f64 v[96:97], v[88:89], -v[78:79]
	v_add_f64 v[88:89], v[88:89], -v[96:97]
	v_add_f64 v[94:95], v[78:79], -v[94:95]
	v_add_f64 v[78:79], v[88:89], -v[78:79]
	v_add_f64 v[78:79], v[84:85], v[78:79]
	v_add_f64 v[82:83], v[94:95], -v[82:83]
	v_add_f64 v[78:79], v[82:83], v[78:79]
	v_add_f64 v[82:83], v[86:87], v[90:91]
	;; [unrolled: 1-line block ×3, first 2 shown]
	v_add_f64 v[84:85], v[82:83], -v[86:87]
	v_mul_f64 v[78:79], v[92:93], v[78:79]
	v_add_f64 v[84:85], v[90:91], -v[84:85]
	v_add_f64 v[78:79], v[84:85], v[78:79]
	v_add_f64 v[84:85], v[82:83], v[78:79]
	v_add_f64 v[82:83], v[84:85], -v[82:83]
	s_mov_b32 s64, 0xbf559e2b
	v_add_f64 v[78:79], v[78:79], -v[82:83]
	v_mul_f64 v[82:83], v[84:85], v[84:85]
	v_mov_b32_e32 v86, 0x6b47b09a
	v_mov_b32_e32 v87, 0x3fc38538
	s_mov_b32 s65, 0x3fc3ab76
	v_fmac_f64_e32 v[86:87], s[64:65], v[82:83]
	v_mov_b32_e32 v88, 0xd7f4df2e
	v_mov_b32_e32 v89, 0x3fc7474d
	v_fmac_f64_e32 v[88:89], v[82:83], v[86:87]
	v_mov_b32_e32 v86, 0x16291751
	v_mov_b32_e32 v87, 0x3fcc71c0
	;; [unrolled: 3-line block ×5, first 2 shown]
	v_fmac_f64_e32 v[88:89], v[82:83], v[86:87]
	v_cvt_f64_i32_e32 v[86:87], v81
	v_mul_f64 v[90:91], v[86:87], s[74:75]
	v_fma_f64 v[92:93], v[86:87], s[74:75], -v[90:91]
	v_fmac_f64_e32 v[92:93], s[76:77], v[86:87]
	v_add_f64 v[86:87], v[90:91], v[92:93]
	v_add_f64 v[90:91], v[86:87], -v[90:91]
	v_mul_f64 v[82:83], v[84:85], v[82:83]
	v_add_f64 v[90:91], v[92:93], -v[90:91]
	v_ldexp_f64 v[92:93], v[84:85], 1
	v_mul_f64 v[82:83], v[82:83], v[88:89]
	v_add_f64 v[84:85], v[92:93], v[82:83]
	v_add_f64 v[88:89], v[84:85], -v[92:93]
	v_ldexp_f64 v[78:79], v[78:79], 1
	v_add_f64 v[82:83], v[82:83], -v[88:89]
	v_add_f64 v[78:79], v[78:79], v[82:83]
	v_add_f64 v[82:83], v[84:85], v[78:79]
	v_add_f64 v[84:85], v[82:83], -v[84:85]
	v_add_f64 v[78:79], v[78:79], -v[84:85]
	v_add_f64 v[84:85], v[86:87], v[82:83]
	v_add_f64 v[88:89], v[84:85], -v[86:87]
	v_add_f64 v[92:93], v[84:85], -v[88:89]
	;; [unrolled: 1-line block ×4, first 2 shown]
	v_add_f64 v[82:83], v[82:83], v[86:87]
	v_add_f64 v[86:87], v[90:91], v[78:79]
	v_add_f64 v[88:89], v[86:87], -v[90:91]
	v_add_f64 v[82:83], v[86:87], v[82:83]
	v_add_f64 v[92:93], v[86:87], -v[88:89]
	;; [unrolled: 2-line block ×3, first 2 shown]
	v_add_f64 v[78:79], v[78:79], -v[88:89]
	v_add_f64 v[84:85], v[86:87], -v[84:85]
	v_add_f64 v[78:79], v[78:79], v[90:91]
	v_add_f64 v[82:83], v[82:83], -v[84:85]
	s_mov_b32 s64, 0
	v_add_f64 v[78:79], v[78:79], v[82:83]
	s_mov_b32 s65, 0x7ff00000
	v_add_f64 v[78:79], v[86:87], v[78:79]
	v_cmp_eq_f64_e64 s[64:65], s[64:65], v[76:77]
	v_mov_b32_e32 v81, 0x7ff80000
	s_nop 0
	v_cndmask_b32_e64 v78, v78, v76, s[64:65]
	v_cndmask_b32_e64 v79, v79, v77, s[64:65]
	v_cmp_ngt_f64_e64 s[64:65], -1.0, v[76:77]
	s_nop 1
	v_cndmask_b32_e64 v79, v81, v79, s[64:65]
	v_cmp_nge_f64_e64 s[64:65], -1.0, v[76:77]
	v_mov_b32_e32 v81, 0xfff00000
	s_nop 0
	v_cndmask_b32_e64 v78, 0, v78, s[64:65]
	v_cmp_neq_f64_e64 s[64:65], -1.0, v[76:77]
	s_nop 1
	v_cndmask_b32_e64 v79, v81, v79, s[64:65]
	v_add_f64 v[76:77], v[32:33], v[78:79]
.LBB20_72:
	s_or_b64 exec, exec, s[72:73]
	v_mov_b64_e32 v[32:33], v[76:77]
	v_mov_b32_e32 v78, v76
	v_mov_b32_e32 v79, v77
.LBB20_73:
	s_or_b64 exec, exec, s[70:71]
	v_mov_b32_dpp v76, v78 row_shr:4 row_mask:0xf bank_mask:0xf
	v_mov_b32_dpp v77, v79 row_shr:4 row_mask:0xf bank_mask:0xf
	v_cmp_lt_u32_e64 s[64:65], 3, v80
	s_and_saveexec_b64 s[70:71], s[64:65]
	s_cbranch_execz .LBB20_77
; %bb.74:
	v_max_f64 v[82:83], v[76:77], v[76:77]
	v_max_f64 v[84:85], v[32:33], v[32:33]
	v_min_f64 v[78:79], v[82:83], v[84:85]
	v_cmp_u_f64_e64 s[64:65], v[76:77], v[76:77]
	v_max_f64 v[82:83], v[82:83], v[84:85]
	v_cmp_u_f64_e64 s[66:67], v[32:33], v[32:33]
	v_cndmask_b32_e64 v78, v78, v76, s[64:65]
	v_cndmask_b32_e64 v79, v79, v77, s[64:65]
	v_cndmask_b32_e64 v81, v82, v76, s[64:65]
	v_cndmask_b32_e64 v82, v83, v77, s[64:65]
	v_cndmask_b32_e64 v79, v79, v33, s[66:67]
	v_cndmask_b32_e64 v78, v78, v32, s[66:67]
	v_cndmask_b32_e64 v33, v82, v33, s[66:67]
	v_cndmask_b32_e64 v32, v81, v32, s[66:67]
	v_cmp_neq_f64_e64 s[64:65], v[78:79], v[32:33]
	v_cmp_class_f64_e64 s[66:67], v[78:79], s33
	s_or_b64 s[64:65], s[64:65], s[66:67]
	s_and_saveexec_b64 s[72:73], s[64:65]
	s_cbranch_execz .LBB20_76
; %bb.75:
	s_mov_b32 s64, 0x652b82fe
	v_add_f64 v[76:77], v[78:79], -v[32:33]
	s_mov_b32 s65, 0x3ff71547
	v_mul_f64 v[78:79], v[76:77], s[64:65]
	v_rndne_f64_e32 v[78:79], v[78:79]
	s_mov_b32 s75, 0xbfe62e42
	s_mov_b32 s74, 0xfefa39ef
	v_fma_f64 v[82:83], s[74:75], v[78:79], v[76:77]
	s_mov_b32 s77, 0xbc7abc9e
	s_mov_b32 s76, 0x3b39803f
	;; [unrolled: 1-line block ×3, first 2 shown]
	v_fmac_f64_e32 v[82:83], s[76:77], v[78:79]
	v_mov_b32_e32 v84, 0xfca7ab0c
	v_mov_b32_e32 v85, 0x3e928af3
	s_mov_b32 s65, 0x3e5ade15
	v_fmac_f64_e32 v[84:85], s[64:65], v[82:83]
	v_mov_b32_e32 v86, 0x623fde64
	v_mov_b32_e32 v87, 0x3ec71dee
	v_fmac_f64_e32 v[86:87], v[82:83], v[84:85]
	v_mov_b32_e32 v84, 0x7c89e6b0
	v_mov_b32_e32 v85, 0x3efa0199
	;; [unrolled: 3-line block ×8, first 2 shown]
	v_fmac_f64_e32 v[84:85], v[82:83], v[86:87]
	v_fma_f64 v[84:85], v[82:83], v[84:85], 1.0
	s_mov_b32 s64, 0
	s_mov_b32 s66, 0
	v_fma_f64 v[82:83], v[82:83], v[84:85], 1.0
	v_cvt_i32_f64_e32 v78, v[78:79]
	s_mov_b32 s65, 0x40900000
	s_mov_b32 s67, 0xc090cc00
	v_ldexp_f64 v[78:79], v[82:83], v78
	v_mov_b32_e32 v81, 0x7ff00000
	v_cmp_nlt_f64_e64 s[64:65], s[64:65], v[76:77]
	v_cmp_ngt_f64_e64 s[66:67], s[66:67], v[76:77]
	s_mov_b32 s75, 0x3fe62e42
	v_cndmask_b32_e64 v79, v81, v79, s[64:65]
	s_and_b64 s[64:65], s[66:67], s[64:65]
	v_cndmask_b32_e64 v77, 0, v79, s[66:67]
	v_cndmask_b32_e64 v76, 0, v78, s[64:65]
	v_add_f64 v[78:79], v[76:77], 1.0
	v_add_f64 v[82:83], v[78:79], -1.0
	v_add_f64 v[84:85], v[82:83], -v[78:79]
	v_add_f64 v[84:85], v[84:85], 1.0
	v_add_f64 v[82:83], v[76:77], -v[82:83]
	s_mov_b32 s64, 0x55555555
	v_add_f64 v[82:83], v[82:83], v[84:85]
	v_frexp_mant_f64_e32 v[84:85], v[78:79]
	s_mov_b32 s65, 0x3fe55555
	v_frexp_exp_i32_f64_e32 v81, v[78:79]
	v_cmp_gt_f64_e64 s[64:65], s[64:65], v[84:85]
	s_mov_b32 s77, 0x3c7abc9e
	s_nop 0
	v_subbrev_co_u32_e64 v81, s[64:65], 0, v81, s[64:65]
	v_sub_u32_e32 v84, 0, v81
	v_ldexp_f64 v[78:79], v[78:79], v84
	v_ldexp_f64 v[82:83], v[82:83], v84
	v_add_f64 v[84:85], v[78:79], -1.0
	v_add_f64 v[90:91], v[78:79], 1.0
	v_add_f64 v[86:87], v[84:85], 1.0
	v_add_f64 v[92:93], v[90:91], -1.0
	v_add_f64 v[86:87], v[78:79], -v[86:87]
	v_add_f64 v[78:79], v[78:79], -v[92:93]
	v_add_f64 v[78:79], v[82:83], v[78:79]
	v_add_f64 v[86:87], v[82:83], v[86:87]
	;; [unrolled: 1-line block ×3, first 2 shown]
	v_rcp_f64_e32 v[92:93], v[82:83]
	v_add_f64 v[88:89], v[84:85], v[86:87]
	v_add_f64 v[84:85], v[88:89], -v[84:85]
	v_add_f64 v[84:85], v[86:87], -v[84:85]
	;; [unrolled: 1-line block ×4, first 2 shown]
	v_fma_f64 v[86:87], -v[82:83], v[92:93], 1.0
	v_fmac_f64_e32 v[92:93], v[86:87], v[92:93]
	v_fma_f64 v[86:87], -v[82:83], v[92:93], 1.0
	v_fmac_f64_e32 v[92:93], v[86:87], v[92:93]
	v_mul_f64 v[86:87], v[88:89], v[92:93]
	v_mul_f64 v[90:91], v[82:83], v[86:87]
	v_fma_f64 v[94:95], v[86:87], v[82:83], -v[90:91]
	v_fmac_f64_e32 v[94:95], v[86:87], v[78:79]
	v_add_f64 v[96:97], v[90:91], v[94:95]
	v_add_f64 v[98:99], v[88:89], -v[96:97]
	v_add_f64 v[88:89], v[88:89], -v[98:99]
	;; [unrolled: 1-line block ×4, first 2 shown]
	v_add_f64 v[84:85], v[84:85], v[88:89]
	v_add_f64 v[88:89], v[90:91], -v[94:95]
	v_add_f64 v[84:85], v[88:89], v[84:85]
	v_add_f64 v[88:89], v[98:99], v[84:85]
	v_add_f64 v[90:91], v[98:99], -v[88:89]
	v_add_f64 v[84:85], v[84:85], v[90:91]
	v_mul_f64 v[90:91], v[92:93], v[88:89]
	v_mul_f64 v[94:95], v[82:83], v[90:91]
	v_fma_f64 v[82:83], v[90:91], v[82:83], -v[94:95]
	v_fmac_f64_e32 v[82:83], v[90:91], v[78:79]
	v_add_f64 v[78:79], v[94:95], v[82:83]
	v_add_f64 v[96:97], v[88:89], -v[78:79]
	v_add_f64 v[88:89], v[88:89], -v[96:97]
	;; [unrolled: 1-line block ×4, first 2 shown]
	v_add_f64 v[78:79], v[84:85], v[78:79]
	v_add_f64 v[82:83], v[94:95], -v[82:83]
	v_add_f64 v[78:79], v[82:83], v[78:79]
	v_add_f64 v[82:83], v[86:87], v[90:91]
	;; [unrolled: 1-line block ×3, first 2 shown]
	v_add_f64 v[84:85], v[82:83], -v[86:87]
	v_mul_f64 v[78:79], v[92:93], v[78:79]
	v_add_f64 v[84:85], v[90:91], -v[84:85]
	v_add_f64 v[78:79], v[84:85], v[78:79]
	v_add_f64 v[84:85], v[82:83], v[78:79]
	v_add_f64 v[82:83], v[84:85], -v[82:83]
	s_mov_b32 s64, 0xbf559e2b
	v_add_f64 v[78:79], v[78:79], -v[82:83]
	v_mul_f64 v[82:83], v[84:85], v[84:85]
	v_mov_b32_e32 v86, 0x6b47b09a
	v_mov_b32_e32 v87, 0x3fc38538
	s_mov_b32 s65, 0x3fc3ab76
	v_fmac_f64_e32 v[86:87], s[64:65], v[82:83]
	v_mov_b32_e32 v88, 0xd7f4df2e
	v_mov_b32_e32 v89, 0x3fc7474d
	v_fmac_f64_e32 v[88:89], v[82:83], v[86:87]
	v_mov_b32_e32 v86, 0x16291751
	v_mov_b32_e32 v87, 0x3fcc71c0
	;; [unrolled: 3-line block ×5, first 2 shown]
	v_fmac_f64_e32 v[88:89], v[82:83], v[86:87]
	v_cvt_f64_i32_e32 v[86:87], v81
	v_mul_f64 v[90:91], v[86:87], s[74:75]
	v_fma_f64 v[92:93], v[86:87], s[74:75], -v[90:91]
	v_fmac_f64_e32 v[92:93], s[76:77], v[86:87]
	v_add_f64 v[86:87], v[90:91], v[92:93]
	v_add_f64 v[90:91], v[86:87], -v[90:91]
	v_mul_f64 v[82:83], v[84:85], v[82:83]
	v_add_f64 v[90:91], v[92:93], -v[90:91]
	v_ldexp_f64 v[92:93], v[84:85], 1
	v_mul_f64 v[82:83], v[82:83], v[88:89]
	v_add_f64 v[84:85], v[92:93], v[82:83]
	v_add_f64 v[88:89], v[84:85], -v[92:93]
	v_ldexp_f64 v[78:79], v[78:79], 1
	v_add_f64 v[82:83], v[82:83], -v[88:89]
	v_add_f64 v[78:79], v[78:79], v[82:83]
	v_add_f64 v[82:83], v[84:85], v[78:79]
	v_add_f64 v[84:85], v[82:83], -v[84:85]
	v_add_f64 v[78:79], v[78:79], -v[84:85]
	v_add_f64 v[84:85], v[86:87], v[82:83]
	v_add_f64 v[88:89], v[84:85], -v[86:87]
	v_add_f64 v[92:93], v[84:85], -v[88:89]
	;; [unrolled: 1-line block ×4, first 2 shown]
	v_add_f64 v[82:83], v[82:83], v[86:87]
	v_add_f64 v[86:87], v[90:91], v[78:79]
	v_add_f64 v[88:89], v[86:87], -v[90:91]
	v_add_f64 v[82:83], v[86:87], v[82:83]
	v_add_f64 v[92:93], v[86:87], -v[88:89]
	;; [unrolled: 2-line block ×3, first 2 shown]
	v_add_f64 v[78:79], v[78:79], -v[88:89]
	v_add_f64 v[84:85], v[86:87], -v[84:85]
	v_add_f64 v[78:79], v[78:79], v[90:91]
	v_add_f64 v[82:83], v[82:83], -v[84:85]
	s_mov_b32 s64, 0
	v_add_f64 v[78:79], v[78:79], v[82:83]
	s_mov_b32 s65, 0x7ff00000
	v_add_f64 v[78:79], v[86:87], v[78:79]
	v_cmp_eq_f64_e64 s[64:65], s[64:65], v[76:77]
	v_mov_b32_e32 v81, 0x7ff80000
	s_nop 0
	v_cndmask_b32_e64 v78, v78, v76, s[64:65]
	v_cndmask_b32_e64 v79, v79, v77, s[64:65]
	v_cmp_ngt_f64_e64 s[64:65], -1.0, v[76:77]
	s_nop 1
	v_cndmask_b32_e64 v79, v81, v79, s[64:65]
	v_cmp_nge_f64_e64 s[64:65], -1.0, v[76:77]
	v_mov_b32_e32 v81, 0xfff00000
	s_nop 0
	v_cndmask_b32_e64 v78, 0, v78, s[64:65]
	v_cmp_neq_f64_e64 s[64:65], -1.0, v[76:77]
	s_nop 1
	v_cndmask_b32_e64 v79, v81, v79, s[64:65]
	v_add_f64 v[76:77], v[32:33], v[78:79]
.LBB20_76:
	s_or_b64 exec, exec, s[72:73]
	v_mov_b64_e32 v[32:33], v[76:77]
	v_mov_b32_e32 v78, v76
	v_mov_b32_e32 v79, v77
.LBB20_77:
	s_or_b64 exec, exec, s[70:71]
	v_mov_b32_dpp v76, v78 row_shr:8 row_mask:0xf bank_mask:0xf
	v_mov_b32_dpp v77, v79 row_shr:8 row_mask:0xf bank_mask:0xf
	v_cmp_lt_u32_e64 s[64:65], 7, v80
	s_and_saveexec_b64 s[70:71], s[64:65]
	s_cbranch_execz .LBB20_81
; %bb.78:
	v_max_f64 v[80:81], v[76:77], v[76:77]
	v_max_f64 v[82:83], v[32:33], v[32:33]
	v_min_f64 v[78:79], v[80:81], v[82:83]
	v_cmp_u_f64_e64 s[64:65], v[76:77], v[76:77]
	v_max_f64 v[80:81], v[80:81], v[82:83]
	v_cmp_u_f64_e64 s[66:67], v[32:33], v[32:33]
	v_cndmask_b32_e64 v78, v78, v76, s[64:65]
	v_cndmask_b32_e64 v79, v79, v77, s[64:65]
	;; [unrolled: 1-line block ×8, first 2 shown]
	v_cmp_neq_f64_e64 s[64:65], v[78:79], v[32:33]
	v_cmp_class_f64_e64 s[66:67], v[78:79], s33
	s_or_b64 s[64:65], s[64:65], s[66:67]
	s_and_saveexec_b64 s[72:73], s[64:65]
	s_cbranch_execz .LBB20_80
; %bb.79:
	s_mov_b32 s64, 0x652b82fe
	v_add_f64 v[76:77], v[78:79], -v[32:33]
	s_mov_b32 s65, 0x3ff71547
	v_mul_f64 v[78:79], v[76:77], s[64:65]
	v_rndne_f64_e32 v[78:79], v[78:79]
	s_mov_b32 s75, 0xbfe62e42
	s_mov_b32 s74, 0xfefa39ef
	v_fma_f64 v[80:81], s[74:75], v[78:79], v[76:77]
	s_mov_b32 s77, 0xbc7abc9e
	s_mov_b32 s76, 0x3b39803f
	;; [unrolled: 1-line block ×3, first 2 shown]
	v_fmac_f64_e32 v[80:81], s[76:77], v[78:79]
	v_mov_b32_e32 v82, 0xfca7ab0c
	v_mov_b32_e32 v83, 0x3e928af3
	s_mov_b32 s65, 0x3e5ade15
	v_fmac_f64_e32 v[82:83], s[64:65], v[80:81]
	v_mov_b32_e32 v84, 0x623fde64
	v_mov_b32_e32 v85, 0x3ec71dee
	v_fmac_f64_e32 v[84:85], v[80:81], v[82:83]
	v_mov_b32_e32 v82, 0x7c89e6b0
	v_mov_b32_e32 v83, 0x3efa0199
	;; [unrolled: 3-line block ×8, first 2 shown]
	v_fmac_f64_e32 v[82:83], v[80:81], v[84:85]
	v_fma_f64 v[82:83], v[80:81], v[82:83], 1.0
	s_mov_b32 s64, 0
	s_mov_b32 s66, 0
	v_fma_f64 v[80:81], v[80:81], v[82:83], 1.0
	v_cvt_i32_f64_e32 v78, v[78:79]
	s_mov_b32 s65, 0x40900000
	s_mov_b32 s67, 0xc090cc00
	v_ldexp_f64 v[78:79], v[80:81], v78
	v_mov_b32_e32 v80, 0x7ff00000
	v_cmp_nlt_f64_e64 s[64:65], s[64:65], v[76:77]
	v_cmp_ngt_f64_e64 s[66:67], s[66:67], v[76:77]
	s_mov_b32 s75, 0x3fe62e42
	v_cndmask_b32_e64 v79, v80, v79, s[64:65]
	s_and_b64 s[64:65], s[66:67], s[64:65]
	v_cndmask_b32_e64 v77, 0, v79, s[66:67]
	v_cndmask_b32_e64 v76, 0, v78, s[64:65]
	v_add_f64 v[78:79], v[76:77], 1.0
	v_add_f64 v[80:81], v[78:79], -1.0
	v_add_f64 v[82:83], v[80:81], -v[78:79]
	v_add_f64 v[82:83], v[82:83], 1.0
	v_add_f64 v[80:81], v[76:77], -v[80:81]
	s_mov_b32 s64, 0x55555555
	v_add_f64 v[80:81], v[80:81], v[82:83]
	v_frexp_mant_f64_e32 v[82:83], v[78:79]
	s_mov_b32 s65, 0x3fe55555
	v_frexp_exp_i32_f64_e32 v84, v[78:79]
	v_cmp_gt_f64_e64 s[64:65], s[64:65], v[82:83]
	s_mov_b32 s77, 0x3c7abc9e
	s_nop 0
	v_subbrev_co_u32_e64 v98, s[64:65], 0, v84, s[64:65]
	v_sub_u32_e32 v82, 0, v98
	v_ldexp_f64 v[78:79], v[78:79], v82
	v_ldexp_f64 v[80:81], v[80:81], v82
	v_add_f64 v[82:83], v[78:79], -1.0
	v_add_f64 v[88:89], v[78:79], 1.0
	v_add_f64 v[84:85], v[82:83], 1.0
	v_add_f64 v[90:91], v[88:89], -1.0
	v_add_f64 v[84:85], v[78:79], -v[84:85]
	v_add_f64 v[78:79], v[78:79], -v[90:91]
	v_add_f64 v[78:79], v[80:81], v[78:79]
	v_add_f64 v[84:85], v[80:81], v[84:85]
	;; [unrolled: 1-line block ×3, first 2 shown]
	v_rcp_f64_e32 v[90:91], v[80:81]
	v_add_f64 v[86:87], v[82:83], v[84:85]
	v_add_f64 v[82:83], v[86:87], -v[82:83]
	v_add_f64 v[82:83], v[84:85], -v[82:83]
	;; [unrolled: 1-line block ×4, first 2 shown]
	v_fma_f64 v[84:85], -v[80:81], v[90:91], 1.0
	v_fmac_f64_e32 v[90:91], v[84:85], v[90:91]
	v_fma_f64 v[84:85], -v[80:81], v[90:91], 1.0
	v_fmac_f64_e32 v[90:91], v[84:85], v[90:91]
	v_mul_f64 v[84:85], v[86:87], v[90:91]
	v_mul_f64 v[88:89], v[80:81], v[84:85]
	v_fma_f64 v[92:93], v[84:85], v[80:81], -v[88:89]
	v_fmac_f64_e32 v[92:93], v[84:85], v[78:79]
	v_add_f64 v[94:95], v[88:89], v[92:93]
	v_add_f64 v[96:97], v[86:87], -v[94:95]
	v_add_f64 v[86:87], v[86:87], -v[96:97]
	v_add_f64 v[88:89], v[94:95], -v[88:89]
	v_add_f64 v[86:87], v[86:87], -v[94:95]
	v_add_f64 v[82:83], v[82:83], v[86:87]
	v_add_f64 v[86:87], v[88:89], -v[92:93]
	v_add_f64 v[82:83], v[86:87], v[82:83]
	v_add_f64 v[86:87], v[96:97], v[82:83]
	v_add_f64 v[88:89], v[96:97], -v[86:87]
	v_add_f64 v[82:83], v[82:83], v[88:89]
	v_mul_f64 v[88:89], v[90:91], v[86:87]
	v_mul_f64 v[92:93], v[80:81], v[88:89]
	v_fma_f64 v[80:81], v[88:89], v[80:81], -v[92:93]
	v_fmac_f64_e32 v[80:81], v[88:89], v[78:79]
	v_add_f64 v[78:79], v[92:93], v[80:81]
	v_add_f64 v[94:95], v[86:87], -v[78:79]
	v_add_f64 v[86:87], v[86:87], -v[94:95]
	;; [unrolled: 1-line block ×4, first 2 shown]
	v_add_f64 v[78:79], v[82:83], v[78:79]
	v_add_f64 v[80:81], v[92:93], -v[80:81]
	v_add_f64 v[78:79], v[80:81], v[78:79]
	v_add_f64 v[80:81], v[84:85], v[88:89]
	;; [unrolled: 1-line block ×3, first 2 shown]
	v_add_f64 v[82:83], v[80:81], -v[84:85]
	v_mul_f64 v[78:79], v[90:91], v[78:79]
	v_add_f64 v[82:83], v[88:89], -v[82:83]
	v_add_f64 v[78:79], v[82:83], v[78:79]
	v_add_f64 v[82:83], v[80:81], v[78:79]
	v_add_f64 v[80:81], v[82:83], -v[80:81]
	s_mov_b32 s64, 0xbf559e2b
	v_add_f64 v[78:79], v[78:79], -v[80:81]
	v_mul_f64 v[80:81], v[82:83], v[82:83]
	v_mov_b32_e32 v84, 0x6b47b09a
	v_mov_b32_e32 v85, 0x3fc38538
	s_mov_b32 s65, 0x3fc3ab76
	v_fmac_f64_e32 v[84:85], s[64:65], v[80:81]
	v_mov_b32_e32 v86, 0xd7f4df2e
	v_mov_b32_e32 v87, 0x3fc7474d
	v_fmac_f64_e32 v[86:87], v[80:81], v[84:85]
	v_mov_b32_e32 v84, 0x16291751
	v_mov_b32_e32 v85, 0x3fcc71c0
	;; [unrolled: 3-line block ×5, first 2 shown]
	v_fmac_f64_e32 v[86:87], v[80:81], v[84:85]
	v_cvt_f64_i32_e32 v[84:85], v98
	v_mul_f64 v[88:89], v[84:85], s[74:75]
	v_fma_f64 v[90:91], v[84:85], s[74:75], -v[88:89]
	v_fmac_f64_e32 v[90:91], s[76:77], v[84:85]
	v_add_f64 v[84:85], v[88:89], v[90:91]
	v_add_f64 v[88:89], v[84:85], -v[88:89]
	v_mul_f64 v[80:81], v[82:83], v[80:81]
	v_add_f64 v[88:89], v[90:91], -v[88:89]
	v_ldexp_f64 v[90:91], v[82:83], 1
	v_mul_f64 v[80:81], v[80:81], v[86:87]
	v_add_f64 v[82:83], v[90:91], v[80:81]
	v_add_f64 v[86:87], v[82:83], -v[90:91]
	v_ldexp_f64 v[78:79], v[78:79], 1
	v_add_f64 v[80:81], v[80:81], -v[86:87]
	v_add_f64 v[78:79], v[78:79], v[80:81]
	v_add_f64 v[80:81], v[82:83], v[78:79]
	v_add_f64 v[82:83], v[80:81], -v[82:83]
	v_add_f64 v[78:79], v[78:79], -v[82:83]
	v_add_f64 v[82:83], v[84:85], v[80:81]
	v_add_f64 v[86:87], v[82:83], -v[84:85]
	v_add_f64 v[90:91], v[82:83], -v[86:87]
	;; [unrolled: 1-line block ×4, first 2 shown]
	v_add_f64 v[80:81], v[80:81], v[84:85]
	v_add_f64 v[84:85], v[88:89], v[78:79]
	v_add_f64 v[86:87], v[84:85], -v[88:89]
	v_add_f64 v[80:81], v[84:85], v[80:81]
	v_add_f64 v[90:91], v[84:85], -v[86:87]
	;; [unrolled: 2-line block ×3, first 2 shown]
	v_add_f64 v[78:79], v[78:79], -v[86:87]
	v_add_f64 v[82:83], v[84:85], -v[82:83]
	v_add_f64 v[78:79], v[78:79], v[88:89]
	v_add_f64 v[80:81], v[80:81], -v[82:83]
	s_mov_b32 s64, 0
	v_add_f64 v[78:79], v[78:79], v[80:81]
	s_mov_b32 s65, 0x7ff00000
	v_add_f64 v[78:79], v[84:85], v[78:79]
	v_cmp_eq_f64_e64 s[64:65], s[64:65], v[76:77]
	v_mov_b32_e32 v80, 0x7ff80000
	s_nop 0
	v_cndmask_b32_e64 v78, v78, v76, s[64:65]
	v_cndmask_b32_e64 v79, v79, v77, s[64:65]
	v_cmp_ngt_f64_e64 s[64:65], -1.0, v[76:77]
	s_nop 1
	v_cndmask_b32_e64 v79, v80, v79, s[64:65]
	v_cmp_nge_f64_e64 s[64:65], -1.0, v[76:77]
	v_mov_b32_e32 v80, 0xfff00000
	s_nop 0
	v_cndmask_b32_e64 v78, 0, v78, s[64:65]
	v_cmp_neq_f64_e64 s[64:65], -1.0, v[76:77]
	s_nop 1
	v_cndmask_b32_e64 v79, v80, v79, s[64:65]
	v_add_f64 v[76:77], v[32:33], v[78:79]
.LBB20_80:
	s_or_b64 exec, exec, s[72:73]
	v_mov_b64_e32 v[32:33], v[76:77]
	v_mov_b32_e32 v78, v76
	v_mov_b32_e32 v79, v77
.LBB20_81:
	s_or_b64 exec, exec, s[70:71]
	v_and_b32_e32 v80, 16, v35
	v_mov_b32_dpp v76, v78 row_bcast:15 row_mask:0xf bank_mask:0xf
	v_mov_b32_dpp v77, v79 row_bcast:15 row_mask:0xf bank_mask:0xf
	v_cmp_ne_u32_e64 s[64:65], 0, v80
	s_and_saveexec_b64 s[70:71], s[64:65]
	s_cbranch_execz .LBB20_85
; %bb.82:
	v_max_f64 v[80:81], v[76:77], v[76:77]
	v_max_f64 v[82:83], v[32:33], v[32:33]
	v_min_f64 v[78:79], v[80:81], v[82:83]
	v_cmp_u_f64_e64 s[64:65], v[76:77], v[76:77]
	v_max_f64 v[80:81], v[80:81], v[82:83]
	v_cmp_u_f64_e64 s[66:67], v[32:33], v[32:33]
	v_cndmask_b32_e64 v78, v78, v76, s[64:65]
	v_cndmask_b32_e64 v79, v79, v77, s[64:65]
	;; [unrolled: 1-line block ×8, first 2 shown]
	v_cmp_neq_f64_e64 s[64:65], v[78:79], v[32:33]
	v_cmp_class_f64_e64 s[66:67], v[78:79], s33
	s_or_b64 s[64:65], s[64:65], s[66:67]
	s_and_saveexec_b64 s[72:73], s[64:65]
	s_cbranch_execz .LBB20_84
; %bb.83:
	s_mov_b32 s64, 0x652b82fe
	v_add_f64 v[76:77], v[78:79], -v[32:33]
	s_mov_b32 s65, 0x3ff71547
	v_mul_f64 v[78:79], v[76:77], s[64:65]
	v_rndne_f64_e32 v[78:79], v[78:79]
	s_mov_b32 s75, 0xbfe62e42
	s_mov_b32 s74, 0xfefa39ef
	v_fma_f64 v[80:81], s[74:75], v[78:79], v[76:77]
	s_mov_b32 s77, 0xbc7abc9e
	s_mov_b32 s76, 0x3b39803f
	;; [unrolled: 1-line block ×3, first 2 shown]
	v_fmac_f64_e32 v[80:81], s[76:77], v[78:79]
	v_mov_b32_e32 v82, 0xfca7ab0c
	v_mov_b32_e32 v83, 0x3e928af3
	s_mov_b32 s65, 0x3e5ade15
	v_fmac_f64_e32 v[82:83], s[64:65], v[80:81]
	v_mov_b32_e32 v84, 0x623fde64
	v_mov_b32_e32 v85, 0x3ec71dee
	v_fmac_f64_e32 v[84:85], v[80:81], v[82:83]
	v_mov_b32_e32 v82, 0x7c89e6b0
	v_mov_b32_e32 v83, 0x3efa0199
	v_fmac_f64_e32 v[82:83], v[80:81], v[84:85]
	v_mov_b32_e32 v84, 0x14761f6e
	v_mov_b32_e32 v85, 0x3f2a01a0
	v_fmac_f64_e32 v[84:85], v[80:81], v[82:83]
	v_mov_b32_e32 v82, 0x1852b7b0
	v_mov_b32_e32 v83, 0x3f56c16c
	v_fmac_f64_e32 v[82:83], v[80:81], v[84:85]
	v_mov_b32_e32 v84, 0x11122322
	v_mov_b32_e32 v85, 0x3f811111
	v_fmac_f64_e32 v[84:85], v[80:81], v[82:83]
	v_mov_b32_e32 v82, 0x555502a1
	v_mov_b32_e32 v83, 0x3fa55555
	v_fmac_f64_e32 v[82:83], v[80:81], v[84:85]
	v_mov_b32_e32 v84, 0x55555511
	v_mov_b32_e32 v85, 0x3fc55555
	v_fmac_f64_e32 v[84:85], v[80:81], v[82:83]
	v_mov_b32_e32 v82, 11
	v_mov_b32_e32 v83, 0x3fe00000
	v_fmac_f64_e32 v[82:83], v[80:81], v[84:85]
	v_fma_f64 v[82:83], v[80:81], v[82:83], 1.0
	s_mov_b32 s64, 0
	s_mov_b32 s66, 0
	v_fma_f64 v[80:81], v[80:81], v[82:83], 1.0
	v_cvt_i32_f64_e32 v78, v[78:79]
	s_mov_b32 s65, 0x40900000
	s_mov_b32 s67, 0xc090cc00
	v_ldexp_f64 v[78:79], v[80:81], v78
	v_mov_b32_e32 v80, 0x7ff00000
	v_cmp_nlt_f64_e64 s[64:65], s[64:65], v[76:77]
	v_cmp_ngt_f64_e64 s[66:67], s[66:67], v[76:77]
	s_mov_b32 s75, 0x3fe62e42
	v_cndmask_b32_e64 v79, v80, v79, s[64:65]
	s_and_b64 s[64:65], s[66:67], s[64:65]
	v_cndmask_b32_e64 v77, 0, v79, s[66:67]
	v_cndmask_b32_e64 v76, 0, v78, s[64:65]
	v_add_f64 v[78:79], v[76:77], 1.0
	v_add_f64 v[80:81], v[78:79], -1.0
	v_add_f64 v[82:83], v[80:81], -v[78:79]
	v_add_f64 v[82:83], v[82:83], 1.0
	v_add_f64 v[80:81], v[76:77], -v[80:81]
	s_mov_b32 s64, 0x55555555
	v_add_f64 v[80:81], v[80:81], v[82:83]
	v_frexp_mant_f64_e32 v[82:83], v[78:79]
	s_mov_b32 s65, 0x3fe55555
	v_frexp_exp_i32_f64_e32 v84, v[78:79]
	v_cmp_gt_f64_e64 s[64:65], s[64:65], v[82:83]
	s_mov_b32 s77, 0x3c7abc9e
	s_nop 0
	v_subbrev_co_u32_e64 v98, s[64:65], 0, v84, s[64:65]
	v_sub_u32_e32 v82, 0, v98
	v_ldexp_f64 v[78:79], v[78:79], v82
	v_ldexp_f64 v[80:81], v[80:81], v82
	v_add_f64 v[82:83], v[78:79], -1.0
	v_add_f64 v[88:89], v[78:79], 1.0
	v_add_f64 v[84:85], v[82:83], 1.0
	v_add_f64 v[90:91], v[88:89], -1.0
	v_add_f64 v[84:85], v[78:79], -v[84:85]
	v_add_f64 v[78:79], v[78:79], -v[90:91]
	v_add_f64 v[78:79], v[80:81], v[78:79]
	v_add_f64 v[84:85], v[80:81], v[84:85]
	;; [unrolled: 1-line block ×3, first 2 shown]
	v_rcp_f64_e32 v[90:91], v[80:81]
	v_add_f64 v[86:87], v[82:83], v[84:85]
	v_add_f64 v[82:83], v[86:87], -v[82:83]
	v_add_f64 v[82:83], v[84:85], -v[82:83]
	;; [unrolled: 1-line block ×4, first 2 shown]
	v_fma_f64 v[84:85], -v[80:81], v[90:91], 1.0
	v_fmac_f64_e32 v[90:91], v[84:85], v[90:91]
	v_fma_f64 v[84:85], -v[80:81], v[90:91], 1.0
	v_fmac_f64_e32 v[90:91], v[84:85], v[90:91]
	v_mul_f64 v[84:85], v[86:87], v[90:91]
	v_mul_f64 v[88:89], v[80:81], v[84:85]
	v_fma_f64 v[92:93], v[84:85], v[80:81], -v[88:89]
	v_fmac_f64_e32 v[92:93], v[84:85], v[78:79]
	v_add_f64 v[94:95], v[88:89], v[92:93]
	v_add_f64 v[96:97], v[86:87], -v[94:95]
	v_add_f64 v[86:87], v[86:87], -v[96:97]
	;; [unrolled: 1-line block ×4, first 2 shown]
	v_add_f64 v[82:83], v[82:83], v[86:87]
	v_add_f64 v[86:87], v[88:89], -v[92:93]
	v_add_f64 v[82:83], v[86:87], v[82:83]
	v_add_f64 v[86:87], v[96:97], v[82:83]
	v_add_f64 v[88:89], v[96:97], -v[86:87]
	v_add_f64 v[82:83], v[82:83], v[88:89]
	v_mul_f64 v[88:89], v[90:91], v[86:87]
	v_mul_f64 v[92:93], v[80:81], v[88:89]
	v_fma_f64 v[80:81], v[88:89], v[80:81], -v[92:93]
	v_fmac_f64_e32 v[80:81], v[88:89], v[78:79]
	v_add_f64 v[78:79], v[92:93], v[80:81]
	v_add_f64 v[94:95], v[86:87], -v[78:79]
	v_add_f64 v[86:87], v[86:87], -v[94:95]
	;; [unrolled: 1-line block ×4, first 2 shown]
	v_add_f64 v[78:79], v[82:83], v[78:79]
	v_add_f64 v[80:81], v[92:93], -v[80:81]
	v_add_f64 v[78:79], v[80:81], v[78:79]
	v_add_f64 v[80:81], v[84:85], v[88:89]
	;; [unrolled: 1-line block ×3, first 2 shown]
	v_add_f64 v[82:83], v[80:81], -v[84:85]
	v_mul_f64 v[78:79], v[90:91], v[78:79]
	v_add_f64 v[82:83], v[88:89], -v[82:83]
	v_add_f64 v[78:79], v[82:83], v[78:79]
	v_add_f64 v[82:83], v[80:81], v[78:79]
	v_add_f64 v[80:81], v[82:83], -v[80:81]
	s_mov_b32 s64, 0xbf559e2b
	v_add_f64 v[78:79], v[78:79], -v[80:81]
	v_mul_f64 v[80:81], v[82:83], v[82:83]
	v_mov_b32_e32 v84, 0x6b47b09a
	v_mov_b32_e32 v85, 0x3fc38538
	s_mov_b32 s65, 0x3fc3ab76
	v_fmac_f64_e32 v[84:85], s[64:65], v[80:81]
	v_mov_b32_e32 v86, 0xd7f4df2e
	v_mov_b32_e32 v87, 0x3fc7474d
	v_fmac_f64_e32 v[86:87], v[80:81], v[84:85]
	v_mov_b32_e32 v84, 0x16291751
	v_mov_b32_e32 v85, 0x3fcc71c0
	;; [unrolled: 3-line block ×5, first 2 shown]
	v_fmac_f64_e32 v[86:87], v[80:81], v[84:85]
	v_cvt_f64_i32_e32 v[84:85], v98
	v_mul_f64 v[88:89], v[84:85], s[74:75]
	v_fma_f64 v[90:91], v[84:85], s[74:75], -v[88:89]
	v_fmac_f64_e32 v[90:91], s[76:77], v[84:85]
	v_add_f64 v[84:85], v[88:89], v[90:91]
	v_add_f64 v[88:89], v[84:85], -v[88:89]
	v_mul_f64 v[80:81], v[82:83], v[80:81]
	v_add_f64 v[88:89], v[90:91], -v[88:89]
	v_ldexp_f64 v[90:91], v[82:83], 1
	v_mul_f64 v[80:81], v[80:81], v[86:87]
	v_add_f64 v[82:83], v[90:91], v[80:81]
	v_add_f64 v[86:87], v[82:83], -v[90:91]
	v_ldexp_f64 v[78:79], v[78:79], 1
	v_add_f64 v[80:81], v[80:81], -v[86:87]
	v_add_f64 v[78:79], v[78:79], v[80:81]
	v_add_f64 v[80:81], v[82:83], v[78:79]
	v_add_f64 v[82:83], v[80:81], -v[82:83]
	v_add_f64 v[78:79], v[78:79], -v[82:83]
	v_add_f64 v[82:83], v[84:85], v[80:81]
	v_add_f64 v[86:87], v[82:83], -v[84:85]
	v_add_f64 v[90:91], v[82:83], -v[86:87]
	;; [unrolled: 1-line block ×4, first 2 shown]
	v_add_f64 v[80:81], v[80:81], v[84:85]
	v_add_f64 v[84:85], v[88:89], v[78:79]
	v_add_f64 v[86:87], v[84:85], -v[88:89]
	v_add_f64 v[80:81], v[84:85], v[80:81]
	v_add_f64 v[90:91], v[84:85], -v[86:87]
	;; [unrolled: 2-line block ×3, first 2 shown]
	v_add_f64 v[78:79], v[78:79], -v[86:87]
	v_add_f64 v[82:83], v[84:85], -v[82:83]
	v_add_f64 v[78:79], v[78:79], v[88:89]
	v_add_f64 v[80:81], v[80:81], -v[82:83]
	s_mov_b32 s64, 0
	v_add_f64 v[78:79], v[78:79], v[80:81]
	s_mov_b32 s65, 0x7ff00000
	v_add_f64 v[78:79], v[84:85], v[78:79]
	v_cmp_eq_f64_e64 s[64:65], s[64:65], v[76:77]
	v_mov_b32_e32 v80, 0x7ff80000
	s_nop 0
	v_cndmask_b32_e64 v78, v78, v76, s[64:65]
	v_cndmask_b32_e64 v79, v79, v77, s[64:65]
	v_cmp_ngt_f64_e64 s[64:65], -1.0, v[76:77]
	s_nop 1
	v_cndmask_b32_e64 v79, v80, v79, s[64:65]
	v_cmp_nge_f64_e64 s[64:65], -1.0, v[76:77]
	v_mov_b32_e32 v80, 0xfff00000
	s_nop 0
	v_cndmask_b32_e64 v78, 0, v78, s[64:65]
	v_cmp_neq_f64_e64 s[64:65], -1.0, v[76:77]
	s_nop 1
	v_cndmask_b32_e64 v79, v80, v79, s[64:65]
	v_add_f64 v[76:77], v[32:33], v[78:79]
.LBB20_84:
	s_or_b64 exec, exec, s[72:73]
	v_mov_b32_e32 v78, v76
	v_mov_b32_e32 v79, v77
	v_mov_b64_e32 v[32:33], v[76:77]
.LBB20_85:
	s_or_b64 exec, exec, s[70:71]
	v_mov_b32_dpp v76, v78 row_bcast:31 row_mask:0xf bank_mask:0xf
	v_mov_b32_dpp v77, v79 row_bcast:31 row_mask:0xf bank_mask:0xf
	v_cmp_lt_u32_e64 s[64:65], 31, v35
	s_and_saveexec_b64 s[70:71], s[64:65]
	s_cbranch_execz .LBB20_89
; %bb.86:
	v_max_f64 v[80:81], v[76:77], v[76:77]
	v_max_f64 v[82:83], v[32:33], v[32:33]
	v_min_f64 v[78:79], v[80:81], v[82:83]
	v_cmp_u_f64_e64 s[64:65], v[76:77], v[76:77]
	v_max_f64 v[80:81], v[80:81], v[82:83]
	v_cmp_u_f64_e64 s[66:67], v[32:33], v[32:33]
	v_cndmask_b32_e64 v78, v78, v76, s[64:65]
	v_cndmask_b32_e64 v79, v79, v77, s[64:65]
	;; [unrolled: 1-line block ×8, first 2 shown]
	v_cmp_neq_f64_e64 s[64:65], v[78:79], v[32:33]
	v_cmp_class_f64_e64 s[66:67], v[78:79], s33
	s_or_b64 s[64:65], s[64:65], s[66:67]
	s_and_saveexec_b64 s[72:73], s[64:65]
	s_cbranch_execz .LBB20_88
; %bb.87:
	s_mov_b32 s64, 0x652b82fe
	v_add_f64 v[76:77], v[78:79], -v[32:33]
	s_mov_b32 s65, 0x3ff71547
	v_mul_f64 v[78:79], v[76:77], s[64:65]
	v_rndne_f64_e32 v[78:79], v[78:79]
	s_mov_b32 s75, 0xbfe62e42
	s_mov_b32 s74, 0xfefa39ef
	v_fma_f64 v[80:81], s[74:75], v[78:79], v[76:77]
	s_mov_b32 s77, 0xbc7abc9e
	s_mov_b32 s76, 0x3b39803f
	;; [unrolled: 1-line block ×3, first 2 shown]
	v_fmac_f64_e32 v[80:81], s[76:77], v[78:79]
	v_mov_b32_e32 v82, 0xfca7ab0c
	v_mov_b32_e32 v83, 0x3e928af3
	s_mov_b32 s65, 0x3e5ade15
	v_fmac_f64_e32 v[82:83], s[64:65], v[80:81]
	v_mov_b32_e32 v84, 0x623fde64
	v_mov_b32_e32 v85, 0x3ec71dee
	v_fmac_f64_e32 v[84:85], v[80:81], v[82:83]
	v_mov_b32_e32 v82, 0x7c89e6b0
	v_mov_b32_e32 v83, 0x3efa0199
	;; [unrolled: 3-line block ×8, first 2 shown]
	v_fmac_f64_e32 v[82:83], v[80:81], v[84:85]
	v_fma_f64 v[82:83], v[80:81], v[82:83], 1.0
	s_mov_b32 s64, 0
	s_mov_b32 s66, 0
	v_fma_f64 v[80:81], v[80:81], v[82:83], 1.0
	v_cvt_i32_f64_e32 v78, v[78:79]
	s_mov_b32 s65, 0x40900000
	s_mov_b32 s67, 0xc090cc00
	v_ldexp_f64 v[78:79], v[80:81], v78
	v_mov_b32_e32 v80, 0x7ff00000
	v_cmp_nlt_f64_e64 s[64:65], s[64:65], v[76:77]
	v_cmp_ngt_f64_e64 s[66:67], s[66:67], v[76:77]
	s_mov_b32 s75, 0x3fe62e42
	v_cndmask_b32_e64 v79, v80, v79, s[64:65]
	s_and_b64 s[64:65], s[66:67], s[64:65]
	v_cndmask_b32_e64 v77, 0, v79, s[66:67]
	v_cndmask_b32_e64 v76, 0, v78, s[64:65]
	v_add_f64 v[78:79], v[76:77], 1.0
	v_add_f64 v[80:81], v[78:79], -1.0
	v_add_f64 v[82:83], v[80:81], -v[78:79]
	v_add_f64 v[82:83], v[82:83], 1.0
	v_add_f64 v[80:81], v[76:77], -v[80:81]
	s_mov_b32 s64, 0x55555555
	v_add_f64 v[80:81], v[80:81], v[82:83]
	v_frexp_mant_f64_e32 v[82:83], v[78:79]
	s_mov_b32 s65, 0x3fe55555
	v_frexp_exp_i32_f64_e32 v84, v[78:79]
	v_cmp_gt_f64_e64 s[64:65], s[64:65], v[82:83]
	s_mov_b32 s77, 0x3c7abc9e
	s_nop 0
	v_subbrev_co_u32_e64 v98, s[64:65], 0, v84, s[64:65]
	v_sub_u32_e32 v82, 0, v98
	v_ldexp_f64 v[78:79], v[78:79], v82
	v_ldexp_f64 v[80:81], v[80:81], v82
	v_add_f64 v[82:83], v[78:79], -1.0
	v_add_f64 v[88:89], v[78:79], 1.0
	v_add_f64 v[84:85], v[82:83], 1.0
	v_add_f64 v[90:91], v[88:89], -1.0
	v_add_f64 v[84:85], v[78:79], -v[84:85]
	v_add_f64 v[78:79], v[78:79], -v[90:91]
	v_add_f64 v[78:79], v[80:81], v[78:79]
	v_add_f64 v[84:85], v[80:81], v[84:85]
	;; [unrolled: 1-line block ×3, first 2 shown]
	v_rcp_f64_e32 v[90:91], v[80:81]
	v_add_f64 v[86:87], v[82:83], v[84:85]
	v_add_f64 v[82:83], v[86:87], -v[82:83]
	v_add_f64 v[82:83], v[84:85], -v[82:83]
	;; [unrolled: 1-line block ×4, first 2 shown]
	v_fma_f64 v[84:85], -v[80:81], v[90:91], 1.0
	v_fmac_f64_e32 v[90:91], v[84:85], v[90:91]
	v_fma_f64 v[84:85], -v[80:81], v[90:91], 1.0
	v_fmac_f64_e32 v[90:91], v[84:85], v[90:91]
	v_mul_f64 v[84:85], v[86:87], v[90:91]
	v_mul_f64 v[88:89], v[80:81], v[84:85]
	v_fma_f64 v[92:93], v[84:85], v[80:81], -v[88:89]
	v_fmac_f64_e32 v[92:93], v[84:85], v[78:79]
	v_add_f64 v[94:95], v[88:89], v[92:93]
	v_add_f64 v[96:97], v[86:87], -v[94:95]
	v_add_f64 v[86:87], v[86:87], -v[96:97]
	;; [unrolled: 1-line block ×4, first 2 shown]
	v_add_f64 v[82:83], v[82:83], v[86:87]
	v_add_f64 v[86:87], v[88:89], -v[92:93]
	v_add_f64 v[82:83], v[86:87], v[82:83]
	v_add_f64 v[86:87], v[96:97], v[82:83]
	v_add_f64 v[88:89], v[96:97], -v[86:87]
	v_add_f64 v[82:83], v[82:83], v[88:89]
	v_mul_f64 v[88:89], v[90:91], v[86:87]
	v_mul_f64 v[92:93], v[80:81], v[88:89]
	v_fma_f64 v[80:81], v[88:89], v[80:81], -v[92:93]
	v_fmac_f64_e32 v[80:81], v[88:89], v[78:79]
	v_add_f64 v[78:79], v[92:93], v[80:81]
	v_add_f64 v[94:95], v[86:87], -v[78:79]
	v_add_f64 v[86:87], v[86:87], -v[94:95]
	;; [unrolled: 1-line block ×4, first 2 shown]
	v_add_f64 v[78:79], v[82:83], v[78:79]
	v_add_f64 v[80:81], v[92:93], -v[80:81]
	v_add_f64 v[78:79], v[80:81], v[78:79]
	v_add_f64 v[80:81], v[84:85], v[88:89]
	;; [unrolled: 1-line block ×3, first 2 shown]
	v_add_f64 v[82:83], v[80:81], -v[84:85]
	v_mul_f64 v[78:79], v[90:91], v[78:79]
	v_add_f64 v[82:83], v[88:89], -v[82:83]
	v_add_f64 v[78:79], v[82:83], v[78:79]
	v_add_f64 v[82:83], v[80:81], v[78:79]
	v_add_f64 v[80:81], v[82:83], -v[80:81]
	s_mov_b32 s64, 0xbf559e2b
	v_add_f64 v[78:79], v[78:79], -v[80:81]
	v_mul_f64 v[80:81], v[82:83], v[82:83]
	v_mov_b32_e32 v84, 0x6b47b09a
	v_mov_b32_e32 v85, 0x3fc38538
	s_mov_b32 s65, 0x3fc3ab76
	v_fmac_f64_e32 v[84:85], s[64:65], v[80:81]
	v_mov_b32_e32 v86, 0xd7f4df2e
	v_mov_b32_e32 v87, 0x3fc7474d
	v_fmac_f64_e32 v[86:87], v[80:81], v[84:85]
	v_mov_b32_e32 v84, 0x16291751
	v_mov_b32_e32 v85, 0x3fcc71c0
	;; [unrolled: 3-line block ×5, first 2 shown]
	v_fmac_f64_e32 v[86:87], v[80:81], v[84:85]
	v_cvt_f64_i32_e32 v[84:85], v98
	v_mul_f64 v[88:89], v[84:85], s[74:75]
	v_fma_f64 v[90:91], v[84:85], s[74:75], -v[88:89]
	v_fmac_f64_e32 v[90:91], s[76:77], v[84:85]
	v_add_f64 v[84:85], v[88:89], v[90:91]
	v_add_f64 v[88:89], v[84:85], -v[88:89]
	v_mul_f64 v[80:81], v[82:83], v[80:81]
	v_add_f64 v[88:89], v[90:91], -v[88:89]
	v_ldexp_f64 v[90:91], v[82:83], 1
	v_mul_f64 v[80:81], v[80:81], v[86:87]
	v_add_f64 v[82:83], v[90:91], v[80:81]
	v_add_f64 v[86:87], v[82:83], -v[90:91]
	v_ldexp_f64 v[78:79], v[78:79], 1
	v_add_f64 v[80:81], v[80:81], -v[86:87]
	v_add_f64 v[78:79], v[78:79], v[80:81]
	v_add_f64 v[80:81], v[82:83], v[78:79]
	v_add_f64 v[82:83], v[80:81], -v[82:83]
	v_add_f64 v[78:79], v[78:79], -v[82:83]
	v_add_f64 v[82:83], v[84:85], v[80:81]
	v_add_f64 v[86:87], v[82:83], -v[84:85]
	v_add_f64 v[90:91], v[82:83], -v[86:87]
	v_add_f64 v[84:85], v[84:85], -v[90:91]
	v_add_f64 v[80:81], v[80:81], -v[86:87]
	v_add_f64 v[80:81], v[80:81], v[84:85]
	v_add_f64 v[84:85], v[88:89], v[78:79]
	v_add_f64 v[86:87], v[84:85], -v[88:89]
	v_add_f64 v[80:81], v[84:85], v[80:81]
	v_add_f64 v[90:91], v[84:85], -v[86:87]
	v_add_f64 v[84:85], v[82:83], v[80:81]
	v_add_f64 v[88:89], v[88:89], -v[90:91]
	v_add_f64 v[78:79], v[78:79], -v[86:87]
	v_add_f64 v[82:83], v[84:85], -v[82:83]
	v_add_f64 v[78:79], v[78:79], v[88:89]
	v_add_f64 v[80:81], v[80:81], -v[82:83]
	s_mov_b32 s64, 0
	v_add_f64 v[78:79], v[78:79], v[80:81]
	s_mov_b32 s65, 0x7ff00000
	v_add_f64 v[78:79], v[84:85], v[78:79]
	v_cmp_eq_f64_e64 s[64:65], s[64:65], v[76:77]
	v_mov_b32_e32 v80, 0x7ff80000
	s_nop 0
	v_cndmask_b32_e64 v78, v78, v76, s[64:65]
	v_cndmask_b32_e64 v79, v79, v77, s[64:65]
	v_cmp_ngt_f64_e64 s[64:65], -1.0, v[76:77]
	s_nop 1
	v_cndmask_b32_e64 v79, v80, v79, s[64:65]
	v_cmp_nge_f64_e64 s[64:65], -1.0, v[76:77]
	v_mov_b32_e32 v80, 0xfff00000
	s_nop 0
	v_cndmask_b32_e64 v78, 0, v78, s[64:65]
	v_cmp_neq_f64_e64 s[64:65], -1.0, v[76:77]
	s_nop 1
	v_cndmask_b32_e64 v79, v80, v79, s[64:65]
	v_add_f64 v[76:77], v[32:33], v[78:79]
.LBB20_88:
	s_or_b64 exec, exec, s[72:73]
	v_mov_b64_e32 v[32:33], v[76:77]
.LBB20_89:
	s_or_b64 exec, exec, s[70:71]
	v_add_u32_e32 v76, -1, v35
	v_and_b32_e32 v77, 64, v35
	v_cmp_lt_i32_e64 s[64:65], v76, v77
	s_nop 1
	v_cndmask_b32_e64 v35, v76, v35, s[64:65]
	v_lshlrev_b32_e32 v35, 2, v35
	ds_bpermute_b32 v32, v35, v32
	ds_bpermute_b32 v33, v35, v33
	s_waitcnt lgkmcnt(0)
	v_max_f64 v[78:79], v[32:33], v[32:33]
	v_min_f64 v[76:77], v[78:79], v[74:75]
	v_cmp_u_f64_e64 s[64:65], v[32:33], v[32:33]
	v_max_f64 v[74:75], v[78:79], v[74:75]
	s_nop 0
	v_cndmask_b32_e64 v35, v76, v32, s[64:65]
	v_cndmask_b32_e64 v76, v77, v33, s[64:65]
	;; [unrolled: 1-line block ×8, first 2 shown]
	v_cmp_neq_f64_e64 s[62:63], v[76:77], v[30:31]
	v_cmp_class_f64_e64 s[64:65], v[76:77], s33
	s_or_b64 s[62:63], s[62:63], s[64:65]
	s_and_saveexec_b64 s[66:67], s[62:63]
	s_cbranch_execz .LBB20_91
; %bb.90:
	s_mov_b32 s62, 0x652b82fe
	v_add_f64 v[32:33], v[76:77], -v[30:31]
	s_mov_b32 s63, 0x3ff71547
	v_mul_f64 v[74:75], v[32:33], s[62:63]
	v_rndne_f64_e32 v[74:75], v[74:75]
	s_mov_b32 s71, 0xbfe62e42
	s_mov_b32 s70, 0xfefa39ef
	v_fma_f64 v[76:77], s[70:71], v[74:75], v[32:33]
	s_mov_b32 s73, 0xbc7abc9e
	s_mov_b32 s72, 0x3b39803f
	;; [unrolled: 1-line block ×3, first 2 shown]
	v_fmac_f64_e32 v[76:77], s[72:73], v[74:75]
	v_mov_b32_e32 v78, 0xfca7ab0c
	v_mov_b32_e32 v79, 0x3e928af3
	s_mov_b32 s63, 0x3e5ade15
	v_fmac_f64_e32 v[78:79], s[62:63], v[76:77]
	v_mov_b32_e32 v80, 0x623fde64
	v_mov_b32_e32 v81, 0x3ec71dee
	v_fmac_f64_e32 v[80:81], v[76:77], v[78:79]
	v_mov_b32_e32 v78, 0x7c89e6b0
	v_mov_b32_e32 v79, 0x3efa0199
	v_fmac_f64_e32 v[78:79], v[76:77], v[80:81]
	v_mov_b32_e32 v80, 0x14761f6e
	v_mov_b32_e32 v81, 0x3f2a01a0
	v_fmac_f64_e32 v[80:81], v[76:77], v[78:79]
	v_mov_b32_e32 v78, 0x1852b7b0
	v_mov_b32_e32 v79, 0x3f56c16c
	v_fmac_f64_e32 v[78:79], v[76:77], v[80:81]
	v_mov_b32_e32 v80, 0x11122322
	v_mov_b32_e32 v81, 0x3f811111
	v_fmac_f64_e32 v[80:81], v[76:77], v[78:79]
	v_mov_b32_e32 v78, 0x555502a1
	v_mov_b32_e32 v79, 0x3fa55555
	v_fmac_f64_e32 v[78:79], v[76:77], v[80:81]
	v_mov_b32_e32 v80, 0x55555511
	v_mov_b32_e32 v81, 0x3fc55555
	v_fmac_f64_e32 v[80:81], v[76:77], v[78:79]
	v_mov_b32_e32 v78, 11
	v_mov_b32_e32 v79, 0x3fe00000
	v_fmac_f64_e32 v[78:79], v[76:77], v[80:81]
	v_fma_f64 v[78:79], v[76:77], v[78:79], 1.0
	s_mov_b32 s62, 0
	s_mov_b32 s64, 0
	v_fma_f64 v[76:77], v[76:77], v[78:79], 1.0
	v_cvt_i32_f64_e32 v35, v[74:75]
	s_mov_b32 s63, 0x40900000
	s_mov_b32 s65, 0xc090cc00
	v_ldexp_f64 v[74:75], v[76:77], v35
	v_mov_b32_e32 v35, 0x7ff00000
	v_cmp_nlt_f64_e64 s[62:63], s[62:63], v[32:33]
	v_cmp_ngt_f64_e64 s[64:65], s[64:65], v[32:33]
	s_mov_b32 s71, 0x3fe62e42
	v_cndmask_b32_e64 v35, v35, v75, s[62:63]
	s_and_b64 s[62:63], s[64:65], s[62:63]
	v_cndmask_b32_e64 v33, 0, v35, s[64:65]
	v_cndmask_b32_e64 v32, 0, v74, s[62:63]
	v_add_f64 v[74:75], v[32:33], 1.0
	v_add_f64 v[76:77], v[74:75], -1.0
	v_add_f64 v[78:79], v[76:77], -v[74:75]
	v_add_f64 v[78:79], v[78:79], 1.0
	v_add_f64 v[76:77], v[32:33], -v[76:77]
	s_mov_b32 s62, 0x55555555
	v_add_f64 v[76:77], v[76:77], v[78:79]
	v_frexp_mant_f64_e32 v[78:79], v[74:75]
	s_mov_b32 s63, 0x3fe55555
	v_frexp_exp_i32_f64_e32 v35, v[74:75]
	v_cmp_gt_f64_e64 s[62:63], s[62:63], v[78:79]
	s_mov_b32 s73, 0x3c7abc9e
	s_nop 0
	v_subbrev_co_u32_e64 v35, s[62:63], 0, v35, s[62:63]
	v_sub_u32_e32 v78, 0, v35
	v_ldexp_f64 v[74:75], v[74:75], v78
	v_ldexp_f64 v[76:77], v[76:77], v78
	v_add_f64 v[78:79], v[74:75], -1.0
	v_add_f64 v[84:85], v[74:75], 1.0
	v_add_f64 v[80:81], v[78:79], 1.0
	v_add_f64 v[86:87], v[84:85], -1.0
	v_add_f64 v[80:81], v[74:75], -v[80:81]
	v_add_f64 v[74:75], v[74:75], -v[86:87]
	v_add_f64 v[74:75], v[76:77], v[74:75]
	v_add_f64 v[80:81], v[76:77], v[80:81]
	;; [unrolled: 1-line block ×3, first 2 shown]
	v_rcp_f64_e32 v[86:87], v[76:77]
	v_add_f64 v[82:83], v[78:79], v[80:81]
	v_add_f64 v[78:79], v[82:83], -v[78:79]
	v_add_f64 v[78:79], v[80:81], -v[78:79]
	;; [unrolled: 1-line block ×4, first 2 shown]
	v_fma_f64 v[80:81], -v[76:77], v[86:87], 1.0
	v_fmac_f64_e32 v[86:87], v[80:81], v[86:87]
	v_fma_f64 v[80:81], -v[76:77], v[86:87], 1.0
	v_fmac_f64_e32 v[86:87], v[80:81], v[86:87]
	v_mul_f64 v[80:81], v[82:83], v[86:87]
	v_mul_f64 v[84:85], v[76:77], v[80:81]
	v_fma_f64 v[88:89], v[80:81], v[76:77], -v[84:85]
	v_fmac_f64_e32 v[88:89], v[80:81], v[74:75]
	v_add_f64 v[90:91], v[84:85], v[88:89]
	v_add_f64 v[92:93], v[82:83], -v[90:91]
	v_add_f64 v[82:83], v[82:83], -v[92:93]
	;; [unrolled: 1-line block ×4, first 2 shown]
	v_add_f64 v[78:79], v[78:79], v[82:83]
	v_add_f64 v[82:83], v[84:85], -v[88:89]
	v_add_f64 v[78:79], v[82:83], v[78:79]
	v_add_f64 v[82:83], v[92:93], v[78:79]
	v_add_f64 v[84:85], v[92:93], -v[82:83]
	v_add_f64 v[78:79], v[78:79], v[84:85]
	v_mul_f64 v[84:85], v[86:87], v[82:83]
	v_mul_f64 v[88:89], v[76:77], v[84:85]
	v_fma_f64 v[76:77], v[84:85], v[76:77], -v[88:89]
	v_fmac_f64_e32 v[76:77], v[84:85], v[74:75]
	v_add_f64 v[74:75], v[88:89], v[76:77]
	v_add_f64 v[90:91], v[82:83], -v[74:75]
	v_add_f64 v[82:83], v[82:83], -v[90:91]
	;; [unrolled: 1-line block ×4, first 2 shown]
	v_add_f64 v[74:75], v[78:79], v[74:75]
	v_add_f64 v[76:77], v[88:89], -v[76:77]
	v_add_f64 v[74:75], v[76:77], v[74:75]
	v_add_f64 v[76:77], v[80:81], v[84:85]
	v_add_f64 v[74:75], v[90:91], v[74:75]
	v_add_f64 v[78:79], v[76:77], -v[80:81]
	v_mul_f64 v[74:75], v[86:87], v[74:75]
	v_add_f64 v[78:79], v[84:85], -v[78:79]
	v_add_f64 v[74:75], v[78:79], v[74:75]
	v_add_f64 v[78:79], v[76:77], v[74:75]
	v_add_f64 v[76:77], v[78:79], -v[76:77]
	s_mov_b32 s62, 0xbf559e2b
	v_add_f64 v[74:75], v[74:75], -v[76:77]
	v_mul_f64 v[76:77], v[78:79], v[78:79]
	v_mov_b32_e32 v80, 0x6b47b09a
	v_mov_b32_e32 v81, 0x3fc38538
	s_mov_b32 s63, 0x3fc3ab76
	v_fmac_f64_e32 v[80:81], s[62:63], v[76:77]
	v_mov_b32_e32 v82, 0xd7f4df2e
	v_mov_b32_e32 v83, 0x3fc7474d
	v_fmac_f64_e32 v[82:83], v[76:77], v[80:81]
	v_mov_b32_e32 v80, 0x16291751
	v_mov_b32_e32 v81, 0x3fcc71c0
	;; [unrolled: 3-line block ×5, first 2 shown]
	v_fmac_f64_e32 v[82:83], v[76:77], v[80:81]
	v_cvt_f64_i32_e32 v[80:81], v35
	v_mul_f64 v[84:85], v[80:81], s[70:71]
	v_fma_f64 v[86:87], v[80:81], s[70:71], -v[84:85]
	v_fmac_f64_e32 v[86:87], s[72:73], v[80:81]
	v_add_f64 v[80:81], v[84:85], v[86:87]
	v_add_f64 v[84:85], v[80:81], -v[84:85]
	v_mul_f64 v[76:77], v[78:79], v[76:77]
	v_add_f64 v[84:85], v[86:87], -v[84:85]
	v_ldexp_f64 v[86:87], v[78:79], 1
	v_mul_f64 v[76:77], v[76:77], v[82:83]
	v_add_f64 v[78:79], v[86:87], v[76:77]
	v_add_f64 v[82:83], v[78:79], -v[86:87]
	v_ldexp_f64 v[74:75], v[74:75], 1
	v_add_f64 v[76:77], v[76:77], -v[82:83]
	v_add_f64 v[74:75], v[74:75], v[76:77]
	v_add_f64 v[76:77], v[78:79], v[74:75]
	v_add_f64 v[78:79], v[76:77], -v[78:79]
	v_add_f64 v[74:75], v[74:75], -v[78:79]
	v_add_f64 v[78:79], v[80:81], v[76:77]
	v_add_f64 v[82:83], v[78:79], -v[80:81]
	v_add_f64 v[86:87], v[78:79], -v[82:83]
	;; [unrolled: 1-line block ×4, first 2 shown]
	v_add_f64 v[76:77], v[76:77], v[80:81]
	v_add_f64 v[80:81], v[84:85], v[74:75]
	v_add_f64 v[82:83], v[80:81], -v[84:85]
	v_add_f64 v[76:77], v[80:81], v[76:77]
	v_add_f64 v[86:87], v[80:81], -v[82:83]
	;; [unrolled: 2-line block ×3, first 2 shown]
	v_add_f64 v[74:75], v[74:75], -v[82:83]
	v_add_f64 v[78:79], v[80:81], -v[78:79]
	v_add_f64 v[74:75], v[74:75], v[84:85]
	v_add_f64 v[76:77], v[76:77], -v[78:79]
	s_mov_b32 s62, 0
	v_add_f64 v[74:75], v[74:75], v[76:77]
	s_mov_b32 s63, 0x7ff00000
	v_add_f64 v[74:75], v[80:81], v[74:75]
	v_cmp_eq_f64_e64 s[62:63], s[62:63], v[32:33]
	s_nop 1
	v_cndmask_b32_e64 v35, v74, v32, s[62:63]
	v_cndmask_b32_e64 v74, v75, v33, s[62:63]
	v_mov_b32_e32 v75, 0x7ff80000
	v_cmp_ngt_f64_e64 s[62:63], -1.0, v[32:33]
	s_nop 1
	v_cndmask_b32_e64 v75, v75, v74, s[62:63]
	v_cmp_nge_f64_e64 s[62:63], -1.0, v[32:33]
	s_nop 1
	v_cndmask_b32_e64 v74, 0, v35, s[62:63]
	v_mov_b32_e32 v35, 0xfff00000
	v_cmp_neq_f64_e64 s[62:63], -1.0, v[32:33]
	s_nop 1
	v_cndmask_b32_e64 v75, v35, v75, s[62:63]
	v_add_f64 v[32:33], v[30:31], v[74:75]
.LBB20_91:
	s_or_b64 exec, exec, s[66:67]
	v_cmp_eq_u32_e64 s[62:63], 0, v0
	; wave barrier
	s_nop 1
	v_cndmask_b32_e64 v33, v33, v73, s[62:63]
	v_cndmask_b32_e64 v32, v32, v72, s[62:63]
	ds_write_b64 v1, v[32:33]
	; wave barrier
	ds_read_b64 v[30:31], v1 offset:8
	v_max_f64 v[76:77], v[32:33], v[32:33]
	v_cmp_u_f64_e64 s[62:63], v[32:33], v[32:33]
	s_waitcnt lgkmcnt(0)
	v_max_f64 v[78:79], v[30:31], v[30:31]
	v_min_f64 v[74:75], v[76:77], v[78:79]
	v_cndmask_b32_e64 v35, v74, v32, s[62:63]
	v_cndmask_b32_e64 v74, v75, v33, s[62:63]
	v_cmp_u_f64_e64 s[64:65], v[30:31], v[30:31]
	v_max_f64 v[76:77], v[76:77], v[78:79]
	s_nop 0
	v_cndmask_b32_e64 v75, v74, v31, s[64:65]
	v_cndmask_b32_e64 v74, v35, v30, s[64:65]
	;; [unrolled: 1-line block ×6, first 2 shown]
	v_cmp_neq_f64_e64 s[62:63], v[74:75], v[30:31]
	v_cmp_class_f64_e64 s[64:65], v[74:75], s33
	s_or_b64 s[62:63], s[62:63], s[64:65]
	s_and_saveexec_b64 s[66:67], s[62:63]
	s_cbranch_execz .LBB20_93
; %bb.92:
	s_mov_b32 s62, 0x652b82fe
	v_add_f64 v[32:33], v[74:75], -v[30:31]
	s_mov_b32 s63, 0x3ff71547
	v_mul_f64 v[74:75], v[32:33], s[62:63]
	v_rndne_f64_e32 v[74:75], v[74:75]
	s_mov_b32 s71, 0xbfe62e42
	s_mov_b32 s70, 0xfefa39ef
	v_fma_f64 v[76:77], s[70:71], v[74:75], v[32:33]
	s_mov_b32 s73, 0xbc7abc9e
	s_mov_b32 s72, 0x3b39803f
	;; [unrolled: 1-line block ×3, first 2 shown]
	v_fmac_f64_e32 v[76:77], s[72:73], v[74:75]
	v_mov_b32_e32 v78, 0xfca7ab0c
	v_mov_b32_e32 v79, 0x3e928af3
	s_mov_b32 s63, 0x3e5ade15
	v_fmac_f64_e32 v[78:79], s[62:63], v[76:77]
	v_mov_b32_e32 v80, 0x623fde64
	v_mov_b32_e32 v81, 0x3ec71dee
	v_fmac_f64_e32 v[80:81], v[76:77], v[78:79]
	v_mov_b32_e32 v78, 0x7c89e6b0
	v_mov_b32_e32 v79, 0x3efa0199
	;; [unrolled: 3-line block ×8, first 2 shown]
	v_fmac_f64_e32 v[78:79], v[76:77], v[80:81]
	v_fma_f64 v[78:79], v[76:77], v[78:79], 1.0
	s_mov_b32 s62, 0
	s_mov_b32 s64, 0
	v_fma_f64 v[76:77], v[76:77], v[78:79], 1.0
	v_cvt_i32_f64_e32 v35, v[74:75]
	s_mov_b32 s63, 0x40900000
	s_mov_b32 s65, 0xc090cc00
	v_ldexp_f64 v[74:75], v[76:77], v35
	v_mov_b32_e32 v35, 0x7ff00000
	v_cmp_nlt_f64_e64 s[62:63], s[62:63], v[32:33]
	v_cmp_ngt_f64_e64 s[64:65], s[64:65], v[32:33]
	s_mov_b32 s71, 0x3fe62e42
	v_cndmask_b32_e64 v35, v35, v75, s[62:63]
	s_and_b64 s[62:63], s[64:65], s[62:63]
	v_cndmask_b32_e64 v33, 0, v35, s[64:65]
	v_cndmask_b32_e64 v32, 0, v74, s[62:63]
	v_add_f64 v[74:75], v[32:33], 1.0
	v_add_f64 v[76:77], v[74:75], -1.0
	v_add_f64 v[78:79], v[76:77], -v[74:75]
	v_add_f64 v[78:79], v[78:79], 1.0
	v_add_f64 v[76:77], v[32:33], -v[76:77]
	s_mov_b32 s62, 0x55555555
	v_add_f64 v[76:77], v[76:77], v[78:79]
	v_frexp_mant_f64_e32 v[78:79], v[74:75]
	s_mov_b32 s63, 0x3fe55555
	v_frexp_exp_i32_f64_e32 v35, v[74:75]
	v_cmp_gt_f64_e64 s[62:63], s[62:63], v[78:79]
	s_mov_b32 s73, 0x3c7abc9e
	s_nop 0
	v_subbrev_co_u32_e64 v35, s[62:63], 0, v35, s[62:63]
	v_sub_u32_e32 v78, 0, v35
	v_ldexp_f64 v[74:75], v[74:75], v78
	v_ldexp_f64 v[76:77], v[76:77], v78
	v_add_f64 v[78:79], v[74:75], -1.0
	v_add_f64 v[84:85], v[74:75], 1.0
	v_add_f64 v[80:81], v[78:79], 1.0
	v_add_f64 v[86:87], v[84:85], -1.0
	v_add_f64 v[80:81], v[74:75], -v[80:81]
	v_add_f64 v[74:75], v[74:75], -v[86:87]
	v_add_f64 v[74:75], v[76:77], v[74:75]
	v_add_f64 v[80:81], v[76:77], v[80:81]
	;; [unrolled: 1-line block ×3, first 2 shown]
	v_rcp_f64_e32 v[86:87], v[76:77]
	v_add_f64 v[82:83], v[78:79], v[80:81]
	v_add_f64 v[78:79], v[82:83], -v[78:79]
	v_add_f64 v[78:79], v[80:81], -v[78:79]
	v_add_f64 v[80:81], v[76:77], -v[84:85]
	v_add_f64 v[74:75], v[74:75], -v[80:81]
	v_fma_f64 v[80:81], -v[76:77], v[86:87], 1.0
	v_fmac_f64_e32 v[86:87], v[80:81], v[86:87]
	v_fma_f64 v[80:81], -v[76:77], v[86:87], 1.0
	v_fmac_f64_e32 v[86:87], v[80:81], v[86:87]
	v_mul_f64 v[80:81], v[82:83], v[86:87]
	v_mul_f64 v[84:85], v[76:77], v[80:81]
	v_fma_f64 v[88:89], v[80:81], v[76:77], -v[84:85]
	v_fmac_f64_e32 v[88:89], v[80:81], v[74:75]
	v_add_f64 v[90:91], v[84:85], v[88:89]
	v_add_f64 v[92:93], v[82:83], -v[90:91]
	v_add_f64 v[82:83], v[82:83], -v[92:93]
	;; [unrolled: 1-line block ×4, first 2 shown]
	v_add_f64 v[78:79], v[78:79], v[82:83]
	v_add_f64 v[82:83], v[84:85], -v[88:89]
	v_add_f64 v[78:79], v[82:83], v[78:79]
	v_add_f64 v[82:83], v[92:93], v[78:79]
	v_add_f64 v[84:85], v[92:93], -v[82:83]
	v_add_f64 v[78:79], v[78:79], v[84:85]
	v_mul_f64 v[84:85], v[86:87], v[82:83]
	v_mul_f64 v[88:89], v[76:77], v[84:85]
	v_fma_f64 v[76:77], v[84:85], v[76:77], -v[88:89]
	v_fmac_f64_e32 v[76:77], v[84:85], v[74:75]
	v_add_f64 v[74:75], v[88:89], v[76:77]
	v_add_f64 v[90:91], v[82:83], -v[74:75]
	v_add_f64 v[82:83], v[82:83], -v[90:91]
	;; [unrolled: 1-line block ×4, first 2 shown]
	v_add_f64 v[74:75], v[78:79], v[74:75]
	v_add_f64 v[76:77], v[88:89], -v[76:77]
	v_add_f64 v[74:75], v[76:77], v[74:75]
	v_add_f64 v[76:77], v[80:81], v[84:85]
	;; [unrolled: 1-line block ×3, first 2 shown]
	v_add_f64 v[78:79], v[76:77], -v[80:81]
	v_mul_f64 v[74:75], v[86:87], v[74:75]
	v_add_f64 v[78:79], v[84:85], -v[78:79]
	v_add_f64 v[74:75], v[78:79], v[74:75]
	v_add_f64 v[78:79], v[76:77], v[74:75]
	v_add_f64 v[76:77], v[78:79], -v[76:77]
	s_mov_b32 s62, 0xbf559e2b
	v_add_f64 v[74:75], v[74:75], -v[76:77]
	v_mul_f64 v[76:77], v[78:79], v[78:79]
	v_mov_b32_e32 v80, 0x6b47b09a
	v_mov_b32_e32 v81, 0x3fc38538
	s_mov_b32 s63, 0x3fc3ab76
	v_fmac_f64_e32 v[80:81], s[62:63], v[76:77]
	v_mov_b32_e32 v82, 0xd7f4df2e
	v_mov_b32_e32 v83, 0x3fc7474d
	v_fmac_f64_e32 v[82:83], v[76:77], v[80:81]
	v_mov_b32_e32 v80, 0x16291751
	v_mov_b32_e32 v81, 0x3fcc71c0
	v_fmac_f64_e32 v[80:81], v[76:77], v[82:83]
	v_mov_b32_e32 v82, 0x9b27acf1
	v_mov_b32_e32 v83, 0x3fd24924
	v_fmac_f64_e32 v[82:83], v[76:77], v[80:81]
	v_mov_b32_e32 v80, 0x998ef7b6
	v_mov_b32_e32 v81, 0x3fd99999
	v_fmac_f64_e32 v[80:81], v[76:77], v[82:83]
	v_mov_b32_e32 v82, 0x55555780
	v_mov_b32_e32 v83, 0x3fe55555
	v_fmac_f64_e32 v[82:83], v[76:77], v[80:81]
	v_cvt_f64_i32_e32 v[80:81], v35
	v_mul_f64 v[84:85], v[80:81], s[70:71]
	v_fma_f64 v[86:87], v[80:81], s[70:71], -v[84:85]
	v_fmac_f64_e32 v[86:87], s[72:73], v[80:81]
	v_add_f64 v[80:81], v[84:85], v[86:87]
	v_add_f64 v[84:85], v[80:81], -v[84:85]
	v_mul_f64 v[76:77], v[78:79], v[76:77]
	v_add_f64 v[84:85], v[86:87], -v[84:85]
	v_ldexp_f64 v[86:87], v[78:79], 1
	v_mul_f64 v[76:77], v[76:77], v[82:83]
	v_add_f64 v[78:79], v[86:87], v[76:77]
	v_add_f64 v[82:83], v[78:79], -v[86:87]
	v_ldexp_f64 v[74:75], v[74:75], 1
	v_add_f64 v[76:77], v[76:77], -v[82:83]
	v_add_f64 v[74:75], v[74:75], v[76:77]
	v_add_f64 v[76:77], v[78:79], v[74:75]
	v_add_f64 v[78:79], v[76:77], -v[78:79]
	v_add_f64 v[74:75], v[74:75], -v[78:79]
	v_add_f64 v[78:79], v[80:81], v[76:77]
	v_add_f64 v[82:83], v[78:79], -v[80:81]
	v_add_f64 v[86:87], v[78:79], -v[82:83]
	;; [unrolled: 1-line block ×4, first 2 shown]
	v_add_f64 v[76:77], v[76:77], v[80:81]
	v_add_f64 v[80:81], v[84:85], v[74:75]
	v_add_f64 v[82:83], v[80:81], -v[84:85]
	v_add_f64 v[76:77], v[80:81], v[76:77]
	v_add_f64 v[86:87], v[80:81], -v[82:83]
	v_add_f64 v[80:81], v[78:79], v[76:77]
	v_add_f64 v[84:85], v[84:85], -v[86:87]
	v_add_f64 v[74:75], v[74:75], -v[82:83]
	v_add_f64 v[78:79], v[80:81], -v[78:79]
	v_add_f64 v[74:75], v[74:75], v[84:85]
	v_add_f64 v[76:77], v[76:77], -v[78:79]
	s_mov_b32 s62, 0
	v_add_f64 v[74:75], v[74:75], v[76:77]
	s_mov_b32 s63, 0x7ff00000
	v_add_f64 v[74:75], v[80:81], v[74:75]
	v_cmp_eq_f64_e64 s[62:63], s[62:63], v[32:33]
	s_nop 1
	v_cndmask_b32_e64 v35, v74, v32, s[62:63]
	v_cndmask_b32_e64 v74, v75, v33, s[62:63]
	v_mov_b32_e32 v75, 0x7ff80000
	v_cmp_ngt_f64_e64 s[62:63], -1.0, v[32:33]
	s_nop 1
	v_cndmask_b32_e64 v75, v75, v74, s[62:63]
	v_cmp_nge_f64_e64 s[62:63], -1.0, v[32:33]
	s_nop 1
	v_cndmask_b32_e64 v74, 0, v35, s[62:63]
	v_mov_b32_e32 v35, 0xfff00000
	v_cmp_neq_f64_e64 s[62:63], -1.0, v[32:33]
	s_nop 1
	v_cndmask_b32_e64 v75, v35, v75, s[62:63]
	v_add_f64 v[32:33], v[30:31], v[74:75]
.LBB20_93:
	s_or_b64 exec, exec, s[66:67]
	ds_read_b64 v[30:31], v1 offset:16
	v_max_f64 v[76:77], v[32:33], v[32:33]
	v_cmp_u_f64_e64 s[62:63], v[32:33], v[32:33]
	ds_write_b64 v1, v[32:33] offset:8
	s_waitcnt lgkmcnt(1)
	v_max_f64 v[78:79], v[30:31], v[30:31]
	v_min_f64 v[74:75], v[76:77], v[78:79]
	v_cndmask_b32_e64 v35, v74, v32, s[62:63]
	v_cndmask_b32_e64 v74, v75, v33, s[62:63]
	v_cmp_u_f64_e64 s[64:65], v[30:31], v[30:31]
	v_max_f64 v[76:77], v[76:77], v[78:79]
	s_nop 0
	v_cndmask_b32_e64 v75, v74, v31, s[64:65]
	v_cndmask_b32_e64 v74, v35, v30, s[64:65]
	;; [unrolled: 1-line block ×6, first 2 shown]
	v_cmp_neq_f64_e64 s[62:63], v[74:75], v[30:31]
	v_cmp_class_f64_e64 s[64:65], v[74:75], s33
	s_or_b64 s[62:63], s[62:63], s[64:65]
	s_and_saveexec_b64 s[66:67], s[62:63]
	s_cbranch_execz .LBB20_95
; %bb.94:
	s_mov_b32 s62, 0x652b82fe
	v_add_f64 v[32:33], v[74:75], -v[30:31]
	s_mov_b32 s63, 0x3ff71547
	v_mul_f64 v[74:75], v[32:33], s[62:63]
	v_rndne_f64_e32 v[74:75], v[74:75]
	s_mov_b32 s71, 0xbfe62e42
	s_mov_b32 s70, 0xfefa39ef
	v_fma_f64 v[76:77], s[70:71], v[74:75], v[32:33]
	s_mov_b32 s73, 0xbc7abc9e
	s_mov_b32 s72, 0x3b39803f
	;; [unrolled: 1-line block ×3, first 2 shown]
	v_fmac_f64_e32 v[76:77], s[72:73], v[74:75]
	v_mov_b32_e32 v78, 0xfca7ab0c
	v_mov_b32_e32 v79, 0x3e928af3
	s_mov_b32 s63, 0x3e5ade15
	v_fmac_f64_e32 v[78:79], s[62:63], v[76:77]
	v_mov_b32_e32 v80, 0x623fde64
	v_mov_b32_e32 v81, 0x3ec71dee
	v_fmac_f64_e32 v[80:81], v[76:77], v[78:79]
	v_mov_b32_e32 v78, 0x7c89e6b0
	v_mov_b32_e32 v79, 0x3efa0199
	;; [unrolled: 3-line block ×8, first 2 shown]
	v_fmac_f64_e32 v[78:79], v[76:77], v[80:81]
	v_fma_f64 v[78:79], v[76:77], v[78:79], 1.0
	s_mov_b32 s62, 0
	s_mov_b32 s64, 0
	v_fma_f64 v[76:77], v[76:77], v[78:79], 1.0
	v_cvt_i32_f64_e32 v35, v[74:75]
	s_mov_b32 s63, 0x40900000
	s_mov_b32 s65, 0xc090cc00
	v_ldexp_f64 v[74:75], v[76:77], v35
	v_mov_b32_e32 v35, 0x7ff00000
	v_cmp_nlt_f64_e64 s[62:63], s[62:63], v[32:33]
	v_cmp_ngt_f64_e64 s[64:65], s[64:65], v[32:33]
	s_mov_b32 s71, 0x3fe62e42
	v_cndmask_b32_e64 v35, v35, v75, s[62:63]
	s_and_b64 s[62:63], s[64:65], s[62:63]
	v_cndmask_b32_e64 v33, 0, v35, s[64:65]
	v_cndmask_b32_e64 v32, 0, v74, s[62:63]
	v_add_f64 v[74:75], v[32:33], 1.0
	v_add_f64 v[76:77], v[74:75], -1.0
	v_add_f64 v[78:79], v[76:77], -v[74:75]
	v_add_f64 v[78:79], v[78:79], 1.0
	v_add_f64 v[76:77], v[32:33], -v[76:77]
	s_mov_b32 s62, 0x55555555
	v_add_f64 v[76:77], v[76:77], v[78:79]
	v_frexp_mant_f64_e32 v[78:79], v[74:75]
	s_mov_b32 s63, 0x3fe55555
	v_frexp_exp_i32_f64_e32 v35, v[74:75]
	v_cmp_gt_f64_e64 s[62:63], s[62:63], v[78:79]
	s_mov_b32 s73, 0x3c7abc9e
	s_nop 0
	v_subbrev_co_u32_e64 v35, s[62:63], 0, v35, s[62:63]
	v_sub_u32_e32 v78, 0, v35
	v_ldexp_f64 v[74:75], v[74:75], v78
	v_ldexp_f64 v[76:77], v[76:77], v78
	v_add_f64 v[78:79], v[74:75], -1.0
	v_add_f64 v[84:85], v[74:75], 1.0
	v_add_f64 v[80:81], v[78:79], 1.0
	v_add_f64 v[86:87], v[84:85], -1.0
	v_add_f64 v[80:81], v[74:75], -v[80:81]
	v_add_f64 v[74:75], v[74:75], -v[86:87]
	v_add_f64 v[74:75], v[76:77], v[74:75]
	v_add_f64 v[80:81], v[76:77], v[80:81]
	v_add_f64 v[76:77], v[84:85], v[74:75]
	v_rcp_f64_e32 v[86:87], v[76:77]
	v_add_f64 v[82:83], v[78:79], v[80:81]
	v_add_f64 v[78:79], v[82:83], -v[78:79]
	v_add_f64 v[78:79], v[80:81], -v[78:79]
	;; [unrolled: 1-line block ×4, first 2 shown]
	v_fma_f64 v[80:81], -v[76:77], v[86:87], 1.0
	v_fmac_f64_e32 v[86:87], v[80:81], v[86:87]
	v_fma_f64 v[80:81], -v[76:77], v[86:87], 1.0
	v_fmac_f64_e32 v[86:87], v[80:81], v[86:87]
	v_mul_f64 v[80:81], v[82:83], v[86:87]
	v_mul_f64 v[84:85], v[76:77], v[80:81]
	v_fma_f64 v[88:89], v[80:81], v[76:77], -v[84:85]
	v_fmac_f64_e32 v[88:89], v[80:81], v[74:75]
	v_add_f64 v[90:91], v[84:85], v[88:89]
	v_add_f64 v[92:93], v[82:83], -v[90:91]
	v_add_f64 v[82:83], v[82:83], -v[92:93]
	;; [unrolled: 1-line block ×4, first 2 shown]
	v_add_f64 v[78:79], v[78:79], v[82:83]
	v_add_f64 v[82:83], v[84:85], -v[88:89]
	v_add_f64 v[78:79], v[82:83], v[78:79]
	v_add_f64 v[82:83], v[92:93], v[78:79]
	v_add_f64 v[84:85], v[92:93], -v[82:83]
	v_add_f64 v[78:79], v[78:79], v[84:85]
	v_mul_f64 v[84:85], v[86:87], v[82:83]
	v_mul_f64 v[88:89], v[76:77], v[84:85]
	v_fma_f64 v[76:77], v[84:85], v[76:77], -v[88:89]
	v_fmac_f64_e32 v[76:77], v[84:85], v[74:75]
	v_add_f64 v[74:75], v[88:89], v[76:77]
	v_add_f64 v[90:91], v[82:83], -v[74:75]
	v_add_f64 v[82:83], v[82:83], -v[90:91]
	;; [unrolled: 1-line block ×4, first 2 shown]
	v_add_f64 v[74:75], v[78:79], v[74:75]
	v_add_f64 v[76:77], v[88:89], -v[76:77]
	v_add_f64 v[74:75], v[76:77], v[74:75]
	v_add_f64 v[76:77], v[80:81], v[84:85]
	v_add_f64 v[74:75], v[90:91], v[74:75]
	v_add_f64 v[78:79], v[76:77], -v[80:81]
	v_mul_f64 v[74:75], v[86:87], v[74:75]
	v_add_f64 v[78:79], v[84:85], -v[78:79]
	v_add_f64 v[74:75], v[78:79], v[74:75]
	v_add_f64 v[78:79], v[76:77], v[74:75]
	v_add_f64 v[76:77], v[78:79], -v[76:77]
	s_mov_b32 s62, 0xbf559e2b
	v_add_f64 v[74:75], v[74:75], -v[76:77]
	v_mul_f64 v[76:77], v[78:79], v[78:79]
	v_mov_b32_e32 v80, 0x6b47b09a
	v_mov_b32_e32 v81, 0x3fc38538
	s_mov_b32 s63, 0x3fc3ab76
	v_fmac_f64_e32 v[80:81], s[62:63], v[76:77]
	v_mov_b32_e32 v82, 0xd7f4df2e
	v_mov_b32_e32 v83, 0x3fc7474d
	v_fmac_f64_e32 v[82:83], v[76:77], v[80:81]
	v_mov_b32_e32 v80, 0x16291751
	v_mov_b32_e32 v81, 0x3fcc71c0
	;; [unrolled: 3-line block ×5, first 2 shown]
	v_fmac_f64_e32 v[82:83], v[76:77], v[80:81]
	v_cvt_f64_i32_e32 v[80:81], v35
	v_mul_f64 v[84:85], v[80:81], s[70:71]
	v_fma_f64 v[86:87], v[80:81], s[70:71], -v[84:85]
	v_fmac_f64_e32 v[86:87], s[72:73], v[80:81]
	v_add_f64 v[80:81], v[84:85], v[86:87]
	v_add_f64 v[84:85], v[80:81], -v[84:85]
	v_mul_f64 v[76:77], v[78:79], v[76:77]
	v_add_f64 v[84:85], v[86:87], -v[84:85]
	v_ldexp_f64 v[86:87], v[78:79], 1
	v_mul_f64 v[76:77], v[76:77], v[82:83]
	v_add_f64 v[78:79], v[86:87], v[76:77]
	v_add_f64 v[82:83], v[78:79], -v[86:87]
	v_ldexp_f64 v[74:75], v[74:75], 1
	v_add_f64 v[76:77], v[76:77], -v[82:83]
	v_add_f64 v[74:75], v[74:75], v[76:77]
	v_add_f64 v[76:77], v[78:79], v[74:75]
	v_add_f64 v[78:79], v[76:77], -v[78:79]
	v_add_f64 v[74:75], v[74:75], -v[78:79]
	v_add_f64 v[78:79], v[80:81], v[76:77]
	v_add_f64 v[82:83], v[78:79], -v[80:81]
	v_add_f64 v[86:87], v[78:79], -v[82:83]
	;; [unrolled: 1-line block ×4, first 2 shown]
	v_add_f64 v[76:77], v[76:77], v[80:81]
	v_add_f64 v[80:81], v[84:85], v[74:75]
	v_add_f64 v[82:83], v[80:81], -v[84:85]
	v_add_f64 v[76:77], v[80:81], v[76:77]
	v_add_f64 v[86:87], v[80:81], -v[82:83]
	;; [unrolled: 2-line block ×3, first 2 shown]
	v_add_f64 v[74:75], v[74:75], -v[82:83]
	v_add_f64 v[78:79], v[80:81], -v[78:79]
	v_add_f64 v[74:75], v[74:75], v[84:85]
	v_add_f64 v[76:77], v[76:77], -v[78:79]
	s_mov_b32 s62, 0
	v_add_f64 v[74:75], v[74:75], v[76:77]
	s_mov_b32 s63, 0x7ff00000
	v_add_f64 v[74:75], v[80:81], v[74:75]
	v_cmp_eq_f64_e64 s[62:63], s[62:63], v[32:33]
	s_nop 1
	v_cndmask_b32_e64 v35, v74, v32, s[62:63]
	v_cndmask_b32_e64 v74, v75, v33, s[62:63]
	v_mov_b32_e32 v75, 0x7ff80000
	v_cmp_ngt_f64_e64 s[62:63], -1.0, v[32:33]
	s_nop 1
	v_cndmask_b32_e64 v75, v75, v74, s[62:63]
	v_cmp_nge_f64_e64 s[62:63], -1.0, v[32:33]
	s_nop 1
	v_cndmask_b32_e64 v74, 0, v35, s[62:63]
	v_mov_b32_e32 v35, 0xfff00000
	v_cmp_neq_f64_e64 s[62:63], -1.0, v[32:33]
	s_nop 1
	v_cndmask_b32_e64 v75, v35, v75, s[62:63]
	v_add_f64 v[32:33], v[30:31], v[74:75]
.LBB20_95:
	s_or_b64 exec, exec, s[66:67]
	ds_read_b64 v[30:31], v1 offset:24
	v_max_f64 v[76:77], v[32:33], v[32:33]
	v_cmp_u_f64_e64 s[62:63], v[32:33], v[32:33]
	ds_write_b64 v1, v[32:33] offset:16
	s_waitcnt lgkmcnt(1)
	v_max_f64 v[78:79], v[30:31], v[30:31]
	v_min_f64 v[74:75], v[76:77], v[78:79]
	v_cndmask_b32_e64 v35, v74, v32, s[62:63]
	v_cndmask_b32_e64 v74, v75, v33, s[62:63]
	v_cmp_u_f64_e64 s[64:65], v[30:31], v[30:31]
	v_max_f64 v[76:77], v[76:77], v[78:79]
	s_nop 0
	v_cndmask_b32_e64 v75, v74, v31, s[64:65]
	v_cndmask_b32_e64 v74, v35, v30, s[64:65]
	;; [unrolled: 1-line block ×6, first 2 shown]
	v_cmp_neq_f64_e64 s[62:63], v[74:75], v[30:31]
	v_cmp_class_f64_e64 s[64:65], v[74:75], s33
	s_or_b64 s[62:63], s[62:63], s[64:65]
	s_and_saveexec_b64 s[66:67], s[62:63]
	s_cbranch_execz .LBB20_97
; %bb.96:
	s_mov_b32 s62, 0x652b82fe
	v_add_f64 v[32:33], v[74:75], -v[30:31]
	s_mov_b32 s63, 0x3ff71547
	v_mul_f64 v[74:75], v[32:33], s[62:63]
	v_rndne_f64_e32 v[74:75], v[74:75]
	s_mov_b32 s71, 0xbfe62e42
	s_mov_b32 s70, 0xfefa39ef
	v_fma_f64 v[76:77], s[70:71], v[74:75], v[32:33]
	s_mov_b32 s73, 0xbc7abc9e
	s_mov_b32 s72, 0x3b39803f
	;; [unrolled: 1-line block ×3, first 2 shown]
	v_fmac_f64_e32 v[76:77], s[72:73], v[74:75]
	v_mov_b32_e32 v78, 0xfca7ab0c
	v_mov_b32_e32 v79, 0x3e928af3
	s_mov_b32 s63, 0x3e5ade15
	v_fmac_f64_e32 v[78:79], s[62:63], v[76:77]
	v_mov_b32_e32 v80, 0x623fde64
	v_mov_b32_e32 v81, 0x3ec71dee
	v_fmac_f64_e32 v[80:81], v[76:77], v[78:79]
	v_mov_b32_e32 v78, 0x7c89e6b0
	v_mov_b32_e32 v79, 0x3efa0199
	;; [unrolled: 3-line block ×8, first 2 shown]
	v_fmac_f64_e32 v[78:79], v[76:77], v[80:81]
	v_fma_f64 v[78:79], v[76:77], v[78:79], 1.0
	s_mov_b32 s62, 0
	s_mov_b32 s64, 0
	v_fma_f64 v[76:77], v[76:77], v[78:79], 1.0
	v_cvt_i32_f64_e32 v35, v[74:75]
	s_mov_b32 s63, 0x40900000
	s_mov_b32 s65, 0xc090cc00
	v_ldexp_f64 v[74:75], v[76:77], v35
	v_mov_b32_e32 v35, 0x7ff00000
	v_cmp_nlt_f64_e64 s[62:63], s[62:63], v[32:33]
	v_cmp_ngt_f64_e64 s[64:65], s[64:65], v[32:33]
	s_mov_b32 s71, 0x3fe62e42
	v_cndmask_b32_e64 v35, v35, v75, s[62:63]
	s_and_b64 s[62:63], s[64:65], s[62:63]
	v_cndmask_b32_e64 v33, 0, v35, s[64:65]
	v_cndmask_b32_e64 v32, 0, v74, s[62:63]
	v_add_f64 v[74:75], v[32:33], 1.0
	v_add_f64 v[76:77], v[74:75], -1.0
	v_add_f64 v[78:79], v[76:77], -v[74:75]
	v_add_f64 v[78:79], v[78:79], 1.0
	v_add_f64 v[76:77], v[32:33], -v[76:77]
	s_mov_b32 s62, 0x55555555
	v_add_f64 v[76:77], v[76:77], v[78:79]
	v_frexp_mant_f64_e32 v[78:79], v[74:75]
	s_mov_b32 s63, 0x3fe55555
	v_frexp_exp_i32_f64_e32 v35, v[74:75]
	v_cmp_gt_f64_e64 s[62:63], s[62:63], v[78:79]
	s_mov_b32 s73, 0x3c7abc9e
	s_nop 0
	v_subbrev_co_u32_e64 v35, s[62:63], 0, v35, s[62:63]
	v_sub_u32_e32 v78, 0, v35
	v_ldexp_f64 v[74:75], v[74:75], v78
	v_ldexp_f64 v[76:77], v[76:77], v78
	v_add_f64 v[78:79], v[74:75], -1.0
	v_add_f64 v[84:85], v[74:75], 1.0
	v_add_f64 v[80:81], v[78:79], 1.0
	v_add_f64 v[86:87], v[84:85], -1.0
	v_add_f64 v[80:81], v[74:75], -v[80:81]
	v_add_f64 v[74:75], v[74:75], -v[86:87]
	v_add_f64 v[74:75], v[76:77], v[74:75]
	v_add_f64 v[80:81], v[76:77], v[80:81]
	;; [unrolled: 1-line block ×3, first 2 shown]
	v_rcp_f64_e32 v[86:87], v[76:77]
	v_add_f64 v[82:83], v[78:79], v[80:81]
	v_add_f64 v[78:79], v[82:83], -v[78:79]
	v_add_f64 v[78:79], v[80:81], -v[78:79]
	;; [unrolled: 1-line block ×4, first 2 shown]
	v_fma_f64 v[80:81], -v[76:77], v[86:87], 1.0
	v_fmac_f64_e32 v[86:87], v[80:81], v[86:87]
	v_fma_f64 v[80:81], -v[76:77], v[86:87], 1.0
	v_fmac_f64_e32 v[86:87], v[80:81], v[86:87]
	v_mul_f64 v[80:81], v[82:83], v[86:87]
	v_mul_f64 v[84:85], v[76:77], v[80:81]
	v_fma_f64 v[88:89], v[80:81], v[76:77], -v[84:85]
	v_fmac_f64_e32 v[88:89], v[80:81], v[74:75]
	v_add_f64 v[90:91], v[84:85], v[88:89]
	v_add_f64 v[92:93], v[82:83], -v[90:91]
	v_add_f64 v[82:83], v[82:83], -v[92:93]
	;; [unrolled: 1-line block ×4, first 2 shown]
	v_add_f64 v[78:79], v[78:79], v[82:83]
	v_add_f64 v[82:83], v[84:85], -v[88:89]
	v_add_f64 v[78:79], v[82:83], v[78:79]
	v_add_f64 v[82:83], v[92:93], v[78:79]
	v_add_f64 v[84:85], v[92:93], -v[82:83]
	v_add_f64 v[78:79], v[78:79], v[84:85]
	v_mul_f64 v[84:85], v[86:87], v[82:83]
	v_mul_f64 v[88:89], v[76:77], v[84:85]
	v_fma_f64 v[76:77], v[84:85], v[76:77], -v[88:89]
	v_fmac_f64_e32 v[76:77], v[84:85], v[74:75]
	v_add_f64 v[74:75], v[88:89], v[76:77]
	v_add_f64 v[90:91], v[82:83], -v[74:75]
	v_add_f64 v[82:83], v[82:83], -v[90:91]
	;; [unrolled: 1-line block ×4, first 2 shown]
	v_add_f64 v[74:75], v[78:79], v[74:75]
	v_add_f64 v[76:77], v[88:89], -v[76:77]
	v_add_f64 v[74:75], v[76:77], v[74:75]
	v_add_f64 v[76:77], v[80:81], v[84:85]
	;; [unrolled: 1-line block ×3, first 2 shown]
	v_add_f64 v[78:79], v[76:77], -v[80:81]
	v_mul_f64 v[74:75], v[86:87], v[74:75]
	v_add_f64 v[78:79], v[84:85], -v[78:79]
	v_add_f64 v[74:75], v[78:79], v[74:75]
	v_add_f64 v[78:79], v[76:77], v[74:75]
	v_add_f64 v[76:77], v[78:79], -v[76:77]
	s_mov_b32 s62, 0xbf559e2b
	v_add_f64 v[74:75], v[74:75], -v[76:77]
	v_mul_f64 v[76:77], v[78:79], v[78:79]
	v_mov_b32_e32 v80, 0x6b47b09a
	v_mov_b32_e32 v81, 0x3fc38538
	s_mov_b32 s63, 0x3fc3ab76
	v_fmac_f64_e32 v[80:81], s[62:63], v[76:77]
	v_mov_b32_e32 v82, 0xd7f4df2e
	v_mov_b32_e32 v83, 0x3fc7474d
	v_fmac_f64_e32 v[82:83], v[76:77], v[80:81]
	v_mov_b32_e32 v80, 0x16291751
	v_mov_b32_e32 v81, 0x3fcc71c0
	;; [unrolled: 3-line block ×5, first 2 shown]
	v_fmac_f64_e32 v[82:83], v[76:77], v[80:81]
	v_cvt_f64_i32_e32 v[80:81], v35
	v_mul_f64 v[84:85], v[80:81], s[70:71]
	v_fma_f64 v[86:87], v[80:81], s[70:71], -v[84:85]
	v_fmac_f64_e32 v[86:87], s[72:73], v[80:81]
	v_add_f64 v[80:81], v[84:85], v[86:87]
	v_add_f64 v[84:85], v[80:81], -v[84:85]
	v_mul_f64 v[76:77], v[78:79], v[76:77]
	v_add_f64 v[84:85], v[86:87], -v[84:85]
	v_ldexp_f64 v[86:87], v[78:79], 1
	v_mul_f64 v[76:77], v[76:77], v[82:83]
	v_add_f64 v[78:79], v[86:87], v[76:77]
	v_add_f64 v[82:83], v[78:79], -v[86:87]
	v_ldexp_f64 v[74:75], v[74:75], 1
	v_add_f64 v[76:77], v[76:77], -v[82:83]
	v_add_f64 v[74:75], v[74:75], v[76:77]
	v_add_f64 v[76:77], v[78:79], v[74:75]
	v_add_f64 v[78:79], v[76:77], -v[78:79]
	v_add_f64 v[74:75], v[74:75], -v[78:79]
	v_add_f64 v[78:79], v[80:81], v[76:77]
	v_add_f64 v[82:83], v[78:79], -v[80:81]
	v_add_f64 v[86:87], v[78:79], -v[82:83]
	;; [unrolled: 1-line block ×4, first 2 shown]
	v_add_f64 v[76:77], v[76:77], v[80:81]
	v_add_f64 v[80:81], v[84:85], v[74:75]
	v_add_f64 v[82:83], v[80:81], -v[84:85]
	v_add_f64 v[76:77], v[80:81], v[76:77]
	v_add_f64 v[86:87], v[80:81], -v[82:83]
	;; [unrolled: 2-line block ×3, first 2 shown]
	v_add_f64 v[74:75], v[74:75], -v[82:83]
	v_add_f64 v[78:79], v[80:81], -v[78:79]
	v_add_f64 v[74:75], v[74:75], v[84:85]
	v_add_f64 v[76:77], v[76:77], -v[78:79]
	s_mov_b32 s62, 0
	v_add_f64 v[74:75], v[74:75], v[76:77]
	s_mov_b32 s63, 0x7ff00000
	v_add_f64 v[74:75], v[80:81], v[74:75]
	v_cmp_eq_f64_e64 s[62:63], s[62:63], v[32:33]
	s_nop 1
	v_cndmask_b32_e64 v35, v74, v32, s[62:63]
	v_cndmask_b32_e64 v74, v75, v33, s[62:63]
	v_mov_b32_e32 v75, 0x7ff80000
	v_cmp_ngt_f64_e64 s[62:63], -1.0, v[32:33]
	s_nop 1
	v_cndmask_b32_e64 v75, v75, v74, s[62:63]
	v_cmp_nge_f64_e64 s[62:63], -1.0, v[32:33]
	s_nop 1
	v_cndmask_b32_e64 v74, 0, v35, s[62:63]
	v_mov_b32_e32 v35, 0xfff00000
	v_cmp_neq_f64_e64 s[62:63], -1.0, v[32:33]
	s_nop 1
	v_cndmask_b32_e64 v75, v35, v75, s[62:63]
	v_add_f64 v[32:33], v[30:31], v[74:75]
.LBB20_97:
	s_or_b64 exec, exec, s[66:67]
	ds_write_b64 v1, v[32:33] offset:24
.LBB20_98:
	s_or_b64 exec, exec, s[68:69]
	s_load_dwordx2 s[62:63], s[0:1], 0x20
	v_mul_u32_u24_e32 v35, 0x70, v0
	v_cmp_ne_u32_e64 s[0:1], 0, v0
	s_waitcnt lgkmcnt(0)
	s_barrier
	s_and_saveexec_b64 s[64:65], s[0:1]
	s_cbranch_execz .LBB20_100
; %bb.99:
	v_add_u32_e32 v0, -1, v0
	v_lshrrev_b32_e32 v1, 5, v0
	v_add_lshl_u32 v0, v1, v0, 3
	ds_read_b64 v[72:73], v0
.LBB20_100:
	s_or_b64 exec, exec, s[64:65]
	s_and_saveexec_b64 s[64:65], s[0:1]
	s_cbranch_execz .LBB20_104
; %bb.101:
	s_waitcnt lgkmcnt(0)
	v_max_f64 v[0:1], v[72:73], v[72:73]
	v_min_f64 v[30:31], v[0:1], v[68:69]
	v_cmp_u_f64_e64 s[0:1], v[72:73], v[72:73]
	v_max_f64 v[0:1], v[0:1], v[68:69]
	s_nop 0
	v_cndmask_b32_e64 v30, v30, v72, s[0:1]
	v_cndmask_b32_e64 v31, v31, v73, s[0:1]
	v_cndmask_b32_e64 v0, v0, v72, s[0:1]
	v_cndmask_b32_e64 v1, v1, v73, s[0:1]
	v_cndmask_b32_e64 v31, v31, v3, s[60:61]
	v_cndmask_b32_e64 v30, v30, v2, s[60:61]
	v_cndmask_b32_e64 v1, v1, v3, s[60:61]
	v_cndmask_b32_e64 v0, v0, v2, s[60:61]
	v_cmp_neq_f64_e64 s[0:1], v[30:31], v[0:1]
	v_cmp_class_f64_e64 s[60:61], v[30:31], s33
	s_or_b64 s[0:1], s[0:1], s[60:61]
	s_and_saveexec_b64 s[66:67], s[0:1]
	s_cbranch_execz .LBB20_103
; %bb.102:
	s_mov_b32 s0, 0x652b82fe
	v_add_f64 v[2:3], v[30:31], -v[0:1]
	s_mov_b32 s1, 0x3ff71547
	v_mul_f64 v[30:31], v[2:3], s[0:1]
	v_rndne_f64_e32 v[30:31], v[30:31]
	s_mov_b32 s69, 0xbfe62e42
	s_mov_b32 s68, 0xfefa39ef
	v_fma_f64 v[32:33], s[68:69], v[30:31], v[2:3]
	s_mov_b32 s71, 0xbc7abc9e
	s_mov_b32 s70, 0x3b39803f
	s_mov_b32 s0, 0x6a5dcb37
	v_fmac_f64_e32 v[32:33], s[70:71], v[30:31]
	v_mov_b32_e32 v66, 0xfca7ab0c
	v_mov_b32_e32 v67, 0x3e928af3
	s_mov_b32 s1, 0x3e5ade15
	v_fmac_f64_e32 v[66:67], s[0:1], v[32:33]
	v_mov_b32_e32 v68, 0x623fde64
	v_mov_b32_e32 v69, 0x3ec71dee
	v_fmac_f64_e32 v[68:69], v[32:33], v[66:67]
	v_mov_b32_e32 v66, 0x7c89e6b0
	v_mov_b32_e32 v67, 0x3efa0199
	;; [unrolled: 3-line block ×8, first 2 shown]
	v_fmac_f64_e32 v[66:67], v[32:33], v[68:69]
	v_fma_f64 v[66:67], v[32:33], v[66:67], 1.0
	s_mov_b32 s0, 0
	s_mov_b32 s60, 0
	v_fma_f64 v[32:33], v[32:33], v[66:67], 1.0
	v_cvt_i32_f64_e32 v30, v[30:31]
	s_mov_b32 s1, 0x40900000
	s_mov_b32 s61, 0xc090cc00
	v_ldexp_f64 v[30:31], v[32:33], v30
	v_mov_b32_e32 v32, 0x7ff00000
	v_cmp_nlt_f64_e64 s[0:1], s[0:1], v[2:3]
	v_cmp_ngt_f64_e64 s[60:61], s[60:61], v[2:3]
	s_mov_b32 s69, 0x3fe62e42
	v_cndmask_b32_e64 v31, v32, v31, s[0:1]
	s_and_b64 s[0:1], s[60:61], s[0:1]
	v_cndmask_b32_e64 v3, 0, v31, s[60:61]
	v_cndmask_b32_e64 v2, 0, v30, s[0:1]
	v_add_f64 v[30:31], v[2:3], 1.0
	v_add_f64 v[32:33], v[30:31], -1.0
	v_add_f64 v[66:67], v[32:33], -v[30:31]
	v_add_f64 v[66:67], v[66:67], 1.0
	v_add_f64 v[32:33], v[2:3], -v[32:33]
	s_mov_b32 s0, 0x55555555
	v_add_f64 v[32:33], v[32:33], v[66:67]
	v_frexp_mant_f64_e32 v[66:67], v[30:31]
	s_mov_b32 s1, 0x3fe55555
	v_frexp_exp_i32_f64_e32 v68, v[30:31]
	v_cmp_gt_f64_e64 s[0:1], s[0:1], v[66:67]
	s_mov_b32 s71, 0x3c7abc9e
	s_nop 0
	v_subbrev_co_u32_e64 v82, s[0:1], 0, v68, s[0:1]
	v_sub_u32_e32 v66, 0, v82
	v_ldexp_f64 v[30:31], v[30:31], v66
	v_ldexp_f64 v[32:33], v[32:33], v66
	v_add_f64 v[66:67], v[30:31], -1.0
	v_add_f64 v[72:73], v[30:31], 1.0
	v_add_f64 v[68:69], v[66:67], 1.0
	v_add_f64 v[74:75], v[72:73], -1.0
	v_add_f64 v[68:69], v[30:31], -v[68:69]
	v_add_f64 v[30:31], v[30:31], -v[74:75]
	v_add_f64 v[30:31], v[32:33], v[30:31]
	v_add_f64 v[68:69], v[32:33], v[68:69]
	;; [unrolled: 1-line block ×3, first 2 shown]
	v_rcp_f64_e32 v[74:75], v[32:33]
	v_add_f64 v[70:71], v[66:67], v[68:69]
	v_add_f64 v[66:67], v[70:71], -v[66:67]
	v_add_f64 v[66:67], v[68:69], -v[66:67]
	;; [unrolled: 1-line block ×4, first 2 shown]
	v_fma_f64 v[68:69], -v[32:33], v[74:75], 1.0
	v_fmac_f64_e32 v[74:75], v[68:69], v[74:75]
	v_fma_f64 v[68:69], -v[32:33], v[74:75], 1.0
	v_fmac_f64_e32 v[74:75], v[68:69], v[74:75]
	v_mul_f64 v[68:69], v[70:71], v[74:75]
	v_mul_f64 v[72:73], v[32:33], v[68:69]
	v_fma_f64 v[76:77], v[68:69], v[32:33], -v[72:73]
	v_fmac_f64_e32 v[76:77], v[68:69], v[30:31]
	v_add_f64 v[78:79], v[72:73], v[76:77]
	v_add_f64 v[80:81], v[70:71], -v[78:79]
	v_add_f64 v[70:71], v[70:71], -v[80:81]
	;; [unrolled: 1-line block ×4, first 2 shown]
	v_add_f64 v[66:67], v[66:67], v[70:71]
	v_add_f64 v[70:71], v[72:73], -v[76:77]
	v_add_f64 v[66:67], v[70:71], v[66:67]
	v_add_f64 v[70:71], v[80:81], v[66:67]
	v_add_f64 v[72:73], v[80:81], -v[70:71]
	v_add_f64 v[66:67], v[66:67], v[72:73]
	v_mul_f64 v[72:73], v[74:75], v[70:71]
	v_mul_f64 v[76:77], v[32:33], v[72:73]
	v_fma_f64 v[32:33], v[72:73], v[32:33], -v[76:77]
	v_fmac_f64_e32 v[32:33], v[72:73], v[30:31]
	v_add_f64 v[30:31], v[76:77], v[32:33]
	v_add_f64 v[78:79], v[70:71], -v[30:31]
	v_add_f64 v[70:71], v[70:71], -v[78:79]
	;; [unrolled: 1-line block ×4, first 2 shown]
	v_add_f64 v[30:31], v[66:67], v[30:31]
	v_add_f64 v[32:33], v[76:77], -v[32:33]
	v_add_f64 v[30:31], v[32:33], v[30:31]
	v_add_f64 v[32:33], v[68:69], v[72:73]
	;; [unrolled: 1-line block ×3, first 2 shown]
	v_add_f64 v[66:67], v[32:33], -v[68:69]
	v_mul_f64 v[30:31], v[74:75], v[30:31]
	v_add_f64 v[66:67], v[72:73], -v[66:67]
	v_add_f64 v[30:31], v[66:67], v[30:31]
	v_add_f64 v[66:67], v[32:33], v[30:31]
	v_add_f64 v[32:33], v[66:67], -v[32:33]
	s_mov_b32 s0, 0xbf559e2b
	v_add_f64 v[30:31], v[30:31], -v[32:33]
	v_mul_f64 v[32:33], v[66:67], v[66:67]
	v_mov_b32_e32 v68, 0x6b47b09a
	v_mov_b32_e32 v69, 0x3fc38538
	s_mov_b32 s1, 0x3fc3ab76
	v_fmac_f64_e32 v[68:69], s[0:1], v[32:33]
	v_mov_b32_e32 v70, 0xd7f4df2e
	v_mov_b32_e32 v71, 0x3fc7474d
	v_fmac_f64_e32 v[70:71], v[32:33], v[68:69]
	v_mov_b32_e32 v68, 0x16291751
	v_mov_b32_e32 v69, 0x3fcc71c0
	;; [unrolled: 3-line block ×5, first 2 shown]
	v_fmac_f64_e32 v[70:71], v[32:33], v[68:69]
	v_cvt_f64_i32_e32 v[68:69], v82
	v_mul_f64 v[72:73], v[68:69], s[68:69]
	v_fma_f64 v[74:75], v[68:69], s[68:69], -v[72:73]
	v_fmac_f64_e32 v[74:75], s[70:71], v[68:69]
	v_add_f64 v[68:69], v[72:73], v[74:75]
	v_add_f64 v[72:73], v[68:69], -v[72:73]
	v_mul_f64 v[32:33], v[66:67], v[32:33]
	v_add_f64 v[72:73], v[74:75], -v[72:73]
	v_ldexp_f64 v[74:75], v[66:67], 1
	v_mul_f64 v[32:33], v[32:33], v[70:71]
	v_add_f64 v[66:67], v[74:75], v[32:33]
	v_add_f64 v[70:71], v[66:67], -v[74:75]
	v_ldexp_f64 v[30:31], v[30:31], 1
	v_add_f64 v[32:33], v[32:33], -v[70:71]
	v_add_f64 v[30:31], v[30:31], v[32:33]
	v_add_f64 v[32:33], v[66:67], v[30:31]
	v_add_f64 v[66:67], v[32:33], -v[66:67]
	v_add_f64 v[30:31], v[30:31], -v[66:67]
	v_add_f64 v[66:67], v[68:69], v[32:33]
	v_add_f64 v[70:71], v[66:67], -v[68:69]
	v_add_f64 v[74:75], v[66:67], -v[70:71]
	v_add_f64 v[68:69], v[68:69], -v[74:75]
	v_add_f64 v[32:33], v[32:33], -v[70:71]
	v_add_f64 v[32:33], v[32:33], v[68:69]
	v_add_f64 v[68:69], v[72:73], v[30:31]
	v_add_f64 v[70:71], v[68:69], -v[72:73]
	v_add_f64 v[32:33], v[68:69], v[32:33]
	v_add_f64 v[74:75], v[68:69], -v[70:71]
	;; [unrolled: 2-line block ×3, first 2 shown]
	v_add_f64 v[30:31], v[30:31], -v[70:71]
	v_add_f64 v[66:67], v[68:69], -v[66:67]
	v_add_f64 v[30:31], v[30:31], v[72:73]
	v_add_f64 v[32:33], v[32:33], -v[66:67]
	s_mov_b32 s0, 0
	v_add_f64 v[30:31], v[30:31], v[32:33]
	s_mov_b32 s1, 0x7ff00000
	v_add_f64 v[30:31], v[68:69], v[30:31]
	v_cmp_eq_f64_e64 s[0:1], s[0:1], v[2:3]
	v_mov_b32_e32 v32, 0x7ff80000
	s_nop 0
	v_cndmask_b32_e64 v30, v30, v2, s[0:1]
	v_cndmask_b32_e64 v31, v31, v3, s[0:1]
	v_cmp_ngt_f64_e64 s[0:1], -1.0, v[2:3]
	s_nop 1
	v_cndmask_b32_e64 v31, v32, v31, s[0:1]
	v_cmp_nge_f64_e64 s[0:1], -1.0, v[2:3]
	v_mov_b32_e32 v32, 0xfff00000
	s_nop 0
	v_cndmask_b32_e64 v30, 0, v30, s[0:1]
	v_cmp_neq_f64_e64 s[0:1], -1.0, v[2:3]
	s_nop 1
	v_cndmask_b32_e64 v31, v32, v31, s[0:1]
	v_add_f64 v[72:73], v[0:1], v[30:31]
.LBB20_103:
	s_or_b64 exec, exec, s[66:67]
	v_max_f64 v[0:1], v[72:73], v[72:73]
	v_min_f64 v[66:67], v[0:1], v[42:43]
	v_max_f64 v[70:71], v[0:1], v[42:43]
	v_mov_b64_e32 v[2:3], v[72:73]
	;;#ASMSTART
	;;#ASMEND
.LBB20_104:
	s_or_b64 exec, exec, s[64:65]
	v_cmp_u_f64_e64 s[0:1], v[2:3], v[2:3]
	s_nop 1
	v_cndmask_b32_e64 v0, v66, v2, s[0:1]
	v_cndmask_b32_e64 v1, v67, v3, s[0:1]
	;; [unrolled: 1-line block ×8, first 2 shown]
	v_cmp_neq_f64_e64 s[0:1], v[30:31], v[4:5]
	v_cmp_class_f64_e64 s[28:29], v[30:31], s33
	s_or_b64 s[0:1], s[0:1], s[28:29]
	v_mov_b64_e32 v[0:1], v[2:3]
	s_and_saveexec_b64 s[60:61], s[0:1]
	s_cbranch_execz .LBB20_106
; %bb.105:
	s_mov_b32 s0, 0x652b82fe
	v_add_f64 v[0:1], v[30:31], -v[4:5]
	s_mov_b32 s1, 0x3ff71547
	v_mul_f64 v[30:31], v[0:1], s[0:1]
	v_rndne_f64_e32 v[30:31], v[30:31]
	s_mov_b32 s65, 0xbfe62e42
	s_mov_b32 s64, 0xfefa39ef
	v_fma_f64 v[32:33], s[64:65], v[30:31], v[0:1]
	s_mov_b32 s67, 0xbc7abc9e
	s_mov_b32 s66, 0x3b39803f
	;; [unrolled: 1-line block ×3, first 2 shown]
	v_fmac_f64_e32 v[32:33], s[66:67], v[30:31]
	v_mov_b32_e32 v42, 0xfca7ab0c
	v_mov_b32_e32 v43, 0x3e928af3
	s_mov_b32 s1, 0x3e5ade15
	v_fmac_f64_e32 v[42:43], s[0:1], v[32:33]
	v_mov_b32_e32 v66, 0x623fde64
	v_mov_b32_e32 v67, 0x3ec71dee
	v_fmac_f64_e32 v[66:67], v[32:33], v[42:43]
	v_mov_b32_e32 v42, 0x7c89e6b0
	v_mov_b32_e32 v43, 0x3efa0199
	;; [unrolled: 3-line block ×8, first 2 shown]
	v_fmac_f64_e32 v[42:43], v[32:33], v[66:67]
	v_fma_f64 v[42:43], v[32:33], v[42:43], 1.0
	s_mov_b32 s0, 0
	s_mov_b32 s28, 0
	v_fma_f64 v[32:33], v[32:33], v[42:43], 1.0
	v_cvt_i32_f64_e32 v30, v[30:31]
	s_mov_b32 s1, 0x40900000
	s_mov_b32 s29, 0xc090cc00
	v_ldexp_f64 v[30:31], v[32:33], v30
	v_mov_b32_e32 v32, 0x7ff00000
	v_cmp_nlt_f64_e64 s[0:1], s[0:1], v[0:1]
	v_cmp_ngt_f64_e64 s[28:29], s[28:29], v[0:1]
	s_mov_b32 s65, 0x3fe62e42
	v_cndmask_b32_e64 v31, v32, v31, s[0:1]
	s_and_b64 s[0:1], s[28:29], s[0:1]
	v_cndmask_b32_e64 v1, 0, v31, s[28:29]
	v_cndmask_b32_e64 v0, 0, v30, s[0:1]
	v_add_f64 v[30:31], v[0:1], 1.0
	v_add_f64 v[32:33], v[30:31], -1.0
	v_add_f64 v[42:43], v[32:33], -v[30:31]
	v_add_f64 v[42:43], v[42:43], 1.0
	v_add_f64 v[32:33], v[0:1], -v[32:33]
	s_mov_b32 s0, 0x55555555
	v_add_f64 v[32:33], v[32:33], v[42:43]
	v_frexp_mant_f64_e32 v[42:43], v[30:31]
	s_mov_b32 s1, 0x3fe55555
	v_frexp_exp_i32_f64_e32 v66, v[30:31]
	v_cmp_gt_f64_e64 s[0:1], s[0:1], v[42:43]
	s_mov_b32 s67, 0x3c7abc9e
	s_nop 0
	v_subbrev_co_u32_e64 v80, s[0:1], 0, v66, s[0:1]
	v_sub_u32_e32 v42, 0, v80
	v_ldexp_f64 v[30:31], v[30:31], v42
	v_ldexp_f64 v[32:33], v[32:33], v42
	v_add_f64 v[42:43], v[30:31], -1.0
	v_add_f64 v[70:71], v[30:31], 1.0
	v_add_f64 v[66:67], v[42:43], 1.0
	s_waitcnt lgkmcnt(0)
	v_add_f64 v[72:73], v[70:71], -1.0
	v_add_f64 v[66:67], v[30:31], -v[66:67]
	v_add_f64 v[30:31], v[30:31], -v[72:73]
	v_add_f64 v[30:31], v[32:33], v[30:31]
	v_add_f64 v[66:67], v[32:33], v[66:67]
	v_add_f64 v[32:33], v[70:71], v[30:31]
	v_rcp_f64_e32 v[72:73], v[32:33]
	v_add_f64 v[68:69], v[42:43], v[66:67]
	v_add_f64 v[42:43], v[68:69], -v[42:43]
	v_add_f64 v[42:43], v[66:67], -v[42:43]
	v_add_f64 v[66:67], v[32:33], -v[70:71]
	v_add_f64 v[30:31], v[30:31], -v[66:67]
	v_fma_f64 v[66:67], -v[32:33], v[72:73], 1.0
	v_fmac_f64_e32 v[72:73], v[66:67], v[72:73]
	v_fma_f64 v[66:67], -v[32:33], v[72:73], 1.0
	v_fmac_f64_e32 v[72:73], v[66:67], v[72:73]
	v_mul_f64 v[66:67], v[68:69], v[72:73]
	v_mul_f64 v[70:71], v[32:33], v[66:67]
	v_fma_f64 v[74:75], v[66:67], v[32:33], -v[70:71]
	v_fmac_f64_e32 v[74:75], v[66:67], v[30:31]
	v_add_f64 v[76:77], v[70:71], v[74:75]
	v_add_f64 v[78:79], v[68:69], -v[76:77]
	v_add_f64 v[68:69], v[68:69], -v[78:79]
	;; [unrolled: 1-line block ×4, first 2 shown]
	v_add_f64 v[42:43], v[42:43], v[68:69]
	v_add_f64 v[68:69], v[70:71], -v[74:75]
	v_add_f64 v[42:43], v[68:69], v[42:43]
	v_add_f64 v[68:69], v[78:79], v[42:43]
	v_add_f64 v[70:71], v[78:79], -v[68:69]
	v_add_f64 v[42:43], v[42:43], v[70:71]
	v_mul_f64 v[70:71], v[72:73], v[68:69]
	v_mul_f64 v[74:75], v[32:33], v[70:71]
	v_fma_f64 v[32:33], v[70:71], v[32:33], -v[74:75]
	v_fmac_f64_e32 v[32:33], v[70:71], v[30:31]
	v_add_f64 v[30:31], v[74:75], v[32:33]
	v_add_f64 v[76:77], v[68:69], -v[30:31]
	v_add_f64 v[68:69], v[68:69], -v[76:77]
	;; [unrolled: 1-line block ×4, first 2 shown]
	v_add_f64 v[30:31], v[42:43], v[30:31]
	v_add_f64 v[32:33], v[74:75], -v[32:33]
	v_add_f64 v[30:31], v[32:33], v[30:31]
	v_add_f64 v[32:33], v[66:67], v[70:71]
	;; [unrolled: 1-line block ×3, first 2 shown]
	v_add_f64 v[42:43], v[32:33], -v[66:67]
	v_mul_f64 v[30:31], v[72:73], v[30:31]
	v_add_f64 v[42:43], v[70:71], -v[42:43]
	v_add_f64 v[30:31], v[42:43], v[30:31]
	v_add_f64 v[42:43], v[32:33], v[30:31]
	v_add_f64 v[32:33], v[42:43], -v[32:33]
	s_mov_b32 s0, 0xbf559e2b
	v_add_f64 v[30:31], v[30:31], -v[32:33]
	v_mul_f64 v[32:33], v[42:43], v[42:43]
	v_mov_b32_e32 v66, 0x6b47b09a
	v_mov_b32_e32 v67, 0x3fc38538
	s_mov_b32 s1, 0x3fc3ab76
	v_fmac_f64_e32 v[66:67], s[0:1], v[32:33]
	v_mov_b32_e32 v68, 0xd7f4df2e
	v_mov_b32_e32 v69, 0x3fc7474d
	v_fmac_f64_e32 v[68:69], v[32:33], v[66:67]
	v_mov_b32_e32 v66, 0x16291751
	v_mov_b32_e32 v67, 0x3fcc71c0
	;; [unrolled: 3-line block ×5, first 2 shown]
	v_fmac_f64_e32 v[68:69], v[32:33], v[66:67]
	v_cvt_f64_i32_e32 v[66:67], v80
	v_mul_f64 v[70:71], v[66:67], s[64:65]
	v_fma_f64 v[72:73], v[66:67], s[64:65], -v[70:71]
	v_fmac_f64_e32 v[72:73], s[66:67], v[66:67]
	v_add_f64 v[66:67], v[70:71], v[72:73]
	v_add_f64 v[70:71], v[66:67], -v[70:71]
	v_mul_f64 v[32:33], v[42:43], v[32:33]
	v_add_f64 v[70:71], v[72:73], -v[70:71]
	v_ldexp_f64 v[72:73], v[42:43], 1
	v_mul_f64 v[32:33], v[32:33], v[68:69]
	v_add_f64 v[42:43], v[72:73], v[32:33]
	v_add_f64 v[68:69], v[42:43], -v[72:73]
	v_ldexp_f64 v[30:31], v[30:31], 1
	v_add_f64 v[32:33], v[32:33], -v[68:69]
	v_add_f64 v[30:31], v[30:31], v[32:33]
	v_add_f64 v[32:33], v[42:43], v[30:31]
	v_add_f64 v[42:43], v[32:33], -v[42:43]
	v_add_f64 v[30:31], v[30:31], -v[42:43]
	v_add_f64 v[42:43], v[66:67], v[32:33]
	v_add_f64 v[68:69], v[42:43], -v[66:67]
	v_add_f64 v[72:73], v[42:43], -v[68:69]
	;; [unrolled: 1-line block ×4, first 2 shown]
	v_add_f64 v[32:33], v[32:33], v[66:67]
	v_add_f64 v[66:67], v[70:71], v[30:31]
	v_add_f64 v[68:69], v[66:67], -v[70:71]
	v_add_f64 v[32:33], v[66:67], v[32:33]
	v_add_f64 v[72:73], v[66:67], -v[68:69]
	v_add_f64 v[66:67], v[42:43], v[32:33]
	v_add_f64 v[70:71], v[70:71], -v[72:73]
	v_add_f64 v[30:31], v[30:31], -v[68:69]
	v_add_f64 v[42:43], v[66:67], -v[42:43]
	v_add_f64 v[30:31], v[30:31], v[70:71]
	v_add_f64 v[32:33], v[32:33], -v[42:43]
	s_mov_b32 s0, 0
	v_add_f64 v[30:31], v[30:31], v[32:33]
	s_mov_b32 s1, 0x7ff00000
	v_add_f64 v[30:31], v[66:67], v[30:31]
	v_cmp_eq_f64_e64 s[0:1], s[0:1], v[0:1]
	v_mov_b32_e32 v32, 0x7ff80000
	s_nop 0
	v_cndmask_b32_e64 v30, v30, v0, s[0:1]
	v_cndmask_b32_e64 v31, v31, v1, s[0:1]
	v_cmp_ngt_f64_e64 s[0:1], -1.0, v[0:1]
	s_nop 1
	v_cndmask_b32_e64 v31, v32, v31, s[0:1]
	v_cmp_nge_f64_e64 s[0:1], -1.0, v[0:1]
	v_mov_b32_e32 v32, 0xfff00000
	s_nop 0
	v_cndmask_b32_e64 v30, 0, v30, s[0:1]
	v_cmp_neq_f64_e64 s[0:1], -1.0, v[0:1]
	s_nop 1
	v_cndmask_b32_e64 v31, v32, v31, s[0:1]
	v_add_f64 v[0:1], v[4:5], v[30:31]
.LBB20_106:
	s_or_b64 exec, exec, s[60:61]
	v_max_f64 v[4:5], v[0:1], v[0:1]
	v_min_f64 v[30:31], v[4:5], v[38:39]
	v_cmp_u_f64_e64 s[0:1], v[0:1], v[0:1]
	v_max_f64 v[4:5], v[4:5], v[38:39]
	s_nop 0
	v_cndmask_b32_e64 v30, v30, v0, s[0:1]
	v_cndmask_b32_e64 v31, v31, v1, s[0:1]
	;; [unrolled: 1-line block ×8, first 2 shown]
	v_cmp_neq_f64_e64 s[0:1], v[30:31], v[26:27]
	v_cmp_class_f64_e64 s[28:29], v[30:31], s33
	s_or_b64 s[0:1], s[0:1], s[28:29]
	v_mov_b64_e32 v[4:5], v[0:1]
	s_and_saveexec_b64 s[30:31], s[0:1]
	s_cbranch_execz .LBB20_108
; %bb.107:
	s_mov_b32 s0, 0x652b82fe
	v_add_f64 v[4:5], v[30:31], -v[26:27]
	s_mov_b32 s1, 0x3ff71547
	v_mul_f64 v[30:31], v[4:5], s[0:1]
	v_rndne_f64_e32 v[30:31], v[30:31]
	s_mov_b32 s61, 0xbfe62e42
	s_mov_b32 s60, 0xfefa39ef
	v_fma_f64 v[32:33], s[60:61], v[30:31], v[4:5]
	s_mov_b32 s65, 0xbc7abc9e
	s_mov_b32 s64, 0x3b39803f
	;; [unrolled: 1-line block ×3, first 2 shown]
	v_fmac_f64_e32 v[32:33], s[64:65], v[30:31]
	v_mov_b32_e32 v38, 0xfca7ab0c
	v_mov_b32_e32 v39, 0x3e928af3
	s_mov_b32 s1, 0x3e5ade15
	v_fmac_f64_e32 v[38:39], s[0:1], v[32:33]
	v_mov_b32_e32 v42, 0x623fde64
	v_mov_b32_e32 v43, 0x3ec71dee
	v_fmac_f64_e32 v[42:43], v[32:33], v[38:39]
	v_mov_b32_e32 v38, 0x7c89e6b0
	v_mov_b32_e32 v39, 0x3efa0199
	;; [unrolled: 3-line block ×8, first 2 shown]
	v_fmac_f64_e32 v[38:39], v[32:33], v[42:43]
	v_fma_f64 v[38:39], v[32:33], v[38:39], 1.0
	s_mov_b32 s0, 0
	s_mov_b32 s28, 0
	v_fma_f64 v[32:33], v[32:33], v[38:39], 1.0
	v_cvt_i32_f64_e32 v30, v[30:31]
	s_mov_b32 s1, 0x40900000
	s_mov_b32 s29, 0xc090cc00
	v_ldexp_f64 v[30:31], v[32:33], v30
	v_mov_b32_e32 v32, 0x7ff00000
	v_cmp_nlt_f64_e64 s[0:1], s[0:1], v[4:5]
	v_cmp_ngt_f64_e64 s[28:29], s[28:29], v[4:5]
	s_mov_b32 s61, 0x3fe62e42
	v_cndmask_b32_e64 v31, v32, v31, s[0:1]
	s_and_b64 s[0:1], s[28:29], s[0:1]
	v_cndmask_b32_e64 v5, 0, v31, s[28:29]
	v_cndmask_b32_e64 v4, 0, v30, s[0:1]
	v_add_f64 v[30:31], v[4:5], 1.0
	v_add_f64 v[32:33], v[30:31], -1.0
	v_add_f64 v[38:39], v[32:33], -v[30:31]
	v_add_f64 v[38:39], v[38:39], 1.0
	v_add_f64 v[32:33], v[4:5], -v[32:33]
	s_mov_b32 s0, 0x55555555
	v_add_f64 v[32:33], v[32:33], v[38:39]
	v_frexp_mant_f64_e32 v[38:39], v[30:31]
	s_mov_b32 s1, 0x3fe55555
	v_frexp_exp_i32_f64_e32 v42, v[30:31]
	v_cmp_gt_f64_e64 s[0:1], s[0:1], v[38:39]
	s_mov_b32 s65, 0x3c7abc9e
	s_nop 0
	v_subbrev_co_u32_e64 v78, s[0:1], 0, v42, s[0:1]
	v_sub_u32_e32 v38, 0, v78
	v_ldexp_f64 v[30:31], v[30:31], v38
	v_ldexp_f64 v[32:33], v[32:33], v38
	v_add_f64 v[38:39], v[30:31], -1.0
	v_add_f64 v[68:69], v[30:31], 1.0
	v_add_f64 v[42:43], v[38:39], 1.0
	v_add_f64 v[70:71], v[68:69], -1.0
	v_add_f64 v[42:43], v[30:31], -v[42:43]
	v_add_f64 v[30:31], v[30:31], -v[70:71]
	v_add_f64 v[30:31], v[32:33], v[30:31]
	v_add_f64 v[42:43], v[32:33], v[42:43]
	;; [unrolled: 1-line block ×3, first 2 shown]
	v_rcp_f64_e32 v[70:71], v[32:33]
	v_add_f64 v[66:67], v[38:39], v[42:43]
	v_add_f64 v[38:39], v[66:67], -v[38:39]
	v_add_f64 v[38:39], v[42:43], -v[38:39]
	;; [unrolled: 1-line block ×4, first 2 shown]
	v_fma_f64 v[42:43], -v[32:33], v[70:71], 1.0
	v_fmac_f64_e32 v[70:71], v[42:43], v[70:71]
	v_fma_f64 v[42:43], -v[32:33], v[70:71], 1.0
	v_fmac_f64_e32 v[70:71], v[42:43], v[70:71]
	v_mul_f64 v[42:43], v[66:67], v[70:71]
	v_mul_f64 v[68:69], v[32:33], v[42:43]
	s_waitcnt lgkmcnt(0)
	v_fma_f64 v[72:73], v[42:43], v[32:33], -v[68:69]
	v_fmac_f64_e32 v[72:73], v[42:43], v[30:31]
	v_add_f64 v[74:75], v[68:69], v[72:73]
	v_add_f64 v[76:77], v[66:67], -v[74:75]
	v_add_f64 v[66:67], v[66:67], -v[76:77]
	;; [unrolled: 1-line block ×4, first 2 shown]
	v_add_f64 v[38:39], v[38:39], v[66:67]
	v_add_f64 v[66:67], v[68:69], -v[72:73]
	v_add_f64 v[38:39], v[66:67], v[38:39]
	v_add_f64 v[66:67], v[76:77], v[38:39]
	v_add_f64 v[68:69], v[76:77], -v[66:67]
	v_add_f64 v[38:39], v[38:39], v[68:69]
	v_mul_f64 v[68:69], v[70:71], v[66:67]
	v_mul_f64 v[72:73], v[32:33], v[68:69]
	v_fma_f64 v[32:33], v[68:69], v[32:33], -v[72:73]
	v_fmac_f64_e32 v[32:33], v[68:69], v[30:31]
	v_add_f64 v[30:31], v[72:73], v[32:33]
	v_add_f64 v[74:75], v[66:67], -v[30:31]
	v_add_f64 v[66:67], v[66:67], -v[74:75]
	;; [unrolled: 1-line block ×4, first 2 shown]
	v_add_f64 v[30:31], v[38:39], v[30:31]
	v_add_f64 v[32:33], v[72:73], -v[32:33]
	v_add_f64 v[30:31], v[32:33], v[30:31]
	v_add_f64 v[32:33], v[42:43], v[68:69]
	;; [unrolled: 1-line block ×3, first 2 shown]
	v_add_f64 v[38:39], v[32:33], -v[42:43]
	v_mul_f64 v[30:31], v[70:71], v[30:31]
	v_add_f64 v[38:39], v[68:69], -v[38:39]
	v_add_f64 v[30:31], v[38:39], v[30:31]
	v_add_f64 v[38:39], v[32:33], v[30:31]
	v_add_f64 v[32:33], v[38:39], -v[32:33]
	s_mov_b32 s0, 0xbf559e2b
	v_add_f64 v[30:31], v[30:31], -v[32:33]
	v_mul_f64 v[32:33], v[38:39], v[38:39]
	v_mov_b32_e32 v42, 0x6b47b09a
	v_mov_b32_e32 v43, 0x3fc38538
	s_mov_b32 s1, 0x3fc3ab76
	v_fmac_f64_e32 v[42:43], s[0:1], v[32:33]
	v_mov_b32_e32 v66, 0xd7f4df2e
	v_mov_b32_e32 v67, 0x3fc7474d
	v_fmac_f64_e32 v[66:67], v[32:33], v[42:43]
	v_mov_b32_e32 v42, 0x16291751
	v_mov_b32_e32 v43, 0x3fcc71c0
	;; [unrolled: 3-line block ×5, first 2 shown]
	v_fmac_f64_e32 v[66:67], v[32:33], v[42:43]
	v_cvt_f64_i32_e32 v[42:43], v78
	v_mul_f64 v[68:69], v[42:43], s[60:61]
	v_fma_f64 v[70:71], v[42:43], s[60:61], -v[68:69]
	v_fmac_f64_e32 v[70:71], s[64:65], v[42:43]
	v_add_f64 v[42:43], v[68:69], v[70:71]
	v_add_f64 v[68:69], v[42:43], -v[68:69]
	v_mul_f64 v[32:33], v[38:39], v[32:33]
	v_add_f64 v[68:69], v[70:71], -v[68:69]
	v_ldexp_f64 v[70:71], v[38:39], 1
	v_mul_f64 v[32:33], v[32:33], v[66:67]
	v_add_f64 v[38:39], v[70:71], v[32:33]
	v_add_f64 v[66:67], v[38:39], -v[70:71]
	v_ldexp_f64 v[30:31], v[30:31], 1
	v_add_f64 v[32:33], v[32:33], -v[66:67]
	v_add_f64 v[30:31], v[30:31], v[32:33]
	v_add_f64 v[32:33], v[38:39], v[30:31]
	v_add_f64 v[38:39], v[32:33], -v[38:39]
	v_add_f64 v[30:31], v[30:31], -v[38:39]
	v_add_f64 v[38:39], v[42:43], v[32:33]
	v_add_f64 v[66:67], v[38:39], -v[42:43]
	v_add_f64 v[70:71], v[38:39], -v[66:67]
	;; [unrolled: 1-line block ×4, first 2 shown]
	v_add_f64 v[32:33], v[32:33], v[42:43]
	v_add_f64 v[42:43], v[68:69], v[30:31]
	v_add_f64 v[66:67], v[42:43], -v[68:69]
	v_add_f64 v[32:33], v[42:43], v[32:33]
	v_add_f64 v[70:71], v[42:43], -v[66:67]
	;; [unrolled: 2-line block ×3, first 2 shown]
	v_add_f64 v[30:31], v[30:31], -v[66:67]
	v_add_f64 v[38:39], v[42:43], -v[38:39]
	v_add_f64 v[30:31], v[30:31], v[68:69]
	v_add_f64 v[32:33], v[32:33], -v[38:39]
	s_mov_b32 s0, 0
	v_add_f64 v[30:31], v[30:31], v[32:33]
	s_mov_b32 s1, 0x7ff00000
	v_add_f64 v[30:31], v[42:43], v[30:31]
	v_cmp_eq_f64_e64 s[0:1], s[0:1], v[4:5]
	v_mov_b32_e32 v32, 0x7ff80000
	s_nop 0
	v_cndmask_b32_e64 v30, v30, v4, s[0:1]
	v_cndmask_b32_e64 v31, v31, v5, s[0:1]
	v_cmp_ngt_f64_e64 s[0:1], -1.0, v[4:5]
	s_nop 1
	v_cndmask_b32_e64 v31, v32, v31, s[0:1]
	v_cmp_nge_f64_e64 s[0:1], -1.0, v[4:5]
	v_mov_b32_e32 v32, 0xfff00000
	s_nop 0
	v_cndmask_b32_e64 v30, 0, v30, s[0:1]
	v_cmp_neq_f64_e64 s[0:1], -1.0, v[4:5]
	s_nop 1
	v_cndmask_b32_e64 v31, v32, v31, s[0:1]
	v_add_f64 v[4:5], v[26:27], v[30:31]
.LBB20_108:
	s_or_b64 exec, exec, s[30:31]
	v_max_f64 v[26:27], v[4:5], v[4:5]
	v_min_f64 v[30:31], v[26:27], v[40:41]
	v_cmp_u_f64_e64 s[0:1], v[4:5], v[4:5]
	v_max_f64 v[26:27], v[26:27], v[40:41]
	s_nop 0
	v_cndmask_b32_e64 v30, v30, v4, s[0:1]
	v_cndmask_b32_e64 v31, v31, v5, s[0:1]
	;; [unrolled: 1-line block ×8, first 2 shown]
	v_cmp_neq_f64_e64 s[0:1], v[30:31], v[28:29]
	v_cmp_class_f64_e64 s[28:29], v[30:31], s33
	s_or_b64 s[0:1], s[0:1], s[28:29]
	v_mov_b64_e32 v[26:27], v[4:5]
	s_and_saveexec_b64 s[30:31], s[0:1]
	s_cbranch_execz .LBB20_110
; %bb.109:
	s_mov_b32 s0, 0x652b82fe
	v_add_f64 v[26:27], v[30:31], -v[28:29]
	s_mov_b32 s1, 0x3ff71547
	v_mul_f64 v[30:31], v[26:27], s[0:1]
	v_rndne_f64_e32 v[30:31], v[30:31]
	s_mov_b32 s35, 0xbfe62e42
	s_mov_b32 s34, 0xfefa39ef
	v_fma_f64 v[32:33], s[34:35], v[30:31], v[26:27]
	s_mov_b32 s61, 0xbc7abc9e
	s_mov_b32 s60, 0x3b39803f
	s_mov_b32 s0, 0x6a5dcb37
	v_fmac_f64_e32 v[32:33], s[60:61], v[30:31]
	v_mov_b32_e32 v38, 0xfca7ab0c
	v_mov_b32_e32 v39, 0x3e928af3
	s_mov_b32 s1, 0x3e5ade15
	v_fmac_f64_e32 v[38:39], s[0:1], v[32:33]
	v_mov_b32_e32 v40, 0x623fde64
	v_mov_b32_e32 v41, 0x3ec71dee
	v_fmac_f64_e32 v[40:41], v[32:33], v[38:39]
	v_mov_b32_e32 v38, 0x7c89e6b0
	v_mov_b32_e32 v39, 0x3efa0199
	;; [unrolled: 3-line block ×8, first 2 shown]
	v_fmac_f64_e32 v[38:39], v[32:33], v[40:41]
	v_fma_f64 v[38:39], v[32:33], v[38:39], 1.0
	s_mov_b32 s0, 0
	s_mov_b32 s28, 0
	v_fma_f64 v[32:33], v[32:33], v[38:39], 1.0
	v_cvt_i32_f64_e32 v30, v[30:31]
	s_mov_b32 s1, 0x40900000
	s_mov_b32 s29, 0xc090cc00
	v_ldexp_f64 v[30:31], v[32:33], v30
	v_mov_b32_e32 v32, 0x7ff00000
	v_cmp_nlt_f64_e64 s[0:1], s[0:1], v[26:27]
	v_cmp_ngt_f64_e64 s[28:29], s[28:29], v[26:27]
	s_mov_b32 s35, 0x3fe62e42
	v_cndmask_b32_e64 v31, v32, v31, s[0:1]
	s_and_b64 s[0:1], s[28:29], s[0:1]
	v_cndmask_b32_e64 v27, 0, v31, s[28:29]
	v_cndmask_b32_e64 v26, 0, v30, s[0:1]
	v_add_f64 v[30:31], v[26:27], 1.0
	v_add_f64 v[32:33], v[30:31], -1.0
	v_add_f64 v[38:39], v[32:33], -v[30:31]
	v_add_f64 v[38:39], v[38:39], 1.0
	v_add_f64 v[32:33], v[26:27], -v[32:33]
	s_mov_b32 s0, 0x55555555
	v_add_f64 v[32:33], v[32:33], v[38:39]
	v_frexp_mant_f64_e32 v[38:39], v[30:31]
	s_mov_b32 s1, 0x3fe55555
	v_frexp_exp_i32_f64_e32 v40, v[30:31]
	v_cmp_gt_f64_e64 s[0:1], s[0:1], v[38:39]
	s_mov_b32 s61, 0x3c7abc9e
	s_nop 0
	v_subbrev_co_u32_e64 v76, s[0:1], 0, v40, s[0:1]
	v_sub_u32_e32 v38, 0, v76
	v_ldexp_f64 v[30:31], v[30:31], v38
	v_ldexp_f64 v[32:33], v[32:33], v38
	v_add_f64 v[38:39], v[30:31], -1.0
	v_add_f64 v[66:67], v[30:31], 1.0
	v_add_f64 v[40:41], v[38:39], 1.0
	v_add_f64 v[68:69], v[66:67], -1.0
	v_add_f64 v[40:41], v[30:31], -v[40:41]
	v_add_f64 v[30:31], v[30:31], -v[68:69]
	v_add_f64 v[30:31], v[32:33], v[30:31]
	v_add_f64 v[40:41], v[32:33], v[40:41]
	;; [unrolled: 1-line block ×3, first 2 shown]
	v_rcp_f64_e32 v[68:69], v[32:33]
	v_add_f64 v[42:43], v[38:39], v[40:41]
	v_add_f64 v[38:39], v[42:43], -v[38:39]
	v_add_f64 v[38:39], v[40:41], -v[38:39]
	;; [unrolled: 1-line block ×4, first 2 shown]
	v_fma_f64 v[40:41], -v[32:33], v[68:69], 1.0
	v_fmac_f64_e32 v[68:69], v[40:41], v[68:69]
	v_fma_f64 v[40:41], -v[32:33], v[68:69], 1.0
	v_fmac_f64_e32 v[68:69], v[40:41], v[68:69]
	v_mul_f64 v[40:41], v[42:43], v[68:69]
	v_mul_f64 v[66:67], v[32:33], v[40:41]
	v_fma_f64 v[70:71], v[40:41], v[32:33], -v[66:67]
	v_fmac_f64_e32 v[70:71], v[40:41], v[30:31]
	s_waitcnt lgkmcnt(0)
	v_add_f64 v[72:73], v[66:67], v[70:71]
	v_add_f64 v[74:75], v[42:43], -v[72:73]
	v_add_f64 v[42:43], v[42:43], -v[74:75]
	v_add_f64 v[66:67], v[72:73], -v[66:67]
	v_add_f64 v[42:43], v[42:43], -v[72:73]
	v_add_f64 v[38:39], v[38:39], v[42:43]
	v_add_f64 v[42:43], v[66:67], -v[70:71]
	v_add_f64 v[38:39], v[42:43], v[38:39]
	v_add_f64 v[42:43], v[74:75], v[38:39]
	v_add_f64 v[66:67], v[74:75], -v[42:43]
	v_add_f64 v[38:39], v[38:39], v[66:67]
	v_mul_f64 v[66:67], v[68:69], v[42:43]
	v_mul_f64 v[70:71], v[32:33], v[66:67]
	v_fma_f64 v[32:33], v[66:67], v[32:33], -v[70:71]
	v_fmac_f64_e32 v[32:33], v[66:67], v[30:31]
	v_add_f64 v[30:31], v[70:71], v[32:33]
	v_add_f64 v[72:73], v[42:43], -v[30:31]
	v_add_f64 v[42:43], v[42:43], -v[72:73]
	;; [unrolled: 1-line block ×4, first 2 shown]
	v_add_f64 v[30:31], v[38:39], v[30:31]
	v_add_f64 v[32:33], v[70:71], -v[32:33]
	v_add_f64 v[30:31], v[32:33], v[30:31]
	v_add_f64 v[32:33], v[40:41], v[66:67]
	;; [unrolled: 1-line block ×3, first 2 shown]
	v_add_f64 v[38:39], v[32:33], -v[40:41]
	v_mul_f64 v[30:31], v[68:69], v[30:31]
	v_add_f64 v[38:39], v[66:67], -v[38:39]
	v_add_f64 v[30:31], v[38:39], v[30:31]
	v_add_f64 v[38:39], v[32:33], v[30:31]
	v_add_f64 v[32:33], v[38:39], -v[32:33]
	s_mov_b32 s0, 0xbf559e2b
	v_add_f64 v[30:31], v[30:31], -v[32:33]
	v_mul_f64 v[32:33], v[38:39], v[38:39]
	v_mov_b32_e32 v40, 0x6b47b09a
	v_mov_b32_e32 v41, 0x3fc38538
	s_mov_b32 s1, 0x3fc3ab76
	v_fmac_f64_e32 v[40:41], s[0:1], v[32:33]
	v_mov_b32_e32 v42, 0xd7f4df2e
	v_mov_b32_e32 v43, 0x3fc7474d
	v_fmac_f64_e32 v[42:43], v[32:33], v[40:41]
	v_mov_b32_e32 v40, 0x16291751
	v_mov_b32_e32 v41, 0x3fcc71c0
	;; [unrolled: 3-line block ×5, first 2 shown]
	v_fmac_f64_e32 v[42:43], v[32:33], v[40:41]
	v_cvt_f64_i32_e32 v[40:41], v76
	v_mul_f64 v[66:67], v[40:41], s[34:35]
	v_fma_f64 v[68:69], v[40:41], s[34:35], -v[66:67]
	v_fmac_f64_e32 v[68:69], s[60:61], v[40:41]
	v_add_f64 v[40:41], v[66:67], v[68:69]
	v_add_f64 v[66:67], v[40:41], -v[66:67]
	v_mul_f64 v[32:33], v[38:39], v[32:33]
	v_add_f64 v[66:67], v[68:69], -v[66:67]
	v_ldexp_f64 v[68:69], v[38:39], 1
	v_mul_f64 v[32:33], v[32:33], v[42:43]
	v_add_f64 v[38:39], v[68:69], v[32:33]
	v_add_f64 v[42:43], v[38:39], -v[68:69]
	v_ldexp_f64 v[30:31], v[30:31], 1
	v_add_f64 v[32:33], v[32:33], -v[42:43]
	v_add_f64 v[30:31], v[30:31], v[32:33]
	v_add_f64 v[32:33], v[38:39], v[30:31]
	v_add_f64 v[38:39], v[32:33], -v[38:39]
	v_add_f64 v[30:31], v[30:31], -v[38:39]
	v_add_f64 v[38:39], v[40:41], v[32:33]
	v_add_f64 v[42:43], v[38:39], -v[40:41]
	v_add_f64 v[68:69], v[38:39], -v[42:43]
	;; [unrolled: 1-line block ×4, first 2 shown]
	v_add_f64 v[32:33], v[32:33], v[40:41]
	v_add_f64 v[40:41], v[66:67], v[30:31]
	v_add_f64 v[42:43], v[40:41], -v[66:67]
	v_add_f64 v[32:33], v[40:41], v[32:33]
	v_add_f64 v[68:69], v[40:41], -v[42:43]
	;; [unrolled: 2-line block ×3, first 2 shown]
	v_add_f64 v[30:31], v[30:31], -v[42:43]
	v_add_f64 v[38:39], v[40:41], -v[38:39]
	v_add_f64 v[30:31], v[30:31], v[66:67]
	v_add_f64 v[32:33], v[32:33], -v[38:39]
	s_mov_b32 s0, 0
	v_add_f64 v[30:31], v[30:31], v[32:33]
	s_mov_b32 s1, 0x7ff00000
	v_add_f64 v[30:31], v[40:41], v[30:31]
	v_cmp_eq_f64_e64 s[0:1], s[0:1], v[26:27]
	v_mov_b32_e32 v32, 0x7ff80000
	s_nop 0
	v_cndmask_b32_e64 v30, v30, v26, s[0:1]
	v_cndmask_b32_e64 v31, v31, v27, s[0:1]
	v_cmp_ngt_f64_e64 s[0:1], -1.0, v[26:27]
	s_nop 1
	v_cndmask_b32_e64 v31, v32, v31, s[0:1]
	v_cmp_nge_f64_e64 s[0:1], -1.0, v[26:27]
	v_mov_b32_e32 v32, 0xfff00000
	s_nop 0
	v_cndmask_b32_e64 v30, 0, v30, s[0:1]
	v_cmp_neq_f64_e64 s[0:1], -1.0, v[26:27]
	s_nop 1
	v_cndmask_b32_e64 v31, v32, v31, s[0:1]
	v_add_f64 v[26:27], v[28:29], v[30:31]
.LBB20_110:
	s_or_b64 exec, exec, s[30:31]
	v_max_f64 v[28:29], v[26:27], v[26:27]
	v_min_f64 v[30:31], v[28:29], v[44:45]
	v_cmp_u_f64_e64 s[0:1], v[26:27], v[26:27]
	v_max_f64 v[28:29], v[28:29], v[44:45]
	s_nop 0
	v_cndmask_b32_e64 v30, v30, v26, s[0:1]
	v_cndmask_b32_e64 v31, v31, v27, s[0:1]
	v_cndmask_b32_e64 v28, v28, v26, s[0:1]
	v_cndmask_b32_e64 v29, v29, v27, s[0:1]
	v_cndmask_b32_e64 v31, v31, v23, s[36:37]
	v_cndmask_b32_e64 v30, v30, v22, s[36:37]
	v_cndmask_b32_e64 v29, v29, v23, s[36:37]
	v_cndmask_b32_e64 v28, v28, v22, s[36:37]
	v_cmp_neq_f64_e64 s[0:1], v[30:31], v[28:29]
	v_cmp_class_f64_e64 s[28:29], v[30:31], s33
	s_or_b64 s[0:1], s[0:1], s[28:29]
	v_mov_b64_e32 v[22:23], v[26:27]
	s_and_saveexec_b64 s[30:31], s[0:1]
	s_cbranch_execz .LBB20_112
; %bb.111:
	s_mov_b32 s0, 0x652b82fe
	v_add_f64 v[22:23], v[30:31], -v[28:29]
	s_mov_b32 s1, 0x3ff71547
	v_mul_f64 v[30:31], v[22:23], s[0:1]
	v_rndne_f64_e32 v[30:31], v[30:31]
	s_mov_b32 s35, 0xbfe62e42
	s_mov_b32 s34, 0xfefa39ef
	v_fma_f64 v[32:33], s[34:35], v[30:31], v[22:23]
	s_mov_b32 s37, 0xbc7abc9e
	s_mov_b32 s36, 0x3b39803f
	;; [unrolled: 1-line block ×3, first 2 shown]
	v_fmac_f64_e32 v[32:33], s[36:37], v[30:31]
	v_mov_b32_e32 v38, 0xfca7ab0c
	v_mov_b32_e32 v39, 0x3e928af3
	s_mov_b32 s1, 0x3e5ade15
	v_fmac_f64_e32 v[38:39], s[0:1], v[32:33]
	v_mov_b32_e32 v40, 0x623fde64
	v_mov_b32_e32 v41, 0x3ec71dee
	v_fmac_f64_e32 v[40:41], v[32:33], v[38:39]
	v_mov_b32_e32 v38, 0x7c89e6b0
	v_mov_b32_e32 v39, 0x3efa0199
	;; [unrolled: 3-line block ×8, first 2 shown]
	v_fmac_f64_e32 v[38:39], v[32:33], v[40:41]
	v_fma_f64 v[38:39], v[32:33], v[38:39], 1.0
	s_mov_b32 s0, 0
	s_mov_b32 s28, 0
	v_fma_f64 v[32:33], v[32:33], v[38:39], 1.0
	v_cvt_i32_f64_e32 v30, v[30:31]
	s_mov_b32 s1, 0x40900000
	s_mov_b32 s29, 0xc090cc00
	v_ldexp_f64 v[30:31], v[32:33], v30
	v_mov_b32_e32 v32, 0x7ff00000
	v_cmp_nlt_f64_e64 s[0:1], s[0:1], v[22:23]
	v_cmp_ngt_f64_e64 s[28:29], s[28:29], v[22:23]
	s_mov_b32 s35, 0x3fe62e42
	v_cndmask_b32_e64 v31, v32, v31, s[0:1]
	s_and_b64 s[0:1], s[28:29], s[0:1]
	v_cndmask_b32_e64 v23, 0, v31, s[28:29]
	v_cndmask_b32_e64 v22, 0, v30, s[0:1]
	v_add_f64 v[30:31], v[22:23], 1.0
	v_add_f64 v[32:33], v[30:31], -1.0
	v_add_f64 v[38:39], v[32:33], -v[30:31]
	v_add_f64 v[38:39], v[38:39], 1.0
	v_add_f64 v[32:33], v[22:23], -v[32:33]
	s_mov_b32 s0, 0x55555555
	v_add_f64 v[32:33], v[32:33], v[38:39]
	v_frexp_mant_f64_e32 v[38:39], v[30:31]
	s_mov_b32 s1, 0x3fe55555
	v_frexp_exp_i32_f64_e32 v40, v[30:31]
	v_cmp_gt_f64_e64 s[0:1], s[0:1], v[38:39]
	s_mov_b32 s37, 0x3c7abc9e
	s_nop 0
	v_subbrev_co_u32_e64 v74, s[0:1], 0, v40, s[0:1]
	v_sub_u32_e32 v38, 0, v74
	v_ldexp_f64 v[30:31], v[30:31], v38
	v_ldexp_f64 v[32:33], v[32:33], v38
	v_add_f64 v[38:39], v[30:31], -1.0
	v_add_f64 v[44:45], v[30:31], 1.0
	v_add_f64 v[40:41], v[38:39], 1.0
	v_add_f64 v[66:67], v[44:45], -1.0
	v_add_f64 v[40:41], v[30:31], -v[40:41]
	v_add_f64 v[30:31], v[30:31], -v[66:67]
	v_add_f64 v[30:31], v[32:33], v[30:31]
	v_add_f64 v[40:41], v[32:33], v[40:41]
	;; [unrolled: 1-line block ×3, first 2 shown]
	v_rcp_f64_e32 v[66:67], v[32:33]
	v_add_f64 v[42:43], v[38:39], v[40:41]
	v_add_f64 v[38:39], v[42:43], -v[38:39]
	v_add_f64 v[38:39], v[40:41], -v[38:39]
	;; [unrolled: 1-line block ×4, first 2 shown]
	v_fma_f64 v[40:41], -v[32:33], v[66:67], 1.0
	v_fmac_f64_e32 v[66:67], v[40:41], v[66:67]
	v_fma_f64 v[40:41], -v[32:33], v[66:67], 1.0
	v_fmac_f64_e32 v[66:67], v[40:41], v[66:67]
	v_mul_f64 v[40:41], v[42:43], v[66:67]
	v_mul_f64 v[44:45], v[32:33], v[40:41]
	v_fma_f64 v[68:69], v[40:41], v[32:33], -v[44:45]
	v_fmac_f64_e32 v[68:69], v[40:41], v[30:31]
	v_add_f64 v[70:71], v[44:45], v[68:69]
	s_waitcnt lgkmcnt(0)
	v_add_f64 v[72:73], v[42:43], -v[70:71]
	v_add_f64 v[42:43], v[42:43], -v[72:73]
	;; [unrolled: 1-line block ×4, first 2 shown]
	v_add_f64 v[38:39], v[38:39], v[42:43]
	v_add_f64 v[42:43], v[44:45], -v[68:69]
	v_add_f64 v[38:39], v[42:43], v[38:39]
	v_add_f64 v[42:43], v[72:73], v[38:39]
	v_add_f64 v[44:45], v[72:73], -v[42:43]
	v_add_f64 v[38:39], v[38:39], v[44:45]
	v_mul_f64 v[44:45], v[66:67], v[42:43]
	v_mul_f64 v[68:69], v[32:33], v[44:45]
	v_fma_f64 v[32:33], v[44:45], v[32:33], -v[68:69]
	v_fmac_f64_e32 v[32:33], v[44:45], v[30:31]
	v_add_f64 v[30:31], v[68:69], v[32:33]
	v_add_f64 v[70:71], v[42:43], -v[30:31]
	v_add_f64 v[42:43], v[42:43], -v[70:71]
	;; [unrolled: 1-line block ×4, first 2 shown]
	v_add_f64 v[30:31], v[38:39], v[30:31]
	v_add_f64 v[32:33], v[68:69], -v[32:33]
	v_add_f64 v[30:31], v[32:33], v[30:31]
	v_add_f64 v[32:33], v[40:41], v[44:45]
	;; [unrolled: 1-line block ×3, first 2 shown]
	v_add_f64 v[38:39], v[32:33], -v[40:41]
	v_mul_f64 v[30:31], v[66:67], v[30:31]
	v_add_f64 v[38:39], v[44:45], -v[38:39]
	v_add_f64 v[30:31], v[38:39], v[30:31]
	v_add_f64 v[38:39], v[32:33], v[30:31]
	v_add_f64 v[32:33], v[38:39], -v[32:33]
	s_mov_b32 s0, 0xbf559e2b
	v_add_f64 v[30:31], v[30:31], -v[32:33]
	v_mul_f64 v[32:33], v[38:39], v[38:39]
	v_mov_b32_e32 v40, 0x6b47b09a
	v_mov_b32_e32 v41, 0x3fc38538
	s_mov_b32 s1, 0x3fc3ab76
	v_fmac_f64_e32 v[40:41], s[0:1], v[32:33]
	v_mov_b32_e32 v42, 0xd7f4df2e
	v_mov_b32_e32 v43, 0x3fc7474d
	v_fmac_f64_e32 v[42:43], v[32:33], v[40:41]
	v_mov_b32_e32 v40, 0x16291751
	v_mov_b32_e32 v41, 0x3fcc71c0
	v_fmac_f64_e32 v[40:41], v[32:33], v[42:43]
	v_mov_b32_e32 v42, 0x9b27acf1
	v_mov_b32_e32 v43, 0x3fd24924
	v_fmac_f64_e32 v[42:43], v[32:33], v[40:41]
	v_mov_b32_e32 v40, 0x998ef7b6
	v_mov_b32_e32 v41, 0x3fd99999
	v_fmac_f64_e32 v[40:41], v[32:33], v[42:43]
	v_mov_b32_e32 v42, 0x55555780
	v_mov_b32_e32 v43, 0x3fe55555
	v_fmac_f64_e32 v[42:43], v[32:33], v[40:41]
	v_cvt_f64_i32_e32 v[40:41], v74
	v_mul_f64 v[44:45], v[40:41], s[34:35]
	v_fma_f64 v[66:67], v[40:41], s[34:35], -v[44:45]
	v_fmac_f64_e32 v[66:67], s[36:37], v[40:41]
	v_add_f64 v[40:41], v[44:45], v[66:67]
	v_add_f64 v[44:45], v[40:41], -v[44:45]
	v_mul_f64 v[32:33], v[38:39], v[32:33]
	v_add_f64 v[44:45], v[66:67], -v[44:45]
	v_ldexp_f64 v[66:67], v[38:39], 1
	v_mul_f64 v[32:33], v[32:33], v[42:43]
	v_add_f64 v[38:39], v[66:67], v[32:33]
	v_add_f64 v[42:43], v[38:39], -v[66:67]
	v_ldexp_f64 v[30:31], v[30:31], 1
	v_add_f64 v[32:33], v[32:33], -v[42:43]
	v_add_f64 v[30:31], v[30:31], v[32:33]
	v_add_f64 v[32:33], v[38:39], v[30:31]
	v_add_f64 v[38:39], v[32:33], -v[38:39]
	v_add_f64 v[30:31], v[30:31], -v[38:39]
	v_add_f64 v[38:39], v[40:41], v[32:33]
	v_add_f64 v[42:43], v[38:39], -v[40:41]
	v_add_f64 v[66:67], v[38:39], -v[42:43]
	;; [unrolled: 1-line block ×4, first 2 shown]
	v_add_f64 v[32:33], v[32:33], v[40:41]
	v_add_f64 v[40:41], v[44:45], v[30:31]
	v_add_f64 v[42:43], v[40:41], -v[44:45]
	v_add_f64 v[32:33], v[40:41], v[32:33]
	v_add_f64 v[66:67], v[40:41], -v[42:43]
	;; [unrolled: 2-line block ×3, first 2 shown]
	v_add_f64 v[30:31], v[30:31], -v[42:43]
	v_add_f64 v[38:39], v[40:41], -v[38:39]
	v_add_f64 v[30:31], v[30:31], v[44:45]
	v_add_f64 v[32:33], v[32:33], -v[38:39]
	s_mov_b32 s0, 0
	v_add_f64 v[30:31], v[30:31], v[32:33]
	s_mov_b32 s1, 0x7ff00000
	v_add_f64 v[30:31], v[40:41], v[30:31]
	v_cmp_eq_f64_e64 s[0:1], s[0:1], v[22:23]
	v_mov_b32_e32 v32, 0x7ff80000
	s_nop 0
	v_cndmask_b32_e64 v30, v30, v22, s[0:1]
	v_cndmask_b32_e64 v31, v31, v23, s[0:1]
	v_cmp_ngt_f64_e64 s[0:1], -1.0, v[22:23]
	s_nop 1
	v_cndmask_b32_e64 v31, v32, v31, s[0:1]
	v_cmp_nge_f64_e64 s[0:1], -1.0, v[22:23]
	v_mov_b32_e32 v32, 0xfff00000
	s_nop 0
	v_cndmask_b32_e64 v30, 0, v30, s[0:1]
	v_cmp_neq_f64_e64 s[0:1], -1.0, v[22:23]
	s_nop 1
	v_cndmask_b32_e64 v31, v32, v31, s[0:1]
	v_add_f64 v[22:23], v[28:29], v[30:31]
.LBB20_112:
	s_or_b64 exec, exec, s[30:31]
	v_max_f64 v[28:29], v[22:23], v[22:23]
	v_min_f64 v[30:31], v[28:29], v[46:47]
	v_cmp_u_f64_e64 s[0:1], v[22:23], v[22:23]
	v_max_f64 v[28:29], v[28:29], v[46:47]
	s_nop 0
	v_cndmask_b32_e64 v30, v30, v22, s[0:1]
	v_cndmask_b32_e64 v31, v31, v23, s[0:1]
	;; [unrolled: 1-line block ×8, first 2 shown]
	v_cmp_neq_f64_e64 s[0:1], v[30:31], v[28:29]
	v_cmp_class_f64_e64 s[28:29], v[30:31], s33
	s_or_b64 s[0:1], s[0:1], s[28:29]
	v_mov_b64_e32 v[24:25], v[22:23]
	s_and_saveexec_b64 s[30:31], s[0:1]
	s_cbranch_execz .LBB20_114
; %bb.113:
	s_mov_b32 s0, 0x652b82fe
	v_add_f64 v[24:25], v[30:31], -v[28:29]
	s_mov_b32 s1, 0x3ff71547
	v_mul_f64 v[30:31], v[24:25], s[0:1]
	v_rndne_f64_e32 v[30:31], v[30:31]
	s_mov_b32 s35, 0xbfe62e42
	s_mov_b32 s34, 0xfefa39ef
	v_fma_f64 v[32:33], s[34:35], v[30:31], v[24:25]
	s_mov_b32 s37, 0xbc7abc9e
	s_mov_b32 s36, 0x3b39803f
	;; [unrolled: 1-line block ×3, first 2 shown]
	v_fmac_f64_e32 v[32:33], s[36:37], v[30:31]
	v_mov_b32_e32 v38, 0xfca7ab0c
	v_mov_b32_e32 v39, 0x3e928af3
	s_mov_b32 s1, 0x3e5ade15
	v_fmac_f64_e32 v[38:39], s[0:1], v[32:33]
	v_mov_b32_e32 v40, 0x623fde64
	v_mov_b32_e32 v41, 0x3ec71dee
	v_fmac_f64_e32 v[40:41], v[32:33], v[38:39]
	v_mov_b32_e32 v38, 0x7c89e6b0
	v_mov_b32_e32 v39, 0x3efa0199
	;; [unrolled: 3-line block ×8, first 2 shown]
	v_fmac_f64_e32 v[38:39], v[32:33], v[40:41]
	v_fma_f64 v[38:39], v[32:33], v[38:39], 1.0
	s_mov_b32 s0, 0
	s_mov_b32 s28, 0
	v_fma_f64 v[32:33], v[32:33], v[38:39], 1.0
	v_cvt_i32_f64_e32 v30, v[30:31]
	s_mov_b32 s1, 0x40900000
	s_mov_b32 s29, 0xc090cc00
	v_ldexp_f64 v[30:31], v[32:33], v30
	v_mov_b32_e32 v32, 0x7ff00000
	v_cmp_nlt_f64_e64 s[0:1], s[0:1], v[24:25]
	v_cmp_ngt_f64_e64 s[28:29], s[28:29], v[24:25]
	s_mov_b32 s35, 0x3fe62e42
	v_cndmask_b32_e64 v31, v32, v31, s[0:1]
	s_and_b64 s[0:1], s[28:29], s[0:1]
	v_cndmask_b32_e64 v25, 0, v31, s[28:29]
	v_cndmask_b32_e64 v24, 0, v30, s[0:1]
	v_add_f64 v[30:31], v[24:25], 1.0
	v_add_f64 v[32:33], v[30:31], -1.0
	v_add_f64 v[38:39], v[32:33], -v[30:31]
	v_add_f64 v[38:39], v[38:39], 1.0
	v_add_f64 v[32:33], v[24:25], -v[32:33]
	s_mov_b32 s0, 0x55555555
	v_add_f64 v[32:33], v[32:33], v[38:39]
	v_frexp_mant_f64_e32 v[38:39], v[30:31]
	s_mov_b32 s1, 0x3fe55555
	v_frexp_exp_i32_f64_e32 v40, v[30:31]
	v_cmp_gt_f64_e64 s[0:1], s[0:1], v[38:39]
	s_mov_b32 s37, 0x3c7abc9e
	s_waitcnt lgkmcnt(0)
	v_subbrev_co_u32_e64 v72, s[0:1], 0, v40, s[0:1]
	v_sub_u32_e32 v38, 0, v72
	v_ldexp_f64 v[30:31], v[30:31], v38
	v_ldexp_f64 v[32:33], v[32:33], v38
	v_add_f64 v[38:39], v[30:31], -1.0
	v_add_f64 v[44:45], v[30:31], 1.0
	v_add_f64 v[40:41], v[38:39], 1.0
	v_add_f64 v[46:47], v[44:45], -1.0
	v_add_f64 v[40:41], v[30:31], -v[40:41]
	v_add_f64 v[30:31], v[30:31], -v[46:47]
	v_add_f64 v[30:31], v[32:33], v[30:31]
	v_add_f64 v[40:41], v[32:33], v[40:41]
	;; [unrolled: 1-line block ×3, first 2 shown]
	v_rcp_f64_e32 v[46:47], v[32:33]
	v_add_f64 v[42:43], v[38:39], v[40:41]
	v_add_f64 v[38:39], v[42:43], -v[38:39]
	v_add_f64 v[38:39], v[40:41], -v[38:39]
	;; [unrolled: 1-line block ×4, first 2 shown]
	v_fma_f64 v[40:41], -v[32:33], v[46:47], 1.0
	v_fmac_f64_e32 v[46:47], v[40:41], v[46:47]
	v_fma_f64 v[40:41], -v[32:33], v[46:47], 1.0
	v_fmac_f64_e32 v[46:47], v[40:41], v[46:47]
	v_mul_f64 v[40:41], v[42:43], v[46:47]
	v_mul_f64 v[44:45], v[32:33], v[40:41]
	v_fma_f64 v[66:67], v[40:41], v[32:33], -v[44:45]
	v_fmac_f64_e32 v[66:67], v[40:41], v[30:31]
	v_add_f64 v[68:69], v[44:45], v[66:67]
	v_add_f64 v[70:71], v[42:43], -v[68:69]
	v_add_f64 v[42:43], v[42:43], -v[70:71]
	;; [unrolled: 1-line block ×4, first 2 shown]
	v_add_f64 v[38:39], v[38:39], v[42:43]
	v_add_f64 v[42:43], v[44:45], -v[66:67]
	v_add_f64 v[38:39], v[42:43], v[38:39]
	v_add_f64 v[42:43], v[70:71], v[38:39]
	v_add_f64 v[44:45], v[70:71], -v[42:43]
	v_add_f64 v[38:39], v[38:39], v[44:45]
	v_mul_f64 v[44:45], v[46:47], v[42:43]
	v_mul_f64 v[66:67], v[32:33], v[44:45]
	v_fma_f64 v[32:33], v[44:45], v[32:33], -v[66:67]
	v_fmac_f64_e32 v[32:33], v[44:45], v[30:31]
	v_add_f64 v[30:31], v[66:67], v[32:33]
	v_add_f64 v[68:69], v[42:43], -v[30:31]
	v_add_f64 v[42:43], v[42:43], -v[68:69]
	;; [unrolled: 1-line block ×4, first 2 shown]
	v_add_f64 v[30:31], v[38:39], v[30:31]
	v_add_f64 v[32:33], v[66:67], -v[32:33]
	v_add_f64 v[30:31], v[32:33], v[30:31]
	v_add_f64 v[32:33], v[40:41], v[44:45]
	;; [unrolled: 1-line block ×3, first 2 shown]
	v_add_f64 v[38:39], v[32:33], -v[40:41]
	v_mul_f64 v[30:31], v[46:47], v[30:31]
	v_add_f64 v[38:39], v[44:45], -v[38:39]
	v_add_f64 v[30:31], v[38:39], v[30:31]
	v_add_f64 v[38:39], v[32:33], v[30:31]
	v_add_f64 v[32:33], v[38:39], -v[32:33]
	s_mov_b32 s0, 0xbf559e2b
	v_add_f64 v[30:31], v[30:31], -v[32:33]
	v_mul_f64 v[32:33], v[38:39], v[38:39]
	v_mov_b32_e32 v40, 0x6b47b09a
	v_mov_b32_e32 v41, 0x3fc38538
	s_mov_b32 s1, 0x3fc3ab76
	v_fmac_f64_e32 v[40:41], s[0:1], v[32:33]
	v_mov_b32_e32 v42, 0xd7f4df2e
	v_mov_b32_e32 v43, 0x3fc7474d
	v_fmac_f64_e32 v[42:43], v[32:33], v[40:41]
	v_mov_b32_e32 v40, 0x16291751
	v_mov_b32_e32 v41, 0x3fcc71c0
	;; [unrolled: 3-line block ×5, first 2 shown]
	v_fmac_f64_e32 v[42:43], v[32:33], v[40:41]
	v_cvt_f64_i32_e32 v[40:41], v72
	v_mul_f64 v[44:45], v[40:41], s[34:35]
	v_fma_f64 v[46:47], v[40:41], s[34:35], -v[44:45]
	v_fmac_f64_e32 v[46:47], s[36:37], v[40:41]
	v_add_f64 v[40:41], v[44:45], v[46:47]
	v_add_f64 v[44:45], v[40:41], -v[44:45]
	v_mul_f64 v[32:33], v[38:39], v[32:33]
	v_add_f64 v[44:45], v[46:47], -v[44:45]
	v_ldexp_f64 v[46:47], v[38:39], 1
	v_mul_f64 v[32:33], v[32:33], v[42:43]
	v_add_f64 v[38:39], v[46:47], v[32:33]
	v_add_f64 v[42:43], v[38:39], -v[46:47]
	v_ldexp_f64 v[30:31], v[30:31], 1
	v_add_f64 v[32:33], v[32:33], -v[42:43]
	v_add_f64 v[30:31], v[30:31], v[32:33]
	v_add_f64 v[32:33], v[38:39], v[30:31]
	v_add_f64 v[38:39], v[32:33], -v[38:39]
	v_add_f64 v[30:31], v[30:31], -v[38:39]
	v_add_f64 v[38:39], v[40:41], v[32:33]
	v_add_f64 v[42:43], v[38:39], -v[40:41]
	v_add_f64 v[46:47], v[38:39], -v[42:43]
	;; [unrolled: 1-line block ×4, first 2 shown]
	v_add_f64 v[32:33], v[32:33], v[40:41]
	v_add_f64 v[40:41], v[44:45], v[30:31]
	v_add_f64 v[42:43], v[40:41], -v[44:45]
	v_add_f64 v[32:33], v[40:41], v[32:33]
	v_add_f64 v[46:47], v[40:41], -v[42:43]
	;; [unrolled: 2-line block ×3, first 2 shown]
	v_add_f64 v[30:31], v[30:31], -v[42:43]
	v_add_f64 v[38:39], v[40:41], -v[38:39]
	v_add_f64 v[30:31], v[30:31], v[44:45]
	v_add_f64 v[32:33], v[32:33], -v[38:39]
	s_mov_b32 s0, 0
	v_add_f64 v[30:31], v[30:31], v[32:33]
	s_mov_b32 s1, 0x7ff00000
	v_add_f64 v[30:31], v[40:41], v[30:31]
	v_cmp_eq_f64_e64 s[0:1], s[0:1], v[24:25]
	v_mov_b32_e32 v32, 0x7ff80000
	s_nop 0
	v_cndmask_b32_e64 v30, v30, v24, s[0:1]
	v_cndmask_b32_e64 v31, v31, v25, s[0:1]
	v_cmp_ngt_f64_e64 s[0:1], -1.0, v[24:25]
	s_nop 1
	v_cndmask_b32_e64 v31, v32, v31, s[0:1]
	v_cmp_nge_f64_e64 s[0:1], -1.0, v[24:25]
	v_mov_b32_e32 v32, 0xfff00000
	s_nop 0
	v_cndmask_b32_e64 v30, 0, v30, s[0:1]
	v_cmp_neq_f64_e64 s[0:1], -1.0, v[24:25]
	s_nop 1
	v_cndmask_b32_e64 v31, v32, v31, s[0:1]
	v_add_f64 v[24:25], v[28:29], v[30:31]
.LBB20_114:
	s_or_b64 exec, exec, s[30:31]
	v_max_f64 v[28:29], v[24:25], v[24:25]
	v_min_f64 v[30:31], v[28:29], v[48:49]
	v_cmp_u_f64_e64 s[0:1], v[24:25], v[24:25]
	v_max_f64 v[28:29], v[28:29], v[48:49]
	s_nop 0
	v_cndmask_b32_e64 v30, v30, v24, s[0:1]
	v_cndmask_b32_e64 v31, v31, v25, s[0:1]
	;; [unrolled: 1-line block ×8, first 2 shown]
	v_cmp_neq_f64_e64 s[0:1], v[30:31], v[28:29]
	v_cmp_class_f64_e64 s[28:29], v[30:31], s33
	s_or_b64 s[0:1], s[0:1], s[28:29]
	v_mov_b64_e32 v[18:19], v[24:25]
	s_and_saveexec_b64 s[30:31], s[0:1]
	s_cbranch_execz .LBB20_116
; %bb.115:
	s_mov_b32 s0, 0x652b82fe
	v_add_f64 v[18:19], v[30:31], -v[28:29]
	s_mov_b32 s1, 0x3ff71547
	v_mul_f64 v[30:31], v[18:19], s[0:1]
	v_rndne_f64_e32 v[30:31], v[30:31]
	s_mov_b32 s35, 0xbfe62e42
	s_mov_b32 s34, 0xfefa39ef
	v_fma_f64 v[32:33], s[34:35], v[30:31], v[18:19]
	s_mov_b32 s37, 0xbc7abc9e
	s_mov_b32 s36, 0x3b39803f
	;; [unrolled: 1-line block ×3, first 2 shown]
	v_fmac_f64_e32 v[32:33], s[36:37], v[30:31]
	v_mov_b32_e32 v38, 0xfca7ab0c
	v_mov_b32_e32 v39, 0x3e928af3
	s_mov_b32 s1, 0x3e5ade15
	v_fmac_f64_e32 v[38:39], s[0:1], v[32:33]
	v_mov_b32_e32 v40, 0x623fde64
	v_mov_b32_e32 v41, 0x3ec71dee
	v_fmac_f64_e32 v[40:41], v[32:33], v[38:39]
	v_mov_b32_e32 v38, 0x7c89e6b0
	v_mov_b32_e32 v39, 0x3efa0199
	;; [unrolled: 3-line block ×8, first 2 shown]
	v_fmac_f64_e32 v[38:39], v[32:33], v[40:41]
	v_fma_f64 v[38:39], v[32:33], v[38:39], 1.0
	s_mov_b32 s0, 0
	s_mov_b32 s28, 0
	v_fma_f64 v[32:33], v[32:33], v[38:39], 1.0
	v_cvt_i32_f64_e32 v30, v[30:31]
	s_mov_b32 s1, 0x40900000
	s_mov_b32 s29, 0xc090cc00
	v_ldexp_f64 v[30:31], v[32:33], v30
	v_mov_b32_e32 v32, 0x7ff00000
	v_cmp_nlt_f64_e64 s[0:1], s[0:1], v[18:19]
	v_cmp_ngt_f64_e64 s[28:29], s[28:29], v[18:19]
	s_mov_b32 s35, 0x3fe62e42
	v_cndmask_b32_e64 v31, v32, v31, s[0:1]
	s_and_b64 s[0:1], s[28:29], s[0:1]
	v_cndmask_b32_e64 v19, 0, v31, s[28:29]
	v_cndmask_b32_e64 v18, 0, v30, s[0:1]
	v_add_f64 v[30:31], v[18:19], 1.0
	v_add_f64 v[32:33], v[30:31], -1.0
	v_add_f64 v[38:39], v[32:33], -v[30:31]
	v_add_f64 v[38:39], v[38:39], 1.0
	v_add_f64 v[32:33], v[18:19], -v[32:33]
	s_mov_b32 s0, 0x55555555
	v_add_f64 v[32:33], v[32:33], v[38:39]
	v_frexp_mant_f64_e32 v[38:39], v[30:31]
	s_mov_b32 s1, 0x3fe55555
	v_frexp_exp_i32_f64_e32 v40, v[30:31]
	v_cmp_gt_f64_e64 s[0:1], s[0:1], v[38:39]
	s_mov_b32 s37, 0x3c7abc9e
	s_nop 0
	v_subbrev_co_u32_e64 v70, s[0:1], 0, v40, s[0:1]
	v_sub_u32_e32 v38, 0, v70
	v_ldexp_f64 v[30:31], v[30:31], v38
	v_ldexp_f64 v[32:33], v[32:33], v38
	v_add_f64 v[38:39], v[30:31], -1.0
	v_add_f64 v[44:45], v[30:31], 1.0
	v_add_f64 v[40:41], v[38:39], 1.0
	v_add_f64 v[46:47], v[44:45], -1.0
	v_add_f64 v[40:41], v[30:31], -v[40:41]
	v_add_f64 v[30:31], v[30:31], -v[46:47]
	v_add_f64 v[30:31], v[32:33], v[30:31]
	v_add_f64 v[40:41], v[32:33], v[40:41]
	;; [unrolled: 1-line block ×3, first 2 shown]
	v_rcp_f64_e32 v[46:47], v[32:33]
	v_add_f64 v[42:43], v[38:39], v[40:41]
	v_add_f64 v[38:39], v[42:43], -v[38:39]
	v_add_f64 v[38:39], v[40:41], -v[38:39]
	;; [unrolled: 1-line block ×4, first 2 shown]
	v_fma_f64 v[40:41], -v[32:33], v[46:47], 1.0
	v_fmac_f64_e32 v[46:47], v[40:41], v[46:47]
	v_fma_f64 v[40:41], -v[32:33], v[46:47], 1.0
	v_fmac_f64_e32 v[46:47], v[40:41], v[46:47]
	v_mul_f64 v[40:41], v[42:43], v[46:47]
	v_mul_f64 v[44:45], v[32:33], v[40:41]
	v_fma_f64 v[48:49], v[40:41], v[32:33], -v[44:45]
	v_fmac_f64_e32 v[48:49], v[40:41], v[30:31]
	v_add_f64 v[66:67], v[44:45], v[48:49]
	v_add_f64 v[68:69], v[42:43], -v[66:67]
	v_add_f64 v[42:43], v[42:43], -v[68:69]
	;; [unrolled: 1-line block ×4, first 2 shown]
	v_add_f64 v[38:39], v[38:39], v[42:43]
	v_add_f64 v[42:43], v[44:45], -v[48:49]
	v_add_f64 v[38:39], v[42:43], v[38:39]
	v_add_f64 v[42:43], v[68:69], v[38:39]
	v_add_f64 v[44:45], v[68:69], -v[42:43]
	v_add_f64 v[38:39], v[38:39], v[44:45]
	v_mul_f64 v[44:45], v[46:47], v[42:43]
	v_mul_f64 v[48:49], v[32:33], v[44:45]
	v_fma_f64 v[32:33], v[44:45], v[32:33], -v[48:49]
	v_fmac_f64_e32 v[32:33], v[44:45], v[30:31]
	v_add_f64 v[30:31], v[48:49], v[32:33]
	v_add_f64 v[66:67], v[42:43], -v[30:31]
	v_add_f64 v[42:43], v[42:43], -v[66:67]
	;; [unrolled: 1-line block ×4, first 2 shown]
	v_add_f64 v[30:31], v[38:39], v[30:31]
	v_add_f64 v[32:33], v[48:49], -v[32:33]
	v_add_f64 v[30:31], v[32:33], v[30:31]
	v_add_f64 v[32:33], v[40:41], v[44:45]
	;; [unrolled: 1-line block ×3, first 2 shown]
	v_add_f64 v[38:39], v[32:33], -v[40:41]
	v_mul_f64 v[30:31], v[46:47], v[30:31]
	v_add_f64 v[38:39], v[44:45], -v[38:39]
	v_add_f64 v[30:31], v[38:39], v[30:31]
	v_add_f64 v[38:39], v[32:33], v[30:31]
	v_add_f64 v[32:33], v[38:39], -v[32:33]
	s_mov_b32 s0, 0xbf559e2b
	v_add_f64 v[30:31], v[30:31], -v[32:33]
	v_mul_f64 v[32:33], v[38:39], v[38:39]
	v_mov_b32_e32 v40, 0x6b47b09a
	v_mov_b32_e32 v41, 0x3fc38538
	s_mov_b32 s1, 0x3fc3ab76
	v_fmac_f64_e32 v[40:41], s[0:1], v[32:33]
	v_mov_b32_e32 v42, 0xd7f4df2e
	v_mov_b32_e32 v43, 0x3fc7474d
	v_fmac_f64_e32 v[42:43], v[32:33], v[40:41]
	v_mov_b32_e32 v40, 0x16291751
	v_mov_b32_e32 v41, 0x3fcc71c0
	v_fmac_f64_e32 v[40:41], v[32:33], v[42:43]
	v_mov_b32_e32 v42, 0x9b27acf1
	v_mov_b32_e32 v43, 0x3fd24924
	v_fmac_f64_e32 v[42:43], v[32:33], v[40:41]
	v_mov_b32_e32 v40, 0x998ef7b6
	v_mov_b32_e32 v41, 0x3fd99999
	v_fmac_f64_e32 v[40:41], v[32:33], v[42:43]
	v_mov_b32_e32 v42, 0x55555780
	v_mov_b32_e32 v43, 0x3fe55555
	v_fmac_f64_e32 v[42:43], v[32:33], v[40:41]
	v_cvt_f64_i32_e32 v[40:41], v70
	v_mul_f64 v[44:45], v[40:41], s[34:35]
	v_fma_f64 v[46:47], v[40:41], s[34:35], -v[44:45]
	v_fmac_f64_e32 v[46:47], s[36:37], v[40:41]
	v_add_f64 v[40:41], v[44:45], v[46:47]
	v_add_f64 v[44:45], v[40:41], -v[44:45]
	v_mul_f64 v[32:33], v[38:39], v[32:33]
	v_add_f64 v[44:45], v[46:47], -v[44:45]
	v_ldexp_f64 v[46:47], v[38:39], 1
	v_mul_f64 v[32:33], v[32:33], v[42:43]
	v_add_f64 v[38:39], v[46:47], v[32:33]
	v_add_f64 v[42:43], v[38:39], -v[46:47]
	v_ldexp_f64 v[30:31], v[30:31], 1
	v_add_f64 v[32:33], v[32:33], -v[42:43]
	v_add_f64 v[30:31], v[30:31], v[32:33]
	v_add_f64 v[32:33], v[38:39], v[30:31]
	v_add_f64 v[38:39], v[32:33], -v[38:39]
	v_add_f64 v[30:31], v[30:31], -v[38:39]
	v_add_f64 v[38:39], v[40:41], v[32:33]
	v_add_f64 v[42:43], v[38:39], -v[40:41]
	v_add_f64 v[46:47], v[38:39], -v[42:43]
	;; [unrolled: 1-line block ×4, first 2 shown]
	v_add_f64 v[32:33], v[32:33], v[40:41]
	v_add_f64 v[40:41], v[44:45], v[30:31]
	v_add_f64 v[42:43], v[40:41], -v[44:45]
	v_add_f64 v[32:33], v[40:41], v[32:33]
	v_add_f64 v[46:47], v[40:41], -v[42:43]
	;; [unrolled: 2-line block ×3, first 2 shown]
	v_add_f64 v[30:31], v[30:31], -v[42:43]
	v_add_f64 v[38:39], v[40:41], -v[38:39]
	v_add_f64 v[30:31], v[30:31], v[44:45]
	v_add_f64 v[32:33], v[32:33], -v[38:39]
	s_mov_b32 s0, 0
	v_add_f64 v[30:31], v[30:31], v[32:33]
	s_mov_b32 s1, 0x7ff00000
	v_add_f64 v[30:31], v[40:41], v[30:31]
	v_cmp_eq_f64_e64 s[0:1], s[0:1], v[18:19]
	v_mov_b32_e32 v32, 0x7ff80000
	s_nop 0
	v_cndmask_b32_e64 v30, v30, v18, s[0:1]
	v_cndmask_b32_e64 v31, v31, v19, s[0:1]
	v_cmp_ngt_f64_e64 s[0:1], -1.0, v[18:19]
	s_nop 1
	v_cndmask_b32_e64 v31, v32, v31, s[0:1]
	v_cmp_nge_f64_e64 s[0:1], -1.0, v[18:19]
	v_mov_b32_e32 v32, 0xfff00000
	s_nop 0
	v_cndmask_b32_e64 v30, 0, v30, s[0:1]
	v_cmp_neq_f64_e64 s[0:1], -1.0, v[18:19]
	s_nop 1
	v_cndmask_b32_e64 v31, v32, v31, s[0:1]
	v_add_f64 v[18:19], v[28:29], v[30:31]
.LBB20_116:
	s_or_b64 exec, exec, s[30:31]
	v_max_f64 v[28:29], v[18:19], v[18:19]
	v_min_f64 v[30:31], v[28:29], v[50:51]
	v_cmp_u_f64_e64 s[0:1], v[18:19], v[18:19]
	v_max_f64 v[28:29], v[28:29], v[50:51]
	s_nop 0
	v_cndmask_b32_e64 v30, v30, v18, s[0:1]
	v_cndmask_b32_e64 v31, v31, v19, s[0:1]
	;; [unrolled: 1-line block ×8, first 2 shown]
	v_cmp_neq_f64_e64 s[0:1], v[30:31], v[28:29]
	v_cmp_class_f64_e64 s[28:29], v[30:31], s33
	s_or_b64 s[0:1], s[0:1], s[28:29]
	v_mov_b64_e32 v[20:21], v[18:19]
	s_and_saveexec_b64 s[30:31], s[0:1]
	s_cbranch_execz .LBB20_118
; %bb.117:
	s_mov_b32 s0, 0x652b82fe
	v_add_f64 v[20:21], v[30:31], -v[28:29]
	s_mov_b32 s1, 0x3ff71547
	v_mul_f64 v[30:31], v[20:21], s[0:1]
	v_rndne_f64_e32 v[30:31], v[30:31]
	s_mov_b32 s35, 0xbfe62e42
	s_mov_b32 s34, 0xfefa39ef
	v_fma_f64 v[32:33], s[34:35], v[30:31], v[20:21]
	s_mov_b32 s37, 0xbc7abc9e
	s_mov_b32 s36, 0x3b39803f
	;; [unrolled: 1-line block ×3, first 2 shown]
	v_fmac_f64_e32 v[32:33], s[36:37], v[30:31]
	v_mov_b32_e32 v38, 0xfca7ab0c
	v_mov_b32_e32 v39, 0x3e928af3
	s_mov_b32 s1, 0x3e5ade15
	v_fmac_f64_e32 v[38:39], s[0:1], v[32:33]
	v_mov_b32_e32 v40, 0x623fde64
	v_mov_b32_e32 v41, 0x3ec71dee
	v_fmac_f64_e32 v[40:41], v[32:33], v[38:39]
	v_mov_b32_e32 v38, 0x7c89e6b0
	v_mov_b32_e32 v39, 0x3efa0199
	;; [unrolled: 3-line block ×8, first 2 shown]
	v_fmac_f64_e32 v[38:39], v[32:33], v[40:41]
	v_fma_f64 v[38:39], v[32:33], v[38:39], 1.0
	s_mov_b32 s0, 0
	s_mov_b32 s28, 0
	v_fma_f64 v[32:33], v[32:33], v[38:39], 1.0
	v_cvt_i32_f64_e32 v30, v[30:31]
	s_mov_b32 s1, 0x40900000
	s_mov_b32 s29, 0xc090cc00
	v_ldexp_f64 v[30:31], v[32:33], v30
	v_mov_b32_e32 v32, 0x7ff00000
	v_cmp_nlt_f64_e64 s[0:1], s[0:1], v[20:21]
	v_cmp_ngt_f64_e64 s[28:29], s[28:29], v[20:21]
	s_mov_b32 s35, 0x3fe62e42
	v_cndmask_b32_e64 v31, v32, v31, s[0:1]
	s_and_b64 s[0:1], s[28:29], s[0:1]
	v_cndmask_b32_e64 v21, 0, v31, s[28:29]
	v_cndmask_b32_e64 v20, 0, v30, s[0:1]
	v_add_f64 v[30:31], v[20:21], 1.0
	v_add_f64 v[32:33], v[30:31], -1.0
	v_add_f64 v[38:39], v[32:33], -v[30:31]
	v_add_f64 v[38:39], v[38:39], 1.0
	v_add_f64 v[32:33], v[20:21], -v[32:33]
	s_mov_b32 s0, 0x55555555
	v_add_f64 v[32:33], v[32:33], v[38:39]
	v_frexp_mant_f64_e32 v[38:39], v[30:31]
	s_mov_b32 s1, 0x3fe55555
	v_frexp_exp_i32_f64_e32 v40, v[30:31]
	v_cmp_gt_f64_e64 s[0:1], s[0:1], v[38:39]
	s_mov_b32 s37, 0x3c7abc9e
	s_nop 0
	v_subbrev_co_u32_e64 v68, s[0:1], 0, v40, s[0:1]
	v_sub_u32_e32 v38, 0, v68
	v_ldexp_f64 v[30:31], v[30:31], v38
	v_ldexp_f64 v[32:33], v[32:33], v38
	v_add_f64 v[38:39], v[30:31], -1.0
	v_add_f64 v[44:45], v[30:31], 1.0
	v_add_f64 v[40:41], v[38:39], 1.0
	v_add_f64 v[46:47], v[44:45], -1.0
	v_add_f64 v[40:41], v[30:31], -v[40:41]
	v_add_f64 v[30:31], v[30:31], -v[46:47]
	v_add_f64 v[30:31], v[32:33], v[30:31]
	v_add_f64 v[40:41], v[32:33], v[40:41]
	;; [unrolled: 1-line block ×3, first 2 shown]
	v_rcp_f64_e32 v[46:47], v[32:33]
	v_add_f64 v[42:43], v[38:39], v[40:41]
	v_add_f64 v[38:39], v[42:43], -v[38:39]
	v_add_f64 v[38:39], v[40:41], -v[38:39]
	;; [unrolled: 1-line block ×4, first 2 shown]
	v_fma_f64 v[40:41], -v[32:33], v[46:47], 1.0
	v_fmac_f64_e32 v[46:47], v[40:41], v[46:47]
	v_fma_f64 v[40:41], -v[32:33], v[46:47], 1.0
	v_fmac_f64_e32 v[46:47], v[40:41], v[46:47]
	v_mul_f64 v[40:41], v[42:43], v[46:47]
	v_mul_f64 v[44:45], v[32:33], v[40:41]
	v_fma_f64 v[48:49], v[40:41], v[32:33], -v[44:45]
	v_fmac_f64_e32 v[48:49], v[40:41], v[30:31]
	v_add_f64 v[50:51], v[44:45], v[48:49]
	v_add_f64 v[66:67], v[42:43], -v[50:51]
	v_add_f64 v[42:43], v[42:43], -v[66:67]
	;; [unrolled: 1-line block ×4, first 2 shown]
	v_add_f64 v[38:39], v[38:39], v[42:43]
	v_add_f64 v[42:43], v[44:45], -v[48:49]
	v_add_f64 v[38:39], v[42:43], v[38:39]
	v_add_f64 v[42:43], v[66:67], v[38:39]
	v_add_f64 v[44:45], v[66:67], -v[42:43]
	v_add_f64 v[38:39], v[38:39], v[44:45]
	v_mul_f64 v[44:45], v[46:47], v[42:43]
	v_mul_f64 v[48:49], v[32:33], v[44:45]
	v_fma_f64 v[32:33], v[44:45], v[32:33], -v[48:49]
	v_fmac_f64_e32 v[32:33], v[44:45], v[30:31]
	v_add_f64 v[30:31], v[48:49], v[32:33]
	v_add_f64 v[50:51], v[42:43], -v[30:31]
	v_add_f64 v[42:43], v[42:43], -v[50:51]
	;; [unrolled: 1-line block ×4, first 2 shown]
	v_add_f64 v[30:31], v[38:39], v[30:31]
	v_add_f64 v[32:33], v[48:49], -v[32:33]
	v_add_f64 v[30:31], v[32:33], v[30:31]
	v_add_f64 v[32:33], v[40:41], v[44:45]
	;; [unrolled: 1-line block ×3, first 2 shown]
	v_add_f64 v[38:39], v[32:33], -v[40:41]
	v_mul_f64 v[30:31], v[46:47], v[30:31]
	v_add_f64 v[38:39], v[44:45], -v[38:39]
	v_add_f64 v[30:31], v[38:39], v[30:31]
	v_add_f64 v[38:39], v[32:33], v[30:31]
	v_add_f64 v[32:33], v[38:39], -v[32:33]
	s_mov_b32 s0, 0xbf559e2b
	v_add_f64 v[30:31], v[30:31], -v[32:33]
	v_mul_f64 v[32:33], v[38:39], v[38:39]
	v_mov_b32_e32 v40, 0x6b47b09a
	v_mov_b32_e32 v41, 0x3fc38538
	s_mov_b32 s1, 0x3fc3ab76
	v_fmac_f64_e32 v[40:41], s[0:1], v[32:33]
	v_mov_b32_e32 v42, 0xd7f4df2e
	v_mov_b32_e32 v43, 0x3fc7474d
	v_fmac_f64_e32 v[42:43], v[32:33], v[40:41]
	v_mov_b32_e32 v40, 0x16291751
	v_mov_b32_e32 v41, 0x3fcc71c0
	;; [unrolled: 3-line block ×5, first 2 shown]
	v_fmac_f64_e32 v[42:43], v[32:33], v[40:41]
	v_cvt_f64_i32_e32 v[40:41], v68
	v_mul_f64 v[44:45], v[40:41], s[34:35]
	v_fma_f64 v[46:47], v[40:41], s[34:35], -v[44:45]
	v_fmac_f64_e32 v[46:47], s[36:37], v[40:41]
	v_add_f64 v[40:41], v[44:45], v[46:47]
	v_add_f64 v[44:45], v[40:41], -v[44:45]
	v_mul_f64 v[32:33], v[38:39], v[32:33]
	v_add_f64 v[44:45], v[46:47], -v[44:45]
	v_ldexp_f64 v[46:47], v[38:39], 1
	v_mul_f64 v[32:33], v[32:33], v[42:43]
	v_add_f64 v[38:39], v[46:47], v[32:33]
	v_add_f64 v[42:43], v[38:39], -v[46:47]
	v_ldexp_f64 v[30:31], v[30:31], 1
	v_add_f64 v[32:33], v[32:33], -v[42:43]
	v_add_f64 v[30:31], v[30:31], v[32:33]
	v_add_f64 v[32:33], v[38:39], v[30:31]
	v_add_f64 v[38:39], v[32:33], -v[38:39]
	v_add_f64 v[30:31], v[30:31], -v[38:39]
	v_add_f64 v[38:39], v[40:41], v[32:33]
	v_add_f64 v[42:43], v[38:39], -v[40:41]
	v_add_f64 v[46:47], v[38:39], -v[42:43]
	;; [unrolled: 1-line block ×4, first 2 shown]
	v_add_f64 v[32:33], v[32:33], v[40:41]
	v_add_f64 v[40:41], v[44:45], v[30:31]
	v_add_f64 v[42:43], v[40:41], -v[44:45]
	v_add_f64 v[32:33], v[40:41], v[32:33]
	v_add_f64 v[46:47], v[40:41], -v[42:43]
	;; [unrolled: 2-line block ×3, first 2 shown]
	v_add_f64 v[30:31], v[30:31], -v[42:43]
	v_add_f64 v[38:39], v[40:41], -v[38:39]
	v_add_f64 v[30:31], v[30:31], v[44:45]
	v_add_f64 v[32:33], v[32:33], -v[38:39]
	s_mov_b32 s0, 0
	v_add_f64 v[30:31], v[30:31], v[32:33]
	s_mov_b32 s1, 0x7ff00000
	v_add_f64 v[30:31], v[40:41], v[30:31]
	v_cmp_eq_f64_e64 s[0:1], s[0:1], v[20:21]
	v_mov_b32_e32 v32, 0x7ff80000
	s_nop 0
	v_cndmask_b32_e64 v30, v30, v20, s[0:1]
	v_cndmask_b32_e64 v31, v31, v21, s[0:1]
	v_cmp_ngt_f64_e64 s[0:1], -1.0, v[20:21]
	s_nop 1
	v_cndmask_b32_e64 v31, v32, v31, s[0:1]
	v_cmp_nge_f64_e64 s[0:1], -1.0, v[20:21]
	v_mov_b32_e32 v32, 0xfff00000
	s_nop 0
	v_cndmask_b32_e64 v30, 0, v30, s[0:1]
	v_cmp_neq_f64_e64 s[0:1], -1.0, v[20:21]
	s_nop 1
	v_cndmask_b32_e64 v31, v32, v31, s[0:1]
	v_add_f64 v[20:21], v[28:29], v[30:31]
.LBB20_118:
	s_or_b64 exec, exec, s[30:31]
	v_max_f64 v[28:29], v[20:21], v[20:21]
	v_min_f64 v[30:31], v[28:29], v[52:53]
	v_cmp_u_f64_e64 s[0:1], v[20:21], v[20:21]
	v_max_f64 v[28:29], v[28:29], v[52:53]
	s_nop 0
	v_cndmask_b32_e64 v30, v30, v20, s[0:1]
	v_cndmask_b32_e64 v31, v31, v21, s[0:1]
	v_cndmask_b32_e64 v28, v28, v20, s[0:1]
	v_cndmask_b32_e64 v29, v29, v21, s[0:1]
	v_cndmask_b32_e64 v31, v31, v15, s[44:45]
	v_cndmask_b32_e64 v30, v30, v14, s[44:45]
	v_cndmask_b32_e64 v29, v29, v15, s[44:45]
	v_cndmask_b32_e64 v28, v28, v14, s[44:45]
	v_cmp_neq_f64_e64 s[0:1], v[30:31], v[28:29]
	v_cmp_class_f64_e64 s[28:29], v[30:31], s33
	s_or_b64 s[0:1], s[0:1], s[28:29]
	v_mov_b64_e32 v[14:15], v[20:21]
	s_and_saveexec_b64 s[30:31], s[0:1]
	s_cbranch_execz .LBB20_120
; %bb.119:
	s_mov_b32 s0, 0x652b82fe
	v_add_f64 v[14:15], v[30:31], -v[28:29]
	s_mov_b32 s1, 0x3ff71547
	v_mul_f64 v[30:31], v[14:15], s[0:1]
	v_rndne_f64_e32 v[30:31], v[30:31]
	s_mov_b32 s35, 0xbfe62e42
	s_mov_b32 s34, 0xfefa39ef
	v_fma_f64 v[32:33], s[34:35], v[30:31], v[14:15]
	s_mov_b32 s37, 0xbc7abc9e
	s_mov_b32 s36, 0x3b39803f
	;; [unrolled: 1-line block ×3, first 2 shown]
	v_fmac_f64_e32 v[32:33], s[36:37], v[30:31]
	v_mov_b32_e32 v38, 0xfca7ab0c
	v_mov_b32_e32 v39, 0x3e928af3
	s_mov_b32 s1, 0x3e5ade15
	v_fmac_f64_e32 v[38:39], s[0:1], v[32:33]
	v_mov_b32_e32 v40, 0x623fde64
	v_mov_b32_e32 v41, 0x3ec71dee
	v_fmac_f64_e32 v[40:41], v[32:33], v[38:39]
	v_mov_b32_e32 v38, 0x7c89e6b0
	v_mov_b32_e32 v39, 0x3efa0199
	;; [unrolled: 3-line block ×8, first 2 shown]
	v_fmac_f64_e32 v[38:39], v[32:33], v[40:41]
	v_fma_f64 v[38:39], v[32:33], v[38:39], 1.0
	s_mov_b32 s0, 0
	s_mov_b32 s28, 0
	v_fma_f64 v[32:33], v[32:33], v[38:39], 1.0
	v_cvt_i32_f64_e32 v30, v[30:31]
	s_mov_b32 s1, 0x40900000
	s_mov_b32 s29, 0xc090cc00
	v_ldexp_f64 v[30:31], v[32:33], v30
	v_mov_b32_e32 v32, 0x7ff00000
	v_cmp_nlt_f64_e64 s[0:1], s[0:1], v[14:15]
	v_cmp_ngt_f64_e64 s[28:29], s[28:29], v[14:15]
	s_mov_b32 s35, 0x3fe62e42
	v_cndmask_b32_e64 v31, v32, v31, s[0:1]
	s_and_b64 s[0:1], s[28:29], s[0:1]
	v_cndmask_b32_e64 v15, 0, v31, s[28:29]
	v_cndmask_b32_e64 v14, 0, v30, s[0:1]
	v_add_f64 v[30:31], v[14:15], 1.0
	v_add_f64 v[32:33], v[30:31], -1.0
	v_add_f64 v[38:39], v[32:33], -v[30:31]
	v_add_f64 v[38:39], v[38:39], 1.0
	v_add_f64 v[32:33], v[14:15], -v[32:33]
	s_mov_b32 s0, 0x55555555
	v_add_f64 v[32:33], v[32:33], v[38:39]
	v_frexp_mant_f64_e32 v[38:39], v[30:31]
	s_mov_b32 s1, 0x3fe55555
	v_frexp_exp_i32_f64_e32 v40, v[30:31]
	v_cmp_gt_f64_e64 s[0:1], s[0:1], v[38:39]
	s_mov_b32 s37, 0x3c7abc9e
	s_nop 0
	v_subbrev_co_u32_e64 v66, s[0:1], 0, v40, s[0:1]
	v_sub_u32_e32 v38, 0, v66
	v_ldexp_f64 v[30:31], v[30:31], v38
	v_ldexp_f64 v[32:33], v[32:33], v38
	v_add_f64 v[38:39], v[30:31], -1.0
	v_add_f64 v[44:45], v[30:31], 1.0
	v_add_f64 v[40:41], v[38:39], 1.0
	v_add_f64 v[46:47], v[44:45], -1.0
	v_add_f64 v[40:41], v[30:31], -v[40:41]
	v_add_f64 v[30:31], v[30:31], -v[46:47]
	v_add_f64 v[30:31], v[32:33], v[30:31]
	v_add_f64 v[40:41], v[32:33], v[40:41]
	;; [unrolled: 1-line block ×3, first 2 shown]
	v_rcp_f64_e32 v[46:47], v[32:33]
	v_add_f64 v[42:43], v[38:39], v[40:41]
	v_add_f64 v[38:39], v[42:43], -v[38:39]
	v_add_f64 v[38:39], v[40:41], -v[38:39]
	;; [unrolled: 1-line block ×4, first 2 shown]
	v_fma_f64 v[40:41], -v[32:33], v[46:47], 1.0
	v_fmac_f64_e32 v[46:47], v[40:41], v[46:47]
	v_fma_f64 v[40:41], -v[32:33], v[46:47], 1.0
	v_fmac_f64_e32 v[46:47], v[40:41], v[46:47]
	v_mul_f64 v[40:41], v[42:43], v[46:47]
	v_mul_f64 v[44:45], v[32:33], v[40:41]
	v_fma_f64 v[48:49], v[40:41], v[32:33], -v[44:45]
	v_fmac_f64_e32 v[48:49], v[40:41], v[30:31]
	v_add_f64 v[50:51], v[44:45], v[48:49]
	v_add_f64 v[52:53], v[42:43], -v[50:51]
	v_add_f64 v[42:43], v[42:43], -v[52:53]
	;; [unrolled: 1-line block ×4, first 2 shown]
	v_add_f64 v[38:39], v[38:39], v[42:43]
	v_add_f64 v[42:43], v[44:45], -v[48:49]
	v_add_f64 v[38:39], v[42:43], v[38:39]
	v_add_f64 v[42:43], v[52:53], v[38:39]
	v_add_f64 v[44:45], v[52:53], -v[42:43]
	v_add_f64 v[38:39], v[38:39], v[44:45]
	v_mul_f64 v[44:45], v[46:47], v[42:43]
	v_mul_f64 v[48:49], v[32:33], v[44:45]
	v_fma_f64 v[32:33], v[44:45], v[32:33], -v[48:49]
	v_fmac_f64_e32 v[32:33], v[44:45], v[30:31]
	v_add_f64 v[30:31], v[48:49], v[32:33]
	v_add_f64 v[50:51], v[42:43], -v[30:31]
	v_add_f64 v[42:43], v[42:43], -v[50:51]
	;; [unrolled: 1-line block ×4, first 2 shown]
	v_add_f64 v[30:31], v[38:39], v[30:31]
	v_add_f64 v[32:33], v[48:49], -v[32:33]
	v_add_f64 v[30:31], v[32:33], v[30:31]
	v_add_f64 v[32:33], v[40:41], v[44:45]
	;; [unrolled: 1-line block ×3, first 2 shown]
	v_add_f64 v[38:39], v[32:33], -v[40:41]
	v_mul_f64 v[30:31], v[46:47], v[30:31]
	v_add_f64 v[38:39], v[44:45], -v[38:39]
	v_add_f64 v[30:31], v[38:39], v[30:31]
	v_add_f64 v[38:39], v[32:33], v[30:31]
	v_add_f64 v[32:33], v[38:39], -v[32:33]
	s_mov_b32 s0, 0xbf559e2b
	v_add_f64 v[30:31], v[30:31], -v[32:33]
	v_mul_f64 v[32:33], v[38:39], v[38:39]
	v_mov_b32_e32 v40, 0x6b47b09a
	v_mov_b32_e32 v41, 0x3fc38538
	s_mov_b32 s1, 0x3fc3ab76
	v_fmac_f64_e32 v[40:41], s[0:1], v[32:33]
	v_mov_b32_e32 v42, 0xd7f4df2e
	v_mov_b32_e32 v43, 0x3fc7474d
	v_fmac_f64_e32 v[42:43], v[32:33], v[40:41]
	v_mov_b32_e32 v40, 0x16291751
	v_mov_b32_e32 v41, 0x3fcc71c0
	;; [unrolled: 3-line block ×5, first 2 shown]
	v_fmac_f64_e32 v[42:43], v[32:33], v[40:41]
	v_cvt_f64_i32_e32 v[40:41], v66
	v_mul_f64 v[44:45], v[40:41], s[34:35]
	v_fma_f64 v[46:47], v[40:41], s[34:35], -v[44:45]
	v_fmac_f64_e32 v[46:47], s[36:37], v[40:41]
	v_add_f64 v[40:41], v[44:45], v[46:47]
	v_add_f64 v[44:45], v[40:41], -v[44:45]
	v_mul_f64 v[32:33], v[38:39], v[32:33]
	v_add_f64 v[44:45], v[46:47], -v[44:45]
	v_ldexp_f64 v[46:47], v[38:39], 1
	v_mul_f64 v[32:33], v[32:33], v[42:43]
	v_add_f64 v[38:39], v[46:47], v[32:33]
	v_add_f64 v[42:43], v[38:39], -v[46:47]
	v_ldexp_f64 v[30:31], v[30:31], 1
	v_add_f64 v[32:33], v[32:33], -v[42:43]
	v_add_f64 v[30:31], v[30:31], v[32:33]
	v_add_f64 v[32:33], v[38:39], v[30:31]
	v_add_f64 v[38:39], v[32:33], -v[38:39]
	v_add_f64 v[30:31], v[30:31], -v[38:39]
	v_add_f64 v[38:39], v[40:41], v[32:33]
	v_add_f64 v[42:43], v[38:39], -v[40:41]
	v_add_f64 v[46:47], v[38:39], -v[42:43]
	;; [unrolled: 1-line block ×4, first 2 shown]
	v_add_f64 v[32:33], v[32:33], v[40:41]
	v_add_f64 v[40:41], v[44:45], v[30:31]
	v_add_f64 v[42:43], v[40:41], -v[44:45]
	v_add_f64 v[32:33], v[40:41], v[32:33]
	v_add_f64 v[46:47], v[40:41], -v[42:43]
	;; [unrolled: 2-line block ×3, first 2 shown]
	v_add_f64 v[30:31], v[30:31], -v[42:43]
	v_add_f64 v[38:39], v[40:41], -v[38:39]
	v_add_f64 v[30:31], v[30:31], v[44:45]
	v_add_f64 v[32:33], v[32:33], -v[38:39]
	s_mov_b32 s0, 0
	v_add_f64 v[30:31], v[30:31], v[32:33]
	s_mov_b32 s1, 0x7ff00000
	v_add_f64 v[30:31], v[40:41], v[30:31]
	v_cmp_eq_f64_e64 s[0:1], s[0:1], v[14:15]
	v_mov_b32_e32 v32, 0x7ff80000
	s_nop 0
	v_cndmask_b32_e64 v30, v30, v14, s[0:1]
	v_cndmask_b32_e64 v31, v31, v15, s[0:1]
	v_cmp_ngt_f64_e64 s[0:1], -1.0, v[14:15]
	s_nop 1
	v_cndmask_b32_e64 v31, v32, v31, s[0:1]
	v_cmp_nge_f64_e64 s[0:1], -1.0, v[14:15]
	v_mov_b32_e32 v32, 0xfff00000
	s_nop 0
	v_cndmask_b32_e64 v30, 0, v30, s[0:1]
	v_cmp_neq_f64_e64 s[0:1], -1.0, v[14:15]
	s_nop 1
	v_cndmask_b32_e64 v31, v32, v31, s[0:1]
	v_add_f64 v[14:15], v[28:29], v[30:31]
.LBB20_120:
	s_or_b64 exec, exec, s[30:31]
	v_max_f64 v[28:29], v[14:15], v[14:15]
	v_min_f64 v[30:31], v[28:29], v[54:55]
	v_cmp_u_f64_e64 s[0:1], v[14:15], v[14:15]
	v_max_f64 v[28:29], v[28:29], v[54:55]
	s_nop 0
	v_cndmask_b32_e64 v30, v30, v14, s[0:1]
	v_cndmask_b32_e64 v31, v31, v15, s[0:1]
	;; [unrolled: 1-line block ×8, first 2 shown]
	v_cmp_neq_f64_e64 s[0:1], v[30:31], v[28:29]
	v_cmp_class_f64_e64 s[28:29], v[30:31], s33
	s_or_b64 s[0:1], s[0:1], s[28:29]
	v_mov_b64_e32 v[16:17], v[14:15]
	s_and_saveexec_b64 s[30:31], s[0:1]
	s_cbranch_execz .LBB20_122
; %bb.121:
	s_mov_b32 s0, 0x652b82fe
	v_add_f64 v[16:17], v[30:31], -v[28:29]
	s_mov_b32 s1, 0x3ff71547
	v_mul_f64 v[30:31], v[16:17], s[0:1]
	v_rndne_f64_e32 v[30:31], v[30:31]
	s_mov_b32 s35, 0xbfe62e42
	s_mov_b32 s34, 0xfefa39ef
	v_fma_f64 v[32:33], s[34:35], v[30:31], v[16:17]
	s_mov_b32 s37, 0xbc7abc9e
	s_mov_b32 s36, 0x3b39803f
	;; [unrolled: 1-line block ×3, first 2 shown]
	v_fmac_f64_e32 v[32:33], s[36:37], v[30:31]
	v_mov_b32_e32 v38, 0xfca7ab0c
	v_mov_b32_e32 v39, 0x3e928af3
	s_mov_b32 s1, 0x3e5ade15
	v_fmac_f64_e32 v[38:39], s[0:1], v[32:33]
	v_mov_b32_e32 v40, 0x623fde64
	v_mov_b32_e32 v41, 0x3ec71dee
	v_fmac_f64_e32 v[40:41], v[32:33], v[38:39]
	v_mov_b32_e32 v38, 0x7c89e6b0
	v_mov_b32_e32 v39, 0x3efa0199
	;; [unrolled: 3-line block ×8, first 2 shown]
	v_fmac_f64_e32 v[38:39], v[32:33], v[40:41]
	v_fma_f64 v[38:39], v[32:33], v[38:39], 1.0
	s_mov_b32 s0, 0
	s_mov_b32 s28, 0
	v_fma_f64 v[32:33], v[32:33], v[38:39], 1.0
	v_cvt_i32_f64_e32 v30, v[30:31]
	s_mov_b32 s1, 0x40900000
	s_mov_b32 s29, 0xc090cc00
	v_ldexp_f64 v[30:31], v[32:33], v30
	v_mov_b32_e32 v32, 0x7ff00000
	v_cmp_nlt_f64_e64 s[0:1], s[0:1], v[16:17]
	v_cmp_ngt_f64_e64 s[28:29], s[28:29], v[16:17]
	s_mov_b32 s35, 0x3fe62e42
	v_cndmask_b32_e64 v31, v32, v31, s[0:1]
	s_and_b64 s[0:1], s[28:29], s[0:1]
	v_cndmask_b32_e64 v17, 0, v31, s[28:29]
	v_cndmask_b32_e64 v16, 0, v30, s[0:1]
	v_add_f64 v[30:31], v[16:17], 1.0
	v_add_f64 v[32:33], v[30:31], -1.0
	v_add_f64 v[38:39], v[32:33], -v[30:31]
	v_add_f64 v[38:39], v[38:39], 1.0
	v_add_f64 v[32:33], v[16:17], -v[32:33]
	s_mov_b32 s0, 0x55555555
	v_add_f64 v[32:33], v[32:33], v[38:39]
	v_frexp_mant_f64_e32 v[38:39], v[30:31]
	s_mov_b32 s1, 0x3fe55555
	v_frexp_exp_i32_f64_e32 v40, v[30:31]
	v_cmp_gt_f64_e64 s[0:1], s[0:1], v[38:39]
	s_mov_b32 s37, 0x3c7abc9e
	s_nop 0
	v_subbrev_co_u32_e64 v54, s[0:1], 0, v40, s[0:1]
	v_sub_u32_e32 v38, 0, v54
	v_ldexp_f64 v[30:31], v[30:31], v38
	v_ldexp_f64 v[32:33], v[32:33], v38
	v_add_f64 v[38:39], v[30:31], -1.0
	v_add_f64 v[44:45], v[30:31], 1.0
	v_add_f64 v[40:41], v[38:39], 1.0
	v_add_f64 v[46:47], v[44:45], -1.0
	v_add_f64 v[40:41], v[30:31], -v[40:41]
	v_add_f64 v[30:31], v[30:31], -v[46:47]
	v_add_f64 v[30:31], v[32:33], v[30:31]
	v_add_f64 v[40:41], v[32:33], v[40:41]
	;; [unrolled: 1-line block ×3, first 2 shown]
	v_rcp_f64_e32 v[46:47], v[32:33]
	v_add_f64 v[42:43], v[38:39], v[40:41]
	v_add_f64 v[38:39], v[42:43], -v[38:39]
	v_add_f64 v[38:39], v[40:41], -v[38:39]
	;; [unrolled: 1-line block ×4, first 2 shown]
	v_fma_f64 v[40:41], -v[32:33], v[46:47], 1.0
	v_fmac_f64_e32 v[46:47], v[40:41], v[46:47]
	v_fma_f64 v[40:41], -v[32:33], v[46:47], 1.0
	v_fmac_f64_e32 v[46:47], v[40:41], v[46:47]
	v_mul_f64 v[40:41], v[42:43], v[46:47]
	v_mul_f64 v[44:45], v[32:33], v[40:41]
	v_fma_f64 v[48:49], v[40:41], v[32:33], -v[44:45]
	v_fmac_f64_e32 v[48:49], v[40:41], v[30:31]
	v_add_f64 v[50:51], v[44:45], v[48:49]
	v_add_f64 v[52:53], v[42:43], -v[50:51]
	v_add_f64 v[42:43], v[42:43], -v[52:53]
	;; [unrolled: 1-line block ×4, first 2 shown]
	v_add_f64 v[38:39], v[38:39], v[42:43]
	v_add_f64 v[42:43], v[44:45], -v[48:49]
	v_add_f64 v[38:39], v[42:43], v[38:39]
	v_add_f64 v[42:43], v[52:53], v[38:39]
	v_add_f64 v[44:45], v[52:53], -v[42:43]
	v_add_f64 v[38:39], v[38:39], v[44:45]
	v_mul_f64 v[44:45], v[46:47], v[42:43]
	v_mul_f64 v[48:49], v[32:33], v[44:45]
	v_fma_f64 v[32:33], v[44:45], v[32:33], -v[48:49]
	v_fmac_f64_e32 v[32:33], v[44:45], v[30:31]
	v_add_f64 v[30:31], v[48:49], v[32:33]
	v_add_f64 v[50:51], v[42:43], -v[30:31]
	v_add_f64 v[42:43], v[42:43], -v[50:51]
	;; [unrolled: 1-line block ×4, first 2 shown]
	v_add_f64 v[30:31], v[38:39], v[30:31]
	v_add_f64 v[32:33], v[48:49], -v[32:33]
	v_add_f64 v[30:31], v[32:33], v[30:31]
	v_add_f64 v[32:33], v[40:41], v[44:45]
	;; [unrolled: 1-line block ×3, first 2 shown]
	v_add_f64 v[38:39], v[32:33], -v[40:41]
	v_mul_f64 v[30:31], v[46:47], v[30:31]
	v_add_f64 v[38:39], v[44:45], -v[38:39]
	v_add_f64 v[30:31], v[38:39], v[30:31]
	v_add_f64 v[38:39], v[32:33], v[30:31]
	v_add_f64 v[32:33], v[38:39], -v[32:33]
	s_mov_b32 s0, 0xbf559e2b
	v_add_f64 v[30:31], v[30:31], -v[32:33]
	v_mul_f64 v[32:33], v[38:39], v[38:39]
	v_mov_b32_e32 v40, 0x6b47b09a
	v_mov_b32_e32 v41, 0x3fc38538
	s_mov_b32 s1, 0x3fc3ab76
	v_fmac_f64_e32 v[40:41], s[0:1], v[32:33]
	v_mov_b32_e32 v42, 0xd7f4df2e
	v_mov_b32_e32 v43, 0x3fc7474d
	v_fmac_f64_e32 v[42:43], v[32:33], v[40:41]
	v_mov_b32_e32 v40, 0x16291751
	v_mov_b32_e32 v41, 0x3fcc71c0
	;; [unrolled: 3-line block ×5, first 2 shown]
	v_fmac_f64_e32 v[42:43], v[32:33], v[40:41]
	v_cvt_f64_i32_e32 v[40:41], v54
	v_mul_f64 v[44:45], v[40:41], s[34:35]
	v_fma_f64 v[46:47], v[40:41], s[34:35], -v[44:45]
	v_fmac_f64_e32 v[46:47], s[36:37], v[40:41]
	v_add_f64 v[40:41], v[44:45], v[46:47]
	v_add_f64 v[44:45], v[40:41], -v[44:45]
	v_mul_f64 v[32:33], v[38:39], v[32:33]
	v_add_f64 v[44:45], v[46:47], -v[44:45]
	v_ldexp_f64 v[46:47], v[38:39], 1
	v_mul_f64 v[32:33], v[32:33], v[42:43]
	v_add_f64 v[38:39], v[46:47], v[32:33]
	v_add_f64 v[42:43], v[38:39], -v[46:47]
	v_ldexp_f64 v[30:31], v[30:31], 1
	v_add_f64 v[32:33], v[32:33], -v[42:43]
	v_add_f64 v[30:31], v[30:31], v[32:33]
	v_add_f64 v[32:33], v[38:39], v[30:31]
	v_add_f64 v[38:39], v[32:33], -v[38:39]
	v_add_f64 v[30:31], v[30:31], -v[38:39]
	v_add_f64 v[38:39], v[40:41], v[32:33]
	v_add_f64 v[42:43], v[38:39], -v[40:41]
	v_add_f64 v[46:47], v[38:39], -v[42:43]
	;; [unrolled: 1-line block ×4, first 2 shown]
	v_add_f64 v[32:33], v[32:33], v[40:41]
	v_add_f64 v[40:41], v[44:45], v[30:31]
	v_add_f64 v[42:43], v[40:41], -v[44:45]
	v_add_f64 v[32:33], v[40:41], v[32:33]
	v_add_f64 v[46:47], v[40:41], -v[42:43]
	;; [unrolled: 2-line block ×3, first 2 shown]
	v_add_f64 v[30:31], v[30:31], -v[42:43]
	v_add_f64 v[38:39], v[40:41], -v[38:39]
	v_add_f64 v[30:31], v[30:31], v[44:45]
	v_add_f64 v[32:33], v[32:33], -v[38:39]
	s_mov_b32 s0, 0
	v_add_f64 v[30:31], v[30:31], v[32:33]
	s_mov_b32 s1, 0x7ff00000
	v_add_f64 v[30:31], v[40:41], v[30:31]
	v_cmp_eq_f64_e64 s[0:1], s[0:1], v[16:17]
	v_mov_b32_e32 v32, 0x7ff80000
	s_nop 0
	v_cndmask_b32_e64 v30, v30, v16, s[0:1]
	v_cndmask_b32_e64 v31, v31, v17, s[0:1]
	v_cmp_ngt_f64_e64 s[0:1], -1.0, v[16:17]
	s_nop 1
	v_cndmask_b32_e64 v31, v32, v31, s[0:1]
	v_cmp_nge_f64_e64 s[0:1], -1.0, v[16:17]
	v_mov_b32_e32 v32, 0xfff00000
	s_nop 0
	v_cndmask_b32_e64 v30, 0, v30, s[0:1]
	v_cmp_neq_f64_e64 s[0:1], -1.0, v[16:17]
	s_nop 1
	v_cndmask_b32_e64 v31, v32, v31, s[0:1]
	v_add_f64 v[16:17], v[28:29], v[30:31]
.LBB20_122:
	s_or_b64 exec, exec, s[30:31]
	v_max_f64 v[28:29], v[16:17], v[16:17]
	v_min_f64 v[30:31], v[28:29], v[56:57]
	v_cmp_u_f64_e64 s[0:1], v[16:17], v[16:17]
	v_max_f64 v[28:29], v[28:29], v[56:57]
	s_nop 0
	v_cndmask_b32_e64 v30, v30, v16, s[0:1]
	v_cndmask_b32_e64 v31, v31, v17, s[0:1]
	;; [unrolled: 1-line block ×8, first 2 shown]
	v_cmp_neq_f64_e64 s[0:1], v[30:31], v[28:29]
	v_cmp_class_f64_e64 s[28:29], v[30:31], s33
	s_or_b64 s[0:1], s[0:1], s[28:29]
	v_mov_b64_e32 v[10:11], v[16:17]
	s_and_saveexec_b64 s[30:31], s[0:1]
	s_cbranch_execz .LBB20_124
; %bb.123:
	s_mov_b32 s0, 0x652b82fe
	v_add_f64 v[10:11], v[30:31], -v[28:29]
	s_mov_b32 s1, 0x3ff71547
	v_mul_f64 v[30:31], v[10:11], s[0:1]
	v_rndne_f64_e32 v[30:31], v[30:31]
	s_mov_b32 s35, 0xbfe62e42
	s_mov_b32 s34, 0xfefa39ef
	v_fma_f64 v[32:33], s[34:35], v[30:31], v[10:11]
	s_mov_b32 s37, 0xbc7abc9e
	s_mov_b32 s36, 0x3b39803f
	;; [unrolled: 1-line block ×3, first 2 shown]
	v_fmac_f64_e32 v[32:33], s[36:37], v[30:31]
	v_mov_b32_e32 v38, 0xfca7ab0c
	v_mov_b32_e32 v39, 0x3e928af3
	s_mov_b32 s1, 0x3e5ade15
	v_fmac_f64_e32 v[38:39], s[0:1], v[32:33]
	v_mov_b32_e32 v40, 0x623fde64
	v_mov_b32_e32 v41, 0x3ec71dee
	v_fmac_f64_e32 v[40:41], v[32:33], v[38:39]
	v_mov_b32_e32 v38, 0x7c89e6b0
	v_mov_b32_e32 v39, 0x3efa0199
	;; [unrolled: 3-line block ×8, first 2 shown]
	v_fmac_f64_e32 v[38:39], v[32:33], v[40:41]
	v_fma_f64 v[38:39], v[32:33], v[38:39], 1.0
	s_mov_b32 s0, 0
	s_mov_b32 s28, 0
	v_fma_f64 v[32:33], v[32:33], v[38:39], 1.0
	v_cvt_i32_f64_e32 v30, v[30:31]
	s_mov_b32 s1, 0x40900000
	s_mov_b32 s29, 0xc090cc00
	v_ldexp_f64 v[30:31], v[32:33], v30
	v_mov_b32_e32 v32, 0x7ff00000
	v_cmp_nlt_f64_e64 s[0:1], s[0:1], v[10:11]
	v_cmp_ngt_f64_e64 s[28:29], s[28:29], v[10:11]
	s_mov_b32 s35, 0x3fe62e42
	v_cndmask_b32_e64 v31, v32, v31, s[0:1]
	s_and_b64 s[0:1], s[28:29], s[0:1]
	v_cndmask_b32_e64 v11, 0, v31, s[28:29]
	v_cndmask_b32_e64 v10, 0, v30, s[0:1]
	v_add_f64 v[30:31], v[10:11], 1.0
	v_add_f64 v[32:33], v[30:31], -1.0
	v_add_f64 v[38:39], v[32:33], -v[30:31]
	v_add_f64 v[38:39], v[38:39], 1.0
	v_add_f64 v[32:33], v[10:11], -v[32:33]
	s_mov_b32 s0, 0x55555555
	v_add_f64 v[32:33], v[32:33], v[38:39]
	v_frexp_mant_f64_e32 v[38:39], v[30:31]
	s_mov_b32 s1, 0x3fe55555
	v_frexp_exp_i32_f64_e32 v40, v[30:31]
	v_cmp_gt_f64_e64 s[0:1], s[0:1], v[38:39]
	s_mov_b32 s37, 0x3c7abc9e
	s_nop 0
	v_subbrev_co_u32_e64 v54, s[0:1], 0, v40, s[0:1]
	v_sub_u32_e32 v38, 0, v54
	v_ldexp_f64 v[30:31], v[30:31], v38
	v_ldexp_f64 v[32:33], v[32:33], v38
	v_add_f64 v[38:39], v[30:31], -1.0
	v_add_f64 v[44:45], v[30:31], 1.0
	v_add_f64 v[40:41], v[38:39], 1.0
	v_add_f64 v[46:47], v[44:45], -1.0
	v_add_f64 v[40:41], v[30:31], -v[40:41]
	v_add_f64 v[30:31], v[30:31], -v[46:47]
	v_add_f64 v[30:31], v[32:33], v[30:31]
	v_add_f64 v[40:41], v[32:33], v[40:41]
	;; [unrolled: 1-line block ×3, first 2 shown]
	v_rcp_f64_e32 v[46:47], v[32:33]
	v_add_f64 v[42:43], v[38:39], v[40:41]
	v_add_f64 v[38:39], v[42:43], -v[38:39]
	v_add_f64 v[38:39], v[40:41], -v[38:39]
	;; [unrolled: 1-line block ×4, first 2 shown]
	v_fma_f64 v[40:41], -v[32:33], v[46:47], 1.0
	v_fmac_f64_e32 v[46:47], v[40:41], v[46:47]
	v_fma_f64 v[40:41], -v[32:33], v[46:47], 1.0
	v_fmac_f64_e32 v[46:47], v[40:41], v[46:47]
	v_mul_f64 v[40:41], v[42:43], v[46:47]
	v_mul_f64 v[44:45], v[32:33], v[40:41]
	v_fma_f64 v[48:49], v[40:41], v[32:33], -v[44:45]
	v_fmac_f64_e32 v[48:49], v[40:41], v[30:31]
	v_add_f64 v[50:51], v[44:45], v[48:49]
	v_add_f64 v[52:53], v[42:43], -v[50:51]
	v_add_f64 v[42:43], v[42:43], -v[52:53]
	;; [unrolled: 1-line block ×4, first 2 shown]
	v_add_f64 v[38:39], v[38:39], v[42:43]
	v_add_f64 v[42:43], v[44:45], -v[48:49]
	v_add_f64 v[38:39], v[42:43], v[38:39]
	v_add_f64 v[42:43], v[52:53], v[38:39]
	v_add_f64 v[44:45], v[52:53], -v[42:43]
	v_add_f64 v[38:39], v[38:39], v[44:45]
	v_mul_f64 v[44:45], v[46:47], v[42:43]
	v_mul_f64 v[48:49], v[32:33], v[44:45]
	v_fma_f64 v[32:33], v[44:45], v[32:33], -v[48:49]
	v_fmac_f64_e32 v[32:33], v[44:45], v[30:31]
	v_add_f64 v[30:31], v[48:49], v[32:33]
	v_add_f64 v[50:51], v[42:43], -v[30:31]
	v_add_f64 v[42:43], v[42:43], -v[50:51]
	;; [unrolled: 1-line block ×4, first 2 shown]
	v_add_f64 v[30:31], v[38:39], v[30:31]
	v_add_f64 v[32:33], v[48:49], -v[32:33]
	v_add_f64 v[30:31], v[32:33], v[30:31]
	v_add_f64 v[32:33], v[40:41], v[44:45]
	;; [unrolled: 1-line block ×3, first 2 shown]
	v_add_f64 v[38:39], v[32:33], -v[40:41]
	v_mul_f64 v[30:31], v[46:47], v[30:31]
	v_add_f64 v[38:39], v[44:45], -v[38:39]
	v_add_f64 v[30:31], v[38:39], v[30:31]
	v_add_f64 v[38:39], v[32:33], v[30:31]
	v_add_f64 v[32:33], v[38:39], -v[32:33]
	s_mov_b32 s0, 0xbf559e2b
	v_add_f64 v[30:31], v[30:31], -v[32:33]
	v_mul_f64 v[32:33], v[38:39], v[38:39]
	v_mov_b32_e32 v40, 0x6b47b09a
	v_mov_b32_e32 v41, 0x3fc38538
	s_mov_b32 s1, 0x3fc3ab76
	v_fmac_f64_e32 v[40:41], s[0:1], v[32:33]
	v_mov_b32_e32 v42, 0xd7f4df2e
	v_mov_b32_e32 v43, 0x3fc7474d
	v_fmac_f64_e32 v[42:43], v[32:33], v[40:41]
	v_mov_b32_e32 v40, 0x16291751
	v_mov_b32_e32 v41, 0x3fcc71c0
	v_fmac_f64_e32 v[40:41], v[32:33], v[42:43]
	v_mov_b32_e32 v42, 0x9b27acf1
	v_mov_b32_e32 v43, 0x3fd24924
	v_fmac_f64_e32 v[42:43], v[32:33], v[40:41]
	v_mov_b32_e32 v40, 0x998ef7b6
	v_mov_b32_e32 v41, 0x3fd99999
	v_fmac_f64_e32 v[40:41], v[32:33], v[42:43]
	v_mov_b32_e32 v42, 0x55555780
	v_mov_b32_e32 v43, 0x3fe55555
	v_fmac_f64_e32 v[42:43], v[32:33], v[40:41]
	v_cvt_f64_i32_e32 v[40:41], v54
	v_mul_f64 v[44:45], v[40:41], s[34:35]
	v_fma_f64 v[46:47], v[40:41], s[34:35], -v[44:45]
	v_fmac_f64_e32 v[46:47], s[36:37], v[40:41]
	v_add_f64 v[40:41], v[44:45], v[46:47]
	v_add_f64 v[44:45], v[40:41], -v[44:45]
	v_mul_f64 v[32:33], v[38:39], v[32:33]
	v_add_f64 v[44:45], v[46:47], -v[44:45]
	v_ldexp_f64 v[46:47], v[38:39], 1
	v_mul_f64 v[32:33], v[32:33], v[42:43]
	v_add_f64 v[38:39], v[46:47], v[32:33]
	v_add_f64 v[42:43], v[38:39], -v[46:47]
	v_ldexp_f64 v[30:31], v[30:31], 1
	v_add_f64 v[32:33], v[32:33], -v[42:43]
	v_add_f64 v[30:31], v[30:31], v[32:33]
	v_add_f64 v[32:33], v[38:39], v[30:31]
	v_add_f64 v[38:39], v[32:33], -v[38:39]
	v_add_f64 v[30:31], v[30:31], -v[38:39]
	v_add_f64 v[38:39], v[40:41], v[32:33]
	v_add_f64 v[42:43], v[38:39], -v[40:41]
	v_add_f64 v[46:47], v[38:39], -v[42:43]
	;; [unrolled: 1-line block ×4, first 2 shown]
	v_add_f64 v[32:33], v[32:33], v[40:41]
	v_add_f64 v[40:41], v[44:45], v[30:31]
	v_add_f64 v[42:43], v[40:41], -v[44:45]
	v_add_f64 v[32:33], v[40:41], v[32:33]
	v_add_f64 v[46:47], v[40:41], -v[42:43]
	;; [unrolled: 2-line block ×3, first 2 shown]
	v_add_f64 v[30:31], v[30:31], -v[42:43]
	v_add_f64 v[38:39], v[40:41], -v[38:39]
	v_add_f64 v[30:31], v[30:31], v[44:45]
	v_add_f64 v[32:33], v[32:33], -v[38:39]
	s_mov_b32 s0, 0
	v_add_f64 v[30:31], v[30:31], v[32:33]
	s_mov_b32 s1, 0x7ff00000
	v_add_f64 v[30:31], v[40:41], v[30:31]
	v_cmp_eq_f64_e64 s[0:1], s[0:1], v[10:11]
	v_mov_b32_e32 v32, 0x7ff80000
	s_nop 0
	v_cndmask_b32_e64 v30, v30, v10, s[0:1]
	v_cndmask_b32_e64 v31, v31, v11, s[0:1]
	v_cmp_ngt_f64_e64 s[0:1], -1.0, v[10:11]
	s_nop 1
	v_cndmask_b32_e64 v31, v32, v31, s[0:1]
	v_cmp_nge_f64_e64 s[0:1], -1.0, v[10:11]
	v_mov_b32_e32 v32, 0xfff00000
	s_nop 0
	v_cndmask_b32_e64 v30, 0, v30, s[0:1]
	v_cmp_neq_f64_e64 s[0:1], -1.0, v[10:11]
	s_nop 1
	v_cndmask_b32_e64 v31, v32, v31, s[0:1]
	v_add_f64 v[10:11], v[28:29], v[30:31]
.LBB20_124:
	s_or_b64 exec, exec, s[30:31]
	v_max_f64 v[28:29], v[10:11], v[10:11]
	v_min_f64 v[30:31], v[28:29], v[58:59]
	v_cmp_u_f64_e64 s[0:1], v[10:11], v[10:11]
	v_max_f64 v[28:29], v[28:29], v[58:59]
	s_nop 0
	v_cndmask_b32_e64 v30, v30, v10, s[0:1]
	v_cndmask_b32_e64 v31, v31, v11, s[0:1]
	;; [unrolled: 1-line block ×8, first 2 shown]
	v_cmp_neq_f64_e64 s[0:1], v[30:31], v[28:29]
	v_cmp_class_f64_e64 s[28:29], v[30:31], s33
	s_or_b64 s[0:1], s[0:1], s[28:29]
	v_mov_b64_e32 v[12:13], v[10:11]
	s_and_saveexec_b64 s[30:31], s[0:1]
	s_cbranch_execz .LBB20_126
; %bb.125:
	s_mov_b32 s0, 0x652b82fe
	v_add_f64 v[12:13], v[30:31], -v[28:29]
	s_mov_b32 s1, 0x3ff71547
	v_mul_f64 v[30:31], v[12:13], s[0:1]
	v_rndne_f64_e32 v[30:31], v[30:31]
	s_mov_b32 s35, 0xbfe62e42
	s_mov_b32 s34, 0xfefa39ef
	v_fma_f64 v[32:33], s[34:35], v[30:31], v[12:13]
	s_mov_b32 s37, 0xbc7abc9e
	s_mov_b32 s36, 0x3b39803f
	;; [unrolled: 1-line block ×3, first 2 shown]
	v_fmac_f64_e32 v[32:33], s[36:37], v[30:31]
	v_mov_b32_e32 v38, 0xfca7ab0c
	v_mov_b32_e32 v39, 0x3e928af3
	s_mov_b32 s1, 0x3e5ade15
	v_fmac_f64_e32 v[38:39], s[0:1], v[32:33]
	v_mov_b32_e32 v40, 0x623fde64
	v_mov_b32_e32 v41, 0x3ec71dee
	v_fmac_f64_e32 v[40:41], v[32:33], v[38:39]
	v_mov_b32_e32 v38, 0x7c89e6b0
	v_mov_b32_e32 v39, 0x3efa0199
	;; [unrolled: 3-line block ×8, first 2 shown]
	v_fmac_f64_e32 v[38:39], v[32:33], v[40:41]
	v_fma_f64 v[38:39], v[32:33], v[38:39], 1.0
	s_mov_b32 s0, 0
	s_mov_b32 s28, 0
	v_fma_f64 v[32:33], v[32:33], v[38:39], 1.0
	v_cvt_i32_f64_e32 v30, v[30:31]
	s_mov_b32 s1, 0x40900000
	s_mov_b32 s29, 0xc090cc00
	v_ldexp_f64 v[30:31], v[32:33], v30
	v_mov_b32_e32 v32, 0x7ff00000
	v_cmp_nlt_f64_e64 s[0:1], s[0:1], v[12:13]
	v_cmp_ngt_f64_e64 s[28:29], s[28:29], v[12:13]
	s_mov_b32 s35, 0x3fe62e42
	v_cndmask_b32_e64 v31, v32, v31, s[0:1]
	s_and_b64 s[0:1], s[28:29], s[0:1]
	v_cndmask_b32_e64 v13, 0, v31, s[28:29]
	v_cndmask_b32_e64 v12, 0, v30, s[0:1]
	v_add_f64 v[30:31], v[12:13], 1.0
	v_add_f64 v[32:33], v[30:31], -1.0
	v_add_f64 v[38:39], v[32:33], -v[30:31]
	v_add_f64 v[38:39], v[38:39], 1.0
	v_add_f64 v[32:33], v[12:13], -v[32:33]
	s_mov_b32 s0, 0x55555555
	v_add_f64 v[32:33], v[32:33], v[38:39]
	v_frexp_mant_f64_e32 v[38:39], v[30:31]
	s_mov_b32 s1, 0x3fe55555
	v_frexp_exp_i32_f64_e32 v40, v[30:31]
	v_cmp_gt_f64_e64 s[0:1], s[0:1], v[38:39]
	s_mov_b32 s37, 0x3c7abc9e
	s_nop 0
	v_subbrev_co_u32_e64 v54, s[0:1], 0, v40, s[0:1]
	v_sub_u32_e32 v38, 0, v54
	v_ldexp_f64 v[30:31], v[30:31], v38
	v_ldexp_f64 v[32:33], v[32:33], v38
	v_add_f64 v[38:39], v[30:31], -1.0
	v_add_f64 v[44:45], v[30:31], 1.0
	v_add_f64 v[40:41], v[38:39], 1.0
	v_add_f64 v[46:47], v[44:45], -1.0
	v_add_f64 v[40:41], v[30:31], -v[40:41]
	v_add_f64 v[30:31], v[30:31], -v[46:47]
	v_add_f64 v[30:31], v[32:33], v[30:31]
	v_add_f64 v[40:41], v[32:33], v[40:41]
	;; [unrolled: 1-line block ×3, first 2 shown]
	v_rcp_f64_e32 v[46:47], v[32:33]
	v_add_f64 v[42:43], v[38:39], v[40:41]
	v_add_f64 v[38:39], v[42:43], -v[38:39]
	v_add_f64 v[38:39], v[40:41], -v[38:39]
	v_add_f64 v[40:41], v[32:33], -v[44:45]
	v_add_f64 v[30:31], v[30:31], -v[40:41]
	v_fma_f64 v[40:41], -v[32:33], v[46:47], 1.0
	v_fmac_f64_e32 v[46:47], v[40:41], v[46:47]
	v_fma_f64 v[40:41], -v[32:33], v[46:47], 1.0
	v_fmac_f64_e32 v[46:47], v[40:41], v[46:47]
	v_mul_f64 v[40:41], v[42:43], v[46:47]
	v_mul_f64 v[44:45], v[32:33], v[40:41]
	v_fma_f64 v[48:49], v[40:41], v[32:33], -v[44:45]
	v_fmac_f64_e32 v[48:49], v[40:41], v[30:31]
	v_add_f64 v[50:51], v[44:45], v[48:49]
	v_add_f64 v[52:53], v[42:43], -v[50:51]
	v_add_f64 v[42:43], v[42:43], -v[52:53]
	v_add_f64 v[44:45], v[50:51], -v[44:45]
	v_add_f64 v[42:43], v[42:43], -v[50:51]
	v_add_f64 v[38:39], v[38:39], v[42:43]
	v_add_f64 v[42:43], v[44:45], -v[48:49]
	v_add_f64 v[38:39], v[42:43], v[38:39]
	v_add_f64 v[42:43], v[52:53], v[38:39]
	v_add_f64 v[44:45], v[52:53], -v[42:43]
	v_add_f64 v[38:39], v[38:39], v[44:45]
	v_mul_f64 v[44:45], v[46:47], v[42:43]
	v_mul_f64 v[48:49], v[32:33], v[44:45]
	v_fma_f64 v[32:33], v[44:45], v[32:33], -v[48:49]
	v_fmac_f64_e32 v[32:33], v[44:45], v[30:31]
	v_add_f64 v[30:31], v[48:49], v[32:33]
	v_add_f64 v[50:51], v[42:43], -v[30:31]
	v_add_f64 v[42:43], v[42:43], -v[50:51]
	;; [unrolled: 1-line block ×4, first 2 shown]
	v_add_f64 v[30:31], v[38:39], v[30:31]
	v_add_f64 v[32:33], v[48:49], -v[32:33]
	v_add_f64 v[30:31], v[32:33], v[30:31]
	v_add_f64 v[32:33], v[40:41], v[44:45]
	;; [unrolled: 1-line block ×3, first 2 shown]
	v_add_f64 v[38:39], v[32:33], -v[40:41]
	v_mul_f64 v[30:31], v[46:47], v[30:31]
	v_add_f64 v[38:39], v[44:45], -v[38:39]
	v_add_f64 v[30:31], v[38:39], v[30:31]
	v_add_f64 v[38:39], v[32:33], v[30:31]
	v_add_f64 v[32:33], v[38:39], -v[32:33]
	s_mov_b32 s0, 0xbf559e2b
	v_add_f64 v[30:31], v[30:31], -v[32:33]
	v_mul_f64 v[32:33], v[38:39], v[38:39]
	v_mov_b32_e32 v40, 0x6b47b09a
	v_mov_b32_e32 v41, 0x3fc38538
	s_mov_b32 s1, 0x3fc3ab76
	v_fmac_f64_e32 v[40:41], s[0:1], v[32:33]
	v_mov_b32_e32 v42, 0xd7f4df2e
	v_mov_b32_e32 v43, 0x3fc7474d
	v_fmac_f64_e32 v[42:43], v[32:33], v[40:41]
	v_mov_b32_e32 v40, 0x16291751
	v_mov_b32_e32 v41, 0x3fcc71c0
	;; [unrolled: 3-line block ×5, first 2 shown]
	v_fmac_f64_e32 v[42:43], v[32:33], v[40:41]
	v_cvt_f64_i32_e32 v[40:41], v54
	v_mul_f64 v[44:45], v[40:41], s[34:35]
	v_fma_f64 v[46:47], v[40:41], s[34:35], -v[44:45]
	v_fmac_f64_e32 v[46:47], s[36:37], v[40:41]
	v_add_f64 v[40:41], v[44:45], v[46:47]
	v_add_f64 v[44:45], v[40:41], -v[44:45]
	v_mul_f64 v[32:33], v[38:39], v[32:33]
	v_add_f64 v[44:45], v[46:47], -v[44:45]
	v_ldexp_f64 v[46:47], v[38:39], 1
	v_mul_f64 v[32:33], v[32:33], v[42:43]
	v_add_f64 v[38:39], v[46:47], v[32:33]
	v_add_f64 v[42:43], v[38:39], -v[46:47]
	v_ldexp_f64 v[30:31], v[30:31], 1
	v_add_f64 v[32:33], v[32:33], -v[42:43]
	v_add_f64 v[30:31], v[30:31], v[32:33]
	v_add_f64 v[32:33], v[38:39], v[30:31]
	v_add_f64 v[38:39], v[32:33], -v[38:39]
	v_add_f64 v[30:31], v[30:31], -v[38:39]
	v_add_f64 v[38:39], v[40:41], v[32:33]
	v_add_f64 v[42:43], v[38:39], -v[40:41]
	v_add_f64 v[46:47], v[38:39], -v[42:43]
	;; [unrolled: 1-line block ×4, first 2 shown]
	v_add_f64 v[32:33], v[32:33], v[40:41]
	v_add_f64 v[40:41], v[44:45], v[30:31]
	v_add_f64 v[42:43], v[40:41], -v[44:45]
	v_add_f64 v[32:33], v[40:41], v[32:33]
	v_add_f64 v[46:47], v[40:41], -v[42:43]
	;; [unrolled: 2-line block ×3, first 2 shown]
	v_add_f64 v[30:31], v[30:31], -v[42:43]
	v_add_f64 v[38:39], v[40:41], -v[38:39]
	v_add_f64 v[30:31], v[30:31], v[44:45]
	v_add_f64 v[32:33], v[32:33], -v[38:39]
	s_mov_b32 s0, 0
	v_add_f64 v[30:31], v[30:31], v[32:33]
	s_mov_b32 s1, 0x7ff00000
	v_add_f64 v[30:31], v[40:41], v[30:31]
	v_cmp_eq_f64_e64 s[0:1], s[0:1], v[12:13]
	v_mov_b32_e32 v32, 0x7ff80000
	s_nop 0
	v_cndmask_b32_e64 v30, v30, v12, s[0:1]
	v_cndmask_b32_e64 v31, v31, v13, s[0:1]
	v_cmp_ngt_f64_e64 s[0:1], -1.0, v[12:13]
	s_nop 1
	v_cndmask_b32_e64 v31, v32, v31, s[0:1]
	v_cmp_nge_f64_e64 s[0:1], -1.0, v[12:13]
	v_mov_b32_e32 v32, 0xfff00000
	s_nop 0
	v_cndmask_b32_e64 v30, 0, v30, s[0:1]
	v_cmp_neq_f64_e64 s[0:1], -1.0, v[12:13]
	s_nop 1
	v_cndmask_b32_e64 v31, v32, v31, s[0:1]
	v_add_f64 v[12:13], v[28:29], v[30:31]
.LBB20_126:
	s_or_b64 exec, exec, s[30:31]
	v_max_f64 v[28:29], v[12:13], v[12:13]
	v_min_f64 v[30:31], v[28:29], v[60:61]
	v_cmp_u_f64_e64 s[0:1], v[12:13], v[12:13]
	v_max_f64 v[28:29], v[28:29], v[60:61]
	s_nop 0
	v_cndmask_b32_e64 v30, v30, v12, s[0:1]
	v_cndmask_b32_e64 v31, v31, v13, s[0:1]
	;; [unrolled: 1-line block ×8, first 2 shown]
	v_cmp_neq_f64_e64 s[0:1], v[30:31], v[28:29]
	v_cmp_class_f64_e64 s[28:29], v[30:31], s33
	s_or_b64 s[0:1], s[0:1], s[28:29]
	v_mov_b64_e32 v[6:7], v[12:13]
	s_and_saveexec_b64 s[30:31], s[0:1]
	s_cbranch_execz .LBB20_128
; %bb.127:
	s_mov_b32 s0, 0x652b82fe
	v_add_f64 v[6:7], v[30:31], -v[28:29]
	s_mov_b32 s1, 0x3ff71547
	v_mul_f64 v[30:31], v[6:7], s[0:1]
	v_rndne_f64_e32 v[30:31], v[30:31]
	s_mov_b32 s35, 0xbfe62e42
	s_mov_b32 s34, 0xfefa39ef
	v_fma_f64 v[32:33], s[34:35], v[30:31], v[6:7]
	s_mov_b32 s37, 0xbc7abc9e
	s_mov_b32 s36, 0x3b39803f
	;; [unrolled: 1-line block ×3, first 2 shown]
	v_fmac_f64_e32 v[32:33], s[36:37], v[30:31]
	v_mov_b32_e32 v38, 0xfca7ab0c
	v_mov_b32_e32 v39, 0x3e928af3
	s_mov_b32 s1, 0x3e5ade15
	v_fmac_f64_e32 v[38:39], s[0:1], v[32:33]
	v_mov_b32_e32 v40, 0x623fde64
	v_mov_b32_e32 v41, 0x3ec71dee
	v_fmac_f64_e32 v[40:41], v[32:33], v[38:39]
	v_mov_b32_e32 v38, 0x7c89e6b0
	v_mov_b32_e32 v39, 0x3efa0199
	;; [unrolled: 3-line block ×8, first 2 shown]
	v_fmac_f64_e32 v[38:39], v[32:33], v[40:41]
	v_fma_f64 v[38:39], v[32:33], v[38:39], 1.0
	s_mov_b32 s0, 0
	s_mov_b32 s28, 0
	v_fma_f64 v[32:33], v[32:33], v[38:39], 1.0
	v_cvt_i32_f64_e32 v30, v[30:31]
	s_mov_b32 s1, 0x40900000
	s_mov_b32 s29, 0xc090cc00
	v_ldexp_f64 v[30:31], v[32:33], v30
	v_mov_b32_e32 v32, 0x7ff00000
	v_cmp_nlt_f64_e64 s[0:1], s[0:1], v[6:7]
	v_cmp_ngt_f64_e64 s[28:29], s[28:29], v[6:7]
	s_mov_b32 s35, 0x3fe62e42
	v_cndmask_b32_e64 v31, v32, v31, s[0:1]
	s_and_b64 s[0:1], s[28:29], s[0:1]
	v_cndmask_b32_e64 v7, 0, v31, s[28:29]
	v_cndmask_b32_e64 v6, 0, v30, s[0:1]
	v_add_f64 v[30:31], v[6:7], 1.0
	v_add_f64 v[32:33], v[30:31], -1.0
	v_add_f64 v[38:39], v[32:33], -v[30:31]
	v_add_f64 v[38:39], v[38:39], 1.0
	v_add_f64 v[32:33], v[6:7], -v[32:33]
	s_mov_b32 s0, 0x55555555
	v_add_f64 v[32:33], v[32:33], v[38:39]
	v_frexp_mant_f64_e32 v[38:39], v[30:31]
	s_mov_b32 s1, 0x3fe55555
	v_frexp_exp_i32_f64_e32 v40, v[30:31]
	v_cmp_gt_f64_e64 s[0:1], s[0:1], v[38:39]
	s_mov_b32 s37, 0x3c7abc9e
	s_nop 0
	v_subbrev_co_u32_e64 v54, s[0:1], 0, v40, s[0:1]
	v_sub_u32_e32 v38, 0, v54
	v_ldexp_f64 v[30:31], v[30:31], v38
	v_ldexp_f64 v[32:33], v[32:33], v38
	v_add_f64 v[38:39], v[30:31], -1.0
	v_add_f64 v[44:45], v[30:31], 1.0
	v_add_f64 v[40:41], v[38:39], 1.0
	v_add_f64 v[46:47], v[44:45], -1.0
	v_add_f64 v[40:41], v[30:31], -v[40:41]
	v_add_f64 v[30:31], v[30:31], -v[46:47]
	v_add_f64 v[30:31], v[32:33], v[30:31]
	v_add_f64 v[40:41], v[32:33], v[40:41]
	;; [unrolled: 1-line block ×3, first 2 shown]
	v_rcp_f64_e32 v[46:47], v[32:33]
	v_add_f64 v[42:43], v[38:39], v[40:41]
	v_add_f64 v[38:39], v[42:43], -v[38:39]
	v_add_f64 v[38:39], v[40:41], -v[38:39]
	;; [unrolled: 1-line block ×4, first 2 shown]
	v_fma_f64 v[40:41], -v[32:33], v[46:47], 1.0
	v_fmac_f64_e32 v[46:47], v[40:41], v[46:47]
	v_fma_f64 v[40:41], -v[32:33], v[46:47], 1.0
	v_fmac_f64_e32 v[46:47], v[40:41], v[46:47]
	v_mul_f64 v[40:41], v[42:43], v[46:47]
	v_mul_f64 v[44:45], v[32:33], v[40:41]
	v_fma_f64 v[48:49], v[40:41], v[32:33], -v[44:45]
	v_fmac_f64_e32 v[48:49], v[40:41], v[30:31]
	v_add_f64 v[50:51], v[44:45], v[48:49]
	v_add_f64 v[52:53], v[42:43], -v[50:51]
	v_add_f64 v[42:43], v[42:43], -v[52:53]
	;; [unrolled: 1-line block ×4, first 2 shown]
	v_add_f64 v[38:39], v[38:39], v[42:43]
	v_add_f64 v[42:43], v[44:45], -v[48:49]
	v_add_f64 v[38:39], v[42:43], v[38:39]
	v_add_f64 v[42:43], v[52:53], v[38:39]
	v_add_f64 v[44:45], v[52:53], -v[42:43]
	v_add_f64 v[38:39], v[38:39], v[44:45]
	v_mul_f64 v[44:45], v[46:47], v[42:43]
	v_mul_f64 v[48:49], v[32:33], v[44:45]
	v_fma_f64 v[32:33], v[44:45], v[32:33], -v[48:49]
	v_fmac_f64_e32 v[32:33], v[44:45], v[30:31]
	v_add_f64 v[30:31], v[48:49], v[32:33]
	v_add_f64 v[50:51], v[42:43], -v[30:31]
	v_add_f64 v[42:43], v[42:43], -v[50:51]
	;; [unrolled: 1-line block ×4, first 2 shown]
	v_add_f64 v[30:31], v[38:39], v[30:31]
	v_add_f64 v[32:33], v[48:49], -v[32:33]
	v_add_f64 v[30:31], v[32:33], v[30:31]
	v_add_f64 v[32:33], v[40:41], v[44:45]
	;; [unrolled: 1-line block ×3, first 2 shown]
	v_add_f64 v[38:39], v[32:33], -v[40:41]
	v_mul_f64 v[30:31], v[46:47], v[30:31]
	v_add_f64 v[38:39], v[44:45], -v[38:39]
	v_add_f64 v[30:31], v[38:39], v[30:31]
	v_add_f64 v[38:39], v[32:33], v[30:31]
	v_add_f64 v[32:33], v[38:39], -v[32:33]
	s_mov_b32 s0, 0xbf559e2b
	v_add_f64 v[30:31], v[30:31], -v[32:33]
	v_mul_f64 v[32:33], v[38:39], v[38:39]
	v_mov_b32_e32 v40, 0x6b47b09a
	v_mov_b32_e32 v41, 0x3fc38538
	s_mov_b32 s1, 0x3fc3ab76
	v_fmac_f64_e32 v[40:41], s[0:1], v[32:33]
	v_mov_b32_e32 v42, 0xd7f4df2e
	v_mov_b32_e32 v43, 0x3fc7474d
	v_fmac_f64_e32 v[42:43], v[32:33], v[40:41]
	v_mov_b32_e32 v40, 0x16291751
	v_mov_b32_e32 v41, 0x3fcc71c0
	;; [unrolled: 3-line block ×5, first 2 shown]
	v_fmac_f64_e32 v[42:43], v[32:33], v[40:41]
	v_cvt_f64_i32_e32 v[40:41], v54
	v_mul_f64 v[44:45], v[40:41], s[34:35]
	v_fma_f64 v[46:47], v[40:41], s[34:35], -v[44:45]
	v_fmac_f64_e32 v[46:47], s[36:37], v[40:41]
	v_add_f64 v[40:41], v[44:45], v[46:47]
	v_add_f64 v[44:45], v[40:41], -v[44:45]
	v_mul_f64 v[32:33], v[38:39], v[32:33]
	v_add_f64 v[44:45], v[46:47], -v[44:45]
	v_ldexp_f64 v[46:47], v[38:39], 1
	v_mul_f64 v[32:33], v[32:33], v[42:43]
	v_add_f64 v[38:39], v[46:47], v[32:33]
	v_add_f64 v[42:43], v[38:39], -v[46:47]
	v_ldexp_f64 v[30:31], v[30:31], 1
	v_add_f64 v[32:33], v[32:33], -v[42:43]
	v_add_f64 v[30:31], v[30:31], v[32:33]
	v_add_f64 v[32:33], v[38:39], v[30:31]
	v_add_f64 v[38:39], v[32:33], -v[38:39]
	v_add_f64 v[30:31], v[30:31], -v[38:39]
	v_add_f64 v[38:39], v[40:41], v[32:33]
	v_add_f64 v[42:43], v[38:39], -v[40:41]
	v_add_f64 v[46:47], v[38:39], -v[42:43]
	;; [unrolled: 1-line block ×4, first 2 shown]
	v_add_f64 v[32:33], v[32:33], v[40:41]
	v_add_f64 v[40:41], v[44:45], v[30:31]
	v_add_f64 v[42:43], v[40:41], -v[44:45]
	v_add_f64 v[32:33], v[40:41], v[32:33]
	v_add_f64 v[46:47], v[40:41], -v[42:43]
	;; [unrolled: 2-line block ×3, first 2 shown]
	v_add_f64 v[30:31], v[30:31], -v[42:43]
	v_add_f64 v[38:39], v[40:41], -v[38:39]
	v_add_f64 v[30:31], v[30:31], v[44:45]
	v_add_f64 v[32:33], v[32:33], -v[38:39]
	s_mov_b32 s0, 0
	v_add_f64 v[30:31], v[30:31], v[32:33]
	s_mov_b32 s1, 0x7ff00000
	v_add_f64 v[30:31], v[40:41], v[30:31]
	v_cmp_eq_f64_e64 s[0:1], s[0:1], v[6:7]
	v_mov_b32_e32 v32, 0x7ff80000
	s_nop 0
	v_cndmask_b32_e64 v30, v30, v6, s[0:1]
	v_cndmask_b32_e64 v31, v31, v7, s[0:1]
	v_cmp_ngt_f64_e64 s[0:1], -1.0, v[6:7]
	s_nop 1
	v_cndmask_b32_e64 v31, v32, v31, s[0:1]
	v_cmp_nge_f64_e64 s[0:1], -1.0, v[6:7]
	v_mov_b32_e32 v32, 0xfff00000
	s_nop 0
	v_cndmask_b32_e64 v30, 0, v30, s[0:1]
	v_cmp_neq_f64_e64 s[0:1], -1.0, v[6:7]
	s_nop 1
	v_cndmask_b32_e64 v31, v32, v31, s[0:1]
	v_add_f64 v[6:7], v[28:29], v[30:31]
.LBB20_128:
	s_or_b64 exec, exec, s[30:31]
	v_max_f64 v[28:29], v[6:7], v[6:7]
	v_min_f64 v[30:31], v[28:29], v[62:63]
	v_cmp_u_f64_e64 s[0:1], v[6:7], v[6:7]
	v_max_f64 v[28:29], v[28:29], v[62:63]
	s_nop 0
	v_cndmask_b32_e64 v30, v30, v6, s[0:1]
	v_cndmask_b32_e64 v31, v31, v7, s[0:1]
	;; [unrolled: 1-line block ×8, first 2 shown]
	v_cmp_neq_f64_e64 s[0:1], v[30:31], v[28:29]
	v_cmp_class_f64_e64 s[28:29], v[30:31], s33
	s_or_b64 s[0:1], s[0:1], s[28:29]
	v_mov_b64_e32 v[8:9], v[6:7]
	s_and_saveexec_b64 s[30:31], s[0:1]
	s_cbranch_execz .LBB20_130
; %bb.129:
	s_mov_b32 s0, 0x652b82fe
	v_add_f64 v[8:9], v[30:31], -v[28:29]
	s_mov_b32 s1, 0x3ff71547
	v_mul_f64 v[30:31], v[8:9], s[0:1]
	v_rndne_f64_e32 v[30:31], v[30:31]
	s_mov_b32 s35, 0xbfe62e42
	s_mov_b32 s34, 0xfefa39ef
	v_fma_f64 v[32:33], s[34:35], v[30:31], v[8:9]
	s_mov_b32 s37, 0xbc7abc9e
	s_mov_b32 s36, 0x3b39803f
	;; [unrolled: 1-line block ×3, first 2 shown]
	v_fmac_f64_e32 v[32:33], s[36:37], v[30:31]
	v_mov_b32_e32 v38, 0xfca7ab0c
	v_mov_b32_e32 v39, 0x3e928af3
	s_mov_b32 s1, 0x3e5ade15
	v_fmac_f64_e32 v[38:39], s[0:1], v[32:33]
	v_mov_b32_e32 v40, 0x623fde64
	v_mov_b32_e32 v41, 0x3ec71dee
	v_fmac_f64_e32 v[40:41], v[32:33], v[38:39]
	v_mov_b32_e32 v38, 0x7c89e6b0
	v_mov_b32_e32 v39, 0x3efa0199
	;; [unrolled: 3-line block ×8, first 2 shown]
	v_fmac_f64_e32 v[38:39], v[32:33], v[40:41]
	v_fma_f64 v[38:39], v[32:33], v[38:39], 1.0
	s_mov_b32 s0, 0
	s_mov_b32 s28, 0
	v_fma_f64 v[32:33], v[32:33], v[38:39], 1.0
	v_cvt_i32_f64_e32 v30, v[30:31]
	s_mov_b32 s1, 0x40900000
	s_mov_b32 s29, 0xc090cc00
	v_ldexp_f64 v[30:31], v[32:33], v30
	v_mov_b32_e32 v32, 0x7ff00000
	v_cmp_nlt_f64_e64 s[0:1], s[0:1], v[8:9]
	v_cmp_ngt_f64_e64 s[28:29], s[28:29], v[8:9]
	s_mov_b32 s35, 0x3fe62e42
	v_cndmask_b32_e64 v31, v32, v31, s[0:1]
	s_and_b64 s[0:1], s[28:29], s[0:1]
	v_cndmask_b32_e64 v9, 0, v31, s[28:29]
	v_cndmask_b32_e64 v8, 0, v30, s[0:1]
	v_add_f64 v[30:31], v[8:9], 1.0
	v_add_f64 v[32:33], v[30:31], -1.0
	v_add_f64 v[38:39], v[32:33], -v[30:31]
	v_add_f64 v[38:39], v[38:39], 1.0
	v_add_f64 v[32:33], v[8:9], -v[32:33]
	s_mov_b32 s0, 0x55555555
	v_add_f64 v[32:33], v[32:33], v[38:39]
	v_frexp_mant_f64_e32 v[38:39], v[30:31]
	s_mov_b32 s1, 0x3fe55555
	v_frexp_exp_i32_f64_e32 v40, v[30:31]
	v_cmp_gt_f64_e64 s[0:1], s[0:1], v[38:39]
	s_mov_b32 s37, 0x3c7abc9e
	s_nop 0
	v_subbrev_co_u32_e64 v54, s[0:1], 0, v40, s[0:1]
	v_sub_u32_e32 v38, 0, v54
	v_ldexp_f64 v[30:31], v[30:31], v38
	v_ldexp_f64 v[32:33], v[32:33], v38
	v_add_f64 v[38:39], v[30:31], -1.0
	v_add_f64 v[44:45], v[30:31], 1.0
	v_add_f64 v[40:41], v[38:39], 1.0
	v_add_f64 v[46:47], v[44:45], -1.0
	v_add_f64 v[40:41], v[30:31], -v[40:41]
	v_add_f64 v[30:31], v[30:31], -v[46:47]
	v_add_f64 v[30:31], v[32:33], v[30:31]
	v_add_f64 v[40:41], v[32:33], v[40:41]
	;; [unrolled: 1-line block ×3, first 2 shown]
	v_rcp_f64_e32 v[46:47], v[32:33]
	v_add_f64 v[42:43], v[38:39], v[40:41]
	v_add_f64 v[38:39], v[42:43], -v[38:39]
	v_add_f64 v[38:39], v[40:41], -v[38:39]
	;; [unrolled: 1-line block ×4, first 2 shown]
	v_fma_f64 v[40:41], -v[32:33], v[46:47], 1.0
	v_fmac_f64_e32 v[46:47], v[40:41], v[46:47]
	v_fma_f64 v[40:41], -v[32:33], v[46:47], 1.0
	v_fmac_f64_e32 v[46:47], v[40:41], v[46:47]
	v_mul_f64 v[40:41], v[42:43], v[46:47]
	v_mul_f64 v[44:45], v[32:33], v[40:41]
	v_fma_f64 v[48:49], v[40:41], v[32:33], -v[44:45]
	v_fmac_f64_e32 v[48:49], v[40:41], v[30:31]
	v_add_f64 v[50:51], v[44:45], v[48:49]
	v_add_f64 v[52:53], v[42:43], -v[50:51]
	v_add_f64 v[42:43], v[42:43], -v[52:53]
	;; [unrolled: 1-line block ×4, first 2 shown]
	v_add_f64 v[38:39], v[38:39], v[42:43]
	v_add_f64 v[42:43], v[44:45], -v[48:49]
	v_add_f64 v[38:39], v[42:43], v[38:39]
	v_add_f64 v[42:43], v[52:53], v[38:39]
	v_add_f64 v[44:45], v[52:53], -v[42:43]
	v_add_f64 v[38:39], v[38:39], v[44:45]
	v_mul_f64 v[44:45], v[46:47], v[42:43]
	v_mul_f64 v[48:49], v[32:33], v[44:45]
	v_fma_f64 v[32:33], v[44:45], v[32:33], -v[48:49]
	v_fmac_f64_e32 v[32:33], v[44:45], v[30:31]
	v_add_f64 v[30:31], v[48:49], v[32:33]
	v_add_f64 v[50:51], v[42:43], -v[30:31]
	v_add_f64 v[42:43], v[42:43], -v[50:51]
	;; [unrolled: 1-line block ×4, first 2 shown]
	v_add_f64 v[30:31], v[38:39], v[30:31]
	v_add_f64 v[32:33], v[48:49], -v[32:33]
	v_add_f64 v[30:31], v[32:33], v[30:31]
	v_add_f64 v[32:33], v[40:41], v[44:45]
	v_add_f64 v[30:31], v[50:51], v[30:31]
	v_add_f64 v[38:39], v[32:33], -v[40:41]
	v_mul_f64 v[30:31], v[46:47], v[30:31]
	v_add_f64 v[38:39], v[44:45], -v[38:39]
	v_add_f64 v[30:31], v[38:39], v[30:31]
	v_add_f64 v[38:39], v[32:33], v[30:31]
	v_add_f64 v[32:33], v[38:39], -v[32:33]
	s_mov_b32 s0, 0xbf559e2b
	v_add_f64 v[30:31], v[30:31], -v[32:33]
	v_mul_f64 v[32:33], v[38:39], v[38:39]
	v_mov_b32_e32 v40, 0x6b47b09a
	v_mov_b32_e32 v41, 0x3fc38538
	s_mov_b32 s1, 0x3fc3ab76
	v_fmac_f64_e32 v[40:41], s[0:1], v[32:33]
	v_mov_b32_e32 v42, 0xd7f4df2e
	v_mov_b32_e32 v43, 0x3fc7474d
	v_fmac_f64_e32 v[42:43], v[32:33], v[40:41]
	v_mov_b32_e32 v40, 0x16291751
	v_mov_b32_e32 v41, 0x3fcc71c0
	;; [unrolled: 3-line block ×5, first 2 shown]
	v_fmac_f64_e32 v[42:43], v[32:33], v[40:41]
	v_cvt_f64_i32_e32 v[40:41], v54
	v_mul_f64 v[44:45], v[40:41], s[34:35]
	v_fma_f64 v[46:47], v[40:41], s[34:35], -v[44:45]
	v_fmac_f64_e32 v[46:47], s[36:37], v[40:41]
	v_add_f64 v[40:41], v[44:45], v[46:47]
	v_add_f64 v[44:45], v[40:41], -v[44:45]
	v_mul_f64 v[32:33], v[38:39], v[32:33]
	v_add_f64 v[44:45], v[46:47], -v[44:45]
	v_ldexp_f64 v[46:47], v[38:39], 1
	v_mul_f64 v[32:33], v[32:33], v[42:43]
	v_add_f64 v[38:39], v[46:47], v[32:33]
	v_add_f64 v[42:43], v[38:39], -v[46:47]
	v_ldexp_f64 v[30:31], v[30:31], 1
	v_add_f64 v[32:33], v[32:33], -v[42:43]
	v_add_f64 v[30:31], v[30:31], v[32:33]
	v_add_f64 v[32:33], v[38:39], v[30:31]
	v_add_f64 v[38:39], v[32:33], -v[38:39]
	v_add_f64 v[30:31], v[30:31], -v[38:39]
	v_add_f64 v[38:39], v[40:41], v[32:33]
	v_add_f64 v[42:43], v[38:39], -v[40:41]
	v_add_f64 v[46:47], v[38:39], -v[42:43]
	;; [unrolled: 1-line block ×4, first 2 shown]
	v_add_f64 v[32:33], v[32:33], v[40:41]
	v_add_f64 v[40:41], v[44:45], v[30:31]
	v_add_f64 v[42:43], v[40:41], -v[44:45]
	v_add_f64 v[32:33], v[40:41], v[32:33]
	v_add_f64 v[46:47], v[40:41], -v[42:43]
	;; [unrolled: 2-line block ×3, first 2 shown]
	v_add_f64 v[30:31], v[30:31], -v[42:43]
	v_add_f64 v[38:39], v[40:41], -v[38:39]
	v_add_f64 v[30:31], v[30:31], v[44:45]
	v_add_f64 v[32:33], v[32:33], -v[38:39]
	s_mov_b32 s0, 0
	v_add_f64 v[30:31], v[30:31], v[32:33]
	s_mov_b32 s1, 0x7ff00000
	v_add_f64 v[30:31], v[40:41], v[30:31]
	v_cmp_eq_f64_e64 s[0:1], s[0:1], v[8:9]
	v_mov_b32_e32 v32, 0x7ff80000
	s_nop 0
	v_cndmask_b32_e64 v30, v30, v8, s[0:1]
	v_cndmask_b32_e64 v31, v31, v9, s[0:1]
	v_cmp_ngt_f64_e64 s[0:1], -1.0, v[8:9]
	s_nop 1
	v_cndmask_b32_e64 v31, v32, v31, s[0:1]
	v_cmp_nge_f64_e64 s[0:1], -1.0, v[8:9]
	v_mov_b32_e32 v32, 0xfff00000
	s_nop 0
	v_cndmask_b32_e64 v30, 0, v30, s[0:1]
	v_cmp_neq_f64_e64 s[0:1], -1.0, v[8:9]
	s_nop 1
	v_cndmask_b32_e64 v31, v32, v31, s[0:1]
	v_add_f64 v[8:9], v[28:29], v[30:31]
.LBB20_130:
	s_or_b64 exec, exec, s[30:31]
	v_max_f64 v[28:29], v[8:9], v[8:9]
	v_min_f64 v[30:31], v[28:29], v[64:65]
	v_cmp_u_f64_e64 s[0:1], v[8:9], v[8:9]
	v_max_f64 v[28:29], v[28:29], v[64:65]
	s_nop 0
	v_cndmask_b32_e64 v30, v30, v8, s[0:1]
	v_cndmask_b32_e64 v31, v31, v9, s[0:1]
	;; [unrolled: 1-line block ×8, first 2 shown]
	v_cmp_neq_f64_e64 s[0:1], v[32:33], v[28:29]
	v_cmp_class_f64_e64 s[28:29], v[32:33], s33
	s_or_b64 s[0:1], s[0:1], s[28:29]
	v_mov_b64_e32 v[30:31], v[8:9]
	s_and_saveexec_b64 s[30:31], s[0:1]
	s_cbranch_execz .LBB20_132
; %bb.131:
	s_mov_b32 s0, 0x652b82fe
	v_add_f64 v[30:31], v[32:33], -v[28:29]
	s_mov_b32 s1, 0x3ff71547
	v_mul_f64 v[32:33], v[30:31], s[0:1]
	v_rndne_f64_e32 v[32:33], v[32:33]
	s_mov_b32 s35, 0xbfe62e42
	s_mov_b32 s34, 0xfefa39ef
	v_fma_f64 v[36:37], s[34:35], v[32:33], v[30:31]
	s_mov_b32 s37, 0xbc7abc9e
	s_mov_b32 s36, 0x3b39803f
	;; [unrolled: 1-line block ×3, first 2 shown]
	v_fmac_f64_e32 v[36:37], s[36:37], v[32:33]
	v_mov_b32_e32 v38, 0xfca7ab0c
	v_mov_b32_e32 v39, 0x3e928af3
	s_mov_b32 s1, 0x3e5ade15
	v_fmac_f64_e32 v[38:39], s[0:1], v[36:37]
	v_mov_b32_e32 v40, 0x623fde64
	v_mov_b32_e32 v41, 0x3ec71dee
	v_fmac_f64_e32 v[40:41], v[36:37], v[38:39]
	v_mov_b32_e32 v38, 0x7c89e6b0
	v_mov_b32_e32 v39, 0x3efa0199
	v_fmac_f64_e32 v[38:39], v[36:37], v[40:41]
	v_mov_b32_e32 v40, 0x14761f6e
	v_mov_b32_e32 v41, 0x3f2a01a0
	v_fmac_f64_e32 v[40:41], v[36:37], v[38:39]
	v_mov_b32_e32 v38, 0x1852b7b0
	v_mov_b32_e32 v39, 0x3f56c16c
	v_fmac_f64_e32 v[38:39], v[36:37], v[40:41]
	v_mov_b32_e32 v40, 0x11122322
	v_mov_b32_e32 v41, 0x3f811111
	v_fmac_f64_e32 v[40:41], v[36:37], v[38:39]
	v_mov_b32_e32 v38, 0x555502a1
	v_mov_b32_e32 v39, 0x3fa55555
	v_fmac_f64_e32 v[38:39], v[36:37], v[40:41]
	v_mov_b32_e32 v40, 0x55555511
	v_mov_b32_e32 v41, 0x3fc55555
	v_fmac_f64_e32 v[40:41], v[36:37], v[38:39]
	v_mov_b32_e32 v38, 11
	v_mov_b32_e32 v39, 0x3fe00000
	v_fmac_f64_e32 v[38:39], v[36:37], v[40:41]
	v_fma_f64 v[38:39], v[36:37], v[38:39], 1.0
	s_mov_b32 s0, 0
	s_mov_b32 s28, 0
	v_fma_f64 v[36:37], v[36:37], v[38:39], 1.0
	v_cvt_i32_f64_e32 v32, v[32:33]
	s_mov_b32 s1, 0x40900000
	s_mov_b32 s29, 0xc090cc00
	v_ldexp_f64 v[32:33], v[36:37], v32
	v_mov_b32_e32 v36, 0x7ff00000
	v_cmp_nlt_f64_e64 s[0:1], s[0:1], v[30:31]
	v_cmp_ngt_f64_e64 s[28:29], s[28:29], v[30:31]
	s_mov_b32 s35, 0x3fe62e42
	v_cndmask_b32_e64 v33, v36, v33, s[0:1]
	s_and_b64 s[0:1], s[28:29], s[0:1]
	v_cndmask_b32_e64 v31, 0, v33, s[28:29]
	v_cndmask_b32_e64 v30, 0, v32, s[0:1]
	v_add_f64 v[32:33], v[30:31], 1.0
	v_add_f64 v[36:37], v[32:33], -1.0
	v_add_f64 v[38:39], v[36:37], -v[32:33]
	v_add_f64 v[38:39], v[38:39], 1.0
	v_add_f64 v[36:37], v[30:31], -v[36:37]
	s_mov_b32 s0, 0x55555555
	v_add_f64 v[36:37], v[36:37], v[38:39]
	v_frexp_mant_f64_e32 v[38:39], v[32:33]
	s_mov_b32 s1, 0x3fe55555
	v_frexp_exp_i32_f64_e32 v40, v[32:33]
	v_cmp_gt_f64_e64 s[0:1], s[0:1], v[38:39]
	s_mov_b32 s37, 0x3c7abc9e
	s_nop 0
	v_subbrev_co_u32_e64 v54, s[0:1], 0, v40, s[0:1]
	v_sub_u32_e32 v38, 0, v54
	v_ldexp_f64 v[32:33], v[32:33], v38
	v_ldexp_f64 v[36:37], v[36:37], v38
	v_add_f64 v[38:39], v[32:33], -1.0
	v_add_f64 v[44:45], v[32:33], 1.0
	v_add_f64 v[40:41], v[38:39], 1.0
	v_add_f64 v[46:47], v[44:45], -1.0
	v_add_f64 v[40:41], v[32:33], -v[40:41]
	v_add_f64 v[32:33], v[32:33], -v[46:47]
	v_add_f64 v[32:33], v[36:37], v[32:33]
	v_add_f64 v[40:41], v[36:37], v[40:41]
	;; [unrolled: 1-line block ×3, first 2 shown]
	v_rcp_f64_e32 v[46:47], v[36:37]
	v_add_f64 v[42:43], v[38:39], v[40:41]
	v_add_f64 v[38:39], v[42:43], -v[38:39]
	v_add_f64 v[38:39], v[40:41], -v[38:39]
	;; [unrolled: 1-line block ×4, first 2 shown]
	v_fma_f64 v[40:41], -v[36:37], v[46:47], 1.0
	v_fmac_f64_e32 v[46:47], v[40:41], v[46:47]
	v_fma_f64 v[40:41], -v[36:37], v[46:47], 1.0
	v_fmac_f64_e32 v[46:47], v[40:41], v[46:47]
	v_mul_f64 v[40:41], v[42:43], v[46:47]
	v_mul_f64 v[44:45], v[36:37], v[40:41]
	v_fma_f64 v[48:49], v[40:41], v[36:37], -v[44:45]
	v_fmac_f64_e32 v[48:49], v[40:41], v[32:33]
	v_add_f64 v[50:51], v[44:45], v[48:49]
	v_add_f64 v[52:53], v[42:43], -v[50:51]
	v_add_f64 v[42:43], v[42:43], -v[52:53]
	;; [unrolled: 1-line block ×4, first 2 shown]
	v_add_f64 v[38:39], v[38:39], v[42:43]
	v_add_f64 v[42:43], v[44:45], -v[48:49]
	v_add_f64 v[38:39], v[42:43], v[38:39]
	v_add_f64 v[42:43], v[52:53], v[38:39]
	v_add_f64 v[44:45], v[52:53], -v[42:43]
	v_add_f64 v[38:39], v[38:39], v[44:45]
	v_mul_f64 v[44:45], v[46:47], v[42:43]
	v_mul_f64 v[48:49], v[36:37], v[44:45]
	v_fma_f64 v[36:37], v[44:45], v[36:37], -v[48:49]
	v_fmac_f64_e32 v[36:37], v[44:45], v[32:33]
	v_add_f64 v[32:33], v[48:49], v[36:37]
	v_add_f64 v[50:51], v[42:43], -v[32:33]
	v_add_f64 v[42:43], v[42:43], -v[50:51]
	v_add_f64 v[48:49], v[32:33], -v[48:49]
	v_add_f64 v[32:33], v[42:43], -v[32:33]
	v_add_f64 v[32:33], v[38:39], v[32:33]
	v_add_f64 v[36:37], v[48:49], -v[36:37]
	v_add_f64 v[32:33], v[36:37], v[32:33]
	v_add_f64 v[36:37], v[40:41], v[44:45]
	v_add_f64 v[32:33], v[50:51], v[32:33]
	v_add_f64 v[38:39], v[36:37], -v[40:41]
	v_mul_f64 v[32:33], v[46:47], v[32:33]
	v_add_f64 v[38:39], v[44:45], -v[38:39]
	v_add_f64 v[32:33], v[38:39], v[32:33]
	v_add_f64 v[38:39], v[36:37], v[32:33]
	v_add_f64 v[36:37], v[38:39], -v[36:37]
	s_mov_b32 s0, 0xbf559e2b
	v_add_f64 v[32:33], v[32:33], -v[36:37]
	v_mul_f64 v[36:37], v[38:39], v[38:39]
	v_mov_b32_e32 v40, 0x6b47b09a
	v_mov_b32_e32 v41, 0x3fc38538
	s_mov_b32 s1, 0x3fc3ab76
	v_fmac_f64_e32 v[40:41], s[0:1], v[36:37]
	v_mov_b32_e32 v42, 0xd7f4df2e
	v_mov_b32_e32 v43, 0x3fc7474d
	v_fmac_f64_e32 v[42:43], v[36:37], v[40:41]
	v_mov_b32_e32 v40, 0x16291751
	v_mov_b32_e32 v41, 0x3fcc71c0
	;; [unrolled: 3-line block ×5, first 2 shown]
	v_fmac_f64_e32 v[42:43], v[36:37], v[40:41]
	v_cvt_f64_i32_e32 v[40:41], v54
	v_mul_f64 v[44:45], v[40:41], s[34:35]
	v_fma_f64 v[46:47], v[40:41], s[34:35], -v[44:45]
	v_fmac_f64_e32 v[46:47], s[36:37], v[40:41]
	v_add_f64 v[40:41], v[44:45], v[46:47]
	v_add_f64 v[44:45], v[40:41], -v[44:45]
	v_mul_f64 v[36:37], v[38:39], v[36:37]
	v_add_f64 v[44:45], v[46:47], -v[44:45]
	v_ldexp_f64 v[46:47], v[38:39], 1
	v_mul_f64 v[36:37], v[36:37], v[42:43]
	v_add_f64 v[38:39], v[46:47], v[36:37]
	v_add_f64 v[42:43], v[38:39], -v[46:47]
	v_ldexp_f64 v[32:33], v[32:33], 1
	v_add_f64 v[36:37], v[36:37], -v[42:43]
	v_add_f64 v[32:33], v[32:33], v[36:37]
	v_add_f64 v[36:37], v[38:39], v[32:33]
	v_add_f64 v[38:39], v[36:37], -v[38:39]
	v_add_f64 v[32:33], v[32:33], -v[38:39]
	v_add_f64 v[38:39], v[40:41], v[36:37]
	v_add_f64 v[42:43], v[38:39], -v[40:41]
	v_add_f64 v[46:47], v[38:39], -v[42:43]
	;; [unrolled: 1-line block ×4, first 2 shown]
	v_add_f64 v[36:37], v[36:37], v[40:41]
	v_add_f64 v[40:41], v[44:45], v[32:33]
	v_add_f64 v[42:43], v[40:41], -v[44:45]
	v_add_f64 v[36:37], v[40:41], v[36:37]
	v_add_f64 v[46:47], v[40:41], -v[42:43]
	;; [unrolled: 2-line block ×3, first 2 shown]
	v_add_f64 v[32:33], v[32:33], -v[42:43]
	v_add_f64 v[38:39], v[40:41], -v[38:39]
	v_add_f64 v[32:33], v[32:33], v[44:45]
	v_add_f64 v[36:37], v[36:37], -v[38:39]
	s_mov_b32 s0, 0
	v_add_f64 v[32:33], v[32:33], v[36:37]
	s_mov_b32 s1, 0x7ff00000
	v_add_f64 v[32:33], v[40:41], v[32:33]
	v_cmp_eq_f64_e64 s[0:1], s[0:1], v[30:31]
	v_mov_b32_e32 v36, 0x7ff80000
	s_nop 0
	v_cndmask_b32_e64 v32, v32, v30, s[0:1]
	v_cndmask_b32_e64 v33, v33, v31, s[0:1]
	v_cmp_ngt_f64_e64 s[0:1], -1.0, v[30:31]
	s_nop 1
	v_cndmask_b32_e64 v33, v36, v33, s[0:1]
	v_cmp_nge_f64_e64 s[0:1], -1.0, v[30:31]
	v_mov_b32_e32 v36, 0xfff00000
	s_nop 0
	v_cndmask_b32_e64 v32, 0, v32, s[0:1]
	v_cmp_neq_f64_e64 s[0:1], -1.0, v[30:31]
	s_nop 1
	v_cndmask_b32_e64 v33, v36, v33, s[0:1]
	v_add_f64 v[30:31], v[28:29], v[32:33]
.LBB20_132:
	s_or_b64 exec, exec, s[30:31]
	v_add_u32_e32 v28, v34, v35
	s_waitcnt lgkmcnt(0)
	s_barrier
	ds_write2_b64 v28, v[2:3], v[0:1] offset1:1
	ds_write2_b64 v28, v[4:5], v[26:27] offset0:2 offset1:3
	ds_write2_b64 v28, v[22:23], v[24:25] offset0:4 offset1:5
	;; [unrolled: 1-line block ×6, first 2 shown]
	ds_write_b64 v28, v[30:31] offset:112
	s_waitcnt lgkmcnt(0)
	s_barrier
	ds_read2st64_b64 v[24:27], v34 offset0:4 offset1:8
	ds_read2st64_b64 v[20:23], v34 offset0:12 offset1:16
	ds_read2st64_b64 v[16:19], v34 offset0:20 offset1:24
	ds_read2st64_b64 v[12:15], v34 offset0:28 offset1:32
	ds_read2st64_b64 v[8:11], v34 offset0:36 offset1:40
	ds_read2st64_b64 v[4:7], v34 offset0:44 offset1:48
	ds_read2st64_b64 v[0:3], v34 offset0:52 offset1:56
	v_mov_b32_e32 v35, 0
	v_lshl_add_u64 v[28:29], s[62:63], 0, v[34:35]
	s_and_saveexec_b64 s[0:1], vcc
	s_cbranch_execnz .LBB20_148
; %bb.133:
	s_or_b64 exec, exec, s[0:1]
	s_and_saveexec_b64 s[0:1], s[58:59]
	s_cbranch_execnz .LBB20_149
.LBB20_134:
	s_or_b64 exec, exec, s[0:1]
	s_and_saveexec_b64 s[0:1], s[2:3]
	s_cbranch_execnz .LBB20_150
.LBB20_135:
	s_or_b64 exec, exec, s[0:1]
	s_and_saveexec_b64 s[0:1], s[4:5]
	s_cbranch_execnz .LBB20_151
.LBB20_136:
	s_or_b64 exec, exec, s[0:1]
	s_and_saveexec_b64 s[0:1], s[6:7]
	s_cbranch_execnz .LBB20_152
.LBB20_137:
	s_or_b64 exec, exec, s[0:1]
	s_and_saveexec_b64 s[0:1], s[8:9]
	s_cbranch_execnz .LBB20_153
.LBB20_138:
	s_or_b64 exec, exec, s[0:1]
	s_and_saveexec_b64 s[0:1], s[10:11]
	s_cbranch_execnz .LBB20_154
.LBB20_139:
	s_or_b64 exec, exec, s[0:1]
	s_and_saveexec_b64 s[0:1], s[12:13]
	s_cbranch_execnz .LBB20_155
.LBB20_140:
	s_or_b64 exec, exec, s[0:1]
	s_and_saveexec_b64 s[0:1], s[14:15]
	s_cbranch_execnz .LBB20_156
.LBB20_141:
	s_or_b64 exec, exec, s[0:1]
	s_and_saveexec_b64 s[0:1], s[16:17]
	s_cbranch_execnz .LBB20_157
.LBB20_142:
	s_or_b64 exec, exec, s[0:1]
	s_and_saveexec_b64 s[0:1], s[18:19]
	s_cbranch_execnz .LBB20_158
.LBB20_143:
	s_or_b64 exec, exec, s[0:1]
	s_and_saveexec_b64 s[0:1], s[20:21]
	s_cbranch_execnz .LBB20_159
.LBB20_144:
	s_or_b64 exec, exec, s[0:1]
	s_and_saveexec_b64 s[0:1], s[22:23]
	s_cbranch_execnz .LBB20_160
.LBB20_145:
	s_or_b64 exec, exec, s[0:1]
	s_and_saveexec_b64 s[0:1], s[24:25]
	s_cbranch_execnz .LBB20_161
.LBB20_146:
	s_or_b64 exec, exec, s[0:1]
	s_and_saveexec_b64 s[0:1], s[26:27]
	s_cbranch_execnz .LBB20_162
.LBB20_147:
	s_endpgm
.LBB20_148:
	ds_read_b64 v[30:31], v34
	s_waitcnt lgkmcnt(0)
	global_store_dwordx2 v[28:29], v[30:31], off
	s_or_b64 exec, exec, s[0:1]
	s_and_saveexec_b64 s[0:1], s[58:59]
	s_cbranch_execz .LBB20_134
.LBB20_149:
	s_waitcnt lgkmcnt(6)
	global_store_dwordx2 v[28:29], v[24:25], off offset:2048
	s_or_b64 exec, exec, s[0:1]
	s_and_saveexec_b64 s[0:1], s[2:3]
	s_cbranch_execz .LBB20_135
.LBB20_150:
	s_waitcnt lgkmcnt(6)
	v_add_co_u32_e32 v24, vcc, 0x1000, v28
	s_nop 1
	v_addc_co_u32_e32 v25, vcc, 0, v29, vcc
	global_store_dwordx2 v[24:25], v[26:27], off
	s_or_b64 exec, exec, s[0:1]
	s_and_saveexec_b64 s[0:1], s[4:5]
	s_cbranch_execz .LBB20_136
.LBB20_151:
	s_waitcnt lgkmcnt(6)
	v_add_co_u32_e32 v24, vcc, 0x1000, v28
	s_nop 1
	v_addc_co_u32_e32 v25, vcc, 0, v29, vcc
	s_waitcnt lgkmcnt(5)
	global_store_dwordx2 v[24:25], v[20:21], off offset:2048
	s_or_b64 exec, exec, s[0:1]
	s_and_saveexec_b64 s[0:1], s[6:7]
	s_cbranch_execz .LBB20_137
.LBB20_152:
	s_waitcnt lgkmcnt(5)
	v_add_co_u32_e32 v20, vcc, 0x2000, v28
	s_nop 1
	v_addc_co_u32_e32 v21, vcc, 0, v29, vcc
	global_store_dwordx2 v[20:21], v[22:23], off
	s_or_b64 exec, exec, s[0:1]
	s_and_saveexec_b64 s[0:1], s[8:9]
	s_cbranch_execz .LBB20_138
.LBB20_153:
	s_waitcnt lgkmcnt(5)
	v_add_co_u32_e32 v20, vcc, 0x2000, v28
	s_nop 1
	v_addc_co_u32_e32 v21, vcc, 0, v29, vcc
	s_waitcnt lgkmcnt(4)
	global_store_dwordx2 v[20:21], v[16:17], off offset:2048
	s_or_b64 exec, exec, s[0:1]
	s_and_saveexec_b64 s[0:1], s[10:11]
	s_cbranch_execz .LBB20_139
.LBB20_154:
	s_waitcnt lgkmcnt(4)
	v_add_co_u32_e32 v16, vcc, 0x3000, v28
	s_nop 1
	v_addc_co_u32_e32 v17, vcc, 0, v29, vcc
	global_store_dwordx2 v[16:17], v[18:19], off
	s_or_b64 exec, exec, s[0:1]
	s_and_saveexec_b64 s[0:1], s[12:13]
	s_cbranch_execz .LBB20_140
.LBB20_155:
	s_waitcnt lgkmcnt(4)
	v_add_co_u32_e32 v16, vcc, 0x3000, v28
	s_nop 1
	v_addc_co_u32_e32 v17, vcc, 0, v29, vcc
	s_waitcnt lgkmcnt(3)
	global_store_dwordx2 v[16:17], v[12:13], off offset:2048
	s_or_b64 exec, exec, s[0:1]
	s_and_saveexec_b64 s[0:1], s[14:15]
	s_cbranch_execz .LBB20_141
.LBB20_156:
	s_waitcnt lgkmcnt(3)
	v_add_co_u32_e32 v12, vcc, 0x4000, v28
	s_nop 1
	v_addc_co_u32_e32 v13, vcc, 0, v29, vcc
	global_store_dwordx2 v[12:13], v[14:15], off
	s_or_b64 exec, exec, s[0:1]
	s_and_saveexec_b64 s[0:1], s[16:17]
	s_cbranch_execz .LBB20_142
.LBB20_157:
	s_waitcnt lgkmcnt(3)
	v_add_co_u32_e32 v12, vcc, 0x4000, v28
	s_nop 1
	v_addc_co_u32_e32 v13, vcc, 0, v29, vcc
	s_waitcnt lgkmcnt(2)
	global_store_dwordx2 v[12:13], v[8:9], off offset:2048
	s_or_b64 exec, exec, s[0:1]
	s_and_saveexec_b64 s[0:1], s[18:19]
	s_cbranch_execz .LBB20_143
.LBB20_158:
	s_waitcnt lgkmcnt(2)
	v_add_co_u32_e32 v8, vcc, 0x5000, v28
	s_nop 1
	v_addc_co_u32_e32 v9, vcc, 0, v29, vcc
	global_store_dwordx2 v[8:9], v[10:11], off
	s_or_b64 exec, exec, s[0:1]
	s_and_saveexec_b64 s[0:1], s[20:21]
	s_cbranch_execz .LBB20_144
.LBB20_159:
	s_waitcnt lgkmcnt(2)
	v_add_co_u32_e32 v8, vcc, 0x5000, v28
	s_nop 1
	v_addc_co_u32_e32 v9, vcc, 0, v29, vcc
	s_waitcnt lgkmcnt(1)
	global_store_dwordx2 v[8:9], v[4:5], off offset:2048
	s_or_b64 exec, exec, s[0:1]
	s_and_saveexec_b64 s[0:1], s[22:23]
	s_cbranch_execz .LBB20_145
.LBB20_160:
	s_waitcnt lgkmcnt(1)
	v_add_co_u32_e32 v4, vcc, 0x6000, v28
	s_nop 1
	v_addc_co_u32_e32 v5, vcc, 0, v29, vcc
	global_store_dwordx2 v[4:5], v[6:7], off
	s_or_b64 exec, exec, s[0:1]
	s_and_saveexec_b64 s[0:1], s[24:25]
	s_cbranch_execz .LBB20_146
.LBB20_161:
	s_waitcnt lgkmcnt(1)
	v_add_co_u32_e32 v4, vcc, 0x6000, v28
	s_nop 1
	v_addc_co_u32_e32 v5, vcc, 0, v29, vcc
	s_waitcnt lgkmcnt(0)
	global_store_dwordx2 v[4:5], v[0:1], off offset:2048
	s_or_b64 exec, exec, s[0:1]
	s_and_saveexec_b64 s[0:1], s[26:27]
	s_cbranch_execz .LBB20_147
.LBB20_162:
	s_waitcnt lgkmcnt(0)
	v_add_co_u32_e32 v0, vcc, 0x7000, v28
	s_nop 1
	v_addc_co_u32_e32 v1, vcc, 0, v29, vcc
	global_store_dwordx2 v[0:1], v[2:3], off
	s_endpgm
	.section	.rodata,"a",@progbits
	.p2align	6, 0x0
	.amdhsa_kernel _ZN7rocprim17ROCPRIM_400000_NS6detail17trampoline_kernelINS0_14default_configENS1_20scan_config_selectorIdEEZZNS1_9scan_implILNS1_25lookback_scan_determinismE0ELb0ELb0ES3_PKdPddZZZN2at6native31launch_logcumsumexp_cuda_kernelERKNSB_10TensorBaseESF_lENKUlvE_clEvENKUlvE_clEvEUlddE_dEEDaPvRmT3_T4_T5_mT6_P12ihipStream_tbENKUlT_T0_E_clISt17integral_constantIbLb0EESW_EEDaSR_SS_EUlSR_E0_NS1_11comp_targetILNS1_3genE5ELNS1_11target_archE942ELNS1_3gpuE9ELNS1_3repE0EEENS1_30default_config_static_selectorELNS0_4arch9wavefront6targetE1EEEvT1_
		.amdhsa_group_segment_fixed_size 30720
		.amdhsa_private_segment_fixed_size 0
		.amdhsa_kernarg_size 40
		.amdhsa_user_sgpr_count 2
		.amdhsa_user_sgpr_dispatch_ptr 0
		.amdhsa_user_sgpr_queue_ptr 0
		.amdhsa_user_sgpr_kernarg_segment_ptr 1
		.amdhsa_user_sgpr_dispatch_id 0
		.amdhsa_user_sgpr_kernarg_preload_length 0
		.amdhsa_user_sgpr_kernarg_preload_offset 0
		.amdhsa_user_sgpr_private_segment_size 0
		.amdhsa_uses_dynamic_stack 0
		.amdhsa_enable_private_segment 0
		.amdhsa_system_sgpr_workgroup_id_x 1
		.amdhsa_system_sgpr_workgroup_id_y 0
		.amdhsa_system_sgpr_workgroup_id_z 0
		.amdhsa_system_sgpr_workgroup_info 0
		.amdhsa_system_vgpr_workitem_id 0
		.amdhsa_next_free_vgpr 100
		.amdhsa_next_free_sgpr 78
		.amdhsa_accum_offset 100
		.amdhsa_reserve_vcc 1
		.amdhsa_float_round_mode_32 0
		.amdhsa_float_round_mode_16_64 0
		.amdhsa_float_denorm_mode_32 3
		.amdhsa_float_denorm_mode_16_64 3
		.amdhsa_dx10_clamp 1
		.amdhsa_ieee_mode 1
		.amdhsa_fp16_overflow 0
		.amdhsa_tg_split 0
		.amdhsa_exception_fp_ieee_invalid_op 0
		.amdhsa_exception_fp_denorm_src 0
		.amdhsa_exception_fp_ieee_div_zero 0
		.amdhsa_exception_fp_ieee_overflow 0
		.amdhsa_exception_fp_ieee_underflow 0
		.amdhsa_exception_fp_ieee_inexact 0
		.amdhsa_exception_int_div_zero 0
	.end_amdhsa_kernel
	.section	.text._ZN7rocprim17ROCPRIM_400000_NS6detail17trampoline_kernelINS0_14default_configENS1_20scan_config_selectorIdEEZZNS1_9scan_implILNS1_25lookback_scan_determinismE0ELb0ELb0ES3_PKdPddZZZN2at6native31launch_logcumsumexp_cuda_kernelERKNSB_10TensorBaseESF_lENKUlvE_clEvENKUlvE_clEvEUlddE_dEEDaPvRmT3_T4_T5_mT6_P12ihipStream_tbENKUlT_T0_E_clISt17integral_constantIbLb0EESW_EEDaSR_SS_EUlSR_E0_NS1_11comp_targetILNS1_3genE5ELNS1_11target_archE942ELNS1_3gpuE9ELNS1_3repE0EEENS1_30default_config_static_selectorELNS0_4arch9wavefront6targetE1EEEvT1_,"axG",@progbits,_ZN7rocprim17ROCPRIM_400000_NS6detail17trampoline_kernelINS0_14default_configENS1_20scan_config_selectorIdEEZZNS1_9scan_implILNS1_25lookback_scan_determinismE0ELb0ELb0ES3_PKdPddZZZN2at6native31launch_logcumsumexp_cuda_kernelERKNSB_10TensorBaseESF_lENKUlvE_clEvENKUlvE_clEvEUlddE_dEEDaPvRmT3_T4_T5_mT6_P12ihipStream_tbENKUlT_T0_E_clISt17integral_constantIbLb0EESW_EEDaSR_SS_EUlSR_E0_NS1_11comp_targetILNS1_3genE5ELNS1_11target_archE942ELNS1_3gpuE9ELNS1_3repE0EEENS1_30default_config_static_selectorELNS0_4arch9wavefront6targetE1EEEvT1_,comdat
.Lfunc_end20:
	.size	_ZN7rocprim17ROCPRIM_400000_NS6detail17trampoline_kernelINS0_14default_configENS1_20scan_config_selectorIdEEZZNS1_9scan_implILNS1_25lookback_scan_determinismE0ELb0ELb0ES3_PKdPddZZZN2at6native31launch_logcumsumexp_cuda_kernelERKNSB_10TensorBaseESF_lENKUlvE_clEvENKUlvE_clEvEUlddE_dEEDaPvRmT3_T4_T5_mT6_P12ihipStream_tbENKUlT_T0_E_clISt17integral_constantIbLb0EESW_EEDaSR_SS_EUlSR_E0_NS1_11comp_targetILNS1_3genE5ELNS1_11target_archE942ELNS1_3gpuE9ELNS1_3repE0EEENS1_30default_config_static_selectorELNS0_4arch9wavefront6targetE1EEEvT1_, .Lfunc_end20-_ZN7rocprim17ROCPRIM_400000_NS6detail17trampoline_kernelINS0_14default_configENS1_20scan_config_selectorIdEEZZNS1_9scan_implILNS1_25lookback_scan_determinismE0ELb0ELb0ES3_PKdPddZZZN2at6native31launch_logcumsumexp_cuda_kernelERKNSB_10TensorBaseESF_lENKUlvE_clEvENKUlvE_clEvEUlddE_dEEDaPvRmT3_T4_T5_mT6_P12ihipStream_tbENKUlT_T0_E_clISt17integral_constantIbLb0EESW_EEDaSR_SS_EUlSR_E0_NS1_11comp_targetILNS1_3genE5ELNS1_11target_archE942ELNS1_3gpuE9ELNS1_3repE0EEENS1_30default_config_static_selectorELNS0_4arch9wavefront6targetE1EEEvT1_
                                        ; -- End function
	.section	.AMDGPU.csdata,"",@progbits
; Kernel info:
; codeLenInByte = 70192
; NumSgprs: 84
; NumVgprs: 100
; NumAgprs: 0
; TotalNumVgprs: 100
; ScratchSize: 0
; MemoryBound: 0
; FloatMode: 240
; IeeeMode: 1
; LDSByteSize: 30720 bytes/workgroup (compile time only)
; SGPRBlocks: 10
; VGPRBlocks: 12
; NumSGPRsForWavesPerEU: 84
; NumVGPRsForWavesPerEU: 100
; AccumOffset: 100
; Occupancy: 2
; WaveLimiterHint : 0
; COMPUTE_PGM_RSRC2:SCRATCH_EN: 0
; COMPUTE_PGM_RSRC2:USER_SGPR: 2
; COMPUTE_PGM_RSRC2:TRAP_HANDLER: 0
; COMPUTE_PGM_RSRC2:TGID_X_EN: 1
; COMPUTE_PGM_RSRC2:TGID_Y_EN: 0
; COMPUTE_PGM_RSRC2:TGID_Z_EN: 0
; COMPUTE_PGM_RSRC2:TIDIG_COMP_CNT: 0
; COMPUTE_PGM_RSRC3_GFX90A:ACCUM_OFFSET: 24
; COMPUTE_PGM_RSRC3_GFX90A:TG_SPLIT: 0
	.section	.text._ZN7rocprim17ROCPRIM_400000_NS6detail17trampoline_kernelINS0_14default_configENS1_20scan_config_selectorIdEEZZNS1_9scan_implILNS1_25lookback_scan_determinismE0ELb0ELb0ES3_PKdPddZZZN2at6native31launch_logcumsumexp_cuda_kernelERKNSB_10TensorBaseESF_lENKUlvE_clEvENKUlvE_clEvEUlddE_dEEDaPvRmT3_T4_T5_mT6_P12ihipStream_tbENKUlT_T0_E_clISt17integral_constantIbLb0EESW_EEDaSR_SS_EUlSR_E0_NS1_11comp_targetILNS1_3genE4ELNS1_11target_archE910ELNS1_3gpuE8ELNS1_3repE0EEENS1_30default_config_static_selectorELNS0_4arch9wavefront6targetE1EEEvT1_,"axG",@progbits,_ZN7rocprim17ROCPRIM_400000_NS6detail17trampoline_kernelINS0_14default_configENS1_20scan_config_selectorIdEEZZNS1_9scan_implILNS1_25lookback_scan_determinismE0ELb0ELb0ES3_PKdPddZZZN2at6native31launch_logcumsumexp_cuda_kernelERKNSB_10TensorBaseESF_lENKUlvE_clEvENKUlvE_clEvEUlddE_dEEDaPvRmT3_T4_T5_mT6_P12ihipStream_tbENKUlT_T0_E_clISt17integral_constantIbLb0EESW_EEDaSR_SS_EUlSR_E0_NS1_11comp_targetILNS1_3genE4ELNS1_11target_archE910ELNS1_3gpuE8ELNS1_3repE0EEENS1_30default_config_static_selectorELNS0_4arch9wavefront6targetE1EEEvT1_,comdat
	.globl	_ZN7rocprim17ROCPRIM_400000_NS6detail17trampoline_kernelINS0_14default_configENS1_20scan_config_selectorIdEEZZNS1_9scan_implILNS1_25lookback_scan_determinismE0ELb0ELb0ES3_PKdPddZZZN2at6native31launch_logcumsumexp_cuda_kernelERKNSB_10TensorBaseESF_lENKUlvE_clEvENKUlvE_clEvEUlddE_dEEDaPvRmT3_T4_T5_mT6_P12ihipStream_tbENKUlT_T0_E_clISt17integral_constantIbLb0EESW_EEDaSR_SS_EUlSR_E0_NS1_11comp_targetILNS1_3genE4ELNS1_11target_archE910ELNS1_3gpuE8ELNS1_3repE0EEENS1_30default_config_static_selectorELNS0_4arch9wavefront6targetE1EEEvT1_ ; -- Begin function _ZN7rocprim17ROCPRIM_400000_NS6detail17trampoline_kernelINS0_14default_configENS1_20scan_config_selectorIdEEZZNS1_9scan_implILNS1_25lookback_scan_determinismE0ELb0ELb0ES3_PKdPddZZZN2at6native31launch_logcumsumexp_cuda_kernelERKNSB_10TensorBaseESF_lENKUlvE_clEvENKUlvE_clEvEUlddE_dEEDaPvRmT3_T4_T5_mT6_P12ihipStream_tbENKUlT_T0_E_clISt17integral_constantIbLb0EESW_EEDaSR_SS_EUlSR_E0_NS1_11comp_targetILNS1_3genE4ELNS1_11target_archE910ELNS1_3gpuE8ELNS1_3repE0EEENS1_30default_config_static_selectorELNS0_4arch9wavefront6targetE1EEEvT1_
	.p2align	8
	.type	_ZN7rocprim17ROCPRIM_400000_NS6detail17trampoline_kernelINS0_14default_configENS1_20scan_config_selectorIdEEZZNS1_9scan_implILNS1_25lookback_scan_determinismE0ELb0ELb0ES3_PKdPddZZZN2at6native31launch_logcumsumexp_cuda_kernelERKNSB_10TensorBaseESF_lENKUlvE_clEvENKUlvE_clEvEUlddE_dEEDaPvRmT3_T4_T5_mT6_P12ihipStream_tbENKUlT_T0_E_clISt17integral_constantIbLb0EESW_EEDaSR_SS_EUlSR_E0_NS1_11comp_targetILNS1_3genE4ELNS1_11target_archE910ELNS1_3gpuE8ELNS1_3repE0EEENS1_30default_config_static_selectorELNS0_4arch9wavefront6targetE1EEEvT1_,@function
_ZN7rocprim17ROCPRIM_400000_NS6detail17trampoline_kernelINS0_14default_configENS1_20scan_config_selectorIdEEZZNS1_9scan_implILNS1_25lookback_scan_determinismE0ELb0ELb0ES3_PKdPddZZZN2at6native31launch_logcumsumexp_cuda_kernelERKNSB_10TensorBaseESF_lENKUlvE_clEvENKUlvE_clEvEUlddE_dEEDaPvRmT3_T4_T5_mT6_P12ihipStream_tbENKUlT_T0_E_clISt17integral_constantIbLb0EESW_EEDaSR_SS_EUlSR_E0_NS1_11comp_targetILNS1_3genE4ELNS1_11target_archE910ELNS1_3gpuE8ELNS1_3repE0EEENS1_30default_config_static_selectorELNS0_4arch9wavefront6targetE1EEEvT1_: ; @_ZN7rocprim17ROCPRIM_400000_NS6detail17trampoline_kernelINS0_14default_configENS1_20scan_config_selectorIdEEZZNS1_9scan_implILNS1_25lookback_scan_determinismE0ELb0ELb0ES3_PKdPddZZZN2at6native31launch_logcumsumexp_cuda_kernelERKNSB_10TensorBaseESF_lENKUlvE_clEvENKUlvE_clEvEUlddE_dEEDaPvRmT3_T4_T5_mT6_P12ihipStream_tbENKUlT_T0_E_clISt17integral_constantIbLb0EESW_EEDaSR_SS_EUlSR_E0_NS1_11comp_targetILNS1_3genE4ELNS1_11target_archE910ELNS1_3gpuE8ELNS1_3repE0EEENS1_30default_config_static_selectorELNS0_4arch9wavefront6targetE1EEEvT1_
; %bb.0:
	.section	.rodata,"a",@progbits
	.p2align	6, 0x0
	.amdhsa_kernel _ZN7rocprim17ROCPRIM_400000_NS6detail17trampoline_kernelINS0_14default_configENS1_20scan_config_selectorIdEEZZNS1_9scan_implILNS1_25lookback_scan_determinismE0ELb0ELb0ES3_PKdPddZZZN2at6native31launch_logcumsumexp_cuda_kernelERKNSB_10TensorBaseESF_lENKUlvE_clEvENKUlvE_clEvEUlddE_dEEDaPvRmT3_T4_T5_mT6_P12ihipStream_tbENKUlT_T0_E_clISt17integral_constantIbLb0EESW_EEDaSR_SS_EUlSR_E0_NS1_11comp_targetILNS1_3genE4ELNS1_11target_archE910ELNS1_3gpuE8ELNS1_3repE0EEENS1_30default_config_static_selectorELNS0_4arch9wavefront6targetE1EEEvT1_
		.amdhsa_group_segment_fixed_size 0
		.amdhsa_private_segment_fixed_size 0
		.amdhsa_kernarg_size 40
		.amdhsa_user_sgpr_count 2
		.amdhsa_user_sgpr_dispatch_ptr 0
		.amdhsa_user_sgpr_queue_ptr 0
		.amdhsa_user_sgpr_kernarg_segment_ptr 1
		.amdhsa_user_sgpr_dispatch_id 0
		.amdhsa_user_sgpr_kernarg_preload_length 0
		.amdhsa_user_sgpr_kernarg_preload_offset 0
		.amdhsa_user_sgpr_private_segment_size 0
		.amdhsa_uses_dynamic_stack 0
		.amdhsa_enable_private_segment 0
		.amdhsa_system_sgpr_workgroup_id_x 1
		.amdhsa_system_sgpr_workgroup_id_y 0
		.amdhsa_system_sgpr_workgroup_id_z 0
		.amdhsa_system_sgpr_workgroup_info 0
		.amdhsa_system_vgpr_workitem_id 0
		.amdhsa_next_free_vgpr 1
		.amdhsa_next_free_sgpr 0
		.amdhsa_accum_offset 4
		.amdhsa_reserve_vcc 0
		.amdhsa_float_round_mode_32 0
		.amdhsa_float_round_mode_16_64 0
		.amdhsa_float_denorm_mode_32 3
		.amdhsa_float_denorm_mode_16_64 3
		.amdhsa_dx10_clamp 1
		.amdhsa_ieee_mode 1
		.amdhsa_fp16_overflow 0
		.amdhsa_tg_split 0
		.amdhsa_exception_fp_ieee_invalid_op 0
		.amdhsa_exception_fp_denorm_src 0
		.amdhsa_exception_fp_ieee_div_zero 0
		.amdhsa_exception_fp_ieee_overflow 0
		.amdhsa_exception_fp_ieee_underflow 0
		.amdhsa_exception_fp_ieee_inexact 0
		.amdhsa_exception_int_div_zero 0
	.end_amdhsa_kernel
	.section	.text._ZN7rocprim17ROCPRIM_400000_NS6detail17trampoline_kernelINS0_14default_configENS1_20scan_config_selectorIdEEZZNS1_9scan_implILNS1_25lookback_scan_determinismE0ELb0ELb0ES3_PKdPddZZZN2at6native31launch_logcumsumexp_cuda_kernelERKNSB_10TensorBaseESF_lENKUlvE_clEvENKUlvE_clEvEUlddE_dEEDaPvRmT3_T4_T5_mT6_P12ihipStream_tbENKUlT_T0_E_clISt17integral_constantIbLb0EESW_EEDaSR_SS_EUlSR_E0_NS1_11comp_targetILNS1_3genE4ELNS1_11target_archE910ELNS1_3gpuE8ELNS1_3repE0EEENS1_30default_config_static_selectorELNS0_4arch9wavefront6targetE1EEEvT1_,"axG",@progbits,_ZN7rocprim17ROCPRIM_400000_NS6detail17trampoline_kernelINS0_14default_configENS1_20scan_config_selectorIdEEZZNS1_9scan_implILNS1_25lookback_scan_determinismE0ELb0ELb0ES3_PKdPddZZZN2at6native31launch_logcumsumexp_cuda_kernelERKNSB_10TensorBaseESF_lENKUlvE_clEvENKUlvE_clEvEUlddE_dEEDaPvRmT3_T4_T5_mT6_P12ihipStream_tbENKUlT_T0_E_clISt17integral_constantIbLb0EESW_EEDaSR_SS_EUlSR_E0_NS1_11comp_targetILNS1_3genE4ELNS1_11target_archE910ELNS1_3gpuE8ELNS1_3repE0EEENS1_30default_config_static_selectorELNS0_4arch9wavefront6targetE1EEEvT1_,comdat
.Lfunc_end21:
	.size	_ZN7rocprim17ROCPRIM_400000_NS6detail17trampoline_kernelINS0_14default_configENS1_20scan_config_selectorIdEEZZNS1_9scan_implILNS1_25lookback_scan_determinismE0ELb0ELb0ES3_PKdPddZZZN2at6native31launch_logcumsumexp_cuda_kernelERKNSB_10TensorBaseESF_lENKUlvE_clEvENKUlvE_clEvEUlddE_dEEDaPvRmT3_T4_T5_mT6_P12ihipStream_tbENKUlT_T0_E_clISt17integral_constantIbLb0EESW_EEDaSR_SS_EUlSR_E0_NS1_11comp_targetILNS1_3genE4ELNS1_11target_archE910ELNS1_3gpuE8ELNS1_3repE0EEENS1_30default_config_static_selectorELNS0_4arch9wavefront6targetE1EEEvT1_, .Lfunc_end21-_ZN7rocprim17ROCPRIM_400000_NS6detail17trampoline_kernelINS0_14default_configENS1_20scan_config_selectorIdEEZZNS1_9scan_implILNS1_25lookback_scan_determinismE0ELb0ELb0ES3_PKdPddZZZN2at6native31launch_logcumsumexp_cuda_kernelERKNSB_10TensorBaseESF_lENKUlvE_clEvENKUlvE_clEvEUlddE_dEEDaPvRmT3_T4_T5_mT6_P12ihipStream_tbENKUlT_T0_E_clISt17integral_constantIbLb0EESW_EEDaSR_SS_EUlSR_E0_NS1_11comp_targetILNS1_3genE4ELNS1_11target_archE910ELNS1_3gpuE8ELNS1_3repE0EEENS1_30default_config_static_selectorELNS0_4arch9wavefront6targetE1EEEvT1_
                                        ; -- End function
	.section	.AMDGPU.csdata,"",@progbits
; Kernel info:
; codeLenInByte = 0
; NumSgprs: 6
; NumVgprs: 0
; NumAgprs: 0
; TotalNumVgprs: 0
; ScratchSize: 0
; MemoryBound: 0
; FloatMode: 240
; IeeeMode: 1
; LDSByteSize: 0 bytes/workgroup (compile time only)
; SGPRBlocks: 0
; VGPRBlocks: 0
; NumSGPRsForWavesPerEU: 6
; NumVGPRsForWavesPerEU: 1
; AccumOffset: 4
; Occupancy: 8
; WaveLimiterHint : 0
; COMPUTE_PGM_RSRC2:SCRATCH_EN: 0
; COMPUTE_PGM_RSRC2:USER_SGPR: 2
; COMPUTE_PGM_RSRC2:TRAP_HANDLER: 0
; COMPUTE_PGM_RSRC2:TGID_X_EN: 1
; COMPUTE_PGM_RSRC2:TGID_Y_EN: 0
; COMPUTE_PGM_RSRC2:TGID_Z_EN: 0
; COMPUTE_PGM_RSRC2:TIDIG_COMP_CNT: 0
; COMPUTE_PGM_RSRC3_GFX90A:ACCUM_OFFSET: 0
; COMPUTE_PGM_RSRC3_GFX90A:TG_SPLIT: 0
	.section	.text._ZN7rocprim17ROCPRIM_400000_NS6detail17trampoline_kernelINS0_14default_configENS1_20scan_config_selectorIdEEZZNS1_9scan_implILNS1_25lookback_scan_determinismE0ELb0ELb0ES3_PKdPddZZZN2at6native31launch_logcumsumexp_cuda_kernelERKNSB_10TensorBaseESF_lENKUlvE_clEvENKUlvE_clEvEUlddE_dEEDaPvRmT3_T4_T5_mT6_P12ihipStream_tbENKUlT_T0_E_clISt17integral_constantIbLb0EESW_EEDaSR_SS_EUlSR_E0_NS1_11comp_targetILNS1_3genE3ELNS1_11target_archE908ELNS1_3gpuE7ELNS1_3repE0EEENS1_30default_config_static_selectorELNS0_4arch9wavefront6targetE1EEEvT1_,"axG",@progbits,_ZN7rocprim17ROCPRIM_400000_NS6detail17trampoline_kernelINS0_14default_configENS1_20scan_config_selectorIdEEZZNS1_9scan_implILNS1_25lookback_scan_determinismE0ELb0ELb0ES3_PKdPddZZZN2at6native31launch_logcumsumexp_cuda_kernelERKNSB_10TensorBaseESF_lENKUlvE_clEvENKUlvE_clEvEUlddE_dEEDaPvRmT3_T4_T5_mT6_P12ihipStream_tbENKUlT_T0_E_clISt17integral_constantIbLb0EESW_EEDaSR_SS_EUlSR_E0_NS1_11comp_targetILNS1_3genE3ELNS1_11target_archE908ELNS1_3gpuE7ELNS1_3repE0EEENS1_30default_config_static_selectorELNS0_4arch9wavefront6targetE1EEEvT1_,comdat
	.globl	_ZN7rocprim17ROCPRIM_400000_NS6detail17trampoline_kernelINS0_14default_configENS1_20scan_config_selectorIdEEZZNS1_9scan_implILNS1_25lookback_scan_determinismE0ELb0ELb0ES3_PKdPddZZZN2at6native31launch_logcumsumexp_cuda_kernelERKNSB_10TensorBaseESF_lENKUlvE_clEvENKUlvE_clEvEUlddE_dEEDaPvRmT3_T4_T5_mT6_P12ihipStream_tbENKUlT_T0_E_clISt17integral_constantIbLb0EESW_EEDaSR_SS_EUlSR_E0_NS1_11comp_targetILNS1_3genE3ELNS1_11target_archE908ELNS1_3gpuE7ELNS1_3repE0EEENS1_30default_config_static_selectorELNS0_4arch9wavefront6targetE1EEEvT1_ ; -- Begin function _ZN7rocprim17ROCPRIM_400000_NS6detail17trampoline_kernelINS0_14default_configENS1_20scan_config_selectorIdEEZZNS1_9scan_implILNS1_25lookback_scan_determinismE0ELb0ELb0ES3_PKdPddZZZN2at6native31launch_logcumsumexp_cuda_kernelERKNSB_10TensorBaseESF_lENKUlvE_clEvENKUlvE_clEvEUlddE_dEEDaPvRmT3_T4_T5_mT6_P12ihipStream_tbENKUlT_T0_E_clISt17integral_constantIbLb0EESW_EEDaSR_SS_EUlSR_E0_NS1_11comp_targetILNS1_3genE3ELNS1_11target_archE908ELNS1_3gpuE7ELNS1_3repE0EEENS1_30default_config_static_selectorELNS0_4arch9wavefront6targetE1EEEvT1_
	.p2align	8
	.type	_ZN7rocprim17ROCPRIM_400000_NS6detail17trampoline_kernelINS0_14default_configENS1_20scan_config_selectorIdEEZZNS1_9scan_implILNS1_25lookback_scan_determinismE0ELb0ELb0ES3_PKdPddZZZN2at6native31launch_logcumsumexp_cuda_kernelERKNSB_10TensorBaseESF_lENKUlvE_clEvENKUlvE_clEvEUlddE_dEEDaPvRmT3_T4_T5_mT6_P12ihipStream_tbENKUlT_T0_E_clISt17integral_constantIbLb0EESW_EEDaSR_SS_EUlSR_E0_NS1_11comp_targetILNS1_3genE3ELNS1_11target_archE908ELNS1_3gpuE7ELNS1_3repE0EEENS1_30default_config_static_selectorELNS0_4arch9wavefront6targetE1EEEvT1_,@function
_ZN7rocprim17ROCPRIM_400000_NS6detail17trampoline_kernelINS0_14default_configENS1_20scan_config_selectorIdEEZZNS1_9scan_implILNS1_25lookback_scan_determinismE0ELb0ELb0ES3_PKdPddZZZN2at6native31launch_logcumsumexp_cuda_kernelERKNSB_10TensorBaseESF_lENKUlvE_clEvENKUlvE_clEvEUlddE_dEEDaPvRmT3_T4_T5_mT6_P12ihipStream_tbENKUlT_T0_E_clISt17integral_constantIbLb0EESW_EEDaSR_SS_EUlSR_E0_NS1_11comp_targetILNS1_3genE3ELNS1_11target_archE908ELNS1_3gpuE7ELNS1_3repE0EEENS1_30default_config_static_selectorELNS0_4arch9wavefront6targetE1EEEvT1_: ; @_ZN7rocprim17ROCPRIM_400000_NS6detail17trampoline_kernelINS0_14default_configENS1_20scan_config_selectorIdEEZZNS1_9scan_implILNS1_25lookback_scan_determinismE0ELb0ELb0ES3_PKdPddZZZN2at6native31launch_logcumsumexp_cuda_kernelERKNSB_10TensorBaseESF_lENKUlvE_clEvENKUlvE_clEvEUlddE_dEEDaPvRmT3_T4_T5_mT6_P12ihipStream_tbENKUlT_T0_E_clISt17integral_constantIbLb0EESW_EEDaSR_SS_EUlSR_E0_NS1_11comp_targetILNS1_3genE3ELNS1_11target_archE908ELNS1_3gpuE7ELNS1_3repE0EEENS1_30default_config_static_selectorELNS0_4arch9wavefront6targetE1EEEvT1_
; %bb.0:
	.section	.rodata,"a",@progbits
	.p2align	6, 0x0
	.amdhsa_kernel _ZN7rocprim17ROCPRIM_400000_NS6detail17trampoline_kernelINS0_14default_configENS1_20scan_config_selectorIdEEZZNS1_9scan_implILNS1_25lookback_scan_determinismE0ELb0ELb0ES3_PKdPddZZZN2at6native31launch_logcumsumexp_cuda_kernelERKNSB_10TensorBaseESF_lENKUlvE_clEvENKUlvE_clEvEUlddE_dEEDaPvRmT3_T4_T5_mT6_P12ihipStream_tbENKUlT_T0_E_clISt17integral_constantIbLb0EESW_EEDaSR_SS_EUlSR_E0_NS1_11comp_targetILNS1_3genE3ELNS1_11target_archE908ELNS1_3gpuE7ELNS1_3repE0EEENS1_30default_config_static_selectorELNS0_4arch9wavefront6targetE1EEEvT1_
		.amdhsa_group_segment_fixed_size 0
		.amdhsa_private_segment_fixed_size 0
		.amdhsa_kernarg_size 40
		.amdhsa_user_sgpr_count 2
		.amdhsa_user_sgpr_dispatch_ptr 0
		.amdhsa_user_sgpr_queue_ptr 0
		.amdhsa_user_sgpr_kernarg_segment_ptr 1
		.amdhsa_user_sgpr_dispatch_id 0
		.amdhsa_user_sgpr_kernarg_preload_length 0
		.amdhsa_user_sgpr_kernarg_preload_offset 0
		.amdhsa_user_sgpr_private_segment_size 0
		.amdhsa_uses_dynamic_stack 0
		.amdhsa_enable_private_segment 0
		.amdhsa_system_sgpr_workgroup_id_x 1
		.amdhsa_system_sgpr_workgroup_id_y 0
		.amdhsa_system_sgpr_workgroup_id_z 0
		.amdhsa_system_sgpr_workgroup_info 0
		.amdhsa_system_vgpr_workitem_id 0
		.amdhsa_next_free_vgpr 1
		.amdhsa_next_free_sgpr 0
		.amdhsa_accum_offset 4
		.amdhsa_reserve_vcc 0
		.amdhsa_float_round_mode_32 0
		.amdhsa_float_round_mode_16_64 0
		.amdhsa_float_denorm_mode_32 3
		.amdhsa_float_denorm_mode_16_64 3
		.amdhsa_dx10_clamp 1
		.amdhsa_ieee_mode 1
		.amdhsa_fp16_overflow 0
		.amdhsa_tg_split 0
		.amdhsa_exception_fp_ieee_invalid_op 0
		.amdhsa_exception_fp_denorm_src 0
		.amdhsa_exception_fp_ieee_div_zero 0
		.amdhsa_exception_fp_ieee_overflow 0
		.amdhsa_exception_fp_ieee_underflow 0
		.amdhsa_exception_fp_ieee_inexact 0
		.amdhsa_exception_int_div_zero 0
	.end_amdhsa_kernel
	.section	.text._ZN7rocprim17ROCPRIM_400000_NS6detail17trampoline_kernelINS0_14default_configENS1_20scan_config_selectorIdEEZZNS1_9scan_implILNS1_25lookback_scan_determinismE0ELb0ELb0ES3_PKdPddZZZN2at6native31launch_logcumsumexp_cuda_kernelERKNSB_10TensorBaseESF_lENKUlvE_clEvENKUlvE_clEvEUlddE_dEEDaPvRmT3_T4_T5_mT6_P12ihipStream_tbENKUlT_T0_E_clISt17integral_constantIbLb0EESW_EEDaSR_SS_EUlSR_E0_NS1_11comp_targetILNS1_3genE3ELNS1_11target_archE908ELNS1_3gpuE7ELNS1_3repE0EEENS1_30default_config_static_selectorELNS0_4arch9wavefront6targetE1EEEvT1_,"axG",@progbits,_ZN7rocprim17ROCPRIM_400000_NS6detail17trampoline_kernelINS0_14default_configENS1_20scan_config_selectorIdEEZZNS1_9scan_implILNS1_25lookback_scan_determinismE0ELb0ELb0ES3_PKdPddZZZN2at6native31launch_logcumsumexp_cuda_kernelERKNSB_10TensorBaseESF_lENKUlvE_clEvENKUlvE_clEvEUlddE_dEEDaPvRmT3_T4_T5_mT6_P12ihipStream_tbENKUlT_T0_E_clISt17integral_constantIbLb0EESW_EEDaSR_SS_EUlSR_E0_NS1_11comp_targetILNS1_3genE3ELNS1_11target_archE908ELNS1_3gpuE7ELNS1_3repE0EEENS1_30default_config_static_selectorELNS0_4arch9wavefront6targetE1EEEvT1_,comdat
.Lfunc_end22:
	.size	_ZN7rocprim17ROCPRIM_400000_NS6detail17trampoline_kernelINS0_14default_configENS1_20scan_config_selectorIdEEZZNS1_9scan_implILNS1_25lookback_scan_determinismE0ELb0ELb0ES3_PKdPddZZZN2at6native31launch_logcumsumexp_cuda_kernelERKNSB_10TensorBaseESF_lENKUlvE_clEvENKUlvE_clEvEUlddE_dEEDaPvRmT3_T4_T5_mT6_P12ihipStream_tbENKUlT_T0_E_clISt17integral_constantIbLb0EESW_EEDaSR_SS_EUlSR_E0_NS1_11comp_targetILNS1_3genE3ELNS1_11target_archE908ELNS1_3gpuE7ELNS1_3repE0EEENS1_30default_config_static_selectorELNS0_4arch9wavefront6targetE1EEEvT1_, .Lfunc_end22-_ZN7rocprim17ROCPRIM_400000_NS6detail17trampoline_kernelINS0_14default_configENS1_20scan_config_selectorIdEEZZNS1_9scan_implILNS1_25lookback_scan_determinismE0ELb0ELb0ES3_PKdPddZZZN2at6native31launch_logcumsumexp_cuda_kernelERKNSB_10TensorBaseESF_lENKUlvE_clEvENKUlvE_clEvEUlddE_dEEDaPvRmT3_T4_T5_mT6_P12ihipStream_tbENKUlT_T0_E_clISt17integral_constantIbLb0EESW_EEDaSR_SS_EUlSR_E0_NS1_11comp_targetILNS1_3genE3ELNS1_11target_archE908ELNS1_3gpuE7ELNS1_3repE0EEENS1_30default_config_static_selectorELNS0_4arch9wavefront6targetE1EEEvT1_
                                        ; -- End function
	.section	.AMDGPU.csdata,"",@progbits
; Kernel info:
; codeLenInByte = 0
; NumSgprs: 6
; NumVgprs: 0
; NumAgprs: 0
; TotalNumVgprs: 0
; ScratchSize: 0
; MemoryBound: 0
; FloatMode: 240
; IeeeMode: 1
; LDSByteSize: 0 bytes/workgroup (compile time only)
; SGPRBlocks: 0
; VGPRBlocks: 0
; NumSGPRsForWavesPerEU: 6
; NumVGPRsForWavesPerEU: 1
; AccumOffset: 4
; Occupancy: 8
; WaveLimiterHint : 0
; COMPUTE_PGM_RSRC2:SCRATCH_EN: 0
; COMPUTE_PGM_RSRC2:USER_SGPR: 2
; COMPUTE_PGM_RSRC2:TRAP_HANDLER: 0
; COMPUTE_PGM_RSRC2:TGID_X_EN: 1
; COMPUTE_PGM_RSRC2:TGID_Y_EN: 0
; COMPUTE_PGM_RSRC2:TGID_Z_EN: 0
; COMPUTE_PGM_RSRC2:TIDIG_COMP_CNT: 0
; COMPUTE_PGM_RSRC3_GFX90A:ACCUM_OFFSET: 0
; COMPUTE_PGM_RSRC3_GFX90A:TG_SPLIT: 0
	.section	.text._ZN7rocprim17ROCPRIM_400000_NS6detail17trampoline_kernelINS0_14default_configENS1_20scan_config_selectorIdEEZZNS1_9scan_implILNS1_25lookback_scan_determinismE0ELb0ELb0ES3_PKdPddZZZN2at6native31launch_logcumsumexp_cuda_kernelERKNSB_10TensorBaseESF_lENKUlvE_clEvENKUlvE_clEvEUlddE_dEEDaPvRmT3_T4_T5_mT6_P12ihipStream_tbENKUlT_T0_E_clISt17integral_constantIbLb0EESW_EEDaSR_SS_EUlSR_E0_NS1_11comp_targetILNS1_3genE2ELNS1_11target_archE906ELNS1_3gpuE6ELNS1_3repE0EEENS1_30default_config_static_selectorELNS0_4arch9wavefront6targetE1EEEvT1_,"axG",@progbits,_ZN7rocprim17ROCPRIM_400000_NS6detail17trampoline_kernelINS0_14default_configENS1_20scan_config_selectorIdEEZZNS1_9scan_implILNS1_25lookback_scan_determinismE0ELb0ELb0ES3_PKdPddZZZN2at6native31launch_logcumsumexp_cuda_kernelERKNSB_10TensorBaseESF_lENKUlvE_clEvENKUlvE_clEvEUlddE_dEEDaPvRmT3_T4_T5_mT6_P12ihipStream_tbENKUlT_T0_E_clISt17integral_constantIbLb0EESW_EEDaSR_SS_EUlSR_E0_NS1_11comp_targetILNS1_3genE2ELNS1_11target_archE906ELNS1_3gpuE6ELNS1_3repE0EEENS1_30default_config_static_selectorELNS0_4arch9wavefront6targetE1EEEvT1_,comdat
	.globl	_ZN7rocprim17ROCPRIM_400000_NS6detail17trampoline_kernelINS0_14default_configENS1_20scan_config_selectorIdEEZZNS1_9scan_implILNS1_25lookback_scan_determinismE0ELb0ELb0ES3_PKdPddZZZN2at6native31launch_logcumsumexp_cuda_kernelERKNSB_10TensorBaseESF_lENKUlvE_clEvENKUlvE_clEvEUlddE_dEEDaPvRmT3_T4_T5_mT6_P12ihipStream_tbENKUlT_T0_E_clISt17integral_constantIbLb0EESW_EEDaSR_SS_EUlSR_E0_NS1_11comp_targetILNS1_3genE2ELNS1_11target_archE906ELNS1_3gpuE6ELNS1_3repE0EEENS1_30default_config_static_selectorELNS0_4arch9wavefront6targetE1EEEvT1_ ; -- Begin function _ZN7rocprim17ROCPRIM_400000_NS6detail17trampoline_kernelINS0_14default_configENS1_20scan_config_selectorIdEEZZNS1_9scan_implILNS1_25lookback_scan_determinismE0ELb0ELb0ES3_PKdPddZZZN2at6native31launch_logcumsumexp_cuda_kernelERKNSB_10TensorBaseESF_lENKUlvE_clEvENKUlvE_clEvEUlddE_dEEDaPvRmT3_T4_T5_mT6_P12ihipStream_tbENKUlT_T0_E_clISt17integral_constantIbLb0EESW_EEDaSR_SS_EUlSR_E0_NS1_11comp_targetILNS1_3genE2ELNS1_11target_archE906ELNS1_3gpuE6ELNS1_3repE0EEENS1_30default_config_static_selectorELNS0_4arch9wavefront6targetE1EEEvT1_
	.p2align	8
	.type	_ZN7rocprim17ROCPRIM_400000_NS6detail17trampoline_kernelINS0_14default_configENS1_20scan_config_selectorIdEEZZNS1_9scan_implILNS1_25lookback_scan_determinismE0ELb0ELb0ES3_PKdPddZZZN2at6native31launch_logcumsumexp_cuda_kernelERKNSB_10TensorBaseESF_lENKUlvE_clEvENKUlvE_clEvEUlddE_dEEDaPvRmT3_T4_T5_mT6_P12ihipStream_tbENKUlT_T0_E_clISt17integral_constantIbLb0EESW_EEDaSR_SS_EUlSR_E0_NS1_11comp_targetILNS1_3genE2ELNS1_11target_archE906ELNS1_3gpuE6ELNS1_3repE0EEENS1_30default_config_static_selectorELNS0_4arch9wavefront6targetE1EEEvT1_,@function
_ZN7rocprim17ROCPRIM_400000_NS6detail17trampoline_kernelINS0_14default_configENS1_20scan_config_selectorIdEEZZNS1_9scan_implILNS1_25lookback_scan_determinismE0ELb0ELb0ES3_PKdPddZZZN2at6native31launch_logcumsumexp_cuda_kernelERKNSB_10TensorBaseESF_lENKUlvE_clEvENKUlvE_clEvEUlddE_dEEDaPvRmT3_T4_T5_mT6_P12ihipStream_tbENKUlT_T0_E_clISt17integral_constantIbLb0EESW_EEDaSR_SS_EUlSR_E0_NS1_11comp_targetILNS1_3genE2ELNS1_11target_archE906ELNS1_3gpuE6ELNS1_3repE0EEENS1_30default_config_static_selectorELNS0_4arch9wavefront6targetE1EEEvT1_: ; @_ZN7rocprim17ROCPRIM_400000_NS6detail17trampoline_kernelINS0_14default_configENS1_20scan_config_selectorIdEEZZNS1_9scan_implILNS1_25lookback_scan_determinismE0ELb0ELb0ES3_PKdPddZZZN2at6native31launch_logcumsumexp_cuda_kernelERKNSB_10TensorBaseESF_lENKUlvE_clEvENKUlvE_clEvEUlddE_dEEDaPvRmT3_T4_T5_mT6_P12ihipStream_tbENKUlT_T0_E_clISt17integral_constantIbLb0EESW_EEDaSR_SS_EUlSR_E0_NS1_11comp_targetILNS1_3genE2ELNS1_11target_archE906ELNS1_3gpuE6ELNS1_3repE0EEENS1_30default_config_static_selectorELNS0_4arch9wavefront6targetE1EEEvT1_
; %bb.0:
	.section	.rodata,"a",@progbits
	.p2align	6, 0x0
	.amdhsa_kernel _ZN7rocprim17ROCPRIM_400000_NS6detail17trampoline_kernelINS0_14default_configENS1_20scan_config_selectorIdEEZZNS1_9scan_implILNS1_25lookback_scan_determinismE0ELb0ELb0ES3_PKdPddZZZN2at6native31launch_logcumsumexp_cuda_kernelERKNSB_10TensorBaseESF_lENKUlvE_clEvENKUlvE_clEvEUlddE_dEEDaPvRmT3_T4_T5_mT6_P12ihipStream_tbENKUlT_T0_E_clISt17integral_constantIbLb0EESW_EEDaSR_SS_EUlSR_E0_NS1_11comp_targetILNS1_3genE2ELNS1_11target_archE906ELNS1_3gpuE6ELNS1_3repE0EEENS1_30default_config_static_selectorELNS0_4arch9wavefront6targetE1EEEvT1_
		.amdhsa_group_segment_fixed_size 0
		.amdhsa_private_segment_fixed_size 0
		.amdhsa_kernarg_size 40
		.amdhsa_user_sgpr_count 2
		.amdhsa_user_sgpr_dispatch_ptr 0
		.amdhsa_user_sgpr_queue_ptr 0
		.amdhsa_user_sgpr_kernarg_segment_ptr 1
		.amdhsa_user_sgpr_dispatch_id 0
		.amdhsa_user_sgpr_kernarg_preload_length 0
		.amdhsa_user_sgpr_kernarg_preload_offset 0
		.amdhsa_user_sgpr_private_segment_size 0
		.amdhsa_uses_dynamic_stack 0
		.amdhsa_enable_private_segment 0
		.amdhsa_system_sgpr_workgroup_id_x 1
		.amdhsa_system_sgpr_workgroup_id_y 0
		.amdhsa_system_sgpr_workgroup_id_z 0
		.amdhsa_system_sgpr_workgroup_info 0
		.amdhsa_system_vgpr_workitem_id 0
		.amdhsa_next_free_vgpr 1
		.amdhsa_next_free_sgpr 0
		.amdhsa_accum_offset 4
		.amdhsa_reserve_vcc 0
		.amdhsa_float_round_mode_32 0
		.amdhsa_float_round_mode_16_64 0
		.amdhsa_float_denorm_mode_32 3
		.amdhsa_float_denorm_mode_16_64 3
		.amdhsa_dx10_clamp 1
		.amdhsa_ieee_mode 1
		.amdhsa_fp16_overflow 0
		.amdhsa_tg_split 0
		.amdhsa_exception_fp_ieee_invalid_op 0
		.amdhsa_exception_fp_denorm_src 0
		.amdhsa_exception_fp_ieee_div_zero 0
		.amdhsa_exception_fp_ieee_overflow 0
		.amdhsa_exception_fp_ieee_underflow 0
		.amdhsa_exception_fp_ieee_inexact 0
		.amdhsa_exception_int_div_zero 0
	.end_amdhsa_kernel
	.section	.text._ZN7rocprim17ROCPRIM_400000_NS6detail17trampoline_kernelINS0_14default_configENS1_20scan_config_selectorIdEEZZNS1_9scan_implILNS1_25lookback_scan_determinismE0ELb0ELb0ES3_PKdPddZZZN2at6native31launch_logcumsumexp_cuda_kernelERKNSB_10TensorBaseESF_lENKUlvE_clEvENKUlvE_clEvEUlddE_dEEDaPvRmT3_T4_T5_mT6_P12ihipStream_tbENKUlT_T0_E_clISt17integral_constantIbLb0EESW_EEDaSR_SS_EUlSR_E0_NS1_11comp_targetILNS1_3genE2ELNS1_11target_archE906ELNS1_3gpuE6ELNS1_3repE0EEENS1_30default_config_static_selectorELNS0_4arch9wavefront6targetE1EEEvT1_,"axG",@progbits,_ZN7rocprim17ROCPRIM_400000_NS6detail17trampoline_kernelINS0_14default_configENS1_20scan_config_selectorIdEEZZNS1_9scan_implILNS1_25lookback_scan_determinismE0ELb0ELb0ES3_PKdPddZZZN2at6native31launch_logcumsumexp_cuda_kernelERKNSB_10TensorBaseESF_lENKUlvE_clEvENKUlvE_clEvEUlddE_dEEDaPvRmT3_T4_T5_mT6_P12ihipStream_tbENKUlT_T0_E_clISt17integral_constantIbLb0EESW_EEDaSR_SS_EUlSR_E0_NS1_11comp_targetILNS1_3genE2ELNS1_11target_archE906ELNS1_3gpuE6ELNS1_3repE0EEENS1_30default_config_static_selectorELNS0_4arch9wavefront6targetE1EEEvT1_,comdat
.Lfunc_end23:
	.size	_ZN7rocprim17ROCPRIM_400000_NS6detail17trampoline_kernelINS0_14default_configENS1_20scan_config_selectorIdEEZZNS1_9scan_implILNS1_25lookback_scan_determinismE0ELb0ELb0ES3_PKdPddZZZN2at6native31launch_logcumsumexp_cuda_kernelERKNSB_10TensorBaseESF_lENKUlvE_clEvENKUlvE_clEvEUlddE_dEEDaPvRmT3_T4_T5_mT6_P12ihipStream_tbENKUlT_T0_E_clISt17integral_constantIbLb0EESW_EEDaSR_SS_EUlSR_E0_NS1_11comp_targetILNS1_3genE2ELNS1_11target_archE906ELNS1_3gpuE6ELNS1_3repE0EEENS1_30default_config_static_selectorELNS0_4arch9wavefront6targetE1EEEvT1_, .Lfunc_end23-_ZN7rocprim17ROCPRIM_400000_NS6detail17trampoline_kernelINS0_14default_configENS1_20scan_config_selectorIdEEZZNS1_9scan_implILNS1_25lookback_scan_determinismE0ELb0ELb0ES3_PKdPddZZZN2at6native31launch_logcumsumexp_cuda_kernelERKNSB_10TensorBaseESF_lENKUlvE_clEvENKUlvE_clEvEUlddE_dEEDaPvRmT3_T4_T5_mT6_P12ihipStream_tbENKUlT_T0_E_clISt17integral_constantIbLb0EESW_EEDaSR_SS_EUlSR_E0_NS1_11comp_targetILNS1_3genE2ELNS1_11target_archE906ELNS1_3gpuE6ELNS1_3repE0EEENS1_30default_config_static_selectorELNS0_4arch9wavefront6targetE1EEEvT1_
                                        ; -- End function
	.section	.AMDGPU.csdata,"",@progbits
; Kernel info:
; codeLenInByte = 0
; NumSgprs: 6
; NumVgprs: 0
; NumAgprs: 0
; TotalNumVgprs: 0
; ScratchSize: 0
; MemoryBound: 0
; FloatMode: 240
; IeeeMode: 1
; LDSByteSize: 0 bytes/workgroup (compile time only)
; SGPRBlocks: 0
; VGPRBlocks: 0
; NumSGPRsForWavesPerEU: 6
; NumVGPRsForWavesPerEU: 1
; AccumOffset: 4
; Occupancy: 8
; WaveLimiterHint : 0
; COMPUTE_PGM_RSRC2:SCRATCH_EN: 0
; COMPUTE_PGM_RSRC2:USER_SGPR: 2
; COMPUTE_PGM_RSRC2:TRAP_HANDLER: 0
; COMPUTE_PGM_RSRC2:TGID_X_EN: 1
; COMPUTE_PGM_RSRC2:TGID_Y_EN: 0
; COMPUTE_PGM_RSRC2:TGID_Z_EN: 0
; COMPUTE_PGM_RSRC2:TIDIG_COMP_CNT: 0
; COMPUTE_PGM_RSRC3_GFX90A:ACCUM_OFFSET: 0
; COMPUTE_PGM_RSRC3_GFX90A:TG_SPLIT: 0
	.section	.text._ZN7rocprim17ROCPRIM_400000_NS6detail17trampoline_kernelINS0_14default_configENS1_20scan_config_selectorIdEEZZNS1_9scan_implILNS1_25lookback_scan_determinismE0ELb0ELb0ES3_PKdPddZZZN2at6native31launch_logcumsumexp_cuda_kernelERKNSB_10TensorBaseESF_lENKUlvE_clEvENKUlvE_clEvEUlddE_dEEDaPvRmT3_T4_T5_mT6_P12ihipStream_tbENKUlT_T0_E_clISt17integral_constantIbLb0EESW_EEDaSR_SS_EUlSR_E0_NS1_11comp_targetILNS1_3genE10ELNS1_11target_archE1201ELNS1_3gpuE5ELNS1_3repE0EEENS1_30default_config_static_selectorELNS0_4arch9wavefront6targetE1EEEvT1_,"axG",@progbits,_ZN7rocprim17ROCPRIM_400000_NS6detail17trampoline_kernelINS0_14default_configENS1_20scan_config_selectorIdEEZZNS1_9scan_implILNS1_25lookback_scan_determinismE0ELb0ELb0ES3_PKdPddZZZN2at6native31launch_logcumsumexp_cuda_kernelERKNSB_10TensorBaseESF_lENKUlvE_clEvENKUlvE_clEvEUlddE_dEEDaPvRmT3_T4_T5_mT6_P12ihipStream_tbENKUlT_T0_E_clISt17integral_constantIbLb0EESW_EEDaSR_SS_EUlSR_E0_NS1_11comp_targetILNS1_3genE10ELNS1_11target_archE1201ELNS1_3gpuE5ELNS1_3repE0EEENS1_30default_config_static_selectorELNS0_4arch9wavefront6targetE1EEEvT1_,comdat
	.globl	_ZN7rocprim17ROCPRIM_400000_NS6detail17trampoline_kernelINS0_14default_configENS1_20scan_config_selectorIdEEZZNS1_9scan_implILNS1_25lookback_scan_determinismE0ELb0ELb0ES3_PKdPddZZZN2at6native31launch_logcumsumexp_cuda_kernelERKNSB_10TensorBaseESF_lENKUlvE_clEvENKUlvE_clEvEUlddE_dEEDaPvRmT3_T4_T5_mT6_P12ihipStream_tbENKUlT_T0_E_clISt17integral_constantIbLb0EESW_EEDaSR_SS_EUlSR_E0_NS1_11comp_targetILNS1_3genE10ELNS1_11target_archE1201ELNS1_3gpuE5ELNS1_3repE0EEENS1_30default_config_static_selectorELNS0_4arch9wavefront6targetE1EEEvT1_ ; -- Begin function _ZN7rocprim17ROCPRIM_400000_NS6detail17trampoline_kernelINS0_14default_configENS1_20scan_config_selectorIdEEZZNS1_9scan_implILNS1_25lookback_scan_determinismE0ELb0ELb0ES3_PKdPddZZZN2at6native31launch_logcumsumexp_cuda_kernelERKNSB_10TensorBaseESF_lENKUlvE_clEvENKUlvE_clEvEUlddE_dEEDaPvRmT3_T4_T5_mT6_P12ihipStream_tbENKUlT_T0_E_clISt17integral_constantIbLb0EESW_EEDaSR_SS_EUlSR_E0_NS1_11comp_targetILNS1_3genE10ELNS1_11target_archE1201ELNS1_3gpuE5ELNS1_3repE0EEENS1_30default_config_static_selectorELNS0_4arch9wavefront6targetE1EEEvT1_
	.p2align	8
	.type	_ZN7rocprim17ROCPRIM_400000_NS6detail17trampoline_kernelINS0_14default_configENS1_20scan_config_selectorIdEEZZNS1_9scan_implILNS1_25lookback_scan_determinismE0ELb0ELb0ES3_PKdPddZZZN2at6native31launch_logcumsumexp_cuda_kernelERKNSB_10TensorBaseESF_lENKUlvE_clEvENKUlvE_clEvEUlddE_dEEDaPvRmT3_T4_T5_mT6_P12ihipStream_tbENKUlT_T0_E_clISt17integral_constantIbLb0EESW_EEDaSR_SS_EUlSR_E0_NS1_11comp_targetILNS1_3genE10ELNS1_11target_archE1201ELNS1_3gpuE5ELNS1_3repE0EEENS1_30default_config_static_selectorELNS0_4arch9wavefront6targetE1EEEvT1_,@function
_ZN7rocprim17ROCPRIM_400000_NS6detail17trampoline_kernelINS0_14default_configENS1_20scan_config_selectorIdEEZZNS1_9scan_implILNS1_25lookback_scan_determinismE0ELb0ELb0ES3_PKdPddZZZN2at6native31launch_logcumsumexp_cuda_kernelERKNSB_10TensorBaseESF_lENKUlvE_clEvENKUlvE_clEvEUlddE_dEEDaPvRmT3_T4_T5_mT6_P12ihipStream_tbENKUlT_T0_E_clISt17integral_constantIbLb0EESW_EEDaSR_SS_EUlSR_E0_NS1_11comp_targetILNS1_3genE10ELNS1_11target_archE1201ELNS1_3gpuE5ELNS1_3repE0EEENS1_30default_config_static_selectorELNS0_4arch9wavefront6targetE1EEEvT1_: ; @_ZN7rocprim17ROCPRIM_400000_NS6detail17trampoline_kernelINS0_14default_configENS1_20scan_config_selectorIdEEZZNS1_9scan_implILNS1_25lookback_scan_determinismE0ELb0ELb0ES3_PKdPddZZZN2at6native31launch_logcumsumexp_cuda_kernelERKNSB_10TensorBaseESF_lENKUlvE_clEvENKUlvE_clEvEUlddE_dEEDaPvRmT3_T4_T5_mT6_P12ihipStream_tbENKUlT_T0_E_clISt17integral_constantIbLb0EESW_EEDaSR_SS_EUlSR_E0_NS1_11comp_targetILNS1_3genE10ELNS1_11target_archE1201ELNS1_3gpuE5ELNS1_3repE0EEENS1_30default_config_static_selectorELNS0_4arch9wavefront6targetE1EEEvT1_
; %bb.0:
	.section	.rodata,"a",@progbits
	.p2align	6, 0x0
	.amdhsa_kernel _ZN7rocprim17ROCPRIM_400000_NS6detail17trampoline_kernelINS0_14default_configENS1_20scan_config_selectorIdEEZZNS1_9scan_implILNS1_25lookback_scan_determinismE0ELb0ELb0ES3_PKdPddZZZN2at6native31launch_logcumsumexp_cuda_kernelERKNSB_10TensorBaseESF_lENKUlvE_clEvENKUlvE_clEvEUlddE_dEEDaPvRmT3_T4_T5_mT6_P12ihipStream_tbENKUlT_T0_E_clISt17integral_constantIbLb0EESW_EEDaSR_SS_EUlSR_E0_NS1_11comp_targetILNS1_3genE10ELNS1_11target_archE1201ELNS1_3gpuE5ELNS1_3repE0EEENS1_30default_config_static_selectorELNS0_4arch9wavefront6targetE1EEEvT1_
		.amdhsa_group_segment_fixed_size 0
		.amdhsa_private_segment_fixed_size 0
		.amdhsa_kernarg_size 40
		.amdhsa_user_sgpr_count 2
		.amdhsa_user_sgpr_dispatch_ptr 0
		.amdhsa_user_sgpr_queue_ptr 0
		.amdhsa_user_sgpr_kernarg_segment_ptr 1
		.amdhsa_user_sgpr_dispatch_id 0
		.amdhsa_user_sgpr_kernarg_preload_length 0
		.amdhsa_user_sgpr_kernarg_preload_offset 0
		.amdhsa_user_sgpr_private_segment_size 0
		.amdhsa_uses_dynamic_stack 0
		.amdhsa_enable_private_segment 0
		.amdhsa_system_sgpr_workgroup_id_x 1
		.amdhsa_system_sgpr_workgroup_id_y 0
		.amdhsa_system_sgpr_workgroup_id_z 0
		.amdhsa_system_sgpr_workgroup_info 0
		.amdhsa_system_vgpr_workitem_id 0
		.amdhsa_next_free_vgpr 1
		.amdhsa_next_free_sgpr 0
		.amdhsa_accum_offset 4
		.amdhsa_reserve_vcc 0
		.amdhsa_float_round_mode_32 0
		.amdhsa_float_round_mode_16_64 0
		.amdhsa_float_denorm_mode_32 3
		.amdhsa_float_denorm_mode_16_64 3
		.amdhsa_dx10_clamp 1
		.amdhsa_ieee_mode 1
		.amdhsa_fp16_overflow 0
		.amdhsa_tg_split 0
		.amdhsa_exception_fp_ieee_invalid_op 0
		.amdhsa_exception_fp_denorm_src 0
		.amdhsa_exception_fp_ieee_div_zero 0
		.amdhsa_exception_fp_ieee_overflow 0
		.amdhsa_exception_fp_ieee_underflow 0
		.amdhsa_exception_fp_ieee_inexact 0
		.amdhsa_exception_int_div_zero 0
	.end_amdhsa_kernel
	.section	.text._ZN7rocprim17ROCPRIM_400000_NS6detail17trampoline_kernelINS0_14default_configENS1_20scan_config_selectorIdEEZZNS1_9scan_implILNS1_25lookback_scan_determinismE0ELb0ELb0ES3_PKdPddZZZN2at6native31launch_logcumsumexp_cuda_kernelERKNSB_10TensorBaseESF_lENKUlvE_clEvENKUlvE_clEvEUlddE_dEEDaPvRmT3_T4_T5_mT6_P12ihipStream_tbENKUlT_T0_E_clISt17integral_constantIbLb0EESW_EEDaSR_SS_EUlSR_E0_NS1_11comp_targetILNS1_3genE10ELNS1_11target_archE1201ELNS1_3gpuE5ELNS1_3repE0EEENS1_30default_config_static_selectorELNS0_4arch9wavefront6targetE1EEEvT1_,"axG",@progbits,_ZN7rocprim17ROCPRIM_400000_NS6detail17trampoline_kernelINS0_14default_configENS1_20scan_config_selectorIdEEZZNS1_9scan_implILNS1_25lookback_scan_determinismE0ELb0ELb0ES3_PKdPddZZZN2at6native31launch_logcumsumexp_cuda_kernelERKNSB_10TensorBaseESF_lENKUlvE_clEvENKUlvE_clEvEUlddE_dEEDaPvRmT3_T4_T5_mT6_P12ihipStream_tbENKUlT_T0_E_clISt17integral_constantIbLb0EESW_EEDaSR_SS_EUlSR_E0_NS1_11comp_targetILNS1_3genE10ELNS1_11target_archE1201ELNS1_3gpuE5ELNS1_3repE0EEENS1_30default_config_static_selectorELNS0_4arch9wavefront6targetE1EEEvT1_,comdat
.Lfunc_end24:
	.size	_ZN7rocprim17ROCPRIM_400000_NS6detail17trampoline_kernelINS0_14default_configENS1_20scan_config_selectorIdEEZZNS1_9scan_implILNS1_25lookback_scan_determinismE0ELb0ELb0ES3_PKdPddZZZN2at6native31launch_logcumsumexp_cuda_kernelERKNSB_10TensorBaseESF_lENKUlvE_clEvENKUlvE_clEvEUlddE_dEEDaPvRmT3_T4_T5_mT6_P12ihipStream_tbENKUlT_T0_E_clISt17integral_constantIbLb0EESW_EEDaSR_SS_EUlSR_E0_NS1_11comp_targetILNS1_3genE10ELNS1_11target_archE1201ELNS1_3gpuE5ELNS1_3repE0EEENS1_30default_config_static_selectorELNS0_4arch9wavefront6targetE1EEEvT1_, .Lfunc_end24-_ZN7rocprim17ROCPRIM_400000_NS6detail17trampoline_kernelINS0_14default_configENS1_20scan_config_selectorIdEEZZNS1_9scan_implILNS1_25lookback_scan_determinismE0ELb0ELb0ES3_PKdPddZZZN2at6native31launch_logcumsumexp_cuda_kernelERKNSB_10TensorBaseESF_lENKUlvE_clEvENKUlvE_clEvEUlddE_dEEDaPvRmT3_T4_T5_mT6_P12ihipStream_tbENKUlT_T0_E_clISt17integral_constantIbLb0EESW_EEDaSR_SS_EUlSR_E0_NS1_11comp_targetILNS1_3genE10ELNS1_11target_archE1201ELNS1_3gpuE5ELNS1_3repE0EEENS1_30default_config_static_selectorELNS0_4arch9wavefront6targetE1EEEvT1_
                                        ; -- End function
	.section	.AMDGPU.csdata,"",@progbits
; Kernel info:
; codeLenInByte = 0
; NumSgprs: 6
; NumVgprs: 0
; NumAgprs: 0
; TotalNumVgprs: 0
; ScratchSize: 0
; MemoryBound: 0
; FloatMode: 240
; IeeeMode: 1
; LDSByteSize: 0 bytes/workgroup (compile time only)
; SGPRBlocks: 0
; VGPRBlocks: 0
; NumSGPRsForWavesPerEU: 6
; NumVGPRsForWavesPerEU: 1
; AccumOffset: 4
; Occupancy: 8
; WaveLimiterHint : 0
; COMPUTE_PGM_RSRC2:SCRATCH_EN: 0
; COMPUTE_PGM_RSRC2:USER_SGPR: 2
; COMPUTE_PGM_RSRC2:TRAP_HANDLER: 0
; COMPUTE_PGM_RSRC2:TGID_X_EN: 1
; COMPUTE_PGM_RSRC2:TGID_Y_EN: 0
; COMPUTE_PGM_RSRC2:TGID_Z_EN: 0
; COMPUTE_PGM_RSRC2:TIDIG_COMP_CNT: 0
; COMPUTE_PGM_RSRC3_GFX90A:ACCUM_OFFSET: 0
; COMPUTE_PGM_RSRC3_GFX90A:TG_SPLIT: 0
	.section	.text._ZN7rocprim17ROCPRIM_400000_NS6detail17trampoline_kernelINS0_14default_configENS1_20scan_config_selectorIdEEZZNS1_9scan_implILNS1_25lookback_scan_determinismE0ELb0ELb0ES3_PKdPddZZZN2at6native31launch_logcumsumexp_cuda_kernelERKNSB_10TensorBaseESF_lENKUlvE_clEvENKUlvE_clEvEUlddE_dEEDaPvRmT3_T4_T5_mT6_P12ihipStream_tbENKUlT_T0_E_clISt17integral_constantIbLb0EESW_EEDaSR_SS_EUlSR_E0_NS1_11comp_targetILNS1_3genE10ELNS1_11target_archE1200ELNS1_3gpuE4ELNS1_3repE0EEENS1_30default_config_static_selectorELNS0_4arch9wavefront6targetE1EEEvT1_,"axG",@progbits,_ZN7rocprim17ROCPRIM_400000_NS6detail17trampoline_kernelINS0_14default_configENS1_20scan_config_selectorIdEEZZNS1_9scan_implILNS1_25lookback_scan_determinismE0ELb0ELb0ES3_PKdPddZZZN2at6native31launch_logcumsumexp_cuda_kernelERKNSB_10TensorBaseESF_lENKUlvE_clEvENKUlvE_clEvEUlddE_dEEDaPvRmT3_T4_T5_mT6_P12ihipStream_tbENKUlT_T0_E_clISt17integral_constantIbLb0EESW_EEDaSR_SS_EUlSR_E0_NS1_11comp_targetILNS1_3genE10ELNS1_11target_archE1200ELNS1_3gpuE4ELNS1_3repE0EEENS1_30default_config_static_selectorELNS0_4arch9wavefront6targetE1EEEvT1_,comdat
	.globl	_ZN7rocprim17ROCPRIM_400000_NS6detail17trampoline_kernelINS0_14default_configENS1_20scan_config_selectorIdEEZZNS1_9scan_implILNS1_25lookback_scan_determinismE0ELb0ELb0ES3_PKdPddZZZN2at6native31launch_logcumsumexp_cuda_kernelERKNSB_10TensorBaseESF_lENKUlvE_clEvENKUlvE_clEvEUlddE_dEEDaPvRmT3_T4_T5_mT6_P12ihipStream_tbENKUlT_T0_E_clISt17integral_constantIbLb0EESW_EEDaSR_SS_EUlSR_E0_NS1_11comp_targetILNS1_3genE10ELNS1_11target_archE1200ELNS1_3gpuE4ELNS1_3repE0EEENS1_30default_config_static_selectorELNS0_4arch9wavefront6targetE1EEEvT1_ ; -- Begin function _ZN7rocprim17ROCPRIM_400000_NS6detail17trampoline_kernelINS0_14default_configENS1_20scan_config_selectorIdEEZZNS1_9scan_implILNS1_25lookback_scan_determinismE0ELb0ELb0ES3_PKdPddZZZN2at6native31launch_logcumsumexp_cuda_kernelERKNSB_10TensorBaseESF_lENKUlvE_clEvENKUlvE_clEvEUlddE_dEEDaPvRmT3_T4_T5_mT6_P12ihipStream_tbENKUlT_T0_E_clISt17integral_constantIbLb0EESW_EEDaSR_SS_EUlSR_E0_NS1_11comp_targetILNS1_3genE10ELNS1_11target_archE1200ELNS1_3gpuE4ELNS1_3repE0EEENS1_30default_config_static_selectorELNS0_4arch9wavefront6targetE1EEEvT1_
	.p2align	8
	.type	_ZN7rocprim17ROCPRIM_400000_NS6detail17trampoline_kernelINS0_14default_configENS1_20scan_config_selectorIdEEZZNS1_9scan_implILNS1_25lookback_scan_determinismE0ELb0ELb0ES3_PKdPddZZZN2at6native31launch_logcumsumexp_cuda_kernelERKNSB_10TensorBaseESF_lENKUlvE_clEvENKUlvE_clEvEUlddE_dEEDaPvRmT3_T4_T5_mT6_P12ihipStream_tbENKUlT_T0_E_clISt17integral_constantIbLb0EESW_EEDaSR_SS_EUlSR_E0_NS1_11comp_targetILNS1_3genE10ELNS1_11target_archE1200ELNS1_3gpuE4ELNS1_3repE0EEENS1_30default_config_static_selectorELNS0_4arch9wavefront6targetE1EEEvT1_,@function
_ZN7rocprim17ROCPRIM_400000_NS6detail17trampoline_kernelINS0_14default_configENS1_20scan_config_selectorIdEEZZNS1_9scan_implILNS1_25lookback_scan_determinismE0ELb0ELb0ES3_PKdPddZZZN2at6native31launch_logcumsumexp_cuda_kernelERKNSB_10TensorBaseESF_lENKUlvE_clEvENKUlvE_clEvEUlddE_dEEDaPvRmT3_T4_T5_mT6_P12ihipStream_tbENKUlT_T0_E_clISt17integral_constantIbLb0EESW_EEDaSR_SS_EUlSR_E0_NS1_11comp_targetILNS1_3genE10ELNS1_11target_archE1200ELNS1_3gpuE4ELNS1_3repE0EEENS1_30default_config_static_selectorELNS0_4arch9wavefront6targetE1EEEvT1_: ; @_ZN7rocprim17ROCPRIM_400000_NS6detail17trampoline_kernelINS0_14default_configENS1_20scan_config_selectorIdEEZZNS1_9scan_implILNS1_25lookback_scan_determinismE0ELb0ELb0ES3_PKdPddZZZN2at6native31launch_logcumsumexp_cuda_kernelERKNSB_10TensorBaseESF_lENKUlvE_clEvENKUlvE_clEvEUlddE_dEEDaPvRmT3_T4_T5_mT6_P12ihipStream_tbENKUlT_T0_E_clISt17integral_constantIbLb0EESW_EEDaSR_SS_EUlSR_E0_NS1_11comp_targetILNS1_3genE10ELNS1_11target_archE1200ELNS1_3gpuE4ELNS1_3repE0EEENS1_30default_config_static_selectorELNS0_4arch9wavefront6targetE1EEEvT1_
; %bb.0:
	.section	.rodata,"a",@progbits
	.p2align	6, 0x0
	.amdhsa_kernel _ZN7rocprim17ROCPRIM_400000_NS6detail17trampoline_kernelINS0_14default_configENS1_20scan_config_selectorIdEEZZNS1_9scan_implILNS1_25lookback_scan_determinismE0ELb0ELb0ES3_PKdPddZZZN2at6native31launch_logcumsumexp_cuda_kernelERKNSB_10TensorBaseESF_lENKUlvE_clEvENKUlvE_clEvEUlddE_dEEDaPvRmT3_T4_T5_mT6_P12ihipStream_tbENKUlT_T0_E_clISt17integral_constantIbLb0EESW_EEDaSR_SS_EUlSR_E0_NS1_11comp_targetILNS1_3genE10ELNS1_11target_archE1200ELNS1_3gpuE4ELNS1_3repE0EEENS1_30default_config_static_selectorELNS0_4arch9wavefront6targetE1EEEvT1_
		.amdhsa_group_segment_fixed_size 0
		.amdhsa_private_segment_fixed_size 0
		.amdhsa_kernarg_size 40
		.amdhsa_user_sgpr_count 2
		.amdhsa_user_sgpr_dispatch_ptr 0
		.amdhsa_user_sgpr_queue_ptr 0
		.amdhsa_user_sgpr_kernarg_segment_ptr 1
		.amdhsa_user_sgpr_dispatch_id 0
		.amdhsa_user_sgpr_kernarg_preload_length 0
		.amdhsa_user_sgpr_kernarg_preload_offset 0
		.amdhsa_user_sgpr_private_segment_size 0
		.amdhsa_uses_dynamic_stack 0
		.amdhsa_enable_private_segment 0
		.amdhsa_system_sgpr_workgroup_id_x 1
		.amdhsa_system_sgpr_workgroup_id_y 0
		.amdhsa_system_sgpr_workgroup_id_z 0
		.amdhsa_system_sgpr_workgroup_info 0
		.amdhsa_system_vgpr_workitem_id 0
		.amdhsa_next_free_vgpr 1
		.amdhsa_next_free_sgpr 0
		.amdhsa_accum_offset 4
		.amdhsa_reserve_vcc 0
		.amdhsa_float_round_mode_32 0
		.amdhsa_float_round_mode_16_64 0
		.amdhsa_float_denorm_mode_32 3
		.amdhsa_float_denorm_mode_16_64 3
		.amdhsa_dx10_clamp 1
		.amdhsa_ieee_mode 1
		.amdhsa_fp16_overflow 0
		.amdhsa_tg_split 0
		.amdhsa_exception_fp_ieee_invalid_op 0
		.amdhsa_exception_fp_denorm_src 0
		.amdhsa_exception_fp_ieee_div_zero 0
		.amdhsa_exception_fp_ieee_overflow 0
		.amdhsa_exception_fp_ieee_underflow 0
		.amdhsa_exception_fp_ieee_inexact 0
		.amdhsa_exception_int_div_zero 0
	.end_amdhsa_kernel
	.section	.text._ZN7rocprim17ROCPRIM_400000_NS6detail17trampoline_kernelINS0_14default_configENS1_20scan_config_selectorIdEEZZNS1_9scan_implILNS1_25lookback_scan_determinismE0ELb0ELb0ES3_PKdPddZZZN2at6native31launch_logcumsumexp_cuda_kernelERKNSB_10TensorBaseESF_lENKUlvE_clEvENKUlvE_clEvEUlddE_dEEDaPvRmT3_T4_T5_mT6_P12ihipStream_tbENKUlT_T0_E_clISt17integral_constantIbLb0EESW_EEDaSR_SS_EUlSR_E0_NS1_11comp_targetILNS1_3genE10ELNS1_11target_archE1200ELNS1_3gpuE4ELNS1_3repE0EEENS1_30default_config_static_selectorELNS0_4arch9wavefront6targetE1EEEvT1_,"axG",@progbits,_ZN7rocprim17ROCPRIM_400000_NS6detail17trampoline_kernelINS0_14default_configENS1_20scan_config_selectorIdEEZZNS1_9scan_implILNS1_25lookback_scan_determinismE0ELb0ELb0ES3_PKdPddZZZN2at6native31launch_logcumsumexp_cuda_kernelERKNSB_10TensorBaseESF_lENKUlvE_clEvENKUlvE_clEvEUlddE_dEEDaPvRmT3_T4_T5_mT6_P12ihipStream_tbENKUlT_T0_E_clISt17integral_constantIbLb0EESW_EEDaSR_SS_EUlSR_E0_NS1_11comp_targetILNS1_3genE10ELNS1_11target_archE1200ELNS1_3gpuE4ELNS1_3repE0EEENS1_30default_config_static_selectorELNS0_4arch9wavefront6targetE1EEEvT1_,comdat
.Lfunc_end25:
	.size	_ZN7rocprim17ROCPRIM_400000_NS6detail17trampoline_kernelINS0_14default_configENS1_20scan_config_selectorIdEEZZNS1_9scan_implILNS1_25lookback_scan_determinismE0ELb0ELb0ES3_PKdPddZZZN2at6native31launch_logcumsumexp_cuda_kernelERKNSB_10TensorBaseESF_lENKUlvE_clEvENKUlvE_clEvEUlddE_dEEDaPvRmT3_T4_T5_mT6_P12ihipStream_tbENKUlT_T0_E_clISt17integral_constantIbLb0EESW_EEDaSR_SS_EUlSR_E0_NS1_11comp_targetILNS1_3genE10ELNS1_11target_archE1200ELNS1_3gpuE4ELNS1_3repE0EEENS1_30default_config_static_selectorELNS0_4arch9wavefront6targetE1EEEvT1_, .Lfunc_end25-_ZN7rocprim17ROCPRIM_400000_NS6detail17trampoline_kernelINS0_14default_configENS1_20scan_config_selectorIdEEZZNS1_9scan_implILNS1_25lookback_scan_determinismE0ELb0ELb0ES3_PKdPddZZZN2at6native31launch_logcumsumexp_cuda_kernelERKNSB_10TensorBaseESF_lENKUlvE_clEvENKUlvE_clEvEUlddE_dEEDaPvRmT3_T4_T5_mT6_P12ihipStream_tbENKUlT_T0_E_clISt17integral_constantIbLb0EESW_EEDaSR_SS_EUlSR_E0_NS1_11comp_targetILNS1_3genE10ELNS1_11target_archE1200ELNS1_3gpuE4ELNS1_3repE0EEENS1_30default_config_static_selectorELNS0_4arch9wavefront6targetE1EEEvT1_
                                        ; -- End function
	.section	.AMDGPU.csdata,"",@progbits
; Kernel info:
; codeLenInByte = 0
; NumSgprs: 6
; NumVgprs: 0
; NumAgprs: 0
; TotalNumVgprs: 0
; ScratchSize: 0
; MemoryBound: 0
; FloatMode: 240
; IeeeMode: 1
; LDSByteSize: 0 bytes/workgroup (compile time only)
; SGPRBlocks: 0
; VGPRBlocks: 0
; NumSGPRsForWavesPerEU: 6
; NumVGPRsForWavesPerEU: 1
; AccumOffset: 4
; Occupancy: 8
; WaveLimiterHint : 0
; COMPUTE_PGM_RSRC2:SCRATCH_EN: 0
; COMPUTE_PGM_RSRC2:USER_SGPR: 2
; COMPUTE_PGM_RSRC2:TRAP_HANDLER: 0
; COMPUTE_PGM_RSRC2:TGID_X_EN: 1
; COMPUTE_PGM_RSRC2:TGID_Y_EN: 0
; COMPUTE_PGM_RSRC2:TGID_Z_EN: 0
; COMPUTE_PGM_RSRC2:TIDIG_COMP_CNT: 0
; COMPUTE_PGM_RSRC3_GFX90A:ACCUM_OFFSET: 0
; COMPUTE_PGM_RSRC3_GFX90A:TG_SPLIT: 0
	.section	.text._ZN7rocprim17ROCPRIM_400000_NS6detail17trampoline_kernelINS0_14default_configENS1_20scan_config_selectorIdEEZZNS1_9scan_implILNS1_25lookback_scan_determinismE0ELb0ELb0ES3_PKdPddZZZN2at6native31launch_logcumsumexp_cuda_kernelERKNSB_10TensorBaseESF_lENKUlvE_clEvENKUlvE_clEvEUlddE_dEEDaPvRmT3_T4_T5_mT6_P12ihipStream_tbENKUlT_T0_E_clISt17integral_constantIbLb0EESW_EEDaSR_SS_EUlSR_E0_NS1_11comp_targetILNS1_3genE9ELNS1_11target_archE1100ELNS1_3gpuE3ELNS1_3repE0EEENS1_30default_config_static_selectorELNS0_4arch9wavefront6targetE1EEEvT1_,"axG",@progbits,_ZN7rocprim17ROCPRIM_400000_NS6detail17trampoline_kernelINS0_14default_configENS1_20scan_config_selectorIdEEZZNS1_9scan_implILNS1_25lookback_scan_determinismE0ELb0ELb0ES3_PKdPddZZZN2at6native31launch_logcumsumexp_cuda_kernelERKNSB_10TensorBaseESF_lENKUlvE_clEvENKUlvE_clEvEUlddE_dEEDaPvRmT3_T4_T5_mT6_P12ihipStream_tbENKUlT_T0_E_clISt17integral_constantIbLb0EESW_EEDaSR_SS_EUlSR_E0_NS1_11comp_targetILNS1_3genE9ELNS1_11target_archE1100ELNS1_3gpuE3ELNS1_3repE0EEENS1_30default_config_static_selectorELNS0_4arch9wavefront6targetE1EEEvT1_,comdat
	.globl	_ZN7rocprim17ROCPRIM_400000_NS6detail17trampoline_kernelINS0_14default_configENS1_20scan_config_selectorIdEEZZNS1_9scan_implILNS1_25lookback_scan_determinismE0ELb0ELb0ES3_PKdPddZZZN2at6native31launch_logcumsumexp_cuda_kernelERKNSB_10TensorBaseESF_lENKUlvE_clEvENKUlvE_clEvEUlddE_dEEDaPvRmT3_T4_T5_mT6_P12ihipStream_tbENKUlT_T0_E_clISt17integral_constantIbLb0EESW_EEDaSR_SS_EUlSR_E0_NS1_11comp_targetILNS1_3genE9ELNS1_11target_archE1100ELNS1_3gpuE3ELNS1_3repE0EEENS1_30default_config_static_selectorELNS0_4arch9wavefront6targetE1EEEvT1_ ; -- Begin function _ZN7rocprim17ROCPRIM_400000_NS6detail17trampoline_kernelINS0_14default_configENS1_20scan_config_selectorIdEEZZNS1_9scan_implILNS1_25lookback_scan_determinismE0ELb0ELb0ES3_PKdPddZZZN2at6native31launch_logcumsumexp_cuda_kernelERKNSB_10TensorBaseESF_lENKUlvE_clEvENKUlvE_clEvEUlddE_dEEDaPvRmT3_T4_T5_mT6_P12ihipStream_tbENKUlT_T0_E_clISt17integral_constantIbLb0EESW_EEDaSR_SS_EUlSR_E0_NS1_11comp_targetILNS1_3genE9ELNS1_11target_archE1100ELNS1_3gpuE3ELNS1_3repE0EEENS1_30default_config_static_selectorELNS0_4arch9wavefront6targetE1EEEvT1_
	.p2align	8
	.type	_ZN7rocprim17ROCPRIM_400000_NS6detail17trampoline_kernelINS0_14default_configENS1_20scan_config_selectorIdEEZZNS1_9scan_implILNS1_25lookback_scan_determinismE0ELb0ELb0ES3_PKdPddZZZN2at6native31launch_logcumsumexp_cuda_kernelERKNSB_10TensorBaseESF_lENKUlvE_clEvENKUlvE_clEvEUlddE_dEEDaPvRmT3_T4_T5_mT6_P12ihipStream_tbENKUlT_T0_E_clISt17integral_constantIbLb0EESW_EEDaSR_SS_EUlSR_E0_NS1_11comp_targetILNS1_3genE9ELNS1_11target_archE1100ELNS1_3gpuE3ELNS1_3repE0EEENS1_30default_config_static_selectorELNS0_4arch9wavefront6targetE1EEEvT1_,@function
_ZN7rocprim17ROCPRIM_400000_NS6detail17trampoline_kernelINS0_14default_configENS1_20scan_config_selectorIdEEZZNS1_9scan_implILNS1_25lookback_scan_determinismE0ELb0ELb0ES3_PKdPddZZZN2at6native31launch_logcumsumexp_cuda_kernelERKNSB_10TensorBaseESF_lENKUlvE_clEvENKUlvE_clEvEUlddE_dEEDaPvRmT3_T4_T5_mT6_P12ihipStream_tbENKUlT_T0_E_clISt17integral_constantIbLb0EESW_EEDaSR_SS_EUlSR_E0_NS1_11comp_targetILNS1_3genE9ELNS1_11target_archE1100ELNS1_3gpuE3ELNS1_3repE0EEENS1_30default_config_static_selectorELNS0_4arch9wavefront6targetE1EEEvT1_: ; @_ZN7rocprim17ROCPRIM_400000_NS6detail17trampoline_kernelINS0_14default_configENS1_20scan_config_selectorIdEEZZNS1_9scan_implILNS1_25lookback_scan_determinismE0ELb0ELb0ES3_PKdPddZZZN2at6native31launch_logcumsumexp_cuda_kernelERKNSB_10TensorBaseESF_lENKUlvE_clEvENKUlvE_clEvEUlddE_dEEDaPvRmT3_T4_T5_mT6_P12ihipStream_tbENKUlT_T0_E_clISt17integral_constantIbLb0EESW_EEDaSR_SS_EUlSR_E0_NS1_11comp_targetILNS1_3genE9ELNS1_11target_archE1100ELNS1_3gpuE3ELNS1_3repE0EEENS1_30default_config_static_selectorELNS0_4arch9wavefront6targetE1EEEvT1_
; %bb.0:
	.section	.rodata,"a",@progbits
	.p2align	6, 0x0
	.amdhsa_kernel _ZN7rocprim17ROCPRIM_400000_NS6detail17trampoline_kernelINS0_14default_configENS1_20scan_config_selectorIdEEZZNS1_9scan_implILNS1_25lookback_scan_determinismE0ELb0ELb0ES3_PKdPddZZZN2at6native31launch_logcumsumexp_cuda_kernelERKNSB_10TensorBaseESF_lENKUlvE_clEvENKUlvE_clEvEUlddE_dEEDaPvRmT3_T4_T5_mT6_P12ihipStream_tbENKUlT_T0_E_clISt17integral_constantIbLb0EESW_EEDaSR_SS_EUlSR_E0_NS1_11comp_targetILNS1_3genE9ELNS1_11target_archE1100ELNS1_3gpuE3ELNS1_3repE0EEENS1_30default_config_static_selectorELNS0_4arch9wavefront6targetE1EEEvT1_
		.amdhsa_group_segment_fixed_size 0
		.amdhsa_private_segment_fixed_size 0
		.amdhsa_kernarg_size 40
		.amdhsa_user_sgpr_count 2
		.amdhsa_user_sgpr_dispatch_ptr 0
		.amdhsa_user_sgpr_queue_ptr 0
		.amdhsa_user_sgpr_kernarg_segment_ptr 1
		.amdhsa_user_sgpr_dispatch_id 0
		.amdhsa_user_sgpr_kernarg_preload_length 0
		.amdhsa_user_sgpr_kernarg_preload_offset 0
		.amdhsa_user_sgpr_private_segment_size 0
		.amdhsa_uses_dynamic_stack 0
		.amdhsa_enable_private_segment 0
		.amdhsa_system_sgpr_workgroup_id_x 1
		.amdhsa_system_sgpr_workgroup_id_y 0
		.amdhsa_system_sgpr_workgroup_id_z 0
		.amdhsa_system_sgpr_workgroup_info 0
		.amdhsa_system_vgpr_workitem_id 0
		.amdhsa_next_free_vgpr 1
		.amdhsa_next_free_sgpr 0
		.amdhsa_accum_offset 4
		.amdhsa_reserve_vcc 0
		.amdhsa_float_round_mode_32 0
		.amdhsa_float_round_mode_16_64 0
		.amdhsa_float_denorm_mode_32 3
		.amdhsa_float_denorm_mode_16_64 3
		.amdhsa_dx10_clamp 1
		.amdhsa_ieee_mode 1
		.amdhsa_fp16_overflow 0
		.amdhsa_tg_split 0
		.amdhsa_exception_fp_ieee_invalid_op 0
		.amdhsa_exception_fp_denorm_src 0
		.amdhsa_exception_fp_ieee_div_zero 0
		.amdhsa_exception_fp_ieee_overflow 0
		.amdhsa_exception_fp_ieee_underflow 0
		.amdhsa_exception_fp_ieee_inexact 0
		.amdhsa_exception_int_div_zero 0
	.end_amdhsa_kernel
	.section	.text._ZN7rocprim17ROCPRIM_400000_NS6detail17trampoline_kernelINS0_14default_configENS1_20scan_config_selectorIdEEZZNS1_9scan_implILNS1_25lookback_scan_determinismE0ELb0ELb0ES3_PKdPddZZZN2at6native31launch_logcumsumexp_cuda_kernelERKNSB_10TensorBaseESF_lENKUlvE_clEvENKUlvE_clEvEUlddE_dEEDaPvRmT3_T4_T5_mT6_P12ihipStream_tbENKUlT_T0_E_clISt17integral_constantIbLb0EESW_EEDaSR_SS_EUlSR_E0_NS1_11comp_targetILNS1_3genE9ELNS1_11target_archE1100ELNS1_3gpuE3ELNS1_3repE0EEENS1_30default_config_static_selectorELNS0_4arch9wavefront6targetE1EEEvT1_,"axG",@progbits,_ZN7rocprim17ROCPRIM_400000_NS6detail17trampoline_kernelINS0_14default_configENS1_20scan_config_selectorIdEEZZNS1_9scan_implILNS1_25lookback_scan_determinismE0ELb0ELb0ES3_PKdPddZZZN2at6native31launch_logcumsumexp_cuda_kernelERKNSB_10TensorBaseESF_lENKUlvE_clEvENKUlvE_clEvEUlddE_dEEDaPvRmT3_T4_T5_mT6_P12ihipStream_tbENKUlT_T0_E_clISt17integral_constantIbLb0EESW_EEDaSR_SS_EUlSR_E0_NS1_11comp_targetILNS1_3genE9ELNS1_11target_archE1100ELNS1_3gpuE3ELNS1_3repE0EEENS1_30default_config_static_selectorELNS0_4arch9wavefront6targetE1EEEvT1_,comdat
.Lfunc_end26:
	.size	_ZN7rocprim17ROCPRIM_400000_NS6detail17trampoline_kernelINS0_14default_configENS1_20scan_config_selectorIdEEZZNS1_9scan_implILNS1_25lookback_scan_determinismE0ELb0ELb0ES3_PKdPddZZZN2at6native31launch_logcumsumexp_cuda_kernelERKNSB_10TensorBaseESF_lENKUlvE_clEvENKUlvE_clEvEUlddE_dEEDaPvRmT3_T4_T5_mT6_P12ihipStream_tbENKUlT_T0_E_clISt17integral_constantIbLb0EESW_EEDaSR_SS_EUlSR_E0_NS1_11comp_targetILNS1_3genE9ELNS1_11target_archE1100ELNS1_3gpuE3ELNS1_3repE0EEENS1_30default_config_static_selectorELNS0_4arch9wavefront6targetE1EEEvT1_, .Lfunc_end26-_ZN7rocprim17ROCPRIM_400000_NS6detail17trampoline_kernelINS0_14default_configENS1_20scan_config_selectorIdEEZZNS1_9scan_implILNS1_25lookback_scan_determinismE0ELb0ELb0ES3_PKdPddZZZN2at6native31launch_logcumsumexp_cuda_kernelERKNSB_10TensorBaseESF_lENKUlvE_clEvENKUlvE_clEvEUlddE_dEEDaPvRmT3_T4_T5_mT6_P12ihipStream_tbENKUlT_T0_E_clISt17integral_constantIbLb0EESW_EEDaSR_SS_EUlSR_E0_NS1_11comp_targetILNS1_3genE9ELNS1_11target_archE1100ELNS1_3gpuE3ELNS1_3repE0EEENS1_30default_config_static_selectorELNS0_4arch9wavefront6targetE1EEEvT1_
                                        ; -- End function
	.section	.AMDGPU.csdata,"",@progbits
; Kernel info:
; codeLenInByte = 0
; NumSgprs: 6
; NumVgprs: 0
; NumAgprs: 0
; TotalNumVgprs: 0
; ScratchSize: 0
; MemoryBound: 0
; FloatMode: 240
; IeeeMode: 1
; LDSByteSize: 0 bytes/workgroup (compile time only)
; SGPRBlocks: 0
; VGPRBlocks: 0
; NumSGPRsForWavesPerEU: 6
; NumVGPRsForWavesPerEU: 1
; AccumOffset: 4
; Occupancy: 8
; WaveLimiterHint : 0
; COMPUTE_PGM_RSRC2:SCRATCH_EN: 0
; COMPUTE_PGM_RSRC2:USER_SGPR: 2
; COMPUTE_PGM_RSRC2:TRAP_HANDLER: 0
; COMPUTE_PGM_RSRC2:TGID_X_EN: 1
; COMPUTE_PGM_RSRC2:TGID_Y_EN: 0
; COMPUTE_PGM_RSRC2:TGID_Z_EN: 0
; COMPUTE_PGM_RSRC2:TIDIG_COMP_CNT: 0
; COMPUTE_PGM_RSRC3_GFX90A:ACCUM_OFFSET: 0
; COMPUTE_PGM_RSRC3_GFX90A:TG_SPLIT: 0
	.section	.text._ZN7rocprim17ROCPRIM_400000_NS6detail17trampoline_kernelINS0_14default_configENS1_20scan_config_selectorIdEEZZNS1_9scan_implILNS1_25lookback_scan_determinismE0ELb0ELb0ES3_PKdPddZZZN2at6native31launch_logcumsumexp_cuda_kernelERKNSB_10TensorBaseESF_lENKUlvE_clEvENKUlvE_clEvEUlddE_dEEDaPvRmT3_T4_T5_mT6_P12ihipStream_tbENKUlT_T0_E_clISt17integral_constantIbLb0EESW_EEDaSR_SS_EUlSR_E0_NS1_11comp_targetILNS1_3genE8ELNS1_11target_archE1030ELNS1_3gpuE2ELNS1_3repE0EEENS1_30default_config_static_selectorELNS0_4arch9wavefront6targetE1EEEvT1_,"axG",@progbits,_ZN7rocprim17ROCPRIM_400000_NS6detail17trampoline_kernelINS0_14default_configENS1_20scan_config_selectorIdEEZZNS1_9scan_implILNS1_25lookback_scan_determinismE0ELb0ELb0ES3_PKdPddZZZN2at6native31launch_logcumsumexp_cuda_kernelERKNSB_10TensorBaseESF_lENKUlvE_clEvENKUlvE_clEvEUlddE_dEEDaPvRmT3_T4_T5_mT6_P12ihipStream_tbENKUlT_T0_E_clISt17integral_constantIbLb0EESW_EEDaSR_SS_EUlSR_E0_NS1_11comp_targetILNS1_3genE8ELNS1_11target_archE1030ELNS1_3gpuE2ELNS1_3repE0EEENS1_30default_config_static_selectorELNS0_4arch9wavefront6targetE1EEEvT1_,comdat
	.globl	_ZN7rocprim17ROCPRIM_400000_NS6detail17trampoline_kernelINS0_14default_configENS1_20scan_config_selectorIdEEZZNS1_9scan_implILNS1_25lookback_scan_determinismE0ELb0ELb0ES3_PKdPddZZZN2at6native31launch_logcumsumexp_cuda_kernelERKNSB_10TensorBaseESF_lENKUlvE_clEvENKUlvE_clEvEUlddE_dEEDaPvRmT3_T4_T5_mT6_P12ihipStream_tbENKUlT_T0_E_clISt17integral_constantIbLb0EESW_EEDaSR_SS_EUlSR_E0_NS1_11comp_targetILNS1_3genE8ELNS1_11target_archE1030ELNS1_3gpuE2ELNS1_3repE0EEENS1_30default_config_static_selectorELNS0_4arch9wavefront6targetE1EEEvT1_ ; -- Begin function _ZN7rocprim17ROCPRIM_400000_NS6detail17trampoline_kernelINS0_14default_configENS1_20scan_config_selectorIdEEZZNS1_9scan_implILNS1_25lookback_scan_determinismE0ELb0ELb0ES3_PKdPddZZZN2at6native31launch_logcumsumexp_cuda_kernelERKNSB_10TensorBaseESF_lENKUlvE_clEvENKUlvE_clEvEUlddE_dEEDaPvRmT3_T4_T5_mT6_P12ihipStream_tbENKUlT_T0_E_clISt17integral_constantIbLb0EESW_EEDaSR_SS_EUlSR_E0_NS1_11comp_targetILNS1_3genE8ELNS1_11target_archE1030ELNS1_3gpuE2ELNS1_3repE0EEENS1_30default_config_static_selectorELNS0_4arch9wavefront6targetE1EEEvT1_
	.p2align	8
	.type	_ZN7rocprim17ROCPRIM_400000_NS6detail17trampoline_kernelINS0_14default_configENS1_20scan_config_selectorIdEEZZNS1_9scan_implILNS1_25lookback_scan_determinismE0ELb0ELb0ES3_PKdPddZZZN2at6native31launch_logcumsumexp_cuda_kernelERKNSB_10TensorBaseESF_lENKUlvE_clEvENKUlvE_clEvEUlddE_dEEDaPvRmT3_T4_T5_mT6_P12ihipStream_tbENKUlT_T0_E_clISt17integral_constantIbLb0EESW_EEDaSR_SS_EUlSR_E0_NS1_11comp_targetILNS1_3genE8ELNS1_11target_archE1030ELNS1_3gpuE2ELNS1_3repE0EEENS1_30default_config_static_selectorELNS0_4arch9wavefront6targetE1EEEvT1_,@function
_ZN7rocprim17ROCPRIM_400000_NS6detail17trampoline_kernelINS0_14default_configENS1_20scan_config_selectorIdEEZZNS1_9scan_implILNS1_25lookback_scan_determinismE0ELb0ELb0ES3_PKdPddZZZN2at6native31launch_logcumsumexp_cuda_kernelERKNSB_10TensorBaseESF_lENKUlvE_clEvENKUlvE_clEvEUlddE_dEEDaPvRmT3_T4_T5_mT6_P12ihipStream_tbENKUlT_T0_E_clISt17integral_constantIbLb0EESW_EEDaSR_SS_EUlSR_E0_NS1_11comp_targetILNS1_3genE8ELNS1_11target_archE1030ELNS1_3gpuE2ELNS1_3repE0EEENS1_30default_config_static_selectorELNS0_4arch9wavefront6targetE1EEEvT1_: ; @_ZN7rocprim17ROCPRIM_400000_NS6detail17trampoline_kernelINS0_14default_configENS1_20scan_config_selectorIdEEZZNS1_9scan_implILNS1_25lookback_scan_determinismE0ELb0ELb0ES3_PKdPddZZZN2at6native31launch_logcumsumexp_cuda_kernelERKNSB_10TensorBaseESF_lENKUlvE_clEvENKUlvE_clEvEUlddE_dEEDaPvRmT3_T4_T5_mT6_P12ihipStream_tbENKUlT_T0_E_clISt17integral_constantIbLb0EESW_EEDaSR_SS_EUlSR_E0_NS1_11comp_targetILNS1_3genE8ELNS1_11target_archE1030ELNS1_3gpuE2ELNS1_3repE0EEENS1_30default_config_static_selectorELNS0_4arch9wavefront6targetE1EEEvT1_
; %bb.0:
	.section	.rodata,"a",@progbits
	.p2align	6, 0x0
	.amdhsa_kernel _ZN7rocprim17ROCPRIM_400000_NS6detail17trampoline_kernelINS0_14default_configENS1_20scan_config_selectorIdEEZZNS1_9scan_implILNS1_25lookback_scan_determinismE0ELb0ELb0ES3_PKdPddZZZN2at6native31launch_logcumsumexp_cuda_kernelERKNSB_10TensorBaseESF_lENKUlvE_clEvENKUlvE_clEvEUlddE_dEEDaPvRmT3_T4_T5_mT6_P12ihipStream_tbENKUlT_T0_E_clISt17integral_constantIbLb0EESW_EEDaSR_SS_EUlSR_E0_NS1_11comp_targetILNS1_3genE8ELNS1_11target_archE1030ELNS1_3gpuE2ELNS1_3repE0EEENS1_30default_config_static_selectorELNS0_4arch9wavefront6targetE1EEEvT1_
		.amdhsa_group_segment_fixed_size 0
		.amdhsa_private_segment_fixed_size 0
		.amdhsa_kernarg_size 40
		.amdhsa_user_sgpr_count 2
		.amdhsa_user_sgpr_dispatch_ptr 0
		.amdhsa_user_sgpr_queue_ptr 0
		.amdhsa_user_sgpr_kernarg_segment_ptr 1
		.amdhsa_user_sgpr_dispatch_id 0
		.amdhsa_user_sgpr_kernarg_preload_length 0
		.amdhsa_user_sgpr_kernarg_preload_offset 0
		.amdhsa_user_sgpr_private_segment_size 0
		.amdhsa_uses_dynamic_stack 0
		.amdhsa_enable_private_segment 0
		.amdhsa_system_sgpr_workgroup_id_x 1
		.amdhsa_system_sgpr_workgroup_id_y 0
		.amdhsa_system_sgpr_workgroup_id_z 0
		.amdhsa_system_sgpr_workgroup_info 0
		.amdhsa_system_vgpr_workitem_id 0
		.amdhsa_next_free_vgpr 1
		.amdhsa_next_free_sgpr 0
		.amdhsa_accum_offset 4
		.amdhsa_reserve_vcc 0
		.amdhsa_float_round_mode_32 0
		.amdhsa_float_round_mode_16_64 0
		.amdhsa_float_denorm_mode_32 3
		.amdhsa_float_denorm_mode_16_64 3
		.amdhsa_dx10_clamp 1
		.amdhsa_ieee_mode 1
		.amdhsa_fp16_overflow 0
		.amdhsa_tg_split 0
		.amdhsa_exception_fp_ieee_invalid_op 0
		.amdhsa_exception_fp_denorm_src 0
		.amdhsa_exception_fp_ieee_div_zero 0
		.amdhsa_exception_fp_ieee_overflow 0
		.amdhsa_exception_fp_ieee_underflow 0
		.amdhsa_exception_fp_ieee_inexact 0
		.amdhsa_exception_int_div_zero 0
	.end_amdhsa_kernel
	.section	.text._ZN7rocprim17ROCPRIM_400000_NS6detail17trampoline_kernelINS0_14default_configENS1_20scan_config_selectorIdEEZZNS1_9scan_implILNS1_25lookback_scan_determinismE0ELb0ELb0ES3_PKdPddZZZN2at6native31launch_logcumsumexp_cuda_kernelERKNSB_10TensorBaseESF_lENKUlvE_clEvENKUlvE_clEvEUlddE_dEEDaPvRmT3_T4_T5_mT6_P12ihipStream_tbENKUlT_T0_E_clISt17integral_constantIbLb0EESW_EEDaSR_SS_EUlSR_E0_NS1_11comp_targetILNS1_3genE8ELNS1_11target_archE1030ELNS1_3gpuE2ELNS1_3repE0EEENS1_30default_config_static_selectorELNS0_4arch9wavefront6targetE1EEEvT1_,"axG",@progbits,_ZN7rocprim17ROCPRIM_400000_NS6detail17trampoline_kernelINS0_14default_configENS1_20scan_config_selectorIdEEZZNS1_9scan_implILNS1_25lookback_scan_determinismE0ELb0ELb0ES3_PKdPddZZZN2at6native31launch_logcumsumexp_cuda_kernelERKNSB_10TensorBaseESF_lENKUlvE_clEvENKUlvE_clEvEUlddE_dEEDaPvRmT3_T4_T5_mT6_P12ihipStream_tbENKUlT_T0_E_clISt17integral_constantIbLb0EESW_EEDaSR_SS_EUlSR_E0_NS1_11comp_targetILNS1_3genE8ELNS1_11target_archE1030ELNS1_3gpuE2ELNS1_3repE0EEENS1_30default_config_static_selectorELNS0_4arch9wavefront6targetE1EEEvT1_,comdat
.Lfunc_end27:
	.size	_ZN7rocprim17ROCPRIM_400000_NS6detail17trampoline_kernelINS0_14default_configENS1_20scan_config_selectorIdEEZZNS1_9scan_implILNS1_25lookback_scan_determinismE0ELb0ELb0ES3_PKdPddZZZN2at6native31launch_logcumsumexp_cuda_kernelERKNSB_10TensorBaseESF_lENKUlvE_clEvENKUlvE_clEvEUlddE_dEEDaPvRmT3_T4_T5_mT6_P12ihipStream_tbENKUlT_T0_E_clISt17integral_constantIbLb0EESW_EEDaSR_SS_EUlSR_E0_NS1_11comp_targetILNS1_3genE8ELNS1_11target_archE1030ELNS1_3gpuE2ELNS1_3repE0EEENS1_30default_config_static_selectorELNS0_4arch9wavefront6targetE1EEEvT1_, .Lfunc_end27-_ZN7rocprim17ROCPRIM_400000_NS6detail17trampoline_kernelINS0_14default_configENS1_20scan_config_selectorIdEEZZNS1_9scan_implILNS1_25lookback_scan_determinismE0ELb0ELb0ES3_PKdPddZZZN2at6native31launch_logcumsumexp_cuda_kernelERKNSB_10TensorBaseESF_lENKUlvE_clEvENKUlvE_clEvEUlddE_dEEDaPvRmT3_T4_T5_mT6_P12ihipStream_tbENKUlT_T0_E_clISt17integral_constantIbLb0EESW_EEDaSR_SS_EUlSR_E0_NS1_11comp_targetILNS1_3genE8ELNS1_11target_archE1030ELNS1_3gpuE2ELNS1_3repE0EEENS1_30default_config_static_selectorELNS0_4arch9wavefront6targetE1EEEvT1_
                                        ; -- End function
	.section	.AMDGPU.csdata,"",@progbits
; Kernel info:
; codeLenInByte = 0
; NumSgprs: 6
; NumVgprs: 0
; NumAgprs: 0
; TotalNumVgprs: 0
; ScratchSize: 0
; MemoryBound: 0
; FloatMode: 240
; IeeeMode: 1
; LDSByteSize: 0 bytes/workgroup (compile time only)
; SGPRBlocks: 0
; VGPRBlocks: 0
; NumSGPRsForWavesPerEU: 6
; NumVGPRsForWavesPerEU: 1
; AccumOffset: 4
; Occupancy: 8
; WaveLimiterHint : 0
; COMPUTE_PGM_RSRC2:SCRATCH_EN: 0
; COMPUTE_PGM_RSRC2:USER_SGPR: 2
; COMPUTE_PGM_RSRC2:TRAP_HANDLER: 0
; COMPUTE_PGM_RSRC2:TGID_X_EN: 1
; COMPUTE_PGM_RSRC2:TGID_Y_EN: 0
; COMPUTE_PGM_RSRC2:TGID_Z_EN: 0
; COMPUTE_PGM_RSRC2:TIDIG_COMP_CNT: 0
; COMPUTE_PGM_RSRC3_GFX90A:ACCUM_OFFSET: 0
; COMPUTE_PGM_RSRC3_GFX90A:TG_SPLIT: 0
	.section	.text._ZN7rocprim17ROCPRIM_400000_NS6detail31init_lookback_scan_state_kernelINS1_19lookback_scan_stateIdLb1ELb1EEENS1_16block_id_wrapperIjLb1EEEEEvT_jT0_jPNS7_10value_typeE,"axG",@progbits,_ZN7rocprim17ROCPRIM_400000_NS6detail31init_lookback_scan_state_kernelINS1_19lookback_scan_stateIdLb1ELb1EEENS1_16block_id_wrapperIjLb1EEEEEvT_jT0_jPNS7_10value_typeE,comdat
	.protected	_ZN7rocprim17ROCPRIM_400000_NS6detail31init_lookback_scan_state_kernelINS1_19lookback_scan_stateIdLb1ELb1EEENS1_16block_id_wrapperIjLb1EEEEEvT_jT0_jPNS7_10value_typeE ; -- Begin function _ZN7rocprim17ROCPRIM_400000_NS6detail31init_lookback_scan_state_kernelINS1_19lookback_scan_stateIdLb1ELb1EEENS1_16block_id_wrapperIjLb1EEEEEvT_jT0_jPNS7_10value_typeE
	.globl	_ZN7rocprim17ROCPRIM_400000_NS6detail31init_lookback_scan_state_kernelINS1_19lookback_scan_stateIdLb1ELb1EEENS1_16block_id_wrapperIjLb1EEEEEvT_jT0_jPNS7_10value_typeE
	.p2align	8
	.type	_ZN7rocprim17ROCPRIM_400000_NS6detail31init_lookback_scan_state_kernelINS1_19lookback_scan_stateIdLb1ELb1EEENS1_16block_id_wrapperIjLb1EEEEEvT_jT0_jPNS7_10value_typeE,@function
_ZN7rocprim17ROCPRIM_400000_NS6detail31init_lookback_scan_state_kernelINS1_19lookback_scan_stateIdLb1ELb1EEENS1_16block_id_wrapperIjLb1EEEEEvT_jT0_jPNS7_10value_typeE: ; @_ZN7rocprim17ROCPRIM_400000_NS6detail31init_lookback_scan_state_kernelINS1_19lookback_scan_stateIdLb1ELb1EEENS1_16block_id_wrapperIjLb1EEEEEvT_jT0_jPNS7_10value_typeE
; %bb.0:
	s_load_dword s3, s[0:1], 0x34
	s_load_dwordx2 s[6:7], s[0:1], 0x20
	s_load_dwordx2 s[4:5], s[0:1], 0x0
	s_load_dword s14, s[0:1], 0x8
	s_waitcnt lgkmcnt(0)
	s_and_b32 s3, s3, 0xffff
	s_mul_i32 s2, s2, s3
	s_cmp_eq_u64 s[6:7], 0
	v_add_u32_e32 v0, s2, v0
	s_cbranch_scc1 .LBB28_10
; %bb.1:
	s_load_dword s8, s[0:1], 0x18
	s_mov_b32 s9, 0
	s_waitcnt lgkmcnt(0)
	s_cmp_lt_u32 s8, s14
	s_cselect_b32 s2, s8, 0
	v_cmp_eq_u32_e32 vcc, s2, v0
	s_and_saveexec_b64 s[2:3], vcc
	s_cbranch_execz .LBB28_9
; %bb.2:
	s_add_i32 s8, s8, 64
	s_lshl_b64 s[8:9], s[8:9], 4
	s_add_u32 s12, s4, s8
	s_addc_u32 s13, s5, s9
	v_mov_b64_e32 v[2:3], s[12:13]
	;;#ASMSTART
	global_load_dwordx4 v[2:5], v[2:3] off sc1	
s_waitcnt vmcnt(0)
	;;#ASMEND
	v_mov_b32_e32 v7, 0
	v_and_b32_e32 v6, 0xff, v4
	s_mov_b64 s[10:11], 0
	v_cmp_eq_u64_e32 vcc, 0, v[6:7]
	s_and_saveexec_b64 s[8:9], vcc
	s_cbranch_execz .LBB28_8
; %bb.3:
	s_mov_b32 s15, 1
	v_mov_b64_e32 v[8:9], s[12:13]
.LBB28_4:                               ; =>This Loop Header: Depth=1
                                        ;     Child Loop BB28_5 Depth 2
	s_max_u32 s12, s15, 1
.LBB28_5:                               ;   Parent Loop BB28_4 Depth=1
                                        ; =>  This Inner Loop Header: Depth=2
	s_add_i32 s12, s12, -1
	s_cmp_eq_u32 s12, 0
	s_sleep 1
	s_cbranch_scc0 .LBB28_5
; %bb.6:                                ;   in Loop: Header=BB28_4 Depth=1
	s_cmp_lt_u32 s15, 32
	s_cselect_b64 s[12:13], -1, 0
	s_cmp_lg_u64 s[12:13], 0
	;;#ASMSTART
	global_load_dwordx4 v[2:5], v[8:9] off sc1	
s_waitcnt vmcnt(0)
	;;#ASMEND
	s_addc_u32 s15, s15, 0
	v_and_b32_e32 v6, 0xff, v4
	v_cmp_ne_u64_e32 vcc, 0, v[6:7]
	s_or_b64 s[10:11], vcc, s[10:11]
	s_andn2_b64 exec, exec, s[10:11]
	s_cbranch_execnz .LBB28_4
; %bb.7:
	s_or_b64 exec, exec, s[10:11]
.LBB28_8:
	s_or_b64 exec, exec, s[8:9]
	v_mov_b32_e32 v1, 0
	global_store_dwordx2 v1, v[2:3], s[6:7]
.LBB28_9:
	s_or_b64 exec, exec, s[2:3]
.LBB28_10:
	v_cmp_eq_u32_e32 vcc, 0, v0
	s_and_saveexec_b64 s[2:3], vcc
	s_cbranch_execnz .LBB28_14
; %bb.11:
	s_or_b64 exec, exec, s[2:3]
	v_cmp_gt_u32_e32 vcc, s14, v0
	s_and_saveexec_b64 s[0:1], vcc
	s_cbranch_execnz .LBB28_15
.LBB28_12:
	s_or_b64 exec, exec, s[0:1]
	v_cmp_gt_u32_e32 vcc, 64, v0
	s_and_saveexec_b64 s[0:1], vcc
	s_cbranch_execnz .LBB28_16
.LBB28_13:
	s_endpgm
.LBB28_14:
	s_load_dwordx2 s[0:1], s[0:1], 0x10
	v_mov_b32_e32 v1, 0
	s_waitcnt lgkmcnt(0)
	global_store_dword v1, v1, s[0:1]
	s_or_b64 exec, exec, s[2:3]
	v_cmp_gt_u32_e32 vcc, s14, v0
	s_and_saveexec_b64 s[0:1], vcc
	s_cbranch_execz .LBB28_12
.LBB28_15:
	v_add_u32_e32 v2, 64, v0
	v_mov_b32_e32 v3, 0
	v_lshl_add_u64 v[6:7], v[2:3], 4, s[4:5]
	v_mov_b32_e32 v2, v3
	v_mov_b32_e32 v4, v3
	v_mov_b32_e32 v5, v3
	global_store_dwordx4 v[6:7], v[2:5], off
	s_or_b64 exec, exec, s[0:1]
	v_cmp_gt_u32_e32 vcc, 64, v0
	s_and_saveexec_b64 s[0:1], vcc
	s_cbranch_execz .LBB28_13
.LBB28_16:
	v_mov_b32_e32 v1, 0
	v_lshl_add_u64 v[4:5], v[0:1], 4, s[4:5]
	v_mov_b32_e32 v2, 0xff
	v_mov_b32_e32 v0, v1
	;; [unrolled: 1-line block ×3, first 2 shown]
	global_store_dwordx4 v[4:5], v[0:3], off
	s_endpgm
	.section	.rodata,"a",@progbits
	.p2align	6, 0x0
	.amdhsa_kernel _ZN7rocprim17ROCPRIM_400000_NS6detail31init_lookback_scan_state_kernelINS1_19lookback_scan_stateIdLb1ELb1EEENS1_16block_id_wrapperIjLb1EEEEEvT_jT0_jPNS7_10value_typeE
		.amdhsa_group_segment_fixed_size 0
		.amdhsa_private_segment_fixed_size 0
		.amdhsa_kernarg_size 296
		.amdhsa_user_sgpr_count 2
		.amdhsa_user_sgpr_dispatch_ptr 0
		.amdhsa_user_sgpr_queue_ptr 0
		.amdhsa_user_sgpr_kernarg_segment_ptr 1
		.amdhsa_user_sgpr_dispatch_id 0
		.amdhsa_user_sgpr_kernarg_preload_length 0
		.amdhsa_user_sgpr_kernarg_preload_offset 0
		.amdhsa_user_sgpr_private_segment_size 0
		.amdhsa_uses_dynamic_stack 0
		.amdhsa_enable_private_segment 0
		.amdhsa_system_sgpr_workgroup_id_x 1
		.amdhsa_system_sgpr_workgroup_id_y 0
		.amdhsa_system_sgpr_workgroup_id_z 0
		.amdhsa_system_sgpr_workgroup_info 0
		.amdhsa_system_vgpr_workitem_id 0
		.amdhsa_next_free_vgpr 10
		.amdhsa_next_free_sgpr 16
		.amdhsa_accum_offset 12
		.amdhsa_reserve_vcc 1
		.amdhsa_float_round_mode_32 0
		.amdhsa_float_round_mode_16_64 0
		.amdhsa_float_denorm_mode_32 3
		.amdhsa_float_denorm_mode_16_64 3
		.amdhsa_dx10_clamp 1
		.amdhsa_ieee_mode 1
		.amdhsa_fp16_overflow 0
		.amdhsa_tg_split 0
		.amdhsa_exception_fp_ieee_invalid_op 0
		.amdhsa_exception_fp_denorm_src 0
		.amdhsa_exception_fp_ieee_div_zero 0
		.amdhsa_exception_fp_ieee_overflow 0
		.amdhsa_exception_fp_ieee_underflow 0
		.amdhsa_exception_fp_ieee_inexact 0
		.amdhsa_exception_int_div_zero 0
	.end_amdhsa_kernel
	.section	.text._ZN7rocprim17ROCPRIM_400000_NS6detail31init_lookback_scan_state_kernelINS1_19lookback_scan_stateIdLb1ELb1EEENS1_16block_id_wrapperIjLb1EEEEEvT_jT0_jPNS7_10value_typeE,"axG",@progbits,_ZN7rocprim17ROCPRIM_400000_NS6detail31init_lookback_scan_state_kernelINS1_19lookback_scan_stateIdLb1ELb1EEENS1_16block_id_wrapperIjLb1EEEEEvT_jT0_jPNS7_10value_typeE,comdat
.Lfunc_end28:
	.size	_ZN7rocprim17ROCPRIM_400000_NS6detail31init_lookback_scan_state_kernelINS1_19lookback_scan_stateIdLb1ELb1EEENS1_16block_id_wrapperIjLb1EEEEEvT_jT0_jPNS7_10value_typeE, .Lfunc_end28-_ZN7rocprim17ROCPRIM_400000_NS6detail31init_lookback_scan_state_kernelINS1_19lookback_scan_stateIdLb1ELb1EEENS1_16block_id_wrapperIjLb1EEEEEvT_jT0_jPNS7_10value_typeE
                                        ; -- End function
	.section	.AMDGPU.csdata,"",@progbits
; Kernel info:
; codeLenInByte = 448
; NumSgprs: 22
; NumVgprs: 10
; NumAgprs: 0
; TotalNumVgprs: 10
; ScratchSize: 0
; MemoryBound: 0
; FloatMode: 240
; IeeeMode: 1
; LDSByteSize: 0 bytes/workgroup (compile time only)
; SGPRBlocks: 2
; VGPRBlocks: 1
; NumSGPRsForWavesPerEU: 22
; NumVGPRsForWavesPerEU: 10
; AccumOffset: 12
; Occupancy: 8
; WaveLimiterHint : 0
; COMPUTE_PGM_RSRC2:SCRATCH_EN: 0
; COMPUTE_PGM_RSRC2:USER_SGPR: 2
; COMPUTE_PGM_RSRC2:TRAP_HANDLER: 0
; COMPUTE_PGM_RSRC2:TGID_X_EN: 1
; COMPUTE_PGM_RSRC2:TGID_Y_EN: 0
; COMPUTE_PGM_RSRC2:TGID_Z_EN: 0
; COMPUTE_PGM_RSRC2:TIDIG_COMP_CNT: 0
; COMPUTE_PGM_RSRC3_GFX90A:ACCUM_OFFSET: 2
; COMPUTE_PGM_RSRC3_GFX90A:TG_SPLIT: 0
	.section	.text._ZN7rocprim17ROCPRIM_400000_NS6detail17trampoline_kernelINS0_14default_configENS1_20scan_config_selectorIdEEZZNS1_9scan_implILNS1_25lookback_scan_determinismE0ELb0ELb0ES3_PKdPddZZZN2at6native31launch_logcumsumexp_cuda_kernelERKNSB_10TensorBaseESF_lENKUlvE_clEvENKUlvE_clEvEUlddE_dEEDaPvRmT3_T4_T5_mT6_P12ihipStream_tbENKUlT_T0_E_clISt17integral_constantIbLb1EESW_EEDaSR_SS_EUlSR_E_NS1_11comp_targetILNS1_3genE0ELNS1_11target_archE4294967295ELNS1_3gpuE0ELNS1_3repE0EEENS1_30default_config_static_selectorELNS0_4arch9wavefront6targetE1EEEvT1_,"axG",@progbits,_ZN7rocprim17ROCPRIM_400000_NS6detail17trampoline_kernelINS0_14default_configENS1_20scan_config_selectorIdEEZZNS1_9scan_implILNS1_25lookback_scan_determinismE0ELb0ELb0ES3_PKdPddZZZN2at6native31launch_logcumsumexp_cuda_kernelERKNSB_10TensorBaseESF_lENKUlvE_clEvENKUlvE_clEvEUlddE_dEEDaPvRmT3_T4_T5_mT6_P12ihipStream_tbENKUlT_T0_E_clISt17integral_constantIbLb1EESW_EEDaSR_SS_EUlSR_E_NS1_11comp_targetILNS1_3genE0ELNS1_11target_archE4294967295ELNS1_3gpuE0ELNS1_3repE0EEENS1_30default_config_static_selectorELNS0_4arch9wavefront6targetE1EEEvT1_,comdat
	.globl	_ZN7rocprim17ROCPRIM_400000_NS6detail17trampoline_kernelINS0_14default_configENS1_20scan_config_selectorIdEEZZNS1_9scan_implILNS1_25lookback_scan_determinismE0ELb0ELb0ES3_PKdPddZZZN2at6native31launch_logcumsumexp_cuda_kernelERKNSB_10TensorBaseESF_lENKUlvE_clEvENKUlvE_clEvEUlddE_dEEDaPvRmT3_T4_T5_mT6_P12ihipStream_tbENKUlT_T0_E_clISt17integral_constantIbLb1EESW_EEDaSR_SS_EUlSR_E_NS1_11comp_targetILNS1_3genE0ELNS1_11target_archE4294967295ELNS1_3gpuE0ELNS1_3repE0EEENS1_30default_config_static_selectorELNS0_4arch9wavefront6targetE1EEEvT1_ ; -- Begin function _ZN7rocprim17ROCPRIM_400000_NS6detail17trampoline_kernelINS0_14default_configENS1_20scan_config_selectorIdEEZZNS1_9scan_implILNS1_25lookback_scan_determinismE0ELb0ELb0ES3_PKdPddZZZN2at6native31launch_logcumsumexp_cuda_kernelERKNSB_10TensorBaseESF_lENKUlvE_clEvENKUlvE_clEvEUlddE_dEEDaPvRmT3_T4_T5_mT6_P12ihipStream_tbENKUlT_T0_E_clISt17integral_constantIbLb1EESW_EEDaSR_SS_EUlSR_E_NS1_11comp_targetILNS1_3genE0ELNS1_11target_archE4294967295ELNS1_3gpuE0ELNS1_3repE0EEENS1_30default_config_static_selectorELNS0_4arch9wavefront6targetE1EEEvT1_
	.p2align	8
	.type	_ZN7rocprim17ROCPRIM_400000_NS6detail17trampoline_kernelINS0_14default_configENS1_20scan_config_selectorIdEEZZNS1_9scan_implILNS1_25lookback_scan_determinismE0ELb0ELb0ES3_PKdPddZZZN2at6native31launch_logcumsumexp_cuda_kernelERKNSB_10TensorBaseESF_lENKUlvE_clEvENKUlvE_clEvEUlddE_dEEDaPvRmT3_T4_T5_mT6_P12ihipStream_tbENKUlT_T0_E_clISt17integral_constantIbLb1EESW_EEDaSR_SS_EUlSR_E_NS1_11comp_targetILNS1_3genE0ELNS1_11target_archE4294967295ELNS1_3gpuE0ELNS1_3repE0EEENS1_30default_config_static_selectorELNS0_4arch9wavefront6targetE1EEEvT1_,@function
_ZN7rocprim17ROCPRIM_400000_NS6detail17trampoline_kernelINS0_14default_configENS1_20scan_config_selectorIdEEZZNS1_9scan_implILNS1_25lookback_scan_determinismE0ELb0ELb0ES3_PKdPddZZZN2at6native31launch_logcumsumexp_cuda_kernelERKNSB_10TensorBaseESF_lENKUlvE_clEvENKUlvE_clEvEUlddE_dEEDaPvRmT3_T4_T5_mT6_P12ihipStream_tbENKUlT_T0_E_clISt17integral_constantIbLb1EESW_EEDaSR_SS_EUlSR_E_NS1_11comp_targetILNS1_3genE0ELNS1_11target_archE4294967295ELNS1_3gpuE0ELNS1_3repE0EEENS1_30default_config_static_selectorELNS0_4arch9wavefront6targetE1EEEvT1_: ; @_ZN7rocprim17ROCPRIM_400000_NS6detail17trampoline_kernelINS0_14default_configENS1_20scan_config_selectorIdEEZZNS1_9scan_implILNS1_25lookback_scan_determinismE0ELb0ELb0ES3_PKdPddZZZN2at6native31launch_logcumsumexp_cuda_kernelERKNSB_10TensorBaseESF_lENKUlvE_clEvENKUlvE_clEvEUlddE_dEEDaPvRmT3_T4_T5_mT6_P12ihipStream_tbENKUlT_T0_E_clISt17integral_constantIbLb1EESW_EEDaSR_SS_EUlSR_E_NS1_11comp_targetILNS1_3genE0ELNS1_11target_archE4294967295ELNS1_3gpuE0ELNS1_3repE0EEENS1_30default_config_static_selectorELNS0_4arch9wavefront6targetE1EEEvT1_
; %bb.0:
	.section	.rodata,"a",@progbits
	.p2align	6, 0x0
	.amdhsa_kernel _ZN7rocprim17ROCPRIM_400000_NS6detail17trampoline_kernelINS0_14default_configENS1_20scan_config_selectorIdEEZZNS1_9scan_implILNS1_25lookback_scan_determinismE0ELb0ELb0ES3_PKdPddZZZN2at6native31launch_logcumsumexp_cuda_kernelERKNSB_10TensorBaseESF_lENKUlvE_clEvENKUlvE_clEvEUlddE_dEEDaPvRmT3_T4_T5_mT6_P12ihipStream_tbENKUlT_T0_E_clISt17integral_constantIbLb1EESW_EEDaSR_SS_EUlSR_E_NS1_11comp_targetILNS1_3genE0ELNS1_11target_archE4294967295ELNS1_3gpuE0ELNS1_3repE0EEENS1_30default_config_static_selectorELNS0_4arch9wavefront6targetE1EEEvT1_
		.amdhsa_group_segment_fixed_size 0
		.amdhsa_private_segment_fixed_size 0
		.amdhsa_kernarg_size 104
		.amdhsa_user_sgpr_count 2
		.amdhsa_user_sgpr_dispatch_ptr 0
		.amdhsa_user_sgpr_queue_ptr 0
		.amdhsa_user_sgpr_kernarg_segment_ptr 1
		.amdhsa_user_sgpr_dispatch_id 0
		.amdhsa_user_sgpr_kernarg_preload_length 0
		.amdhsa_user_sgpr_kernarg_preload_offset 0
		.amdhsa_user_sgpr_private_segment_size 0
		.amdhsa_uses_dynamic_stack 0
		.amdhsa_enable_private_segment 0
		.amdhsa_system_sgpr_workgroup_id_x 1
		.amdhsa_system_sgpr_workgroup_id_y 0
		.amdhsa_system_sgpr_workgroup_id_z 0
		.amdhsa_system_sgpr_workgroup_info 0
		.amdhsa_system_vgpr_workitem_id 0
		.amdhsa_next_free_vgpr 1
		.amdhsa_next_free_sgpr 0
		.amdhsa_accum_offset 4
		.amdhsa_reserve_vcc 0
		.amdhsa_float_round_mode_32 0
		.amdhsa_float_round_mode_16_64 0
		.amdhsa_float_denorm_mode_32 3
		.amdhsa_float_denorm_mode_16_64 3
		.amdhsa_dx10_clamp 1
		.amdhsa_ieee_mode 1
		.amdhsa_fp16_overflow 0
		.amdhsa_tg_split 0
		.amdhsa_exception_fp_ieee_invalid_op 0
		.amdhsa_exception_fp_denorm_src 0
		.amdhsa_exception_fp_ieee_div_zero 0
		.amdhsa_exception_fp_ieee_overflow 0
		.amdhsa_exception_fp_ieee_underflow 0
		.amdhsa_exception_fp_ieee_inexact 0
		.amdhsa_exception_int_div_zero 0
	.end_amdhsa_kernel
	.section	.text._ZN7rocprim17ROCPRIM_400000_NS6detail17trampoline_kernelINS0_14default_configENS1_20scan_config_selectorIdEEZZNS1_9scan_implILNS1_25lookback_scan_determinismE0ELb0ELb0ES3_PKdPddZZZN2at6native31launch_logcumsumexp_cuda_kernelERKNSB_10TensorBaseESF_lENKUlvE_clEvENKUlvE_clEvEUlddE_dEEDaPvRmT3_T4_T5_mT6_P12ihipStream_tbENKUlT_T0_E_clISt17integral_constantIbLb1EESW_EEDaSR_SS_EUlSR_E_NS1_11comp_targetILNS1_3genE0ELNS1_11target_archE4294967295ELNS1_3gpuE0ELNS1_3repE0EEENS1_30default_config_static_selectorELNS0_4arch9wavefront6targetE1EEEvT1_,"axG",@progbits,_ZN7rocprim17ROCPRIM_400000_NS6detail17trampoline_kernelINS0_14default_configENS1_20scan_config_selectorIdEEZZNS1_9scan_implILNS1_25lookback_scan_determinismE0ELb0ELb0ES3_PKdPddZZZN2at6native31launch_logcumsumexp_cuda_kernelERKNSB_10TensorBaseESF_lENKUlvE_clEvENKUlvE_clEvEUlddE_dEEDaPvRmT3_T4_T5_mT6_P12ihipStream_tbENKUlT_T0_E_clISt17integral_constantIbLb1EESW_EEDaSR_SS_EUlSR_E_NS1_11comp_targetILNS1_3genE0ELNS1_11target_archE4294967295ELNS1_3gpuE0ELNS1_3repE0EEENS1_30default_config_static_selectorELNS0_4arch9wavefront6targetE1EEEvT1_,comdat
.Lfunc_end29:
	.size	_ZN7rocprim17ROCPRIM_400000_NS6detail17trampoline_kernelINS0_14default_configENS1_20scan_config_selectorIdEEZZNS1_9scan_implILNS1_25lookback_scan_determinismE0ELb0ELb0ES3_PKdPddZZZN2at6native31launch_logcumsumexp_cuda_kernelERKNSB_10TensorBaseESF_lENKUlvE_clEvENKUlvE_clEvEUlddE_dEEDaPvRmT3_T4_T5_mT6_P12ihipStream_tbENKUlT_T0_E_clISt17integral_constantIbLb1EESW_EEDaSR_SS_EUlSR_E_NS1_11comp_targetILNS1_3genE0ELNS1_11target_archE4294967295ELNS1_3gpuE0ELNS1_3repE0EEENS1_30default_config_static_selectorELNS0_4arch9wavefront6targetE1EEEvT1_, .Lfunc_end29-_ZN7rocprim17ROCPRIM_400000_NS6detail17trampoline_kernelINS0_14default_configENS1_20scan_config_selectorIdEEZZNS1_9scan_implILNS1_25lookback_scan_determinismE0ELb0ELb0ES3_PKdPddZZZN2at6native31launch_logcumsumexp_cuda_kernelERKNSB_10TensorBaseESF_lENKUlvE_clEvENKUlvE_clEvEUlddE_dEEDaPvRmT3_T4_T5_mT6_P12ihipStream_tbENKUlT_T0_E_clISt17integral_constantIbLb1EESW_EEDaSR_SS_EUlSR_E_NS1_11comp_targetILNS1_3genE0ELNS1_11target_archE4294967295ELNS1_3gpuE0ELNS1_3repE0EEENS1_30default_config_static_selectorELNS0_4arch9wavefront6targetE1EEEvT1_
                                        ; -- End function
	.section	.AMDGPU.csdata,"",@progbits
; Kernel info:
; codeLenInByte = 0
; NumSgprs: 6
; NumVgprs: 0
; NumAgprs: 0
; TotalNumVgprs: 0
; ScratchSize: 0
; MemoryBound: 0
; FloatMode: 240
; IeeeMode: 1
; LDSByteSize: 0 bytes/workgroup (compile time only)
; SGPRBlocks: 0
; VGPRBlocks: 0
; NumSGPRsForWavesPerEU: 6
; NumVGPRsForWavesPerEU: 1
; AccumOffset: 4
; Occupancy: 8
; WaveLimiterHint : 0
; COMPUTE_PGM_RSRC2:SCRATCH_EN: 0
; COMPUTE_PGM_RSRC2:USER_SGPR: 2
; COMPUTE_PGM_RSRC2:TRAP_HANDLER: 0
; COMPUTE_PGM_RSRC2:TGID_X_EN: 1
; COMPUTE_PGM_RSRC2:TGID_Y_EN: 0
; COMPUTE_PGM_RSRC2:TGID_Z_EN: 0
; COMPUTE_PGM_RSRC2:TIDIG_COMP_CNT: 0
; COMPUTE_PGM_RSRC3_GFX90A:ACCUM_OFFSET: 0
; COMPUTE_PGM_RSRC3_GFX90A:TG_SPLIT: 0
	.text
	.p2align	2                               ; -- Begin function _ZZZN7rocprim17ROCPRIM_400000_NS6detail9scan_implILNS1_25lookback_scan_determinismE0ELb0ELb0ENS0_14default_configEPKdPddZZZN2at6native31launch_logcumsumexp_cuda_kernelERKNS8_10TensorBaseESC_lENKUlvE_clEvENKUlvE_clEvEUlddE_dEEDaPvRmT3_T4_T5_mT6_P12ihipStream_tbENKUlT_T0_E_clISt17integral_constantIbLb1EEST_EEDaSO_SP_ENKUlSO_E_clINS1_13target_configIS4_NS1_20scan_config_selectorIdEENS1_11comp_targetILNS1_3genE5ELNS1_11target_archE942ELNS1_3gpuE9ELNS1_3repE0EEELNS0_4arch9wavefront6targetE1EEEEEDaSO_
	.type	_ZZZN7rocprim17ROCPRIM_400000_NS6detail9scan_implILNS1_25lookback_scan_determinismE0ELb0ELb0ENS0_14default_configEPKdPddZZZN2at6native31launch_logcumsumexp_cuda_kernelERKNS8_10TensorBaseESC_lENKUlvE_clEvENKUlvE_clEvEUlddE_dEEDaPvRmT3_T4_T5_mT6_P12ihipStream_tbENKUlT_T0_E_clISt17integral_constantIbLb1EEST_EEDaSO_SP_ENKUlSO_E_clINS1_13target_configIS4_NS1_20scan_config_selectorIdEENS1_11comp_targetILNS1_3genE5ELNS1_11target_archE942ELNS1_3gpuE9ELNS1_3repE0EEELNS0_4arch9wavefront6targetE1EEEEEDaSO_,@function
_ZZZN7rocprim17ROCPRIM_400000_NS6detail9scan_implILNS1_25lookback_scan_determinismE0ELb0ELb0ENS0_14default_configEPKdPddZZZN2at6native31launch_logcumsumexp_cuda_kernelERKNS8_10TensorBaseESC_lENKUlvE_clEvENKUlvE_clEvEUlddE_dEEDaPvRmT3_T4_T5_mT6_P12ihipStream_tbENKUlT_T0_E_clISt17integral_constantIbLb1EEST_EEDaSO_SP_ENKUlSO_E_clINS1_13target_configIS4_NS1_20scan_config_selectorIdEENS1_11comp_targetILNS1_3genE5ELNS1_11target_archE942ELNS1_3gpuE9ELNS1_3repE0EEELNS0_4arch9wavefront6targetE1EEEEEDaSO_: ; @_ZZZN7rocprim17ROCPRIM_400000_NS6detail9scan_implILNS1_25lookback_scan_determinismE0ELb0ELb0ENS0_14default_configEPKdPddZZZN2at6native31launch_logcumsumexp_cuda_kernelERKNS8_10TensorBaseESC_lENKUlvE_clEvENKUlvE_clEvEUlddE_dEEDaPvRmT3_T4_T5_mT6_P12ihipStream_tbENKUlT_T0_E_clISt17integral_constantIbLb1EEST_EEDaSO_SP_ENKUlSO_E_clINS1_13target_configIS4_NS1_20scan_config_selectorIdEENS1_11comp_targetILNS1_3genE5ELNS1_11target_archE942ELNS1_3gpuE9ELNS1_3repE0EEELNS0_4arch9wavefront6targetE1EEEEEDaSO_
; %bb.0:
	s_waitcnt vmcnt(0) expcnt(0) lgkmcnt(0)
	s_or_saveexec_b64 s[0:1], -1
	scratch_store_dword off, v77, s32       ; 4-byte Folded Spill
	s_mov_b64 exec, s[0:1]
	v_writelane_b32 v77, s30, 0
	s_nop 1
	v_writelane_b32 v77, s31, 1
	flat_load_dwordx4 v[52:55], v[0:1]
	flat_load_dwordx4 v[64:67], v[0:1] offset:16
	flat_load_dwordx3 v[116:118], v[0:1] offset:48
	flat_load_dwordx4 v[36:39], v[0:1] offset:64
	flat_load_dwordx4 v[48:51], v[0:1] offset:80
	v_and_b32_e32 v70, 0x3ff, v31
	v_cmp_ne_u32_e64 s[2:3], 0, v70
	v_cmp_eq_u32_e64 s[4:5], 0, v70
	s_and_saveexec_b64 s[0:1], s[4:5]
	s_cbranch_execz .LBB30_2
; %bb.1:
	flat_load_dwordx2 v[0:1], v[0:1] offset:96
	v_mov_b32_e32 v2, 1
	s_waitcnt vmcnt(0) lgkmcnt(0)
	flat_atomic_add v0, v[0:1], v2 sc0
	v_mov_b32_e32 v1, 0
	s_waitcnt vmcnt(0) lgkmcnt(0)
	ds_write_b32 v1, v0
.LBB30_2:
	s_or_b64 exec, exec, s[0:1]
	v_mov_b32_e32 v129, 0
	s_waitcnt lgkmcnt(0)
	s_barrier
	ds_read_b32 v71, v129
	s_movk_i32 s0, 0xf00
	s_waitcnt vmcnt(0)
	v_add_u32_e32 v2, -1, v118
	v_mul_lo_u32 v3, v2, s0
	v_lshl_add_u64 v[0:1], v[54:55], 3, v[52:53]
	s_waitcnt lgkmcnt(0)
	v_mul_lo_u32 v128, v71, s0
	v_sub_co_u32_e32 v118, vcc, v66, v3
	v_cmp_ne_u32_e64 s[0:1], v71, v2
	s_nop 0
	v_subbrev_co_u32_e32 v119, vcc, 0, v67, vcc
	v_lshl_add_u64 v[0:1], v[128:129], 3, v[0:1]
	v_lshlrev_b32_e32 v52, 3, v70
	s_barrier
	s_and_saveexec_b64 s[6:7], s[0:1]
	s_xor_b64 s[6:7], exec, s[6:7]
	s_cbranch_execz .LBB30_4
; %bb.3:
	v_mov_b32_e32 v53, v129
	v_lshl_add_u64 v[0:1], v[0:1], 0, v[52:53]
	v_add_co_u32_e32 v2, vcc, 0x1000, v0
	s_nop 1
	v_addc_co_u32_e32 v3, vcc, 0, v1, vcc
	flat_load_dwordx2 v[4:5], v[0:1]
	flat_load_dwordx2 v[6:7], v[0:1] offset:2048
	flat_load_dwordx2 v[8:9], v[2:3]
	flat_load_dwordx2 v[10:11], v[2:3] offset:2048
	v_add_co_u32_e32 v2, vcc, 0x2000, v0
	s_nop 1
	v_addc_co_u32_e32 v3, vcc, 0, v1, vcc
	v_add_co_u32_e32 v12, vcc, 0x3000, v0
	s_nop 1
	v_addc_co_u32_e32 v13, vcc, 0, v1, vcc
	flat_load_dwordx2 v[14:15], v[2:3]
	flat_load_dwordx2 v[16:17], v[2:3] offset:2048
	flat_load_dwordx2 v[18:19], v[12:13]
	flat_load_dwordx2 v[20:21], v[12:13] offset:2048
	v_add_co_u32_e32 v2, vcc, 0x4000, v0
	s_nop 1
	v_addc_co_u32_e32 v3, vcc, 0, v1, vcc
	;; [unrolled: 10-line block ×3, first 2 shown]
	v_add_co_u32_e32 v0, vcc, 0x7000, v0
	s_nop 1
	v_addc_co_u32_e32 v1, vcc, 0, v1, vcc
	flat_load_dwordx2 v[12:13], v[2:3]
	flat_load_dwordx2 v[30:31], v[2:3] offset:2048
	flat_load_dwordx2 v[32:33], v[0:1]
                                        ; implicit-def: $vgpr0_vgpr1
	s_waitcnt vmcnt(0) lgkmcnt(0)
	ds_write2st64_b64 v52, v[4:5], v[6:7] offset1:4
	ds_write2st64_b64 v52, v[8:9], v[10:11] offset0:8 offset1:12
	ds_write2st64_b64 v52, v[14:15], v[16:17] offset0:16 offset1:20
	;; [unrolled: 1-line block ×6, first 2 shown]
	ds_write_b64 v52, v[32:33] offset:28672
	s_waitcnt lgkmcnt(0)
	s_barrier
.LBB30_4:
	s_andn2_saveexec_b64 s[6:7], s[6:7]
	s_cbranch_execz .LBB30_36
; %bb.5:
	flat_load_dwordx2 v[2:3], v[0:1]
	v_cmp_lt_u32_e32 vcc, v70, v118
	s_waitcnt vmcnt(0) lgkmcnt(0)
	v_mov_b32_e32 v4, v2
	v_mov_b32_e32 v5, v3
	v_mov_b32_e32 v6, v2
	v_mov_b32_e32 v7, v3
	v_mov_b32_e32 v8, v2
	v_mov_b32_e32 v9, v3
	v_mov_b32_e32 v10, v2
	v_mov_b32_e32 v11, v3
	v_mov_b32_e32 v12, v2
	v_mov_b32_e32 v13, v3
	v_mov_b32_e32 v14, v2
	v_mov_b32_e32 v15, v3
	v_mov_b32_e32 v16, v2
	v_mov_b32_e32 v17, v3
	v_mov_b32_e32 v18, v2
	v_mov_b32_e32 v19, v3
	v_mov_b32_e32 v20, v2
	v_mov_b32_e32 v21, v3
	v_mov_b32_e32 v22, v2
	v_mov_b32_e32 v23, v3
	v_mov_b32_e32 v24, v2
	v_mov_b32_e32 v25, v3
	v_mov_b32_e32 v26, v2
	v_mov_b32_e32 v27, v3
	v_mov_b32_e32 v28, v2
	v_mov_b32_e32 v29, v3
	v_mov_b64_e32 v[34:35], v[30:31]
	v_mov_b64_e32 v[32:33], v[28:29]
	;; [unrolled: 1-line block ×16, first 2 shown]
	s_and_saveexec_b64 s[8:9], vcc
	s_cbranch_execz .LBB30_7
; %bb.6:
	v_mov_b32_e32 v53, 0
	v_lshl_add_u64 v[4:5], v[0:1], 0, v[52:53]
	flat_load_dwordx2 v[66:67], v[4:5]
	v_mov_b32_e32 v4, v2
	v_mov_b32_e32 v5, v3
	v_mov_b32_e32 v6, v2
	v_mov_b32_e32 v7, v3
	v_mov_b32_e32 v8, v2
	v_mov_b32_e32 v9, v3
	v_mov_b32_e32 v10, v2
	v_mov_b32_e32 v11, v3
	v_mov_b32_e32 v12, v2
	v_mov_b32_e32 v13, v3
	v_mov_b32_e32 v14, v2
	v_mov_b32_e32 v15, v3
	v_mov_b32_e32 v16, v2
	v_mov_b32_e32 v17, v3
	v_mov_b32_e32 v18, v2
	v_mov_b32_e32 v19, v3
	v_mov_b32_e32 v20, v2
	v_mov_b32_e32 v21, v3
	v_mov_b32_e32 v22, v2
	v_mov_b32_e32 v23, v3
	v_mov_b32_e32 v24, v2
	v_mov_b32_e32 v25, v3
	v_mov_b32_e32 v26, v2
	v_mov_b32_e32 v27, v3
	v_mov_b32_e32 v28, v2
	v_mov_b32_e32 v29, v3
	v_mov_b64_e32 v[34:35], v[30:31]
	v_mov_b64_e32 v[32:33], v[28:29]
	;; [unrolled: 1-line block ×16, first 2 shown]
	s_waitcnt vmcnt(0) lgkmcnt(0)
	v_mov_b64_e32 v[2:3], v[66:67]
.LBB30_7:
	s_or_b64 exec, exec, s[8:9]
	v_add_u32_e32 v4, 0x100, v70
	v_cmp_lt_u32_e32 vcc, v4, v118
	s_and_saveexec_b64 s[8:9], vcc
	s_cbranch_execz .LBB30_9
; %bb.8:
	v_mov_b32_e32 v53, 0
	v_lshl_add_u64 v[4:5], v[0:1], 0, v[52:53]
	flat_load_dwordx2 v[6:7], v[4:5] offset:2048
.LBB30_9:
	s_or_b64 exec, exec, s[8:9]
	v_add_u32_e32 v4, 0x200, v70
	v_cmp_lt_u32_e32 vcc, v4, v118
	s_and_saveexec_b64 s[8:9], vcc
	s_cbranch_execz .LBB30_11
; %bb.10:
	v_lshlrev_b32_e32 v4, 3, v4
	v_mov_b32_e32 v5, 0
	v_lshl_add_u64 v[4:5], v[0:1], 0, v[4:5]
	flat_load_dwordx2 v[8:9], v[4:5]
.LBB30_11:
	s_or_b64 exec, exec, s[8:9]
	v_add_u32_e32 v4, 0x300, v70
	v_cmp_lt_u32_e32 vcc, v4, v118
	s_and_saveexec_b64 s[8:9], vcc
	s_cbranch_execz .LBB30_13
; %bb.12:
	v_lshlrev_b32_e32 v4, 3, v4
	v_mov_b32_e32 v5, 0
	v_lshl_add_u64 v[4:5], v[0:1], 0, v[4:5]
	flat_load_dwordx2 v[10:11], v[4:5]
.LBB30_13:
	s_or_b64 exec, exec, s[8:9]
	v_or_b32_e32 v4, 0x400, v70
	v_cmp_lt_u32_e32 vcc, v4, v118
	s_and_saveexec_b64 s[8:9], vcc
	s_cbranch_execz .LBB30_15
; %bb.14:
	v_lshlrev_b32_e32 v4, 3, v4
	v_mov_b32_e32 v5, 0
	v_lshl_add_u64 v[4:5], v[0:1], 0, v[4:5]
	flat_load_dwordx2 v[12:13], v[4:5]
.LBB30_15:
	s_or_b64 exec, exec, s[8:9]
	v_add_u32_e32 v4, 0x500, v70
	v_cmp_lt_u32_e32 vcc, v4, v118
	s_and_saveexec_b64 s[8:9], vcc
	s_cbranch_execz .LBB30_17
; %bb.16:
	v_lshlrev_b32_e32 v4, 3, v4
	v_mov_b32_e32 v5, 0
	v_lshl_add_u64 v[4:5], v[0:1], 0, v[4:5]
	flat_load_dwordx2 v[14:15], v[4:5]
.LBB30_17:
	s_or_b64 exec, exec, s[8:9]
	v_add_u32_e32 v4, 0x600, v70
	v_cmp_lt_u32_e32 vcc, v4, v118
	s_and_saveexec_b64 s[8:9], vcc
	s_cbranch_execz .LBB30_19
; %bb.18:
	v_lshlrev_b32_e32 v4, 3, v4
	v_mov_b32_e32 v5, 0
	v_lshl_add_u64 v[4:5], v[0:1], 0, v[4:5]
	flat_load_dwordx2 v[16:17], v[4:5]
.LBB30_19:
	s_or_b64 exec, exec, s[8:9]
	v_add_u32_e32 v4, 0x700, v70
	v_cmp_lt_u32_e32 vcc, v4, v118
	s_and_saveexec_b64 s[8:9], vcc
	s_cbranch_execz .LBB30_21
; %bb.20:
	v_lshlrev_b32_e32 v4, 3, v4
	v_mov_b32_e32 v5, 0
	v_lshl_add_u64 v[4:5], v[0:1], 0, v[4:5]
	flat_load_dwordx2 v[18:19], v[4:5]
.LBB30_21:
	s_or_b64 exec, exec, s[8:9]
	v_or_b32_e32 v4, 0x800, v70
	v_cmp_lt_u32_e32 vcc, v4, v118
	s_and_saveexec_b64 s[8:9], vcc
	s_cbranch_execz .LBB30_23
; %bb.22:
	v_lshlrev_b32_e32 v4, 3, v4
	v_mov_b32_e32 v5, 0
	v_lshl_add_u64 v[4:5], v[0:1], 0, v[4:5]
	flat_load_dwordx2 v[20:21], v[4:5]
.LBB30_23:
	s_or_b64 exec, exec, s[8:9]
	v_add_u32_e32 v4, 0x900, v70
	v_cmp_lt_u32_e32 vcc, v4, v118
	s_and_saveexec_b64 s[8:9], vcc
	s_cbranch_execz .LBB30_25
; %bb.24:
	v_lshlrev_b32_e32 v4, 3, v4
	v_mov_b32_e32 v5, 0
	v_lshl_add_u64 v[4:5], v[0:1], 0, v[4:5]
	flat_load_dwordx2 v[22:23], v[4:5]
.LBB30_25:
	;; [unrolled: 44-line block ×3, first 2 shown]
	s_or_b64 exec, exec, s[8:9]
	v_add_u32_e32 v4, 0xe00, v70
	v_cmp_lt_u32_e32 vcc, v4, v118
	s_and_saveexec_b64 s[8:9], vcc
	s_cbranch_execz .LBB30_35
; %bb.34:
	v_lshlrev_b32_e32 v4, 3, v4
	v_mov_b32_e32 v5, 0
	v_lshl_add_u64 v[0:1], v[0:1], 0, v[4:5]
	flat_load_dwordx2 v[32:33], v[0:1]
.LBB30_35:
	s_or_b64 exec, exec, s[8:9]
	s_waitcnt vmcnt(0) lgkmcnt(0)
	ds_write2st64_b64 v52, v[2:3], v[6:7] offset1:4
	ds_write2st64_b64 v52, v[8:9], v[10:11] offset0:8 offset1:12
	ds_write2st64_b64 v52, v[12:13], v[14:15] offset0:16 offset1:20
	;; [unrolled: 1-line block ×6, first 2 shown]
	ds_write_b64 v52, v[32:33] offset:28672
	s_waitcnt lgkmcnt(0)
	s_barrier
.LBB30_36:
	s_or_b64 exec, exec, s[6:7]
	v_mul_u32_u24_e32 v40, 15, v70
	v_lshlrev_b32_e32 v4, 3, v40
	v_cmp_ne_u32_e32 vcc, 0, v71
	ds_read2_b64 v[0:3], v4 offset1:1
	ds_read2_b64 v[112:115], v4 offset0:2 offset1:3
	ds_read2_b64 v[100:103], v4 offset0:4 offset1:5
	;; [unrolled: 1-line block ×6, first 2 shown]
	ds_read_b64 v[130:131], v4 offset:112
	s_and_b64 vcc, exec, vcc
	s_waitcnt lgkmcnt(7)
	v_cmp_u_f64_e64 s[6:7], v[2:3], v[2:3]
	v_max_f64 v[132:133], v[2:3], v[2:3]
	s_waitcnt lgkmcnt(0)
	s_barrier
	s_cbranch_vccz .LBB30_138
; %bb.37:
	v_max_f64 v[134:135], v[0:1], v[0:1]
	v_min_f64 v[4:5], v[134:135], v[132:133]
	v_cmp_u_f64_e64 s[36:37], v[0:1], v[0:1]
	s_movk_i32 s16, 0x1f8
	v_mov_b64_e32 v[144:145], v[0:1]
	v_cndmask_b32_e64 v4, v4, v0, s[36:37]
	v_cndmask_b32_e64 v5, v5, v1, s[36:37]
	;; [unrolled: 1-line block ×4, first 2 shown]
	v_max_f64 v[4:5], v[134:135], v[132:133]
	v_cndmask_b32_e64 v4, v4, v0, s[36:37]
	v_cndmask_b32_e64 v5, v5, v1, s[36:37]
	;; [unrolled: 1-line block ×4, first 2 shown]
	v_cmp_neq_f64_e32 vcc, v[6:7], v[4:5]
	v_cmp_class_f64_e64 s[8:9], v[6:7], s16
	s_or_b64 s[8:9], vcc, s[8:9]
	s_and_saveexec_b64 s[10:11], s[8:9]
	s_cbranch_execz .LBB30_39
; %bb.38:
	s_mov_b32 s8, 0x652b82fe
	v_add_f64 v[6:7], v[6:7], -v[4:5]
	s_mov_b32 s9, 0x3ff71547
	v_mul_f64 v[8:9], v[6:7], s[8:9]
	v_rndne_f64_e32 v[8:9], v[8:9]
	s_mov_b32 s13, 0xbfe62e42
	s_mov_b32 s12, 0xfefa39ef
	v_fma_f64 v[10:11], s[12:13], v[8:9], v[6:7]
	s_mov_b32 s15, 0xbc7abc9e
	s_mov_b32 s14, 0x3b39803f
	;; [unrolled: 1-line block ×3, first 2 shown]
	v_fmac_f64_e32 v[10:11], s[14:15], v[8:9]
	v_mov_b32_e32 v12, 0xfca7ab0c
	v_mov_b32_e32 v13, 0x3e928af3
	s_mov_b32 s9, 0x3e5ade15
	v_fmac_f64_e32 v[12:13], s[8:9], v[10:11]
	v_mov_b32_e32 v14, 0x623fde64
	v_mov_b32_e32 v15, 0x3ec71dee
	v_fmac_f64_e32 v[14:15], v[10:11], v[12:13]
	v_mov_b32_e32 v12, 0x7c89e6b0
	v_mov_b32_e32 v13, 0x3efa0199
	;; [unrolled: 3-line block ×8, first 2 shown]
	s_mov_b32 s8, 0
	v_fmac_f64_e32 v[12:13], v[10:11], v[14:15]
	s_mov_b32 s9, 0x40900000
	v_fma_f64 v[12:13], v[10:11], v[12:13], 1.0
	v_cmp_nlt_f64_e32 vcc, s[8:9], v[6:7]
	s_mov_b32 s8, 0
	v_fma_f64 v[10:11], v[10:11], v[12:13], 1.0
	v_cvt_i32_f64_e32 v8, v[8:9]
	s_mov_b32 s9, 0xc090cc00
	v_ldexp_f64 v[8:9], v[10:11], v8
	v_mov_b32_e32 v10, 0x7ff00000
	v_cmp_ngt_f64_e64 s[8:9], s[8:9], v[6:7]
	v_cndmask_b32_e32 v9, v10, v9, vcc
	s_and_b64 vcc, s[8:9], vcc
	v_cndmask_b32_e64 v7, 0, v9, s[8:9]
	v_cndmask_b32_e32 v6, 0, v8, vcc
	v_add_f64 v[8:9], v[6:7], 1.0
	v_add_f64 v[10:11], v[8:9], -1.0
	v_add_f64 v[12:13], v[10:11], -v[8:9]
	v_add_f64 v[12:13], v[12:13], 1.0
	v_add_f64 v[10:11], v[6:7], -v[10:11]
	s_mov_b32 s8, 0x55555555
	v_add_f64 v[10:11], v[10:11], v[12:13]
	v_frexp_mant_f64_e32 v[12:13], v[8:9]
	s_mov_b32 s9, 0x3fe55555
	v_frexp_exp_i32_f64_e32 v14, v[8:9]
	v_cmp_gt_f64_e32 vcc, s[8:9], v[12:13]
	s_mov_b32 s8, 0xbf559e2b
	s_mov_b32 s9, 0x3fc3ab76
	v_subbrev_co_u32_e32 v28, vcc, 0, v14, vcc
	v_sub_u32_e32 v12, 0, v28
	v_ldexp_f64 v[8:9], v[8:9], v12
	v_ldexp_f64 v[10:11], v[10:11], v12
	v_add_f64 v[12:13], v[8:9], -1.0
	v_add_f64 v[18:19], v[8:9], 1.0
	v_add_f64 v[14:15], v[12:13], 1.0
	v_add_f64 v[20:21], v[18:19], -1.0
	v_add_f64 v[14:15], v[8:9], -v[14:15]
	v_add_f64 v[8:9], v[8:9], -v[20:21]
	v_add_f64 v[8:9], v[10:11], v[8:9]
	v_add_f64 v[14:15], v[10:11], v[14:15]
	;; [unrolled: 1-line block ×3, first 2 shown]
	v_rcp_f64_e32 v[20:21], v[10:11]
	v_add_f64 v[16:17], v[12:13], v[14:15]
	v_add_f64 v[12:13], v[16:17], -v[12:13]
	v_add_f64 v[12:13], v[14:15], -v[12:13]
	;; [unrolled: 1-line block ×4, first 2 shown]
	v_fma_f64 v[14:15], -v[10:11], v[20:21], 1.0
	v_fmac_f64_e32 v[20:21], v[14:15], v[20:21]
	v_fma_f64 v[14:15], -v[10:11], v[20:21], 1.0
	v_fmac_f64_e32 v[20:21], v[14:15], v[20:21]
	v_mul_f64 v[14:15], v[16:17], v[20:21]
	v_mul_f64 v[18:19], v[10:11], v[14:15]
	v_fma_f64 v[22:23], v[14:15], v[10:11], -v[18:19]
	v_fmac_f64_e32 v[22:23], v[14:15], v[8:9]
	v_add_f64 v[24:25], v[18:19], v[22:23]
	v_add_f64 v[26:27], v[16:17], -v[24:25]
	v_add_f64 v[16:17], v[16:17], -v[26:27]
	;; [unrolled: 1-line block ×4, first 2 shown]
	v_add_f64 v[12:13], v[12:13], v[16:17]
	v_add_f64 v[16:17], v[18:19], -v[22:23]
	v_add_f64 v[12:13], v[16:17], v[12:13]
	v_add_f64 v[16:17], v[26:27], v[12:13]
	v_add_f64 v[18:19], v[26:27], -v[16:17]
	v_add_f64 v[12:13], v[12:13], v[18:19]
	v_mul_f64 v[18:19], v[20:21], v[16:17]
	v_mul_f64 v[22:23], v[10:11], v[18:19]
	v_fma_f64 v[10:11], v[18:19], v[10:11], -v[22:23]
	v_fmac_f64_e32 v[10:11], v[18:19], v[8:9]
	v_add_f64 v[8:9], v[22:23], v[10:11]
	v_add_f64 v[24:25], v[16:17], -v[8:9]
	v_add_f64 v[16:17], v[16:17], -v[24:25]
	;; [unrolled: 1-line block ×4, first 2 shown]
	v_add_f64 v[8:9], v[12:13], v[8:9]
	v_add_f64 v[10:11], v[22:23], -v[10:11]
	v_add_f64 v[8:9], v[10:11], v[8:9]
	v_add_f64 v[10:11], v[14:15], v[18:19]
	;; [unrolled: 1-line block ×3, first 2 shown]
	v_add_f64 v[12:13], v[10:11], -v[14:15]
	v_mul_f64 v[8:9], v[20:21], v[8:9]
	v_add_f64 v[12:13], v[18:19], -v[12:13]
	v_add_f64 v[8:9], v[12:13], v[8:9]
	v_add_f64 v[12:13], v[10:11], v[8:9]
	v_add_f64 v[10:11], v[12:13], -v[10:11]
	v_add_f64 v[8:9], v[8:9], -v[10:11]
	v_mul_f64 v[10:11], v[12:13], v[12:13]
	v_mov_b32_e32 v14, 0x6b47b09a
	v_mov_b32_e32 v15, 0x3fc38538
	v_fmac_f64_e32 v[14:15], s[8:9], v[10:11]
	v_mov_b32_e32 v16, 0xd7f4df2e
	v_mov_b32_e32 v17, 0x3fc7474d
	v_fmac_f64_e32 v[16:17], v[10:11], v[14:15]
	;; [unrolled: 3-line block ×6, first 2 shown]
	v_cvt_f64_i32_e32 v[14:15], v28
	s_mov_b32 s13, 0x3fe62e42
	v_mul_f64 v[18:19], v[14:15], s[12:13]
	v_fma_f64 v[20:21], v[14:15], s[12:13], -v[18:19]
	s_mov_b32 s15, 0x3c7abc9e
	v_fmac_f64_e32 v[20:21], s[14:15], v[14:15]
	v_add_f64 v[14:15], v[18:19], v[20:21]
	v_add_f64 v[18:19], v[14:15], -v[18:19]
	v_mul_f64 v[10:11], v[12:13], v[10:11]
	v_add_f64 v[18:19], v[20:21], -v[18:19]
	v_ldexp_f64 v[20:21], v[12:13], 1
	v_mul_f64 v[10:11], v[10:11], v[16:17]
	v_add_f64 v[12:13], v[20:21], v[10:11]
	v_add_f64 v[16:17], v[12:13], -v[20:21]
	v_ldexp_f64 v[8:9], v[8:9], 1
	v_add_f64 v[10:11], v[10:11], -v[16:17]
	v_add_f64 v[8:9], v[8:9], v[10:11]
	v_add_f64 v[10:11], v[12:13], v[8:9]
	v_add_f64 v[12:13], v[10:11], -v[12:13]
	v_add_f64 v[8:9], v[8:9], -v[12:13]
	v_add_f64 v[12:13], v[14:15], v[10:11]
	v_add_f64 v[16:17], v[12:13], -v[14:15]
	v_add_f64 v[20:21], v[12:13], -v[16:17]
	;; [unrolled: 1-line block ×4, first 2 shown]
	v_add_f64 v[10:11], v[10:11], v[14:15]
	v_add_f64 v[14:15], v[18:19], v[8:9]
	v_add_f64 v[16:17], v[14:15], -v[18:19]
	v_add_f64 v[10:11], v[14:15], v[10:11]
	v_add_f64 v[20:21], v[14:15], -v[16:17]
	;; [unrolled: 2-line block ×3, first 2 shown]
	v_add_f64 v[8:9], v[8:9], -v[16:17]
	v_add_f64 v[12:13], v[14:15], -v[12:13]
	v_add_f64 v[8:9], v[8:9], v[18:19]
	v_add_f64 v[10:11], v[10:11], -v[12:13]
	s_mov_b32 s8, 0
	v_add_f64 v[8:9], v[8:9], v[10:11]
	s_mov_b32 s9, 0x7ff00000
	v_add_f64 v[8:9], v[14:15], v[8:9]
	v_cmp_eq_f64_e32 vcc, s[8:9], v[6:7]
	v_mov_b32_e32 v10, 0x7ff80000
	s_nop 0
	v_cndmask_b32_e32 v8, v8, v6, vcc
	v_cndmask_b32_e32 v9, v9, v7, vcc
	v_cmp_ngt_f64_e32 vcc, -1.0, v[6:7]
	s_nop 1
	v_cndmask_b32_e32 v9, v10, v9, vcc
	v_cmp_nge_f64_e32 vcc, -1.0, v[6:7]
	v_mov_b32_e32 v10, 0xfff00000
	s_nop 0
	v_cndmask_b32_e32 v8, 0, v8, vcc
	v_cmp_neq_f64_e32 vcc, -1.0, v[6:7]
	s_nop 1
	v_cndmask_b32_e32 v9, v10, v9, vcc
	v_add_f64 v[144:145], v[4:5], v[8:9]
.LBB30_39:
	s_or_b64 exec, exec, s[10:11]
	v_max_f64 v[10:11], v[112:113], v[112:113]
	v_max_f64 v[4:5], v[144:145], v[144:145]
	v_min_f64 v[6:7], v[4:5], v[10:11]
	v_cmp_u_f64_e32 vcc, v[144:145], v[144:145]
	v_max_f64 v[4:5], v[4:5], v[10:11]
	v_cmp_u_f64_e64 s[8:9], v[112:113], v[112:113]
	v_cndmask_b32_e32 v6, v6, v144, vcc
	v_cndmask_b32_e32 v7, v7, v145, vcc
	;; [unrolled: 1-line block ×4, first 2 shown]
	v_cndmask_b32_e64 v7, v7, v113, s[8:9]
	v_cndmask_b32_e64 v6, v6, v112, s[8:9]
	;; [unrolled: 1-line block ×4, first 2 shown]
	v_cmp_neq_f64_e32 vcc, v[6:7], v[4:5]
	v_cmp_class_f64_e64 s[10:11], v[6:7], s16
	s_or_b64 s[10:11], vcc, s[10:11]
	s_and_saveexec_b64 s[12:13], s[10:11]
	s_cbranch_execz .LBB30_41
; %bb.40:
	s_mov_b32 s10, 0x652b82fe
	v_add_f64 v[6:7], v[6:7], -v[4:5]
	s_mov_b32 s11, 0x3ff71547
	v_mul_f64 v[8:9], v[6:7], s[10:11]
	v_rndne_f64_e32 v[8:9], v[8:9]
	s_mov_b32 s15, 0xbfe62e42
	s_mov_b32 s14, 0xfefa39ef
	v_fma_f64 v[12:13], s[14:15], v[8:9], v[6:7]
	s_mov_b32 s17, 0xbc7abc9e
	s_mov_b32 s16, 0x3b39803f
	;; [unrolled: 1-line block ×3, first 2 shown]
	v_fmac_f64_e32 v[12:13], s[16:17], v[8:9]
	v_mov_b32_e32 v14, 0xfca7ab0c
	v_mov_b32_e32 v15, 0x3e928af3
	s_mov_b32 s11, 0x3e5ade15
	v_fmac_f64_e32 v[14:15], s[10:11], v[12:13]
	v_mov_b32_e32 v16, 0x623fde64
	v_mov_b32_e32 v17, 0x3ec71dee
	v_fmac_f64_e32 v[16:17], v[12:13], v[14:15]
	v_mov_b32_e32 v14, 0x7c89e6b0
	v_mov_b32_e32 v15, 0x3efa0199
	;; [unrolled: 3-line block ×8, first 2 shown]
	s_mov_b32 s10, 0
	v_fmac_f64_e32 v[14:15], v[12:13], v[16:17]
	s_mov_b32 s11, 0x40900000
	v_fma_f64 v[14:15], v[12:13], v[14:15], 1.0
	v_cmp_nlt_f64_e32 vcc, s[10:11], v[6:7]
	s_mov_b32 s10, 0
	v_fma_f64 v[12:13], v[12:13], v[14:15], 1.0
	v_cvt_i32_f64_e32 v8, v[8:9]
	s_mov_b32 s11, 0xc090cc00
	v_ldexp_f64 v[8:9], v[12:13], v8
	v_mov_b32_e32 v12, 0x7ff00000
	v_cmp_ngt_f64_e64 s[10:11], s[10:11], v[6:7]
	v_cndmask_b32_e32 v9, v12, v9, vcc
	s_and_b64 vcc, s[10:11], vcc
	v_cndmask_b32_e64 v7, 0, v9, s[10:11]
	v_cndmask_b32_e32 v6, 0, v8, vcc
	v_add_f64 v[8:9], v[6:7], 1.0
	v_add_f64 v[12:13], v[8:9], -1.0
	v_add_f64 v[14:15], v[12:13], -v[8:9]
	v_add_f64 v[14:15], v[14:15], 1.0
	v_add_f64 v[12:13], v[6:7], -v[12:13]
	s_mov_b32 s10, 0x55555555
	v_add_f64 v[12:13], v[12:13], v[14:15]
	v_frexp_mant_f64_e32 v[14:15], v[8:9]
	s_mov_b32 s11, 0x3fe55555
	v_frexp_exp_i32_f64_e32 v16, v[8:9]
	v_cmp_gt_f64_e32 vcc, s[10:11], v[14:15]
	s_mov_b32 s10, 0xbf559e2b
	s_mov_b32 s11, 0x3fc3ab76
	v_subbrev_co_u32_e32 v30, vcc, 0, v16, vcc
	v_sub_u32_e32 v14, 0, v30
	v_ldexp_f64 v[8:9], v[8:9], v14
	v_ldexp_f64 v[12:13], v[12:13], v14
	v_add_f64 v[14:15], v[8:9], -1.0
	v_add_f64 v[20:21], v[8:9], 1.0
	v_add_f64 v[16:17], v[14:15], 1.0
	v_add_f64 v[22:23], v[20:21], -1.0
	v_add_f64 v[16:17], v[8:9], -v[16:17]
	v_add_f64 v[8:9], v[8:9], -v[22:23]
	v_add_f64 v[8:9], v[12:13], v[8:9]
	v_add_f64 v[16:17], v[12:13], v[16:17]
	;; [unrolled: 1-line block ×3, first 2 shown]
	v_rcp_f64_e32 v[22:23], v[12:13]
	v_add_f64 v[18:19], v[14:15], v[16:17]
	v_add_f64 v[14:15], v[18:19], -v[14:15]
	v_add_f64 v[14:15], v[16:17], -v[14:15]
	;; [unrolled: 1-line block ×4, first 2 shown]
	v_fma_f64 v[16:17], -v[12:13], v[22:23], 1.0
	v_fmac_f64_e32 v[22:23], v[16:17], v[22:23]
	v_fma_f64 v[16:17], -v[12:13], v[22:23], 1.0
	v_fmac_f64_e32 v[22:23], v[16:17], v[22:23]
	v_mul_f64 v[16:17], v[18:19], v[22:23]
	v_mul_f64 v[20:21], v[12:13], v[16:17]
	v_fma_f64 v[24:25], v[16:17], v[12:13], -v[20:21]
	v_fmac_f64_e32 v[24:25], v[16:17], v[8:9]
	v_add_f64 v[26:27], v[20:21], v[24:25]
	v_add_f64 v[28:29], v[18:19], -v[26:27]
	v_add_f64 v[18:19], v[18:19], -v[28:29]
	;; [unrolled: 1-line block ×4, first 2 shown]
	v_add_f64 v[14:15], v[14:15], v[18:19]
	v_add_f64 v[18:19], v[20:21], -v[24:25]
	v_add_f64 v[14:15], v[18:19], v[14:15]
	v_add_f64 v[18:19], v[28:29], v[14:15]
	v_add_f64 v[20:21], v[28:29], -v[18:19]
	v_add_f64 v[14:15], v[14:15], v[20:21]
	v_mul_f64 v[20:21], v[22:23], v[18:19]
	v_mul_f64 v[24:25], v[12:13], v[20:21]
	v_fma_f64 v[12:13], v[20:21], v[12:13], -v[24:25]
	v_fmac_f64_e32 v[12:13], v[20:21], v[8:9]
	v_add_f64 v[8:9], v[24:25], v[12:13]
	v_add_f64 v[26:27], v[18:19], -v[8:9]
	v_add_f64 v[18:19], v[18:19], -v[26:27]
	;; [unrolled: 1-line block ×4, first 2 shown]
	v_add_f64 v[8:9], v[14:15], v[8:9]
	v_add_f64 v[12:13], v[24:25], -v[12:13]
	v_add_f64 v[8:9], v[12:13], v[8:9]
	v_add_f64 v[12:13], v[16:17], v[20:21]
	;; [unrolled: 1-line block ×3, first 2 shown]
	v_add_f64 v[14:15], v[12:13], -v[16:17]
	v_mul_f64 v[8:9], v[22:23], v[8:9]
	v_add_f64 v[14:15], v[20:21], -v[14:15]
	v_add_f64 v[8:9], v[14:15], v[8:9]
	v_add_f64 v[14:15], v[12:13], v[8:9]
	v_add_f64 v[12:13], v[14:15], -v[12:13]
	v_add_f64 v[8:9], v[8:9], -v[12:13]
	v_mul_f64 v[12:13], v[14:15], v[14:15]
	v_mov_b32_e32 v16, 0x6b47b09a
	v_mov_b32_e32 v17, 0x3fc38538
	v_fmac_f64_e32 v[16:17], s[10:11], v[12:13]
	v_mov_b32_e32 v18, 0xd7f4df2e
	v_mov_b32_e32 v19, 0x3fc7474d
	v_fmac_f64_e32 v[18:19], v[12:13], v[16:17]
	;; [unrolled: 3-line block ×6, first 2 shown]
	v_cvt_f64_i32_e32 v[16:17], v30
	s_mov_b32 s15, 0x3fe62e42
	v_mul_f64 v[20:21], v[16:17], s[14:15]
	v_fma_f64 v[22:23], v[16:17], s[14:15], -v[20:21]
	s_mov_b32 s17, 0x3c7abc9e
	v_fmac_f64_e32 v[22:23], s[16:17], v[16:17]
	v_add_f64 v[16:17], v[20:21], v[22:23]
	v_add_f64 v[20:21], v[16:17], -v[20:21]
	v_mul_f64 v[12:13], v[14:15], v[12:13]
	v_add_f64 v[20:21], v[22:23], -v[20:21]
	v_ldexp_f64 v[22:23], v[14:15], 1
	v_mul_f64 v[12:13], v[12:13], v[18:19]
	v_add_f64 v[14:15], v[22:23], v[12:13]
	v_add_f64 v[18:19], v[14:15], -v[22:23]
	v_ldexp_f64 v[8:9], v[8:9], 1
	v_add_f64 v[12:13], v[12:13], -v[18:19]
	v_add_f64 v[8:9], v[8:9], v[12:13]
	v_add_f64 v[12:13], v[14:15], v[8:9]
	v_add_f64 v[14:15], v[12:13], -v[14:15]
	v_add_f64 v[8:9], v[8:9], -v[14:15]
	v_add_f64 v[14:15], v[16:17], v[12:13]
	v_add_f64 v[18:19], v[14:15], -v[16:17]
	v_add_f64 v[22:23], v[14:15], -v[18:19]
	;; [unrolled: 1-line block ×4, first 2 shown]
	v_add_f64 v[12:13], v[12:13], v[16:17]
	v_add_f64 v[16:17], v[20:21], v[8:9]
	v_add_f64 v[18:19], v[16:17], -v[20:21]
	v_add_f64 v[12:13], v[16:17], v[12:13]
	v_add_f64 v[22:23], v[16:17], -v[18:19]
	;; [unrolled: 2-line block ×3, first 2 shown]
	v_add_f64 v[8:9], v[8:9], -v[18:19]
	v_add_f64 v[14:15], v[16:17], -v[14:15]
	v_add_f64 v[8:9], v[8:9], v[20:21]
	v_add_f64 v[12:13], v[12:13], -v[14:15]
	s_mov_b32 s10, 0
	v_add_f64 v[8:9], v[8:9], v[12:13]
	s_mov_b32 s11, 0x7ff00000
	v_add_f64 v[8:9], v[16:17], v[8:9]
	v_cmp_eq_f64_e32 vcc, s[10:11], v[6:7]
	v_mov_b32_e32 v12, 0x7ff80000
	s_nop 0
	v_cndmask_b32_e32 v8, v8, v6, vcc
	v_cndmask_b32_e32 v9, v9, v7, vcc
	v_cmp_ngt_f64_e32 vcc, -1.0, v[6:7]
	s_nop 1
	v_cndmask_b32_e32 v9, v12, v9, vcc
	v_cmp_nge_f64_e32 vcc, -1.0, v[6:7]
	v_mov_b32_e32 v12, 0xfff00000
	s_nop 0
	v_cndmask_b32_e32 v8, 0, v8, vcc
	v_cmp_neq_f64_e32 vcc, -1.0, v[6:7]
	s_nop 1
	v_cndmask_b32_e32 v9, v12, v9, vcc
	v_add_f64 v[144:145], v[4:5], v[8:9]
.LBB30_41:
	s_or_b64 exec, exec, s[12:13]
	v_max_f64 v[12:13], v[114:115], v[114:115]
	v_max_f64 v[4:5], v[144:145], v[144:145]
	v_min_f64 v[6:7], v[4:5], v[12:13]
	v_cmp_u_f64_e32 vcc, v[144:145], v[144:145]
	v_max_f64 v[4:5], v[4:5], v[12:13]
	v_cmp_u_f64_e64 s[10:11], v[114:115], v[114:115]
	v_cndmask_b32_e32 v6, v6, v144, vcc
	v_cndmask_b32_e32 v7, v7, v145, vcc
	;; [unrolled: 1-line block ×4, first 2 shown]
	v_cndmask_b32_e64 v7, v7, v115, s[10:11]
	v_cndmask_b32_e64 v6, v6, v114, s[10:11]
	;; [unrolled: 1-line block ×4, first 2 shown]
	s_movk_i32 s20, 0x1f8
	v_cmp_neq_f64_e32 vcc, v[6:7], v[4:5]
	v_cmp_class_f64_e64 s[12:13], v[6:7], s20
	s_or_b64 s[12:13], vcc, s[12:13]
	s_and_saveexec_b64 s[14:15], s[12:13]
	s_cbranch_execz .LBB30_43
; %bb.42:
	s_mov_b32 s12, 0x652b82fe
	v_add_f64 v[6:7], v[6:7], -v[4:5]
	s_mov_b32 s13, 0x3ff71547
	v_mul_f64 v[8:9], v[6:7], s[12:13]
	v_rndne_f64_e32 v[8:9], v[8:9]
	s_mov_b32 s17, 0xbfe62e42
	s_mov_b32 s16, 0xfefa39ef
	v_fma_f64 v[14:15], s[16:17], v[8:9], v[6:7]
	s_mov_b32 s19, 0xbc7abc9e
	s_mov_b32 s18, 0x3b39803f
	;; [unrolled: 1-line block ×3, first 2 shown]
	v_fmac_f64_e32 v[14:15], s[18:19], v[8:9]
	v_mov_b32_e32 v16, 0xfca7ab0c
	v_mov_b32_e32 v17, 0x3e928af3
	s_mov_b32 s13, 0x3e5ade15
	v_fmac_f64_e32 v[16:17], s[12:13], v[14:15]
	v_mov_b32_e32 v18, 0x623fde64
	v_mov_b32_e32 v19, 0x3ec71dee
	v_fmac_f64_e32 v[18:19], v[14:15], v[16:17]
	v_mov_b32_e32 v16, 0x7c89e6b0
	v_mov_b32_e32 v17, 0x3efa0199
	;; [unrolled: 3-line block ×8, first 2 shown]
	s_mov_b32 s12, 0
	v_fmac_f64_e32 v[16:17], v[14:15], v[18:19]
	s_mov_b32 s13, 0x40900000
	v_fma_f64 v[16:17], v[14:15], v[16:17], 1.0
	v_cmp_nlt_f64_e32 vcc, s[12:13], v[6:7]
	s_mov_b32 s12, 0
	v_fma_f64 v[14:15], v[14:15], v[16:17], 1.0
	v_cvt_i32_f64_e32 v8, v[8:9]
	s_mov_b32 s13, 0xc090cc00
	v_ldexp_f64 v[8:9], v[14:15], v8
	v_mov_b32_e32 v14, 0x7ff00000
	v_cmp_ngt_f64_e64 s[12:13], s[12:13], v[6:7]
	v_cndmask_b32_e32 v9, v14, v9, vcc
	s_and_b64 vcc, s[12:13], vcc
	v_cndmask_b32_e64 v7, 0, v9, s[12:13]
	v_cndmask_b32_e32 v6, 0, v8, vcc
	v_add_f64 v[8:9], v[6:7], 1.0
	v_add_f64 v[14:15], v[8:9], -1.0
	v_add_f64 v[16:17], v[14:15], -v[8:9]
	v_add_f64 v[16:17], v[16:17], 1.0
	v_add_f64 v[14:15], v[6:7], -v[14:15]
	s_mov_b32 s12, 0x55555555
	v_add_f64 v[14:15], v[14:15], v[16:17]
	v_frexp_mant_f64_e32 v[16:17], v[8:9]
	s_mov_b32 s13, 0x3fe55555
	v_frexp_exp_i32_f64_e32 v18, v[8:9]
	v_cmp_gt_f64_e32 vcc, s[12:13], v[16:17]
	s_mov_b32 s12, 0xbf559e2b
	s_mov_b32 s13, 0x3fc3ab76
	v_subbrev_co_u32_e32 v32, vcc, 0, v18, vcc
	v_sub_u32_e32 v16, 0, v32
	v_ldexp_f64 v[8:9], v[8:9], v16
	v_ldexp_f64 v[14:15], v[14:15], v16
	v_add_f64 v[16:17], v[8:9], -1.0
	v_add_f64 v[22:23], v[8:9], 1.0
	v_add_f64 v[18:19], v[16:17], 1.0
	v_add_f64 v[24:25], v[22:23], -1.0
	v_add_f64 v[18:19], v[8:9], -v[18:19]
	v_add_f64 v[8:9], v[8:9], -v[24:25]
	v_add_f64 v[8:9], v[14:15], v[8:9]
	v_add_f64 v[18:19], v[14:15], v[18:19]
	v_add_f64 v[14:15], v[22:23], v[8:9]
	v_rcp_f64_e32 v[24:25], v[14:15]
	v_add_f64 v[20:21], v[16:17], v[18:19]
	v_add_f64 v[16:17], v[20:21], -v[16:17]
	v_add_f64 v[16:17], v[18:19], -v[16:17]
	;; [unrolled: 1-line block ×4, first 2 shown]
	v_fma_f64 v[18:19], -v[14:15], v[24:25], 1.0
	v_fmac_f64_e32 v[24:25], v[18:19], v[24:25]
	v_fma_f64 v[18:19], -v[14:15], v[24:25], 1.0
	v_fmac_f64_e32 v[24:25], v[18:19], v[24:25]
	v_mul_f64 v[18:19], v[20:21], v[24:25]
	v_mul_f64 v[22:23], v[14:15], v[18:19]
	v_fma_f64 v[26:27], v[18:19], v[14:15], -v[22:23]
	v_fmac_f64_e32 v[26:27], v[18:19], v[8:9]
	v_add_f64 v[28:29], v[22:23], v[26:27]
	v_add_f64 v[30:31], v[20:21], -v[28:29]
	v_add_f64 v[20:21], v[20:21], -v[30:31]
	;; [unrolled: 1-line block ×4, first 2 shown]
	v_add_f64 v[16:17], v[16:17], v[20:21]
	v_add_f64 v[20:21], v[22:23], -v[26:27]
	v_add_f64 v[16:17], v[20:21], v[16:17]
	v_add_f64 v[20:21], v[30:31], v[16:17]
	v_add_f64 v[22:23], v[30:31], -v[20:21]
	v_add_f64 v[16:17], v[16:17], v[22:23]
	v_mul_f64 v[22:23], v[24:25], v[20:21]
	v_mul_f64 v[26:27], v[14:15], v[22:23]
	v_fma_f64 v[14:15], v[22:23], v[14:15], -v[26:27]
	v_fmac_f64_e32 v[14:15], v[22:23], v[8:9]
	v_add_f64 v[8:9], v[26:27], v[14:15]
	v_add_f64 v[28:29], v[20:21], -v[8:9]
	v_add_f64 v[20:21], v[20:21], -v[28:29]
	;; [unrolled: 1-line block ×4, first 2 shown]
	v_add_f64 v[8:9], v[16:17], v[8:9]
	v_add_f64 v[14:15], v[26:27], -v[14:15]
	v_add_f64 v[8:9], v[14:15], v[8:9]
	v_add_f64 v[14:15], v[18:19], v[22:23]
	;; [unrolled: 1-line block ×3, first 2 shown]
	v_add_f64 v[16:17], v[14:15], -v[18:19]
	v_mul_f64 v[8:9], v[24:25], v[8:9]
	v_add_f64 v[16:17], v[22:23], -v[16:17]
	v_add_f64 v[8:9], v[16:17], v[8:9]
	v_add_f64 v[16:17], v[14:15], v[8:9]
	v_add_f64 v[14:15], v[16:17], -v[14:15]
	v_add_f64 v[8:9], v[8:9], -v[14:15]
	v_mul_f64 v[14:15], v[16:17], v[16:17]
	v_mov_b32_e32 v18, 0x6b47b09a
	v_mov_b32_e32 v19, 0x3fc38538
	v_fmac_f64_e32 v[18:19], s[12:13], v[14:15]
	v_mov_b32_e32 v20, 0xd7f4df2e
	v_mov_b32_e32 v21, 0x3fc7474d
	v_fmac_f64_e32 v[20:21], v[14:15], v[18:19]
	;; [unrolled: 3-line block ×6, first 2 shown]
	v_cvt_f64_i32_e32 v[18:19], v32
	s_mov_b32 s17, 0x3fe62e42
	v_mul_f64 v[22:23], v[18:19], s[16:17]
	v_fma_f64 v[24:25], v[18:19], s[16:17], -v[22:23]
	s_mov_b32 s19, 0x3c7abc9e
	v_fmac_f64_e32 v[24:25], s[18:19], v[18:19]
	v_add_f64 v[18:19], v[22:23], v[24:25]
	v_add_f64 v[22:23], v[18:19], -v[22:23]
	v_mul_f64 v[14:15], v[16:17], v[14:15]
	v_add_f64 v[22:23], v[24:25], -v[22:23]
	v_ldexp_f64 v[24:25], v[16:17], 1
	v_mul_f64 v[14:15], v[14:15], v[20:21]
	v_add_f64 v[16:17], v[24:25], v[14:15]
	v_add_f64 v[20:21], v[16:17], -v[24:25]
	v_ldexp_f64 v[8:9], v[8:9], 1
	v_add_f64 v[14:15], v[14:15], -v[20:21]
	v_add_f64 v[8:9], v[8:9], v[14:15]
	v_add_f64 v[14:15], v[16:17], v[8:9]
	v_add_f64 v[16:17], v[14:15], -v[16:17]
	v_add_f64 v[8:9], v[8:9], -v[16:17]
	v_add_f64 v[16:17], v[18:19], v[14:15]
	v_add_f64 v[20:21], v[16:17], -v[18:19]
	v_add_f64 v[24:25], v[16:17], -v[20:21]
	;; [unrolled: 1-line block ×4, first 2 shown]
	v_add_f64 v[14:15], v[14:15], v[18:19]
	v_add_f64 v[18:19], v[22:23], v[8:9]
	v_add_f64 v[20:21], v[18:19], -v[22:23]
	v_add_f64 v[14:15], v[18:19], v[14:15]
	v_add_f64 v[24:25], v[18:19], -v[20:21]
	v_add_f64 v[18:19], v[16:17], v[14:15]
	v_add_f64 v[22:23], v[22:23], -v[24:25]
	v_add_f64 v[8:9], v[8:9], -v[20:21]
	v_add_f64 v[16:17], v[18:19], -v[16:17]
	v_add_f64 v[8:9], v[8:9], v[22:23]
	v_add_f64 v[14:15], v[14:15], -v[16:17]
	s_mov_b32 s12, 0
	v_add_f64 v[8:9], v[8:9], v[14:15]
	s_mov_b32 s13, 0x7ff00000
	v_add_f64 v[8:9], v[18:19], v[8:9]
	v_cmp_eq_f64_e32 vcc, s[12:13], v[6:7]
	v_mov_b32_e32 v14, 0x7ff80000
	s_nop 0
	v_cndmask_b32_e32 v8, v8, v6, vcc
	v_cndmask_b32_e32 v9, v9, v7, vcc
	v_cmp_ngt_f64_e32 vcc, -1.0, v[6:7]
	s_nop 1
	v_cndmask_b32_e32 v9, v14, v9, vcc
	v_cmp_nge_f64_e32 vcc, -1.0, v[6:7]
	v_mov_b32_e32 v14, 0xfff00000
	s_nop 0
	v_cndmask_b32_e32 v8, 0, v8, vcc
	v_cmp_neq_f64_e32 vcc, -1.0, v[6:7]
	s_nop 1
	v_cndmask_b32_e32 v9, v14, v9, vcc
	v_add_f64 v[144:145], v[4:5], v[8:9]
.LBB30_43:
	s_or_b64 exec, exec, s[14:15]
	v_max_f64 v[14:15], v[100:101], v[100:101]
	v_max_f64 v[4:5], v[144:145], v[144:145]
	v_min_f64 v[6:7], v[4:5], v[14:15]
	v_cmp_u_f64_e32 vcc, v[144:145], v[144:145]
	v_max_f64 v[4:5], v[4:5], v[14:15]
	v_cmp_u_f64_e64 s[12:13], v[100:101], v[100:101]
	v_cndmask_b32_e32 v6, v6, v144, vcc
	v_cndmask_b32_e32 v7, v7, v145, vcc
	;; [unrolled: 1-line block ×4, first 2 shown]
	v_cndmask_b32_e64 v7, v7, v101, s[12:13]
	v_cndmask_b32_e64 v6, v6, v100, s[12:13]
	;; [unrolled: 1-line block ×4, first 2 shown]
	v_cmp_neq_f64_e32 vcc, v[6:7], v[4:5]
	v_cmp_class_f64_e64 s[14:15], v[6:7], s20
	s_or_b64 s[14:15], vcc, s[14:15]
	s_and_saveexec_b64 s[16:17], s[14:15]
	s_cbranch_execz .LBB30_45
; %bb.44:
	s_mov_b32 s14, 0x652b82fe
	v_add_f64 v[6:7], v[6:7], -v[4:5]
	s_mov_b32 s15, 0x3ff71547
	v_mul_f64 v[8:9], v[6:7], s[14:15]
	v_rndne_f64_e32 v[8:9], v[8:9]
	s_mov_b32 s19, 0xbfe62e42
	s_mov_b32 s18, 0xfefa39ef
	v_fma_f64 v[16:17], s[18:19], v[8:9], v[6:7]
	s_mov_b32 s21, 0xbc7abc9e
	s_mov_b32 s20, 0x3b39803f
	;; [unrolled: 1-line block ×3, first 2 shown]
	v_fmac_f64_e32 v[16:17], s[20:21], v[8:9]
	v_mov_b32_e32 v18, 0xfca7ab0c
	v_mov_b32_e32 v19, 0x3e928af3
	s_mov_b32 s15, 0x3e5ade15
	v_fmac_f64_e32 v[18:19], s[14:15], v[16:17]
	v_mov_b32_e32 v20, 0x623fde64
	v_mov_b32_e32 v21, 0x3ec71dee
	v_fmac_f64_e32 v[20:21], v[16:17], v[18:19]
	v_mov_b32_e32 v18, 0x7c89e6b0
	v_mov_b32_e32 v19, 0x3efa0199
	;; [unrolled: 3-line block ×8, first 2 shown]
	s_mov_b32 s14, 0
	v_fmac_f64_e32 v[18:19], v[16:17], v[20:21]
	s_mov_b32 s15, 0x40900000
	v_fma_f64 v[18:19], v[16:17], v[18:19], 1.0
	v_cmp_nlt_f64_e32 vcc, s[14:15], v[6:7]
	s_mov_b32 s14, 0
	v_fma_f64 v[16:17], v[16:17], v[18:19], 1.0
	v_cvt_i32_f64_e32 v8, v[8:9]
	s_mov_b32 s15, 0xc090cc00
	v_ldexp_f64 v[8:9], v[16:17], v8
	v_mov_b32_e32 v16, 0x7ff00000
	v_cmp_ngt_f64_e64 s[14:15], s[14:15], v[6:7]
	v_cndmask_b32_e32 v9, v16, v9, vcc
	s_and_b64 vcc, s[14:15], vcc
	v_cndmask_b32_e64 v7, 0, v9, s[14:15]
	v_cndmask_b32_e32 v6, 0, v8, vcc
	v_add_f64 v[8:9], v[6:7], 1.0
	v_add_f64 v[16:17], v[8:9], -1.0
	v_add_f64 v[18:19], v[16:17], -v[8:9]
	v_add_f64 v[18:19], v[18:19], 1.0
	v_add_f64 v[16:17], v[6:7], -v[16:17]
	s_mov_b32 s14, 0x55555555
	v_add_f64 v[16:17], v[16:17], v[18:19]
	v_frexp_mant_f64_e32 v[18:19], v[8:9]
	s_mov_b32 s15, 0x3fe55555
	v_frexp_exp_i32_f64_e32 v20, v[8:9]
	v_cmp_gt_f64_e32 vcc, s[14:15], v[18:19]
	s_mov_b32 s14, 0xbf559e2b
	s_mov_b32 s15, 0x3fc3ab76
	v_subbrev_co_u32_e32 v34, vcc, 0, v20, vcc
	v_sub_u32_e32 v18, 0, v34
	v_ldexp_f64 v[8:9], v[8:9], v18
	v_ldexp_f64 v[16:17], v[16:17], v18
	v_add_f64 v[18:19], v[8:9], -1.0
	v_add_f64 v[24:25], v[8:9], 1.0
	v_add_f64 v[20:21], v[18:19], 1.0
	v_add_f64 v[26:27], v[24:25], -1.0
	v_add_f64 v[20:21], v[8:9], -v[20:21]
	v_add_f64 v[8:9], v[8:9], -v[26:27]
	v_add_f64 v[8:9], v[16:17], v[8:9]
	v_add_f64 v[20:21], v[16:17], v[20:21]
	;; [unrolled: 1-line block ×3, first 2 shown]
	v_rcp_f64_e32 v[26:27], v[16:17]
	v_add_f64 v[22:23], v[18:19], v[20:21]
	v_add_f64 v[18:19], v[22:23], -v[18:19]
	v_add_f64 v[18:19], v[20:21], -v[18:19]
	;; [unrolled: 1-line block ×4, first 2 shown]
	v_fma_f64 v[20:21], -v[16:17], v[26:27], 1.0
	v_fmac_f64_e32 v[26:27], v[20:21], v[26:27]
	v_fma_f64 v[20:21], -v[16:17], v[26:27], 1.0
	v_fmac_f64_e32 v[26:27], v[20:21], v[26:27]
	v_mul_f64 v[20:21], v[22:23], v[26:27]
	v_mul_f64 v[24:25], v[16:17], v[20:21]
	v_fma_f64 v[28:29], v[20:21], v[16:17], -v[24:25]
	v_fmac_f64_e32 v[28:29], v[20:21], v[8:9]
	v_add_f64 v[30:31], v[24:25], v[28:29]
	v_add_f64 v[32:33], v[22:23], -v[30:31]
	v_add_f64 v[22:23], v[22:23], -v[32:33]
	;; [unrolled: 1-line block ×4, first 2 shown]
	v_add_f64 v[18:19], v[18:19], v[22:23]
	v_add_f64 v[22:23], v[24:25], -v[28:29]
	v_add_f64 v[18:19], v[22:23], v[18:19]
	v_add_f64 v[22:23], v[32:33], v[18:19]
	v_add_f64 v[24:25], v[32:33], -v[22:23]
	v_add_f64 v[18:19], v[18:19], v[24:25]
	v_mul_f64 v[24:25], v[26:27], v[22:23]
	v_mul_f64 v[28:29], v[16:17], v[24:25]
	v_fma_f64 v[16:17], v[24:25], v[16:17], -v[28:29]
	v_fmac_f64_e32 v[16:17], v[24:25], v[8:9]
	v_add_f64 v[8:9], v[28:29], v[16:17]
	v_add_f64 v[30:31], v[22:23], -v[8:9]
	v_add_f64 v[22:23], v[22:23], -v[30:31]
	;; [unrolled: 1-line block ×4, first 2 shown]
	v_add_f64 v[8:9], v[18:19], v[8:9]
	v_add_f64 v[16:17], v[28:29], -v[16:17]
	v_add_f64 v[8:9], v[16:17], v[8:9]
	v_add_f64 v[16:17], v[20:21], v[24:25]
	;; [unrolled: 1-line block ×3, first 2 shown]
	v_add_f64 v[18:19], v[16:17], -v[20:21]
	v_mul_f64 v[8:9], v[26:27], v[8:9]
	v_add_f64 v[18:19], v[24:25], -v[18:19]
	v_add_f64 v[8:9], v[18:19], v[8:9]
	v_add_f64 v[18:19], v[16:17], v[8:9]
	v_add_f64 v[16:17], v[18:19], -v[16:17]
	v_add_f64 v[8:9], v[8:9], -v[16:17]
	v_mul_f64 v[16:17], v[18:19], v[18:19]
	v_mov_b32_e32 v20, 0x6b47b09a
	v_mov_b32_e32 v21, 0x3fc38538
	v_fmac_f64_e32 v[20:21], s[14:15], v[16:17]
	v_mov_b32_e32 v22, 0xd7f4df2e
	v_mov_b32_e32 v23, 0x3fc7474d
	v_fmac_f64_e32 v[22:23], v[16:17], v[20:21]
	;; [unrolled: 3-line block ×6, first 2 shown]
	v_cvt_f64_i32_e32 v[20:21], v34
	s_mov_b32 s19, 0x3fe62e42
	v_mul_f64 v[24:25], v[20:21], s[18:19]
	v_fma_f64 v[26:27], v[20:21], s[18:19], -v[24:25]
	s_mov_b32 s21, 0x3c7abc9e
	v_fmac_f64_e32 v[26:27], s[20:21], v[20:21]
	v_add_f64 v[20:21], v[24:25], v[26:27]
	v_add_f64 v[24:25], v[20:21], -v[24:25]
	v_mul_f64 v[16:17], v[18:19], v[16:17]
	v_add_f64 v[24:25], v[26:27], -v[24:25]
	v_ldexp_f64 v[26:27], v[18:19], 1
	v_mul_f64 v[16:17], v[16:17], v[22:23]
	v_add_f64 v[18:19], v[26:27], v[16:17]
	v_add_f64 v[22:23], v[18:19], -v[26:27]
	v_ldexp_f64 v[8:9], v[8:9], 1
	v_add_f64 v[16:17], v[16:17], -v[22:23]
	v_add_f64 v[8:9], v[8:9], v[16:17]
	v_add_f64 v[16:17], v[18:19], v[8:9]
	v_add_f64 v[18:19], v[16:17], -v[18:19]
	v_add_f64 v[8:9], v[8:9], -v[18:19]
	v_add_f64 v[18:19], v[20:21], v[16:17]
	v_add_f64 v[22:23], v[18:19], -v[20:21]
	v_add_f64 v[26:27], v[18:19], -v[22:23]
	v_add_f64 v[20:21], v[20:21], -v[26:27]
	v_add_f64 v[16:17], v[16:17], -v[22:23]
	v_add_f64 v[16:17], v[16:17], v[20:21]
	v_add_f64 v[20:21], v[24:25], v[8:9]
	v_add_f64 v[22:23], v[20:21], -v[24:25]
	v_add_f64 v[16:17], v[20:21], v[16:17]
	v_add_f64 v[26:27], v[20:21], -v[22:23]
	;; [unrolled: 2-line block ×3, first 2 shown]
	v_add_f64 v[8:9], v[8:9], -v[22:23]
	v_add_f64 v[18:19], v[20:21], -v[18:19]
	v_add_f64 v[8:9], v[8:9], v[24:25]
	v_add_f64 v[16:17], v[16:17], -v[18:19]
	s_mov_b32 s14, 0
	v_add_f64 v[8:9], v[8:9], v[16:17]
	s_mov_b32 s15, 0x7ff00000
	v_add_f64 v[8:9], v[20:21], v[8:9]
	v_cmp_eq_f64_e32 vcc, s[14:15], v[6:7]
	v_mov_b32_e32 v16, 0x7ff80000
	s_nop 0
	v_cndmask_b32_e32 v8, v8, v6, vcc
	v_cndmask_b32_e32 v9, v9, v7, vcc
	v_cmp_ngt_f64_e32 vcc, -1.0, v[6:7]
	s_nop 1
	v_cndmask_b32_e32 v9, v16, v9, vcc
	v_cmp_nge_f64_e32 vcc, -1.0, v[6:7]
	v_mov_b32_e32 v16, 0xfff00000
	s_nop 0
	v_cndmask_b32_e32 v8, 0, v8, vcc
	v_cmp_neq_f64_e32 vcc, -1.0, v[6:7]
	s_nop 1
	v_cndmask_b32_e32 v9, v16, v9, vcc
	v_add_f64 v[144:145], v[4:5], v[8:9]
.LBB30_45:
	s_or_b64 exec, exec, s[16:17]
	v_max_f64 v[16:17], v[102:103], v[102:103]
	v_max_f64 v[4:5], v[144:145], v[144:145]
	v_min_f64 v[6:7], v[4:5], v[16:17]
	v_cmp_u_f64_e32 vcc, v[144:145], v[144:145]
	v_max_f64 v[4:5], v[4:5], v[16:17]
	v_cmp_u_f64_e64 s[14:15], v[102:103], v[102:103]
	v_cndmask_b32_e32 v6, v6, v144, vcc
	v_cndmask_b32_e32 v7, v7, v145, vcc
	;; [unrolled: 1-line block ×4, first 2 shown]
	v_cndmask_b32_e64 v7, v7, v103, s[14:15]
	v_cndmask_b32_e64 v6, v6, v102, s[14:15]
	;; [unrolled: 1-line block ×4, first 2 shown]
	s_movk_i32 s24, 0x1f8
	v_cmp_neq_f64_e32 vcc, v[6:7], v[4:5]
	v_cmp_class_f64_e64 s[16:17], v[6:7], s24
	s_or_b64 s[16:17], vcc, s[16:17]
	s_and_saveexec_b64 s[18:19], s[16:17]
	s_cbranch_execz .LBB30_47
; %bb.46:
	s_mov_b32 s16, 0x652b82fe
	v_add_f64 v[6:7], v[6:7], -v[4:5]
	s_mov_b32 s17, 0x3ff71547
	v_mul_f64 v[8:9], v[6:7], s[16:17]
	v_rndne_f64_e32 v[8:9], v[8:9]
	s_mov_b32 s21, 0xbfe62e42
	s_mov_b32 s20, 0xfefa39ef
	v_fma_f64 v[18:19], s[20:21], v[8:9], v[6:7]
	s_mov_b32 s23, 0xbc7abc9e
	s_mov_b32 s22, 0x3b39803f
	;; [unrolled: 1-line block ×3, first 2 shown]
	v_fmac_f64_e32 v[18:19], s[22:23], v[8:9]
	v_mov_b32_e32 v20, 0xfca7ab0c
	v_mov_b32_e32 v21, 0x3e928af3
	s_mov_b32 s17, 0x3e5ade15
	v_fmac_f64_e32 v[20:21], s[16:17], v[18:19]
	v_mov_b32_e32 v22, 0x623fde64
	v_mov_b32_e32 v23, 0x3ec71dee
	v_fmac_f64_e32 v[22:23], v[18:19], v[20:21]
	v_mov_b32_e32 v20, 0x7c89e6b0
	v_mov_b32_e32 v21, 0x3efa0199
	;; [unrolled: 3-line block ×8, first 2 shown]
	s_mov_b32 s16, 0
	v_fmac_f64_e32 v[20:21], v[18:19], v[22:23]
	s_mov_b32 s17, 0x40900000
	v_fma_f64 v[20:21], v[18:19], v[20:21], 1.0
	v_cmp_nlt_f64_e32 vcc, s[16:17], v[6:7]
	s_mov_b32 s16, 0
	v_fma_f64 v[18:19], v[18:19], v[20:21], 1.0
	v_cvt_i32_f64_e32 v8, v[8:9]
	s_mov_b32 s17, 0xc090cc00
	v_ldexp_f64 v[8:9], v[18:19], v8
	v_mov_b32_e32 v18, 0x7ff00000
	v_cmp_ngt_f64_e64 s[16:17], s[16:17], v[6:7]
	v_cndmask_b32_e32 v9, v18, v9, vcc
	s_and_b64 vcc, s[16:17], vcc
	v_cndmask_b32_e64 v7, 0, v9, s[16:17]
	v_cndmask_b32_e32 v6, 0, v8, vcc
	v_add_f64 v[8:9], v[6:7], 1.0
	v_add_f64 v[18:19], v[8:9], -1.0
	v_add_f64 v[20:21], v[18:19], -v[8:9]
	v_add_f64 v[20:21], v[20:21], 1.0
	v_add_f64 v[18:19], v[6:7], -v[18:19]
	s_mov_b32 s16, 0x55555555
	v_add_f64 v[18:19], v[18:19], v[20:21]
	v_frexp_mant_f64_e32 v[20:21], v[8:9]
	s_mov_b32 s17, 0x3fe55555
	v_frexp_exp_i32_f64_e32 v22, v[8:9]
	v_cmp_gt_f64_e32 vcc, s[16:17], v[20:21]
	s_mov_b32 s16, 0xbf559e2b
	s_mov_b32 s17, 0x3fc3ab76
	v_subbrev_co_u32_e32 v53, vcc, 0, v22, vcc
	v_sub_u32_e32 v20, 0, v53
	v_ldexp_f64 v[8:9], v[8:9], v20
	v_ldexp_f64 v[18:19], v[18:19], v20
	v_add_f64 v[20:21], v[8:9], -1.0
	v_add_f64 v[26:27], v[8:9], 1.0
	v_add_f64 v[22:23], v[20:21], 1.0
	v_add_f64 v[28:29], v[26:27], -1.0
	v_add_f64 v[22:23], v[8:9], -v[22:23]
	v_add_f64 v[8:9], v[8:9], -v[28:29]
	v_add_f64 v[8:9], v[18:19], v[8:9]
	v_add_f64 v[22:23], v[18:19], v[22:23]
	;; [unrolled: 1-line block ×3, first 2 shown]
	v_rcp_f64_e32 v[28:29], v[18:19]
	v_add_f64 v[24:25], v[20:21], v[22:23]
	v_add_f64 v[20:21], v[24:25], -v[20:21]
	v_add_f64 v[20:21], v[22:23], -v[20:21]
	;; [unrolled: 1-line block ×4, first 2 shown]
	v_fma_f64 v[22:23], -v[18:19], v[28:29], 1.0
	v_fmac_f64_e32 v[28:29], v[22:23], v[28:29]
	v_fma_f64 v[22:23], -v[18:19], v[28:29], 1.0
	v_fmac_f64_e32 v[28:29], v[22:23], v[28:29]
	v_mul_f64 v[22:23], v[24:25], v[28:29]
	v_mul_f64 v[26:27], v[18:19], v[22:23]
	v_fma_f64 v[30:31], v[22:23], v[18:19], -v[26:27]
	v_fmac_f64_e32 v[30:31], v[22:23], v[8:9]
	v_add_f64 v[32:33], v[26:27], v[30:31]
	v_add_f64 v[34:35], v[24:25], -v[32:33]
	v_add_f64 v[24:25], v[24:25], -v[34:35]
	;; [unrolled: 1-line block ×4, first 2 shown]
	v_add_f64 v[20:21], v[20:21], v[24:25]
	v_add_f64 v[24:25], v[26:27], -v[30:31]
	v_add_f64 v[20:21], v[24:25], v[20:21]
	v_add_f64 v[24:25], v[34:35], v[20:21]
	v_add_f64 v[26:27], v[34:35], -v[24:25]
	v_add_f64 v[20:21], v[20:21], v[26:27]
	v_mul_f64 v[26:27], v[28:29], v[24:25]
	v_mul_f64 v[30:31], v[18:19], v[26:27]
	v_fma_f64 v[18:19], v[26:27], v[18:19], -v[30:31]
	v_fmac_f64_e32 v[18:19], v[26:27], v[8:9]
	v_add_f64 v[8:9], v[30:31], v[18:19]
	v_add_f64 v[32:33], v[24:25], -v[8:9]
	v_add_f64 v[24:25], v[24:25], -v[32:33]
	;; [unrolled: 1-line block ×4, first 2 shown]
	v_add_f64 v[8:9], v[20:21], v[8:9]
	v_add_f64 v[18:19], v[30:31], -v[18:19]
	v_add_f64 v[8:9], v[18:19], v[8:9]
	v_add_f64 v[18:19], v[22:23], v[26:27]
	;; [unrolled: 1-line block ×3, first 2 shown]
	v_add_f64 v[20:21], v[18:19], -v[22:23]
	v_mul_f64 v[8:9], v[28:29], v[8:9]
	v_add_f64 v[20:21], v[26:27], -v[20:21]
	v_add_f64 v[8:9], v[20:21], v[8:9]
	v_add_f64 v[20:21], v[18:19], v[8:9]
	v_add_f64 v[18:19], v[20:21], -v[18:19]
	v_add_f64 v[8:9], v[8:9], -v[18:19]
	v_mul_f64 v[18:19], v[20:21], v[20:21]
	v_mov_b32_e32 v22, 0x6b47b09a
	v_mov_b32_e32 v23, 0x3fc38538
	v_fmac_f64_e32 v[22:23], s[16:17], v[18:19]
	v_mov_b32_e32 v24, 0xd7f4df2e
	v_mov_b32_e32 v25, 0x3fc7474d
	v_fmac_f64_e32 v[24:25], v[18:19], v[22:23]
	;; [unrolled: 3-line block ×6, first 2 shown]
	v_cvt_f64_i32_e32 v[22:23], v53
	s_mov_b32 s21, 0x3fe62e42
	v_mul_f64 v[26:27], v[22:23], s[20:21]
	v_fma_f64 v[28:29], v[22:23], s[20:21], -v[26:27]
	s_mov_b32 s23, 0x3c7abc9e
	v_fmac_f64_e32 v[28:29], s[22:23], v[22:23]
	v_add_f64 v[22:23], v[26:27], v[28:29]
	v_add_f64 v[26:27], v[22:23], -v[26:27]
	v_mul_f64 v[18:19], v[20:21], v[18:19]
	v_add_f64 v[26:27], v[28:29], -v[26:27]
	v_ldexp_f64 v[28:29], v[20:21], 1
	v_mul_f64 v[18:19], v[18:19], v[24:25]
	v_add_f64 v[20:21], v[28:29], v[18:19]
	v_add_f64 v[24:25], v[20:21], -v[28:29]
	v_ldexp_f64 v[8:9], v[8:9], 1
	v_add_f64 v[18:19], v[18:19], -v[24:25]
	v_add_f64 v[8:9], v[8:9], v[18:19]
	v_add_f64 v[18:19], v[20:21], v[8:9]
	v_add_f64 v[20:21], v[18:19], -v[20:21]
	v_add_f64 v[8:9], v[8:9], -v[20:21]
	v_add_f64 v[20:21], v[22:23], v[18:19]
	v_add_f64 v[24:25], v[20:21], -v[22:23]
	v_add_f64 v[28:29], v[20:21], -v[24:25]
	v_add_f64 v[22:23], v[22:23], -v[28:29]
	v_add_f64 v[18:19], v[18:19], -v[24:25]
	v_add_f64 v[18:19], v[18:19], v[22:23]
	v_add_f64 v[22:23], v[26:27], v[8:9]
	v_add_f64 v[24:25], v[22:23], -v[26:27]
	v_add_f64 v[18:19], v[22:23], v[18:19]
	v_add_f64 v[28:29], v[22:23], -v[24:25]
	;; [unrolled: 2-line block ×3, first 2 shown]
	v_add_f64 v[8:9], v[8:9], -v[24:25]
	v_add_f64 v[20:21], v[22:23], -v[20:21]
	v_add_f64 v[8:9], v[8:9], v[26:27]
	v_add_f64 v[18:19], v[18:19], -v[20:21]
	s_mov_b32 s16, 0
	v_add_f64 v[8:9], v[8:9], v[18:19]
	s_mov_b32 s17, 0x7ff00000
	v_add_f64 v[8:9], v[22:23], v[8:9]
	v_cmp_eq_f64_e32 vcc, s[16:17], v[6:7]
	v_mov_b32_e32 v18, 0x7ff80000
	s_nop 0
	v_cndmask_b32_e32 v8, v8, v6, vcc
	v_cndmask_b32_e32 v9, v9, v7, vcc
	v_cmp_ngt_f64_e32 vcc, -1.0, v[6:7]
	s_nop 1
	v_cndmask_b32_e32 v9, v18, v9, vcc
	v_cmp_nge_f64_e32 vcc, -1.0, v[6:7]
	v_mov_b32_e32 v18, 0xfff00000
	s_nop 0
	v_cndmask_b32_e32 v8, 0, v8, vcc
	v_cmp_neq_f64_e32 vcc, -1.0, v[6:7]
	s_nop 1
	v_cndmask_b32_e32 v9, v18, v9, vcc
	v_add_f64 v[144:145], v[4:5], v[8:9]
.LBB30_47:
	s_or_b64 exec, exec, s[18:19]
	v_max_f64 v[18:19], v[96:97], v[96:97]
	v_max_f64 v[4:5], v[144:145], v[144:145]
	v_min_f64 v[6:7], v[4:5], v[18:19]
	v_cmp_u_f64_e32 vcc, v[144:145], v[144:145]
	v_max_f64 v[4:5], v[4:5], v[18:19]
	v_cmp_u_f64_e64 s[16:17], v[96:97], v[96:97]
	v_cndmask_b32_e32 v6, v6, v144, vcc
	v_cndmask_b32_e32 v7, v7, v145, vcc
	;; [unrolled: 1-line block ×4, first 2 shown]
	v_cndmask_b32_e64 v7, v7, v97, s[16:17]
	v_cndmask_b32_e64 v6, v6, v96, s[16:17]
	;; [unrolled: 1-line block ×4, first 2 shown]
	v_cmp_neq_f64_e32 vcc, v[6:7], v[4:5]
	v_cmp_class_f64_e64 s[18:19], v[6:7], s24
	s_or_b64 s[18:19], vcc, s[18:19]
	s_and_saveexec_b64 s[20:21], s[18:19]
	s_cbranch_execz .LBB30_49
; %bb.48:
	s_mov_b32 s18, 0x652b82fe
	v_add_f64 v[6:7], v[6:7], -v[4:5]
	s_mov_b32 s19, 0x3ff71547
	v_mul_f64 v[8:9], v[6:7], s[18:19]
	v_rndne_f64_e32 v[8:9], v[8:9]
	s_mov_b32 s23, 0xbfe62e42
	s_mov_b32 s22, 0xfefa39ef
	v_fma_f64 v[20:21], s[22:23], v[8:9], v[6:7]
	s_mov_b32 s25, 0xbc7abc9e
	s_mov_b32 s24, 0x3b39803f
	;; [unrolled: 1-line block ×3, first 2 shown]
	v_fmac_f64_e32 v[20:21], s[24:25], v[8:9]
	v_mov_b32_e32 v22, 0xfca7ab0c
	v_mov_b32_e32 v23, 0x3e928af3
	s_mov_b32 s19, 0x3e5ade15
	v_fmac_f64_e32 v[22:23], s[18:19], v[20:21]
	v_mov_b32_e32 v24, 0x623fde64
	v_mov_b32_e32 v25, 0x3ec71dee
	v_fmac_f64_e32 v[24:25], v[20:21], v[22:23]
	v_mov_b32_e32 v22, 0x7c89e6b0
	v_mov_b32_e32 v23, 0x3efa0199
	;; [unrolled: 3-line block ×8, first 2 shown]
	s_mov_b32 s18, 0
	v_fmac_f64_e32 v[22:23], v[20:21], v[24:25]
	s_mov_b32 s19, 0x40900000
	v_fma_f64 v[22:23], v[20:21], v[22:23], 1.0
	v_cmp_nlt_f64_e32 vcc, s[18:19], v[6:7]
	s_mov_b32 s18, 0
	v_fma_f64 v[20:21], v[20:21], v[22:23], 1.0
	v_cvt_i32_f64_e32 v8, v[8:9]
	s_mov_b32 s19, 0xc090cc00
	v_ldexp_f64 v[8:9], v[20:21], v8
	v_mov_b32_e32 v20, 0x7ff00000
	v_cmp_ngt_f64_e64 s[18:19], s[18:19], v[6:7]
	v_cndmask_b32_e32 v9, v20, v9, vcc
	s_and_b64 vcc, s[18:19], vcc
	v_cndmask_b32_e64 v7, 0, v9, s[18:19]
	v_cndmask_b32_e32 v6, 0, v8, vcc
	v_add_f64 v[8:9], v[6:7], 1.0
	v_add_f64 v[20:21], v[8:9], -1.0
	v_add_f64 v[22:23], v[20:21], -v[8:9]
	v_add_f64 v[22:23], v[22:23], 1.0
	v_add_f64 v[20:21], v[6:7], -v[20:21]
	s_mov_b32 s18, 0x55555555
	v_add_f64 v[20:21], v[20:21], v[22:23]
	v_frexp_mant_f64_e32 v[22:23], v[8:9]
	s_mov_b32 s19, 0x3fe55555
	v_frexp_exp_i32_f64_e32 v24, v[8:9]
	v_cmp_gt_f64_e32 vcc, s[18:19], v[22:23]
	s_mov_b32 s18, 0xbf559e2b
	s_mov_b32 s19, 0x3fc3ab76
	v_subbrev_co_u32_e32 v53, vcc, 0, v24, vcc
	v_sub_u32_e32 v22, 0, v53
	v_ldexp_f64 v[8:9], v[8:9], v22
	v_ldexp_f64 v[20:21], v[20:21], v22
	v_add_f64 v[22:23], v[8:9], -1.0
	v_add_f64 v[28:29], v[8:9], 1.0
	v_add_f64 v[24:25], v[22:23], 1.0
	v_add_f64 v[30:31], v[28:29], -1.0
	v_add_f64 v[24:25], v[8:9], -v[24:25]
	v_add_f64 v[8:9], v[8:9], -v[30:31]
	v_add_f64 v[8:9], v[20:21], v[8:9]
	v_add_f64 v[24:25], v[20:21], v[24:25]
	;; [unrolled: 1-line block ×3, first 2 shown]
	v_rcp_f64_e32 v[30:31], v[20:21]
	v_add_f64 v[26:27], v[22:23], v[24:25]
	v_add_f64 v[22:23], v[26:27], -v[22:23]
	v_add_f64 v[22:23], v[24:25], -v[22:23]
	;; [unrolled: 1-line block ×4, first 2 shown]
	v_fma_f64 v[24:25], -v[20:21], v[30:31], 1.0
	v_fmac_f64_e32 v[30:31], v[24:25], v[30:31]
	v_fma_f64 v[24:25], -v[20:21], v[30:31], 1.0
	v_fmac_f64_e32 v[30:31], v[24:25], v[30:31]
	v_mul_f64 v[24:25], v[26:27], v[30:31]
	v_mul_f64 v[28:29], v[20:21], v[24:25]
	v_fma_f64 v[32:33], v[24:25], v[20:21], -v[28:29]
	v_fmac_f64_e32 v[32:33], v[24:25], v[8:9]
	v_add_f64 v[34:35], v[28:29], v[32:33]
	v_add_f64 v[144:145], v[26:27], -v[34:35]
	v_add_f64 v[26:27], v[26:27], -v[144:145]
	v_add_f64 v[28:29], v[34:35], -v[28:29]
	v_add_f64 v[26:27], v[26:27], -v[34:35]
	v_add_f64 v[22:23], v[22:23], v[26:27]
	v_add_f64 v[26:27], v[28:29], -v[32:33]
	v_add_f64 v[22:23], v[26:27], v[22:23]
	v_add_f64 v[26:27], v[144:145], v[22:23]
	v_add_f64 v[28:29], v[144:145], -v[26:27]
	v_add_f64 v[22:23], v[22:23], v[28:29]
	v_mul_f64 v[28:29], v[30:31], v[26:27]
	v_mul_f64 v[32:33], v[20:21], v[28:29]
	v_fma_f64 v[20:21], v[28:29], v[20:21], -v[32:33]
	v_fmac_f64_e32 v[20:21], v[28:29], v[8:9]
	v_add_f64 v[8:9], v[32:33], v[20:21]
	v_add_f64 v[34:35], v[26:27], -v[8:9]
	v_add_f64 v[26:27], v[26:27], -v[34:35]
	;; [unrolled: 1-line block ×4, first 2 shown]
	v_add_f64 v[8:9], v[22:23], v[8:9]
	v_add_f64 v[20:21], v[32:33], -v[20:21]
	v_add_f64 v[8:9], v[20:21], v[8:9]
	v_add_f64 v[20:21], v[24:25], v[28:29]
	v_add_f64 v[8:9], v[34:35], v[8:9]
	v_add_f64 v[22:23], v[20:21], -v[24:25]
	v_mul_f64 v[8:9], v[30:31], v[8:9]
	v_add_f64 v[22:23], v[28:29], -v[22:23]
	v_add_f64 v[8:9], v[22:23], v[8:9]
	v_add_f64 v[22:23], v[20:21], v[8:9]
	v_add_f64 v[20:21], v[22:23], -v[20:21]
	v_add_f64 v[8:9], v[8:9], -v[20:21]
	v_mul_f64 v[20:21], v[22:23], v[22:23]
	v_mov_b32_e32 v24, 0x6b47b09a
	v_mov_b32_e32 v25, 0x3fc38538
	v_fmac_f64_e32 v[24:25], s[18:19], v[20:21]
	v_mov_b32_e32 v26, 0xd7f4df2e
	v_mov_b32_e32 v27, 0x3fc7474d
	v_fmac_f64_e32 v[26:27], v[20:21], v[24:25]
	;; [unrolled: 3-line block ×6, first 2 shown]
	v_cvt_f64_i32_e32 v[24:25], v53
	s_mov_b32 s23, 0x3fe62e42
	v_mul_f64 v[28:29], v[24:25], s[22:23]
	v_fma_f64 v[30:31], v[24:25], s[22:23], -v[28:29]
	s_mov_b32 s25, 0x3c7abc9e
	v_fmac_f64_e32 v[30:31], s[24:25], v[24:25]
	v_add_f64 v[24:25], v[28:29], v[30:31]
	v_add_f64 v[28:29], v[24:25], -v[28:29]
	v_mul_f64 v[20:21], v[22:23], v[20:21]
	v_add_f64 v[28:29], v[30:31], -v[28:29]
	v_ldexp_f64 v[30:31], v[22:23], 1
	v_mul_f64 v[20:21], v[20:21], v[26:27]
	v_add_f64 v[22:23], v[30:31], v[20:21]
	v_add_f64 v[26:27], v[22:23], -v[30:31]
	v_ldexp_f64 v[8:9], v[8:9], 1
	v_add_f64 v[20:21], v[20:21], -v[26:27]
	v_add_f64 v[8:9], v[8:9], v[20:21]
	v_add_f64 v[20:21], v[22:23], v[8:9]
	v_add_f64 v[22:23], v[20:21], -v[22:23]
	v_add_f64 v[8:9], v[8:9], -v[22:23]
	v_add_f64 v[22:23], v[24:25], v[20:21]
	v_add_f64 v[26:27], v[22:23], -v[24:25]
	v_add_f64 v[30:31], v[22:23], -v[26:27]
	;; [unrolled: 1-line block ×4, first 2 shown]
	v_add_f64 v[20:21], v[20:21], v[24:25]
	v_add_f64 v[24:25], v[28:29], v[8:9]
	v_add_f64 v[26:27], v[24:25], -v[28:29]
	v_add_f64 v[20:21], v[24:25], v[20:21]
	v_add_f64 v[30:31], v[24:25], -v[26:27]
	v_add_f64 v[24:25], v[22:23], v[20:21]
	v_add_f64 v[28:29], v[28:29], -v[30:31]
	v_add_f64 v[8:9], v[8:9], -v[26:27]
	v_add_f64 v[22:23], v[24:25], -v[22:23]
	v_add_f64 v[8:9], v[8:9], v[28:29]
	v_add_f64 v[20:21], v[20:21], -v[22:23]
	s_mov_b32 s18, 0
	v_add_f64 v[8:9], v[8:9], v[20:21]
	s_mov_b32 s19, 0x7ff00000
	v_add_f64 v[8:9], v[24:25], v[8:9]
	v_cmp_eq_f64_e32 vcc, s[18:19], v[6:7]
	v_mov_b32_e32 v20, 0x7ff80000
	s_nop 0
	v_cndmask_b32_e32 v8, v8, v6, vcc
	v_cndmask_b32_e32 v9, v9, v7, vcc
	v_cmp_ngt_f64_e32 vcc, -1.0, v[6:7]
	s_nop 1
	v_cndmask_b32_e32 v9, v20, v9, vcc
	v_cmp_nge_f64_e32 vcc, -1.0, v[6:7]
	v_mov_b32_e32 v20, 0xfff00000
	s_nop 0
	v_cndmask_b32_e32 v8, 0, v8, vcc
	v_cmp_neq_f64_e32 vcc, -1.0, v[6:7]
	s_nop 1
	v_cndmask_b32_e32 v9, v20, v9, vcc
	v_add_f64 v[144:145], v[4:5], v[8:9]
.LBB30_49:
	s_or_b64 exec, exec, s[20:21]
	v_max_f64 v[20:21], v[98:99], v[98:99]
	v_max_f64 v[4:5], v[144:145], v[144:145]
	v_min_f64 v[6:7], v[4:5], v[20:21]
	v_cmp_u_f64_e32 vcc, v[144:145], v[144:145]
	v_max_f64 v[4:5], v[4:5], v[20:21]
	v_cmp_u_f64_e64 s[18:19], v[98:99], v[98:99]
	v_cndmask_b32_e32 v6, v6, v144, vcc
	v_cndmask_b32_e32 v7, v7, v145, vcc
	;; [unrolled: 1-line block ×4, first 2 shown]
	v_cndmask_b32_e64 v7, v7, v99, s[18:19]
	v_cndmask_b32_e64 v6, v6, v98, s[18:19]
	;; [unrolled: 1-line block ×4, first 2 shown]
	s_movk_i32 s28, 0x1f8
	v_cmp_neq_f64_e32 vcc, v[6:7], v[4:5]
	v_cmp_class_f64_e64 s[20:21], v[6:7], s28
	s_or_b64 s[20:21], vcc, s[20:21]
	s_and_saveexec_b64 s[22:23], s[20:21]
	s_cbranch_execz .LBB30_51
; %bb.50:
	s_mov_b32 s20, 0x652b82fe
	v_add_f64 v[6:7], v[6:7], -v[4:5]
	s_mov_b32 s21, 0x3ff71547
	v_mul_f64 v[8:9], v[6:7], s[20:21]
	v_rndne_f64_e32 v[8:9], v[8:9]
	s_mov_b32 s25, 0xbfe62e42
	s_mov_b32 s24, 0xfefa39ef
	v_fma_f64 v[22:23], s[24:25], v[8:9], v[6:7]
	s_mov_b32 s27, 0xbc7abc9e
	s_mov_b32 s26, 0x3b39803f
	;; [unrolled: 1-line block ×3, first 2 shown]
	v_fmac_f64_e32 v[22:23], s[26:27], v[8:9]
	v_mov_b32_e32 v24, 0xfca7ab0c
	v_mov_b32_e32 v25, 0x3e928af3
	s_mov_b32 s21, 0x3e5ade15
	v_fmac_f64_e32 v[24:25], s[20:21], v[22:23]
	v_mov_b32_e32 v26, 0x623fde64
	v_mov_b32_e32 v27, 0x3ec71dee
	v_fmac_f64_e32 v[26:27], v[22:23], v[24:25]
	v_mov_b32_e32 v24, 0x7c89e6b0
	v_mov_b32_e32 v25, 0x3efa0199
	;; [unrolled: 3-line block ×8, first 2 shown]
	s_mov_b32 s20, 0
	v_fmac_f64_e32 v[24:25], v[22:23], v[26:27]
	s_mov_b32 s21, 0x40900000
	v_fma_f64 v[24:25], v[22:23], v[24:25], 1.0
	v_cmp_nlt_f64_e32 vcc, s[20:21], v[6:7]
	s_mov_b32 s20, 0
	v_fma_f64 v[22:23], v[22:23], v[24:25], 1.0
	v_cvt_i32_f64_e32 v8, v[8:9]
	s_mov_b32 s21, 0xc090cc00
	v_ldexp_f64 v[8:9], v[22:23], v8
	v_mov_b32_e32 v22, 0x7ff00000
	v_cmp_ngt_f64_e64 s[20:21], s[20:21], v[6:7]
	v_cndmask_b32_e32 v9, v22, v9, vcc
	s_and_b64 vcc, s[20:21], vcc
	v_cndmask_b32_e64 v7, 0, v9, s[20:21]
	v_cndmask_b32_e32 v6, 0, v8, vcc
	v_add_f64 v[8:9], v[6:7], 1.0
	v_add_f64 v[22:23], v[8:9], -1.0
	v_add_f64 v[24:25], v[22:23], -v[8:9]
	v_add_f64 v[24:25], v[24:25], 1.0
	v_add_f64 v[22:23], v[6:7], -v[22:23]
	s_mov_b32 s20, 0x55555555
	v_add_f64 v[22:23], v[22:23], v[24:25]
	v_frexp_mant_f64_e32 v[24:25], v[8:9]
	s_mov_b32 s21, 0x3fe55555
	v_frexp_exp_i32_f64_e32 v26, v[8:9]
	v_cmp_gt_f64_e32 vcc, s[20:21], v[24:25]
	s_mov_b32 s20, 0xbf559e2b
	s_mov_b32 s21, 0x3fc3ab76
	v_subbrev_co_u32_e32 v53, vcc, 0, v26, vcc
	v_sub_u32_e32 v24, 0, v53
	v_ldexp_f64 v[8:9], v[8:9], v24
	v_ldexp_f64 v[22:23], v[22:23], v24
	v_add_f64 v[24:25], v[8:9], -1.0
	v_add_f64 v[30:31], v[8:9], 1.0
	v_add_f64 v[26:27], v[24:25], 1.0
	v_add_f64 v[32:33], v[30:31], -1.0
	v_add_f64 v[26:27], v[8:9], -v[26:27]
	v_add_f64 v[8:9], v[8:9], -v[32:33]
	v_add_f64 v[8:9], v[22:23], v[8:9]
	v_add_f64 v[26:27], v[22:23], v[26:27]
	;; [unrolled: 1-line block ×3, first 2 shown]
	v_rcp_f64_e32 v[32:33], v[22:23]
	v_add_f64 v[28:29], v[24:25], v[26:27]
	v_add_f64 v[24:25], v[28:29], -v[24:25]
	v_add_f64 v[24:25], v[26:27], -v[24:25]
	v_add_f64 v[26:27], v[22:23], -v[30:31]
	v_add_f64 v[8:9], v[8:9], -v[26:27]
	v_fma_f64 v[26:27], -v[22:23], v[32:33], 1.0
	v_fmac_f64_e32 v[32:33], v[26:27], v[32:33]
	v_fma_f64 v[26:27], -v[22:23], v[32:33], 1.0
	v_fmac_f64_e32 v[32:33], v[26:27], v[32:33]
	v_mul_f64 v[26:27], v[28:29], v[32:33]
	v_mul_f64 v[30:31], v[22:23], v[26:27]
	v_fma_f64 v[34:35], v[26:27], v[22:23], -v[30:31]
	v_fmac_f64_e32 v[34:35], v[26:27], v[8:9]
	v_add_f64 v[144:145], v[30:31], v[34:35]
	v_add_f64 v[146:147], v[28:29], -v[144:145]
	v_add_f64 v[28:29], v[28:29], -v[146:147]
	;; [unrolled: 1-line block ×4, first 2 shown]
	v_add_f64 v[24:25], v[24:25], v[28:29]
	v_add_f64 v[28:29], v[30:31], -v[34:35]
	v_add_f64 v[24:25], v[28:29], v[24:25]
	v_add_f64 v[28:29], v[146:147], v[24:25]
	v_add_f64 v[30:31], v[146:147], -v[28:29]
	v_add_f64 v[24:25], v[24:25], v[30:31]
	v_mul_f64 v[30:31], v[32:33], v[28:29]
	v_mul_f64 v[34:35], v[22:23], v[30:31]
	v_fma_f64 v[22:23], v[30:31], v[22:23], -v[34:35]
	v_fmac_f64_e32 v[22:23], v[30:31], v[8:9]
	v_add_f64 v[8:9], v[34:35], v[22:23]
	v_add_f64 v[144:145], v[28:29], -v[8:9]
	v_add_f64 v[28:29], v[28:29], -v[144:145]
	;; [unrolled: 1-line block ×4, first 2 shown]
	v_add_f64 v[8:9], v[24:25], v[8:9]
	v_add_f64 v[22:23], v[34:35], -v[22:23]
	v_add_f64 v[8:9], v[22:23], v[8:9]
	v_add_f64 v[22:23], v[26:27], v[30:31]
	;; [unrolled: 1-line block ×3, first 2 shown]
	v_add_f64 v[24:25], v[22:23], -v[26:27]
	v_mul_f64 v[8:9], v[32:33], v[8:9]
	v_add_f64 v[24:25], v[30:31], -v[24:25]
	v_add_f64 v[8:9], v[24:25], v[8:9]
	v_add_f64 v[24:25], v[22:23], v[8:9]
	v_add_f64 v[22:23], v[24:25], -v[22:23]
	v_add_f64 v[8:9], v[8:9], -v[22:23]
	v_mul_f64 v[22:23], v[24:25], v[24:25]
	v_mov_b32_e32 v26, 0x6b47b09a
	v_mov_b32_e32 v27, 0x3fc38538
	v_fmac_f64_e32 v[26:27], s[20:21], v[22:23]
	v_mov_b32_e32 v28, 0xd7f4df2e
	v_mov_b32_e32 v29, 0x3fc7474d
	v_fmac_f64_e32 v[28:29], v[22:23], v[26:27]
	;; [unrolled: 3-line block ×6, first 2 shown]
	v_cvt_f64_i32_e32 v[26:27], v53
	s_mov_b32 s25, 0x3fe62e42
	v_mul_f64 v[30:31], v[26:27], s[24:25]
	v_fma_f64 v[32:33], v[26:27], s[24:25], -v[30:31]
	s_mov_b32 s27, 0x3c7abc9e
	v_fmac_f64_e32 v[32:33], s[26:27], v[26:27]
	v_add_f64 v[26:27], v[30:31], v[32:33]
	v_add_f64 v[30:31], v[26:27], -v[30:31]
	v_mul_f64 v[22:23], v[24:25], v[22:23]
	v_add_f64 v[30:31], v[32:33], -v[30:31]
	v_ldexp_f64 v[32:33], v[24:25], 1
	v_mul_f64 v[22:23], v[22:23], v[28:29]
	v_add_f64 v[24:25], v[32:33], v[22:23]
	v_add_f64 v[28:29], v[24:25], -v[32:33]
	v_ldexp_f64 v[8:9], v[8:9], 1
	v_add_f64 v[22:23], v[22:23], -v[28:29]
	v_add_f64 v[8:9], v[8:9], v[22:23]
	v_add_f64 v[22:23], v[24:25], v[8:9]
	v_add_f64 v[24:25], v[22:23], -v[24:25]
	v_add_f64 v[8:9], v[8:9], -v[24:25]
	v_add_f64 v[24:25], v[26:27], v[22:23]
	v_add_f64 v[28:29], v[24:25], -v[26:27]
	v_add_f64 v[32:33], v[24:25], -v[28:29]
	;; [unrolled: 1-line block ×4, first 2 shown]
	v_add_f64 v[22:23], v[22:23], v[26:27]
	v_add_f64 v[26:27], v[30:31], v[8:9]
	v_add_f64 v[28:29], v[26:27], -v[30:31]
	v_add_f64 v[22:23], v[26:27], v[22:23]
	v_add_f64 v[32:33], v[26:27], -v[28:29]
	;; [unrolled: 2-line block ×3, first 2 shown]
	v_add_f64 v[8:9], v[8:9], -v[28:29]
	v_add_f64 v[24:25], v[26:27], -v[24:25]
	v_add_f64 v[8:9], v[8:9], v[30:31]
	v_add_f64 v[22:23], v[22:23], -v[24:25]
	s_mov_b32 s20, 0
	v_add_f64 v[8:9], v[8:9], v[22:23]
	s_mov_b32 s21, 0x7ff00000
	v_add_f64 v[8:9], v[26:27], v[8:9]
	v_cmp_eq_f64_e32 vcc, s[20:21], v[6:7]
	v_mov_b32_e32 v22, 0x7ff80000
	s_nop 0
	v_cndmask_b32_e32 v8, v8, v6, vcc
	v_cndmask_b32_e32 v9, v9, v7, vcc
	v_cmp_ngt_f64_e32 vcc, -1.0, v[6:7]
	s_nop 1
	v_cndmask_b32_e32 v9, v22, v9, vcc
	v_cmp_nge_f64_e32 vcc, -1.0, v[6:7]
	v_mov_b32_e32 v22, 0xfff00000
	s_nop 0
	v_cndmask_b32_e32 v8, 0, v8, vcc
	v_cmp_neq_f64_e32 vcc, -1.0, v[6:7]
	s_nop 1
	v_cndmask_b32_e32 v9, v22, v9, vcc
	v_add_f64 v[144:145], v[4:5], v[8:9]
.LBB30_51:
	s_or_b64 exec, exec, s[22:23]
	v_max_f64 v[22:23], v[84:85], v[84:85]
	v_max_f64 v[4:5], v[144:145], v[144:145]
	v_min_f64 v[6:7], v[4:5], v[22:23]
	v_cmp_u_f64_e32 vcc, v[144:145], v[144:145]
	v_max_f64 v[4:5], v[4:5], v[22:23]
	v_cmp_u_f64_e64 s[20:21], v[84:85], v[84:85]
	v_cndmask_b32_e32 v6, v6, v144, vcc
	v_cndmask_b32_e32 v7, v7, v145, vcc
	;; [unrolled: 1-line block ×4, first 2 shown]
	v_cndmask_b32_e64 v7, v7, v85, s[20:21]
	v_cndmask_b32_e64 v6, v6, v84, s[20:21]
	;; [unrolled: 1-line block ×4, first 2 shown]
	v_cmp_neq_f64_e32 vcc, v[6:7], v[4:5]
	v_cmp_class_f64_e64 s[22:23], v[6:7], s28
	s_or_b64 s[22:23], vcc, s[22:23]
	s_and_saveexec_b64 s[24:25], s[22:23]
	s_cbranch_execz .LBB30_53
; %bb.52:
	s_mov_b32 s22, 0x652b82fe
	v_add_f64 v[6:7], v[6:7], -v[4:5]
	s_mov_b32 s23, 0x3ff71547
	v_mul_f64 v[8:9], v[6:7], s[22:23]
	v_rndne_f64_e32 v[8:9], v[8:9]
	s_mov_b32 s27, 0xbfe62e42
	s_mov_b32 s26, 0xfefa39ef
	v_fma_f64 v[24:25], s[26:27], v[8:9], v[6:7]
	s_mov_b32 s29, 0xbc7abc9e
	s_mov_b32 s28, 0x3b39803f
	;; [unrolled: 1-line block ×3, first 2 shown]
	v_fmac_f64_e32 v[24:25], s[28:29], v[8:9]
	v_mov_b32_e32 v26, 0xfca7ab0c
	v_mov_b32_e32 v27, 0x3e928af3
	s_mov_b32 s23, 0x3e5ade15
	v_fmac_f64_e32 v[26:27], s[22:23], v[24:25]
	v_mov_b32_e32 v28, 0x623fde64
	v_mov_b32_e32 v29, 0x3ec71dee
	v_fmac_f64_e32 v[28:29], v[24:25], v[26:27]
	v_mov_b32_e32 v26, 0x7c89e6b0
	v_mov_b32_e32 v27, 0x3efa0199
	;; [unrolled: 3-line block ×8, first 2 shown]
	s_mov_b32 s22, 0
	v_fmac_f64_e32 v[26:27], v[24:25], v[28:29]
	s_mov_b32 s23, 0x40900000
	v_fma_f64 v[26:27], v[24:25], v[26:27], 1.0
	v_cmp_nlt_f64_e32 vcc, s[22:23], v[6:7]
	s_mov_b32 s22, 0
	v_fma_f64 v[24:25], v[24:25], v[26:27], 1.0
	v_cvt_i32_f64_e32 v8, v[8:9]
	s_mov_b32 s23, 0xc090cc00
	v_ldexp_f64 v[8:9], v[24:25], v8
	v_mov_b32_e32 v24, 0x7ff00000
	v_cmp_ngt_f64_e64 s[22:23], s[22:23], v[6:7]
	v_cndmask_b32_e32 v9, v24, v9, vcc
	s_and_b64 vcc, s[22:23], vcc
	v_cndmask_b32_e64 v7, 0, v9, s[22:23]
	v_cndmask_b32_e32 v6, 0, v8, vcc
	v_add_f64 v[8:9], v[6:7], 1.0
	v_add_f64 v[24:25], v[8:9], -1.0
	v_add_f64 v[26:27], v[24:25], -v[8:9]
	v_add_f64 v[26:27], v[26:27], 1.0
	v_add_f64 v[24:25], v[6:7], -v[24:25]
	s_mov_b32 s22, 0x55555555
	v_add_f64 v[24:25], v[24:25], v[26:27]
	v_frexp_mant_f64_e32 v[26:27], v[8:9]
	s_mov_b32 s23, 0x3fe55555
	v_frexp_exp_i32_f64_e32 v28, v[8:9]
	v_cmp_gt_f64_e32 vcc, s[22:23], v[26:27]
	s_mov_b32 s22, 0xbf559e2b
	s_mov_b32 s23, 0x3fc3ab76
	v_subbrev_co_u32_e32 v53, vcc, 0, v28, vcc
	v_sub_u32_e32 v26, 0, v53
	v_ldexp_f64 v[8:9], v[8:9], v26
	v_ldexp_f64 v[24:25], v[24:25], v26
	v_add_f64 v[26:27], v[8:9], -1.0
	v_add_f64 v[32:33], v[8:9], 1.0
	v_add_f64 v[28:29], v[26:27], 1.0
	v_add_f64 v[34:35], v[32:33], -1.0
	v_add_f64 v[28:29], v[8:9], -v[28:29]
	v_add_f64 v[8:9], v[8:9], -v[34:35]
	v_add_f64 v[8:9], v[24:25], v[8:9]
	v_add_f64 v[28:29], v[24:25], v[28:29]
	;; [unrolled: 1-line block ×3, first 2 shown]
	v_rcp_f64_e32 v[34:35], v[24:25]
	v_add_f64 v[30:31], v[26:27], v[28:29]
	v_add_f64 v[26:27], v[30:31], -v[26:27]
	v_add_f64 v[26:27], v[28:29], -v[26:27]
	;; [unrolled: 1-line block ×4, first 2 shown]
	v_fma_f64 v[28:29], -v[24:25], v[34:35], 1.0
	v_fmac_f64_e32 v[34:35], v[28:29], v[34:35]
	v_fma_f64 v[28:29], -v[24:25], v[34:35], 1.0
	v_fmac_f64_e32 v[34:35], v[28:29], v[34:35]
	v_mul_f64 v[28:29], v[30:31], v[34:35]
	v_mul_f64 v[32:33], v[24:25], v[28:29]
	v_fma_f64 v[144:145], v[28:29], v[24:25], -v[32:33]
	v_fmac_f64_e32 v[144:145], v[28:29], v[8:9]
	v_add_f64 v[146:147], v[32:33], v[144:145]
	v_add_f64 v[148:149], v[30:31], -v[146:147]
	v_add_f64 v[30:31], v[30:31], -v[148:149]
	;; [unrolled: 1-line block ×4, first 2 shown]
	v_add_f64 v[26:27], v[26:27], v[30:31]
	v_add_f64 v[30:31], v[32:33], -v[144:145]
	v_add_f64 v[26:27], v[30:31], v[26:27]
	v_add_f64 v[30:31], v[148:149], v[26:27]
	v_add_f64 v[32:33], v[148:149], -v[30:31]
	v_add_f64 v[26:27], v[26:27], v[32:33]
	v_mul_f64 v[32:33], v[34:35], v[30:31]
	v_mul_f64 v[144:145], v[24:25], v[32:33]
	v_fma_f64 v[24:25], v[32:33], v[24:25], -v[144:145]
	v_fmac_f64_e32 v[24:25], v[32:33], v[8:9]
	v_add_f64 v[8:9], v[144:145], v[24:25]
	v_add_f64 v[146:147], v[30:31], -v[8:9]
	v_add_f64 v[30:31], v[30:31], -v[146:147]
	;; [unrolled: 1-line block ×4, first 2 shown]
	v_add_f64 v[8:9], v[26:27], v[8:9]
	v_add_f64 v[24:25], v[144:145], -v[24:25]
	v_add_f64 v[8:9], v[24:25], v[8:9]
	v_add_f64 v[24:25], v[28:29], v[32:33]
	;; [unrolled: 1-line block ×3, first 2 shown]
	v_add_f64 v[26:27], v[24:25], -v[28:29]
	v_mul_f64 v[8:9], v[34:35], v[8:9]
	v_add_f64 v[26:27], v[32:33], -v[26:27]
	v_add_f64 v[8:9], v[26:27], v[8:9]
	v_add_f64 v[26:27], v[24:25], v[8:9]
	v_add_f64 v[24:25], v[26:27], -v[24:25]
	v_add_f64 v[8:9], v[8:9], -v[24:25]
	v_mul_f64 v[24:25], v[26:27], v[26:27]
	v_mov_b32_e32 v28, 0x6b47b09a
	v_mov_b32_e32 v29, 0x3fc38538
	v_fmac_f64_e32 v[28:29], s[22:23], v[24:25]
	v_mov_b32_e32 v30, 0xd7f4df2e
	v_mov_b32_e32 v31, 0x3fc7474d
	v_fmac_f64_e32 v[30:31], v[24:25], v[28:29]
	v_mov_b32_e32 v28, 0x16291751
	v_mov_b32_e32 v29, 0x3fcc71c0
	v_fmac_f64_e32 v[28:29], v[24:25], v[30:31]
	v_mov_b32_e32 v30, 0x9b27acf1
	v_mov_b32_e32 v31, 0x3fd24924
	v_fmac_f64_e32 v[30:31], v[24:25], v[28:29]
	v_mov_b32_e32 v28, 0x998ef7b6
	v_mov_b32_e32 v29, 0x3fd99999
	v_fmac_f64_e32 v[28:29], v[24:25], v[30:31]
	v_mov_b32_e32 v30, 0x55555780
	v_mov_b32_e32 v31, 0x3fe55555
	v_fmac_f64_e32 v[30:31], v[24:25], v[28:29]
	v_cvt_f64_i32_e32 v[28:29], v53
	s_mov_b32 s27, 0x3fe62e42
	v_mul_f64 v[32:33], v[28:29], s[26:27]
	v_fma_f64 v[34:35], v[28:29], s[26:27], -v[32:33]
	s_mov_b32 s29, 0x3c7abc9e
	v_fmac_f64_e32 v[34:35], s[28:29], v[28:29]
	v_add_f64 v[28:29], v[32:33], v[34:35]
	v_add_f64 v[32:33], v[28:29], -v[32:33]
	v_mul_f64 v[24:25], v[26:27], v[24:25]
	v_add_f64 v[32:33], v[34:35], -v[32:33]
	v_ldexp_f64 v[34:35], v[26:27], 1
	v_mul_f64 v[24:25], v[24:25], v[30:31]
	v_add_f64 v[26:27], v[34:35], v[24:25]
	v_add_f64 v[30:31], v[26:27], -v[34:35]
	v_ldexp_f64 v[8:9], v[8:9], 1
	v_add_f64 v[24:25], v[24:25], -v[30:31]
	v_add_f64 v[8:9], v[8:9], v[24:25]
	v_add_f64 v[24:25], v[26:27], v[8:9]
	v_add_f64 v[26:27], v[24:25], -v[26:27]
	v_add_f64 v[8:9], v[8:9], -v[26:27]
	v_add_f64 v[26:27], v[28:29], v[24:25]
	v_add_f64 v[30:31], v[26:27], -v[28:29]
	v_add_f64 v[34:35], v[26:27], -v[30:31]
	;; [unrolled: 1-line block ×4, first 2 shown]
	v_add_f64 v[24:25], v[24:25], v[28:29]
	v_add_f64 v[28:29], v[32:33], v[8:9]
	v_add_f64 v[30:31], v[28:29], -v[32:33]
	v_add_f64 v[24:25], v[28:29], v[24:25]
	v_add_f64 v[34:35], v[28:29], -v[30:31]
	;; [unrolled: 2-line block ×3, first 2 shown]
	v_add_f64 v[8:9], v[8:9], -v[30:31]
	v_add_f64 v[26:27], v[28:29], -v[26:27]
	v_add_f64 v[8:9], v[8:9], v[32:33]
	v_add_f64 v[24:25], v[24:25], -v[26:27]
	s_mov_b32 s22, 0
	v_add_f64 v[8:9], v[8:9], v[24:25]
	s_mov_b32 s23, 0x7ff00000
	v_add_f64 v[8:9], v[28:29], v[8:9]
	v_cmp_eq_f64_e32 vcc, s[22:23], v[6:7]
	v_mov_b32_e32 v24, 0x7ff80000
	s_nop 0
	v_cndmask_b32_e32 v8, v8, v6, vcc
	v_cndmask_b32_e32 v9, v9, v7, vcc
	v_cmp_ngt_f64_e32 vcc, -1.0, v[6:7]
	s_nop 1
	v_cndmask_b32_e32 v9, v24, v9, vcc
	v_cmp_nge_f64_e32 vcc, -1.0, v[6:7]
	v_mov_b32_e32 v24, 0xfff00000
	s_nop 0
	v_cndmask_b32_e32 v8, 0, v8, vcc
	v_cmp_neq_f64_e32 vcc, -1.0, v[6:7]
	s_nop 1
	v_cndmask_b32_e32 v9, v24, v9, vcc
	v_add_f64 v[144:145], v[4:5], v[8:9]
.LBB30_53:
	s_or_b64 exec, exec, s[24:25]
	v_max_f64 v[24:25], v[86:87], v[86:87]
	v_max_f64 v[4:5], v[144:145], v[144:145]
	v_min_f64 v[6:7], v[4:5], v[24:25]
	v_cmp_u_f64_e32 vcc, v[144:145], v[144:145]
	v_max_f64 v[4:5], v[4:5], v[24:25]
	v_cmp_u_f64_e64 s[22:23], v[86:87], v[86:87]
	v_cndmask_b32_e32 v6, v6, v144, vcc
	v_cndmask_b32_e32 v7, v7, v145, vcc
	;; [unrolled: 1-line block ×4, first 2 shown]
	v_cndmask_b32_e64 v7, v7, v87, s[22:23]
	v_cndmask_b32_e64 v6, v6, v86, s[22:23]
	;; [unrolled: 1-line block ×4, first 2 shown]
	s_movk_i32 s34, 0x1f8
	v_cmp_neq_f64_e32 vcc, v[6:7], v[4:5]
	v_cmp_class_f64_e64 s[24:25], v[6:7], s34
	s_or_b64 s[24:25], vcc, s[24:25]
	s_and_saveexec_b64 s[26:27], s[24:25]
	s_cbranch_execz .LBB30_55
; %bb.54:
	s_mov_b32 s24, 0x652b82fe
	v_add_f64 v[6:7], v[6:7], -v[4:5]
	s_mov_b32 s25, 0x3ff71547
	v_mul_f64 v[8:9], v[6:7], s[24:25]
	v_rndne_f64_e32 v[8:9], v[8:9]
	s_mov_b32 s29, 0xbfe62e42
	s_mov_b32 s28, 0xfefa39ef
	v_fma_f64 v[26:27], s[28:29], v[8:9], v[6:7]
	s_mov_b32 s31, 0xbc7abc9e
	s_mov_b32 s30, 0x3b39803f
	;; [unrolled: 1-line block ×3, first 2 shown]
	v_fmac_f64_e32 v[26:27], s[30:31], v[8:9]
	v_mov_b32_e32 v28, 0xfca7ab0c
	v_mov_b32_e32 v29, 0x3e928af3
	s_mov_b32 s25, 0x3e5ade15
	v_fmac_f64_e32 v[28:29], s[24:25], v[26:27]
	v_mov_b32_e32 v30, 0x623fde64
	v_mov_b32_e32 v31, 0x3ec71dee
	v_fmac_f64_e32 v[30:31], v[26:27], v[28:29]
	v_mov_b32_e32 v28, 0x7c89e6b0
	v_mov_b32_e32 v29, 0x3efa0199
	;; [unrolled: 3-line block ×8, first 2 shown]
	s_mov_b32 s24, 0
	v_fmac_f64_e32 v[28:29], v[26:27], v[30:31]
	s_mov_b32 s25, 0x40900000
	v_fma_f64 v[28:29], v[26:27], v[28:29], 1.0
	v_cmp_nlt_f64_e32 vcc, s[24:25], v[6:7]
	s_mov_b32 s24, 0
	v_fma_f64 v[26:27], v[26:27], v[28:29], 1.0
	v_cvt_i32_f64_e32 v8, v[8:9]
	s_mov_b32 s25, 0xc090cc00
	v_ldexp_f64 v[8:9], v[26:27], v8
	v_mov_b32_e32 v26, 0x7ff00000
	v_cmp_ngt_f64_e64 s[24:25], s[24:25], v[6:7]
	v_cndmask_b32_e32 v9, v26, v9, vcc
	s_and_b64 vcc, s[24:25], vcc
	v_cndmask_b32_e64 v7, 0, v9, s[24:25]
	v_cndmask_b32_e32 v6, 0, v8, vcc
	v_add_f64 v[8:9], v[6:7], 1.0
	v_add_f64 v[26:27], v[8:9], -1.0
	v_add_f64 v[28:29], v[26:27], -v[8:9]
	v_add_f64 v[28:29], v[28:29], 1.0
	v_add_f64 v[26:27], v[6:7], -v[26:27]
	s_mov_b32 s24, 0x55555555
	v_add_f64 v[26:27], v[26:27], v[28:29]
	v_frexp_mant_f64_e32 v[28:29], v[8:9]
	s_mov_b32 s25, 0x3fe55555
	v_frexp_exp_i32_f64_e32 v30, v[8:9]
	v_cmp_gt_f64_e32 vcc, s[24:25], v[28:29]
	s_mov_b32 s24, 0xbf559e2b
	s_mov_b32 s25, 0x3fc3ab76
	v_subbrev_co_u32_e32 v53, vcc, 0, v30, vcc
	v_sub_u32_e32 v28, 0, v53
	v_ldexp_f64 v[8:9], v[8:9], v28
	v_ldexp_f64 v[26:27], v[26:27], v28
	v_add_f64 v[28:29], v[8:9], -1.0
	v_add_f64 v[34:35], v[8:9], 1.0
	v_add_f64 v[30:31], v[28:29], 1.0
	v_add_f64 v[144:145], v[34:35], -1.0
	v_add_f64 v[30:31], v[8:9], -v[30:31]
	v_add_f64 v[8:9], v[8:9], -v[144:145]
	v_add_f64 v[8:9], v[26:27], v[8:9]
	v_add_f64 v[30:31], v[26:27], v[30:31]
	;; [unrolled: 1-line block ×3, first 2 shown]
	v_rcp_f64_e32 v[144:145], v[26:27]
	v_add_f64 v[32:33], v[28:29], v[30:31]
	v_add_f64 v[28:29], v[32:33], -v[28:29]
	v_add_f64 v[28:29], v[30:31], -v[28:29]
	;; [unrolled: 1-line block ×4, first 2 shown]
	v_fma_f64 v[30:31], -v[26:27], v[144:145], 1.0
	v_fmac_f64_e32 v[144:145], v[30:31], v[144:145]
	v_fma_f64 v[30:31], -v[26:27], v[144:145], 1.0
	v_fmac_f64_e32 v[144:145], v[30:31], v[144:145]
	v_mul_f64 v[30:31], v[32:33], v[144:145]
	v_mul_f64 v[34:35], v[26:27], v[30:31]
	v_fma_f64 v[146:147], v[30:31], v[26:27], -v[34:35]
	v_fmac_f64_e32 v[146:147], v[30:31], v[8:9]
	v_add_f64 v[148:149], v[34:35], v[146:147]
	v_add_f64 v[150:151], v[32:33], -v[148:149]
	v_add_f64 v[32:33], v[32:33], -v[150:151]
	;; [unrolled: 1-line block ×4, first 2 shown]
	v_add_f64 v[28:29], v[28:29], v[32:33]
	v_add_f64 v[32:33], v[34:35], -v[146:147]
	v_add_f64 v[28:29], v[32:33], v[28:29]
	v_add_f64 v[32:33], v[150:151], v[28:29]
	v_add_f64 v[34:35], v[150:151], -v[32:33]
	v_add_f64 v[28:29], v[28:29], v[34:35]
	v_mul_f64 v[34:35], v[144:145], v[32:33]
	v_mul_f64 v[146:147], v[26:27], v[34:35]
	v_fma_f64 v[26:27], v[34:35], v[26:27], -v[146:147]
	v_fmac_f64_e32 v[26:27], v[34:35], v[8:9]
	v_add_f64 v[8:9], v[146:147], v[26:27]
	v_add_f64 v[148:149], v[32:33], -v[8:9]
	v_add_f64 v[32:33], v[32:33], -v[148:149]
	;; [unrolled: 1-line block ×4, first 2 shown]
	v_add_f64 v[8:9], v[28:29], v[8:9]
	v_add_f64 v[26:27], v[146:147], -v[26:27]
	v_add_f64 v[8:9], v[26:27], v[8:9]
	v_add_f64 v[26:27], v[30:31], v[34:35]
	v_add_f64 v[8:9], v[148:149], v[8:9]
	v_add_f64 v[28:29], v[26:27], -v[30:31]
	v_mul_f64 v[8:9], v[144:145], v[8:9]
	v_add_f64 v[28:29], v[34:35], -v[28:29]
	v_add_f64 v[8:9], v[28:29], v[8:9]
	v_add_f64 v[28:29], v[26:27], v[8:9]
	v_add_f64 v[26:27], v[28:29], -v[26:27]
	v_add_f64 v[8:9], v[8:9], -v[26:27]
	v_mul_f64 v[26:27], v[28:29], v[28:29]
	v_mov_b32_e32 v30, 0x6b47b09a
	v_mov_b32_e32 v31, 0x3fc38538
	v_fmac_f64_e32 v[30:31], s[24:25], v[26:27]
	v_mov_b32_e32 v32, 0xd7f4df2e
	v_mov_b32_e32 v33, 0x3fc7474d
	v_fmac_f64_e32 v[32:33], v[26:27], v[30:31]
	;; [unrolled: 3-line block ×6, first 2 shown]
	v_cvt_f64_i32_e32 v[30:31], v53
	s_mov_b32 s29, 0x3fe62e42
	v_mul_f64 v[34:35], v[30:31], s[28:29]
	v_fma_f64 v[144:145], v[30:31], s[28:29], -v[34:35]
	s_mov_b32 s31, 0x3c7abc9e
	v_fmac_f64_e32 v[144:145], s[30:31], v[30:31]
	v_add_f64 v[30:31], v[34:35], v[144:145]
	v_add_f64 v[34:35], v[30:31], -v[34:35]
	v_mul_f64 v[26:27], v[28:29], v[26:27]
	v_add_f64 v[34:35], v[144:145], -v[34:35]
	v_ldexp_f64 v[144:145], v[28:29], 1
	v_mul_f64 v[26:27], v[26:27], v[32:33]
	v_add_f64 v[28:29], v[144:145], v[26:27]
	v_add_f64 v[32:33], v[28:29], -v[144:145]
	v_ldexp_f64 v[8:9], v[8:9], 1
	v_add_f64 v[26:27], v[26:27], -v[32:33]
	v_add_f64 v[8:9], v[8:9], v[26:27]
	v_add_f64 v[26:27], v[28:29], v[8:9]
	v_add_f64 v[28:29], v[26:27], -v[28:29]
	v_add_f64 v[8:9], v[8:9], -v[28:29]
	v_add_f64 v[28:29], v[30:31], v[26:27]
	v_add_f64 v[32:33], v[28:29], -v[30:31]
	v_add_f64 v[144:145], v[28:29], -v[32:33]
	v_add_f64 v[30:31], v[30:31], -v[144:145]
	v_add_f64 v[26:27], v[26:27], -v[32:33]
	v_add_f64 v[26:27], v[26:27], v[30:31]
	v_add_f64 v[30:31], v[34:35], v[8:9]
	v_add_f64 v[32:33], v[30:31], -v[34:35]
	v_add_f64 v[26:27], v[30:31], v[26:27]
	v_add_f64 v[144:145], v[30:31], -v[32:33]
	;; [unrolled: 2-line block ×3, first 2 shown]
	v_add_f64 v[8:9], v[8:9], -v[32:33]
	v_add_f64 v[28:29], v[30:31], -v[28:29]
	v_add_f64 v[8:9], v[8:9], v[34:35]
	v_add_f64 v[26:27], v[26:27], -v[28:29]
	s_mov_b32 s24, 0
	v_add_f64 v[8:9], v[8:9], v[26:27]
	s_mov_b32 s25, 0x7ff00000
	v_add_f64 v[8:9], v[30:31], v[8:9]
	v_cmp_eq_f64_e32 vcc, s[24:25], v[6:7]
	v_mov_b32_e32 v26, 0x7ff80000
	s_nop 0
	v_cndmask_b32_e32 v8, v8, v6, vcc
	v_cndmask_b32_e32 v9, v9, v7, vcc
	v_cmp_ngt_f64_e32 vcc, -1.0, v[6:7]
	s_nop 1
	v_cndmask_b32_e32 v9, v26, v9, vcc
	v_cmp_nge_f64_e32 vcc, -1.0, v[6:7]
	v_mov_b32_e32 v26, 0xfff00000
	s_nop 0
	v_cndmask_b32_e32 v8, 0, v8, vcc
	v_cmp_neq_f64_e32 vcc, -1.0, v[6:7]
	s_nop 1
	v_cndmask_b32_e32 v9, v26, v9, vcc
	v_add_f64 v[144:145], v[4:5], v[8:9]
.LBB30_55:
	s_or_b64 exec, exec, s[26:27]
	v_max_f64 v[26:27], v[80:81], v[80:81]
	v_max_f64 v[4:5], v[144:145], v[144:145]
	v_min_f64 v[6:7], v[4:5], v[26:27]
	v_cmp_u_f64_e32 vcc, v[144:145], v[144:145]
	v_max_f64 v[4:5], v[4:5], v[26:27]
	v_cmp_u_f64_e64 s[24:25], v[80:81], v[80:81]
	v_cndmask_b32_e32 v6, v6, v144, vcc
	v_cndmask_b32_e32 v7, v7, v145, vcc
	v_cndmask_b32_e32 v4, v4, v144, vcc
	v_cndmask_b32_e32 v5, v5, v145, vcc
	v_cndmask_b32_e64 v7, v7, v81, s[24:25]
	v_cndmask_b32_e64 v6, v6, v80, s[24:25]
	v_cndmask_b32_e64 v5, v5, v81, s[24:25]
	v_cndmask_b32_e64 v4, v4, v80, s[24:25]
	v_cmp_neq_f64_e32 vcc, v[6:7], v[4:5]
	v_cmp_class_f64_e64 s[26:27], v[6:7], s34
	s_or_b64 s[26:27], vcc, s[26:27]
	s_and_saveexec_b64 s[28:29], s[26:27]
	s_cbranch_execz .LBB30_57
; %bb.56:
	s_mov_b32 s26, 0x652b82fe
	v_add_f64 v[6:7], v[6:7], -v[4:5]
	s_mov_b32 s27, 0x3ff71547
	v_mul_f64 v[8:9], v[6:7], s[26:27]
	v_rndne_f64_e32 v[8:9], v[8:9]
	s_mov_b32 s31, 0xbfe62e42
	s_mov_b32 s30, 0xfefa39ef
	v_fma_f64 v[28:29], s[30:31], v[8:9], v[6:7]
	s_mov_b32 s35, 0xbc7abc9e
	s_mov_b32 s34, 0x3b39803f
	s_mov_b32 s26, 0x6a5dcb37
	v_fmac_f64_e32 v[28:29], s[34:35], v[8:9]
	v_mov_b32_e32 v30, 0xfca7ab0c
	v_mov_b32_e32 v31, 0x3e928af3
	s_mov_b32 s27, 0x3e5ade15
	v_fmac_f64_e32 v[30:31], s[26:27], v[28:29]
	v_mov_b32_e32 v32, 0x623fde64
	v_mov_b32_e32 v33, 0x3ec71dee
	v_fmac_f64_e32 v[32:33], v[28:29], v[30:31]
	v_mov_b32_e32 v30, 0x7c89e6b0
	v_mov_b32_e32 v31, 0x3efa0199
	;; [unrolled: 3-line block ×8, first 2 shown]
	s_mov_b32 s26, 0
	v_fmac_f64_e32 v[30:31], v[28:29], v[32:33]
	s_mov_b32 s27, 0x40900000
	v_fma_f64 v[30:31], v[28:29], v[30:31], 1.0
	v_cmp_nlt_f64_e32 vcc, s[26:27], v[6:7]
	s_mov_b32 s26, 0
	v_fma_f64 v[28:29], v[28:29], v[30:31], 1.0
	v_cvt_i32_f64_e32 v8, v[8:9]
	s_mov_b32 s27, 0xc090cc00
	v_ldexp_f64 v[8:9], v[28:29], v8
	v_mov_b32_e32 v28, 0x7ff00000
	v_cmp_ngt_f64_e64 s[26:27], s[26:27], v[6:7]
	v_cndmask_b32_e32 v9, v28, v9, vcc
	s_and_b64 vcc, s[26:27], vcc
	v_cndmask_b32_e64 v7, 0, v9, s[26:27]
	v_cndmask_b32_e32 v6, 0, v8, vcc
	v_add_f64 v[8:9], v[6:7], 1.0
	v_add_f64 v[28:29], v[8:9], -1.0
	v_add_f64 v[30:31], v[28:29], -v[8:9]
	v_add_f64 v[30:31], v[30:31], 1.0
	v_add_f64 v[28:29], v[6:7], -v[28:29]
	s_mov_b32 s26, 0x55555555
	v_add_f64 v[28:29], v[28:29], v[30:31]
	v_frexp_mant_f64_e32 v[30:31], v[8:9]
	s_mov_b32 s27, 0x3fe55555
	v_frexp_exp_i32_f64_e32 v32, v[8:9]
	v_cmp_gt_f64_e32 vcc, s[26:27], v[30:31]
	s_mov_b32 s26, 0xbf559e2b
	s_mov_b32 s27, 0x3fc3ab76
	v_subbrev_co_u32_e32 v53, vcc, 0, v32, vcc
	v_sub_u32_e32 v30, 0, v53
	v_ldexp_f64 v[8:9], v[8:9], v30
	v_ldexp_f64 v[28:29], v[28:29], v30
	v_add_f64 v[30:31], v[8:9], -1.0
	v_add_f64 v[144:145], v[8:9], 1.0
	v_add_f64 v[32:33], v[30:31], 1.0
	v_add_f64 v[146:147], v[144:145], -1.0
	v_add_f64 v[32:33], v[8:9], -v[32:33]
	v_add_f64 v[8:9], v[8:9], -v[146:147]
	v_add_f64 v[8:9], v[28:29], v[8:9]
	v_add_f64 v[32:33], v[28:29], v[32:33]
	;; [unrolled: 1-line block ×3, first 2 shown]
	v_rcp_f64_e32 v[146:147], v[28:29]
	v_add_f64 v[34:35], v[30:31], v[32:33]
	v_add_f64 v[30:31], v[34:35], -v[30:31]
	v_add_f64 v[30:31], v[32:33], -v[30:31]
	;; [unrolled: 1-line block ×4, first 2 shown]
	v_fma_f64 v[32:33], -v[28:29], v[146:147], 1.0
	v_fmac_f64_e32 v[146:147], v[32:33], v[146:147]
	v_fma_f64 v[32:33], -v[28:29], v[146:147], 1.0
	v_fmac_f64_e32 v[146:147], v[32:33], v[146:147]
	v_mul_f64 v[32:33], v[34:35], v[146:147]
	v_mul_f64 v[144:145], v[28:29], v[32:33]
	v_fma_f64 v[148:149], v[32:33], v[28:29], -v[144:145]
	v_fmac_f64_e32 v[148:149], v[32:33], v[8:9]
	v_add_f64 v[150:151], v[144:145], v[148:149]
	v_add_f64 v[160:161], v[34:35], -v[150:151]
	v_add_f64 v[34:35], v[34:35], -v[160:161]
	;; [unrolled: 1-line block ×4, first 2 shown]
	v_add_f64 v[30:31], v[30:31], v[34:35]
	v_add_f64 v[34:35], v[144:145], -v[148:149]
	v_add_f64 v[30:31], v[34:35], v[30:31]
	v_add_f64 v[34:35], v[160:161], v[30:31]
	v_add_f64 v[144:145], v[160:161], -v[34:35]
	v_add_f64 v[30:31], v[30:31], v[144:145]
	v_mul_f64 v[144:145], v[146:147], v[34:35]
	v_mul_f64 v[148:149], v[28:29], v[144:145]
	v_fma_f64 v[28:29], v[144:145], v[28:29], -v[148:149]
	v_fmac_f64_e32 v[28:29], v[144:145], v[8:9]
	v_add_f64 v[8:9], v[148:149], v[28:29]
	v_add_f64 v[150:151], v[34:35], -v[8:9]
	v_add_f64 v[34:35], v[34:35], -v[150:151]
	;; [unrolled: 1-line block ×4, first 2 shown]
	v_add_f64 v[8:9], v[30:31], v[8:9]
	v_add_f64 v[28:29], v[148:149], -v[28:29]
	v_add_f64 v[8:9], v[28:29], v[8:9]
	v_add_f64 v[28:29], v[32:33], v[144:145]
	;; [unrolled: 1-line block ×3, first 2 shown]
	v_add_f64 v[30:31], v[28:29], -v[32:33]
	v_mul_f64 v[8:9], v[146:147], v[8:9]
	v_add_f64 v[30:31], v[144:145], -v[30:31]
	v_add_f64 v[8:9], v[30:31], v[8:9]
	v_add_f64 v[30:31], v[28:29], v[8:9]
	v_add_f64 v[28:29], v[30:31], -v[28:29]
	v_add_f64 v[8:9], v[8:9], -v[28:29]
	v_mul_f64 v[28:29], v[30:31], v[30:31]
	v_mov_b32_e32 v32, 0x6b47b09a
	v_mov_b32_e32 v33, 0x3fc38538
	v_fmac_f64_e32 v[32:33], s[26:27], v[28:29]
	v_mov_b32_e32 v34, 0xd7f4df2e
	v_mov_b32_e32 v35, 0x3fc7474d
	v_fmac_f64_e32 v[34:35], v[28:29], v[32:33]
	;; [unrolled: 3-line block ×6, first 2 shown]
	v_cvt_f64_i32_e32 v[32:33], v53
	s_mov_b32 s31, 0x3fe62e42
	v_mul_f64 v[144:145], v[32:33], s[30:31]
	v_fma_f64 v[146:147], v[32:33], s[30:31], -v[144:145]
	s_mov_b32 s35, 0x3c7abc9e
	v_fmac_f64_e32 v[146:147], s[34:35], v[32:33]
	v_add_f64 v[32:33], v[144:145], v[146:147]
	v_add_f64 v[144:145], v[32:33], -v[144:145]
	v_mul_f64 v[28:29], v[30:31], v[28:29]
	v_add_f64 v[144:145], v[146:147], -v[144:145]
	v_ldexp_f64 v[146:147], v[30:31], 1
	v_mul_f64 v[28:29], v[28:29], v[34:35]
	v_add_f64 v[30:31], v[146:147], v[28:29]
	v_add_f64 v[34:35], v[30:31], -v[146:147]
	v_ldexp_f64 v[8:9], v[8:9], 1
	v_add_f64 v[28:29], v[28:29], -v[34:35]
	v_add_f64 v[8:9], v[8:9], v[28:29]
	v_add_f64 v[28:29], v[30:31], v[8:9]
	v_add_f64 v[30:31], v[28:29], -v[30:31]
	v_add_f64 v[8:9], v[8:9], -v[30:31]
	v_add_f64 v[30:31], v[32:33], v[28:29]
	v_add_f64 v[34:35], v[30:31], -v[32:33]
	v_add_f64 v[146:147], v[30:31], -v[34:35]
	;; [unrolled: 1-line block ×4, first 2 shown]
	v_add_f64 v[28:29], v[28:29], v[32:33]
	v_add_f64 v[32:33], v[144:145], v[8:9]
	v_add_f64 v[34:35], v[32:33], -v[144:145]
	v_add_f64 v[28:29], v[32:33], v[28:29]
	v_add_f64 v[146:147], v[32:33], -v[34:35]
	;; [unrolled: 2-line block ×3, first 2 shown]
	v_add_f64 v[8:9], v[8:9], -v[34:35]
	v_add_f64 v[30:31], v[32:33], -v[30:31]
	v_add_f64 v[8:9], v[8:9], v[144:145]
	v_add_f64 v[28:29], v[28:29], -v[30:31]
	s_mov_b32 s26, 0
	v_add_f64 v[8:9], v[8:9], v[28:29]
	s_mov_b32 s27, 0x7ff00000
	v_add_f64 v[8:9], v[32:33], v[8:9]
	v_cmp_eq_f64_e32 vcc, s[26:27], v[6:7]
	v_mov_b32_e32 v28, 0x7ff80000
	s_nop 0
	v_cndmask_b32_e32 v8, v8, v6, vcc
	v_cndmask_b32_e32 v9, v9, v7, vcc
	v_cmp_ngt_f64_e32 vcc, -1.0, v[6:7]
	s_nop 1
	v_cndmask_b32_e32 v9, v28, v9, vcc
	v_cmp_nge_f64_e32 vcc, -1.0, v[6:7]
	v_mov_b32_e32 v28, 0xfff00000
	s_nop 0
	v_cndmask_b32_e32 v8, 0, v8, vcc
	v_cmp_neq_f64_e32 vcc, -1.0, v[6:7]
	s_nop 1
	v_cndmask_b32_e32 v9, v28, v9, vcc
	v_add_f64 v[144:145], v[4:5], v[8:9]
.LBB30_57:
	s_or_b64 exec, exec, s[28:29]
	v_max_f64 v[28:29], v[82:83], v[82:83]
	v_max_f64 v[4:5], v[144:145], v[144:145]
	v_min_f64 v[6:7], v[4:5], v[28:29]
	v_cmp_u_f64_e32 vcc, v[144:145], v[144:145]
	v_max_f64 v[4:5], v[4:5], v[28:29]
	v_cmp_u_f64_e64 s[26:27], v[82:83], v[82:83]
	v_cndmask_b32_e32 v6, v6, v144, vcc
	v_cndmask_b32_e32 v7, v7, v145, vcc
	;; [unrolled: 1-line block ×4, first 2 shown]
	v_cndmask_b32_e64 v7, v7, v83, s[26:27]
	v_cndmask_b32_e64 v6, v6, v82, s[26:27]
	;; [unrolled: 1-line block ×4, first 2 shown]
	s_movk_i32 s40, 0x1f8
	v_cmp_neq_f64_e32 vcc, v[6:7], v[4:5]
	v_cmp_class_f64_e64 s[28:29], v[6:7], s40
	s_or_b64 s[28:29], vcc, s[28:29]
	s_and_saveexec_b64 s[30:31], s[28:29]
	s_cbranch_execz .LBB30_59
; %bb.58:
	s_mov_b32 s28, 0x652b82fe
	v_add_f64 v[6:7], v[6:7], -v[4:5]
	s_mov_b32 s29, 0x3ff71547
	v_mul_f64 v[8:9], v[6:7], s[28:29]
	v_rndne_f64_e32 v[8:9], v[8:9]
	s_mov_b32 s35, 0xbfe62e42
	s_mov_b32 s34, 0xfefa39ef
	v_fma_f64 v[30:31], s[34:35], v[8:9], v[6:7]
	s_mov_b32 s39, 0xbc7abc9e
	s_mov_b32 s38, 0x3b39803f
	;; [unrolled: 1-line block ×3, first 2 shown]
	v_fmac_f64_e32 v[30:31], s[38:39], v[8:9]
	v_mov_b32_e32 v32, 0xfca7ab0c
	v_mov_b32_e32 v33, 0x3e928af3
	s_mov_b32 s29, 0x3e5ade15
	v_fmac_f64_e32 v[32:33], s[28:29], v[30:31]
	v_mov_b32_e32 v34, 0x623fde64
	v_mov_b32_e32 v35, 0x3ec71dee
	v_fmac_f64_e32 v[34:35], v[30:31], v[32:33]
	v_mov_b32_e32 v32, 0x7c89e6b0
	v_mov_b32_e32 v33, 0x3efa0199
	;; [unrolled: 3-line block ×8, first 2 shown]
	s_mov_b32 s28, 0
	v_fmac_f64_e32 v[32:33], v[30:31], v[34:35]
	s_mov_b32 s29, 0x40900000
	v_fma_f64 v[32:33], v[30:31], v[32:33], 1.0
	v_cmp_nlt_f64_e32 vcc, s[28:29], v[6:7]
	s_mov_b32 s28, 0
	v_fma_f64 v[30:31], v[30:31], v[32:33], 1.0
	v_cvt_i32_f64_e32 v8, v[8:9]
	s_mov_b32 s29, 0xc090cc00
	v_ldexp_f64 v[8:9], v[30:31], v8
	v_mov_b32_e32 v30, 0x7ff00000
	v_cmp_ngt_f64_e64 s[28:29], s[28:29], v[6:7]
	v_cndmask_b32_e32 v9, v30, v9, vcc
	s_and_b64 vcc, s[28:29], vcc
	v_cndmask_b32_e64 v7, 0, v9, s[28:29]
	v_cndmask_b32_e32 v6, 0, v8, vcc
	v_add_f64 v[8:9], v[6:7], 1.0
	v_add_f64 v[30:31], v[8:9], -1.0
	v_add_f64 v[32:33], v[30:31], -v[8:9]
	v_add_f64 v[32:33], v[32:33], 1.0
	v_add_f64 v[30:31], v[6:7], -v[30:31]
	s_mov_b32 s28, 0x55555555
	v_add_f64 v[30:31], v[30:31], v[32:33]
	v_frexp_mant_f64_e32 v[32:33], v[8:9]
	s_mov_b32 s29, 0x3fe55555
	v_frexp_exp_i32_f64_e32 v34, v[8:9]
	v_cmp_gt_f64_e32 vcc, s[28:29], v[32:33]
	s_mov_b32 s28, 0xbf559e2b
	s_mov_b32 s29, 0x3fc3ab76
	v_subbrev_co_u32_e32 v53, vcc, 0, v34, vcc
	v_sub_u32_e32 v32, 0, v53
	v_ldexp_f64 v[8:9], v[8:9], v32
	v_ldexp_f64 v[30:31], v[30:31], v32
	v_add_f64 v[32:33], v[8:9], -1.0
	v_add_f64 v[146:147], v[8:9], 1.0
	v_add_f64 v[34:35], v[32:33], 1.0
	v_add_f64 v[148:149], v[146:147], -1.0
	v_add_f64 v[34:35], v[8:9], -v[34:35]
	v_add_f64 v[8:9], v[8:9], -v[148:149]
	v_add_f64 v[8:9], v[30:31], v[8:9]
	v_add_f64 v[34:35], v[30:31], v[34:35]
	v_add_f64 v[30:31], v[146:147], v[8:9]
	v_rcp_f64_e32 v[148:149], v[30:31]
	v_add_f64 v[144:145], v[32:33], v[34:35]
	v_add_f64 v[32:33], v[144:145], -v[32:33]
	v_add_f64 v[32:33], v[34:35], -v[32:33]
	;; [unrolled: 1-line block ×4, first 2 shown]
	v_fma_f64 v[34:35], -v[30:31], v[148:149], 1.0
	v_fmac_f64_e32 v[148:149], v[34:35], v[148:149]
	v_fma_f64 v[34:35], -v[30:31], v[148:149], 1.0
	v_fmac_f64_e32 v[148:149], v[34:35], v[148:149]
	v_mul_f64 v[34:35], v[144:145], v[148:149]
	v_mul_f64 v[146:147], v[30:31], v[34:35]
	v_fma_f64 v[150:151], v[34:35], v[30:31], -v[146:147]
	v_fmac_f64_e32 v[150:151], v[34:35], v[8:9]
	v_add_f64 v[160:161], v[146:147], v[150:151]
	v_add_f64 v[162:163], v[144:145], -v[160:161]
	v_add_f64 v[144:145], v[144:145], -v[162:163]
	;; [unrolled: 1-line block ×4, first 2 shown]
	v_add_f64 v[32:33], v[32:33], v[144:145]
	v_add_f64 v[144:145], v[146:147], -v[150:151]
	v_add_f64 v[32:33], v[144:145], v[32:33]
	v_add_f64 v[144:145], v[162:163], v[32:33]
	v_add_f64 v[146:147], v[162:163], -v[144:145]
	v_add_f64 v[32:33], v[32:33], v[146:147]
	v_mul_f64 v[146:147], v[148:149], v[144:145]
	v_mul_f64 v[150:151], v[30:31], v[146:147]
	v_fma_f64 v[30:31], v[146:147], v[30:31], -v[150:151]
	v_fmac_f64_e32 v[30:31], v[146:147], v[8:9]
	v_add_f64 v[8:9], v[150:151], v[30:31]
	v_add_f64 v[160:161], v[144:145], -v[8:9]
	v_add_f64 v[144:145], v[144:145], -v[160:161]
	;; [unrolled: 1-line block ×4, first 2 shown]
	v_add_f64 v[8:9], v[32:33], v[8:9]
	v_add_f64 v[30:31], v[150:151], -v[30:31]
	v_add_f64 v[8:9], v[30:31], v[8:9]
	v_add_f64 v[30:31], v[34:35], v[146:147]
	;; [unrolled: 1-line block ×3, first 2 shown]
	v_add_f64 v[32:33], v[30:31], -v[34:35]
	v_mul_f64 v[8:9], v[148:149], v[8:9]
	v_add_f64 v[32:33], v[146:147], -v[32:33]
	v_add_f64 v[8:9], v[32:33], v[8:9]
	v_add_f64 v[32:33], v[30:31], v[8:9]
	v_add_f64 v[30:31], v[32:33], -v[30:31]
	v_add_f64 v[8:9], v[8:9], -v[30:31]
	v_mul_f64 v[30:31], v[32:33], v[32:33]
	v_mov_b32_e32 v34, 0x6b47b09a
	v_mov_b32_e32 v35, 0x3fc38538
	v_fmac_f64_e32 v[34:35], s[28:29], v[30:31]
	v_mov_b32_e32 v144, 0xd7f4df2e
	v_mov_b32_e32 v145, 0x3fc7474d
	v_fmac_f64_e32 v[144:145], v[30:31], v[34:35]
	;; [unrolled: 3-line block ×6, first 2 shown]
	v_cvt_f64_i32_e32 v[34:35], v53
	s_mov_b32 s35, 0x3fe62e42
	v_mul_f64 v[146:147], v[34:35], s[34:35]
	v_fma_f64 v[148:149], v[34:35], s[34:35], -v[146:147]
	s_mov_b32 s39, 0x3c7abc9e
	v_fmac_f64_e32 v[148:149], s[38:39], v[34:35]
	v_add_f64 v[34:35], v[146:147], v[148:149]
	v_add_f64 v[146:147], v[34:35], -v[146:147]
	v_mul_f64 v[30:31], v[32:33], v[30:31]
	v_add_f64 v[146:147], v[148:149], -v[146:147]
	v_ldexp_f64 v[148:149], v[32:33], 1
	v_mul_f64 v[30:31], v[30:31], v[144:145]
	v_add_f64 v[32:33], v[148:149], v[30:31]
	v_add_f64 v[144:145], v[32:33], -v[148:149]
	v_ldexp_f64 v[8:9], v[8:9], 1
	v_add_f64 v[30:31], v[30:31], -v[144:145]
	v_add_f64 v[8:9], v[8:9], v[30:31]
	v_add_f64 v[30:31], v[32:33], v[8:9]
	v_add_f64 v[32:33], v[30:31], -v[32:33]
	v_add_f64 v[8:9], v[8:9], -v[32:33]
	v_add_f64 v[32:33], v[34:35], v[30:31]
	v_add_f64 v[144:145], v[32:33], -v[34:35]
	v_add_f64 v[148:149], v[32:33], -v[144:145]
	;; [unrolled: 1-line block ×4, first 2 shown]
	v_add_f64 v[30:31], v[30:31], v[34:35]
	v_add_f64 v[34:35], v[146:147], v[8:9]
	v_add_f64 v[144:145], v[34:35], -v[146:147]
	v_add_f64 v[30:31], v[34:35], v[30:31]
	v_add_f64 v[148:149], v[34:35], -v[144:145]
	;; [unrolled: 2-line block ×3, first 2 shown]
	v_add_f64 v[8:9], v[8:9], -v[144:145]
	v_add_f64 v[32:33], v[34:35], -v[32:33]
	v_add_f64 v[8:9], v[8:9], v[146:147]
	v_add_f64 v[30:31], v[30:31], -v[32:33]
	s_mov_b32 s28, 0
	v_add_f64 v[8:9], v[8:9], v[30:31]
	s_mov_b32 s29, 0x7ff00000
	v_add_f64 v[8:9], v[34:35], v[8:9]
	v_cmp_eq_f64_e32 vcc, s[28:29], v[6:7]
	v_mov_b32_e32 v30, 0x7ff80000
	s_nop 0
	v_cndmask_b32_e32 v8, v8, v6, vcc
	v_cndmask_b32_e32 v9, v9, v7, vcc
	v_cmp_ngt_f64_e32 vcc, -1.0, v[6:7]
	s_nop 1
	v_cndmask_b32_e32 v9, v30, v9, vcc
	v_cmp_nge_f64_e32 vcc, -1.0, v[6:7]
	v_mov_b32_e32 v30, 0xfff00000
	s_nop 0
	v_cndmask_b32_e32 v8, 0, v8, vcc
	v_cmp_neq_f64_e32 vcc, -1.0, v[6:7]
	s_nop 1
	v_cndmask_b32_e32 v9, v30, v9, vcc
	v_add_f64 v[144:145], v[4:5], v[8:9]
.LBB30_59:
	s_or_b64 exec, exec, s[30:31]
	v_max_f64 v[30:31], v[66:67], v[66:67]
	v_max_f64 v[4:5], v[144:145], v[144:145]
	v_min_f64 v[6:7], v[4:5], v[30:31]
	v_cmp_u_f64_e32 vcc, v[144:145], v[144:145]
	v_max_f64 v[4:5], v[4:5], v[30:31]
	v_cmp_u_f64_e64 s[28:29], v[66:67], v[66:67]
	v_cndmask_b32_e32 v6, v6, v144, vcc
	v_cndmask_b32_e32 v7, v7, v145, vcc
	;; [unrolled: 1-line block ×4, first 2 shown]
	v_cndmask_b32_e64 v7, v7, v67, s[28:29]
	v_cndmask_b32_e64 v6, v6, v66, s[28:29]
	;; [unrolled: 1-line block ×4, first 2 shown]
	v_cmp_neq_f64_e32 vcc, v[6:7], v[4:5]
	v_cmp_class_f64_e64 s[30:31], v[6:7], s40
	s_or_b64 vcc, vcc, s[30:31]
	s_and_saveexec_b64 s[34:35], vcc
	s_cbranch_execz .LBB30_61
; %bb.60:
	s_mov_b32 vcc_lo, 0x652b82fe
	v_add_f64 v[6:7], v[6:7], -v[4:5]
	s_mov_b32 vcc_hi, 0x3ff71547
	v_mul_f64 v[8:9], v[6:7], vcc
	v_rndne_f64_e32 v[8:9], v[8:9]
	s_mov_b32 s39, 0xbfe62e42
	s_mov_b32 s38, 0xfefa39ef
	v_fma_f64 v[32:33], s[38:39], v[8:9], v[6:7]
	s_mov_b32 s41, 0xbc7abc9e
	s_mov_b32 s40, 0x3b39803f
	s_mov_b32 vcc_lo, 0x6a5dcb37
	v_fmac_f64_e32 v[32:33], s[40:41], v[8:9]
	v_mov_b32_e32 v34, 0xfca7ab0c
	v_mov_b32_e32 v35, 0x3e928af3
	s_mov_b32 vcc_hi, 0x3e5ade15
	v_fmac_f64_e32 v[34:35], vcc, v[32:33]
	v_mov_b32_e32 v144, 0x623fde64
	v_mov_b32_e32 v145, 0x3ec71dee
	v_fmac_f64_e32 v[144:145], v[32:33], v[34:35]
	v_mov_b32_e32 v34, 0x7c89e6b0
	v_mov_b32_e32 v35, 0x3efa0199
	v_fmac_f64_e32 v[34:35], v[32:33], v[144:145]
	;; [unrolled: 3-line block ×8, first 2 shown]
	v_fma_f64 v[34:35], v[32:33], v[34:35], 1.0
	s_mov_b32 vcc_lo, 0
	s_mov_b32 s30, 0
	v_fma_f64 v[32:33], v[32:33], v[34:35], 1.0
	v_cvt_i32_f64_e32 v8, v[8:9]
	s_mov_b32 vcc_hi, 0x40900000
	s_mov_b32 s31, 0xc090cc00
	v_ldexp_f64 v[8:9], v[32:33], v8
	v_mov_b32_e32 v32, 0x7ff00000
	v_cmp_nlt_f64_e32 vcc, vcc, v[6:7]
	v_cmp_ngt_f64_e64 s[30:31], s[30:31], v[6:7]
	s_mov_b32 s39, 0x3fe62e42
	v_cndmask_b32_e32 v9, v32, v9, vcc
	s_and_b64 vcc, s[30:31], vcc
	v_cndmask_b32_e64 v7, 0, v9, s[30:31]
	v_cndmask_b32_e32 v6, 0, v8, vcc
	v_add_f64 v[8:9], v[6:7], 1.0
	v_add_f64 v[32:33], v[8:9], -1.0
	v_add_f64 v[34:35], v[32:33], -v[8:9]
	v_add_f64 v[34:35], v[34:35], 1.0
	v_add_f64 v[32:33], v[6:7], -v[32:33]
	s_mov_b32 vcc_lo, 0x55555555
	v_add_f64 v[32:33], v[32:33], v[34:35]
	v_frexp_mant_f64_e32 v[34:35], v[8:9]
	s_mov_b32 vcc_hi, 0x3fe55555
	v_frexp_exp_i32_f64_e32 v53, v[8:9]
	v_cmp_gt_f64_e32 vcc, vcc, v[34:35]
	s_mov_b32 s41, 0x3c7abc9e
	s_nop 0
	v_subbrev_co_u32_e32 v53, vcc, 0, v53, vcc
	v_sub_u32_e32 v34, 0, v53
	v_ldexp_f64 v[8:9], v[8:9], v34
	v_ldexp_f64 v[32:33], v[32:33], v34
	v_add_f64 v[34:35], v[8:9], -1.0
	v_add_f64 v[148:149], v[8:9], 1.0
	v_add_f64 v[144:145], v[34:35], 1.0
	v_add_f64 v[150:151], v[148:149], -1.0
	v_add_f64 v[144:145], v[8:9], -v[144:145]
	v_add_f64 v[8:9], v[8:9], -v[150:151]
	v_add_f64 v[8:9], v[32:33], v[8:9]
	v_add_f64 v[144:145], v[32:33], v[144:145]
	;; [unrolled: 1-line block ×3, first 2 shown]
	v_rcp_f64_e32 v[150:151], v[32:33]
	v_add_f64 v[146:147], v[34:35], v[144:145]
	v_add_f64 v[34:35], v[146:147], -v[34:35]
	v_add_f64 v[34:35], v[144:145], -v[34:35]
	;; [unrolled: 1-line block ×4, first 2 shown]
	v_fma_f64 v[144:145], -v[32:33], v[150:151], 1.0
	v_fmac_f64_e32 v[150:151], v[144:145], v[150:151]
	v_fma_f64 v[144:145], -v[32:33], v[150:151], 1.0
	v_fmac_f64_e32 v[150:151], v[144:145], v[150:151]
	v_mul_f64 v[144:145], v[146:147], v[150:151]
	v_mul_f64 v[148:149], v[32:33], v[144:145]
	v_fma_f64 v[160:161], v[144:145], v[32:33], -v[148:149]
	v_fmac_f64_e32 v[160:161], v[144:145], v[8:9]
	v_add_f64 v[162:163], v[148:149], v[160:161]
	v_add_f64 v[164:165], v[146:147], -v[162:163]
	v_add_f64 v[146:147], v[146:147], -v[164:165]
	;; [unrolled: 1-line block ×4, first 2 shown]
	v_add_f64 v[34:35], v[34:35], v[146:147]
	v_add_f64 v[146:147], v[148:149], -v[160:161]
	v_add_f64 v[34:35], v[146:147], v[34:35]
	v_add_f64 v[146:147], v[164:165], v[34:35]
	v_add_f64 v[148:149], v[164:165], -v[146:147]
	v_add_f64 v[34:35], v[34:35], v[148:149]
	v_mul_f64 v[148:149], v[150:151], v[146:147]
	v_mul_f64 v[160:161], v[32:33], v[148:149]
	v_fma_f64 v[32:33], v[148:149], v[32:33], -v[160:161]
	v_fmac_f64_e32 v[32:33], v[148:149], v[8:9]
	v_add_f64 v[8:9], v[160:161], v[32:33]
	v_add_f64 v[162:163], v[146:147], -v[8:9]
	v_add_f64 v[146:147], v[146:147], -v[162:163]
	v_add_f64 v[160:161], v[8:9], -v[160:161]
	v_add_f64 v[8:9], v[146:147], -v[8:9]
	v_add_f64 v[8:9], v[34:35], v[8:9]
	v_add_f64 v[32:33], v[160:161], -v[32:33]
	v_add_f64 v[8:9], v[32:33], v[8:9]
	v_add_f64 v[32:33], v[144:145], v[148:149]
	;; [unrolled: 1-line block ×3, first 2 shown]
	v_add_f64 v[34:35], v[32:33], -v[144:145]
	v_mul_f64 v[8:9], v[150:151], v[8:9]
	v_add_f64 v[34:35], v[148:149], -v[34:35]
	v_add_f64 v[8:9], v[34:35], v[8:9]
	v_add_f64 v[34:35], v[32:33], v[8:9]
	v_add_f64 v[32:33], v[34:35], -v[32:33]
	s_mov_b32 vcc_lo, 0xbf559e2b
	v_add_f64 v[8:9], v[8:9], -v[32:33]
	v_mul_f64 v[32:33], v[34:35], v[34:35]
	v_mov_b32_e32 v144, 0x6b47b09a
	v_mov_b32_e32 v145, 0x3fc38538
	s_mov_b32 vcc_hi, 0x3fc3ab76
	v_fmac_f64_e32 v[144:145], vcc, v[32:33]
	v_mov_b32_e32 v146, 0xd7f4df2e
	v_mov_b32_e32 v147, 0x3fc7474d
	v_fmac_f64_e32 v[146:147], v[32:33], v[144:145]
	v_mov_b32_e32 v144, 0x16291751
	v_mov_b32_e32 v145, 0x3fcc71c0
	v_fmac_f64_e32 v[144:145], v[32:33], v[146:147]
	;; [unrolled: 3-line block ×5, first 2 shown]
	v_cvt_f64_i32_e32 v[144:145], v53
	v_mul_f64 v[148:149], v[144:145], s[38:39]
	v_fma_f64 v[150:151], v[144:145], s[38:39], -v[148:149]
	v_fmac_f64_e32 v[150:151], s[40:41], v[144:145]
	v_add_f64 v[144:145], v[148:149], v[150:151]
	v_add_f64 v[148:149], v[144:145], -v[148:149]
	v_mul_f64 v[32:33], v[34:35], v[32:33]
	v_add_f64 v[148:149], v[150:151], -v[148:149]
	v_ldexp_f64 v[150:151], v[34:35], 1
	v_mul_f64 v[32:33], v[32:33], v[146:147]
	v_add_f64 v[34:35], v[150:151], v[32:33]
	v_add_f64 v[146:147], v[34:35], -v[150:151]
	v_ldexp_f64 v[8:9], v[8:9], 1
	v_add_f64 v[32:33], v[32:33], -v[146:147]
	v_add_f64 v[8:9], v[8:9], v[32:33]
	v_add_f64 v[32:33], v[34:35], v[8:9]
	v_add_f64 v[34:35], v[32:33], -v[34:35]
	v_add_f64 v[8:9], v[8:9], -v[34:35]
	v_add_f64 v[34:35], v[144:145], v[32:33]
	v_add_f64 v[146:147], v[34:35], -v[144:145]
	v_add_f64 v[150:151], v[34:35], -v[146:147]
	;; [unrolled: 1-line block ×4, first 2 shown]
	v_add_f64 v[32:33], v[32:33], v[144:145]
	v_add_f64 v[144:145], v[148:149], v[8:9]
	v_add_f64 v[146:147], v[144:145], -v[148:149]
	v_add_f64 v[32:33], v[144:145], v[32:33]
	v_add_f64 v[150:151], v[144:145], -v[146:147]
	;; [unrolled: 2-line block ×3, first 2 shown]
	v_add_f64 v[8:9], v[8:9], -v[146:147]
	v_add_f64 v[34:35], v[144:145], -v[34:35]
	v_add_f64 v[8:9], v[8:9], v[148:149]
	v_add_f64 v[32:33], v[32:33], -v[34:35]
	s_mov_b32 vcc_lo, 0
	v_add_f64 v[8:9], v[8:9], v[32:33]
	s_mov_b32 vcc_hi, 0x7ff00000
	v_add_f64 v[8:9], v[144:145], v[8:9]
	v_cmp_eq_f64_e32 vcc, vcc, v[6:7]
	v_mov_b32_e32 v32, 0x7ff80000
	s_nop 0
	v_cndmask_b32_e32 v8, v8, v6, vcc
	v_cndmask_b32_e32 v9, v9, v7, vcc
	v_cmp_ngt_f64_e32 vcc, -1.0, v[6:7]
	s_nop 1
	v_cndmask_b32_e32 v9, v32, v9, vcc
	v_cmp_nge_f64_e32 vcc, -1.0, v[6:7]
	v_mov_b32_e32 v32, 0xfff00000
	s_nop 0
	v_cndmask_b32_e32 v8, 0, v8, vcc
	v_cmp_neq_f64_e32 vcc, -1.0, v[6:7]
	s_nop 1
	v_cndmask_b32_e32 v9, v32, v9, vcc
	v_add_f64 v[144:145], v[4:5], v[8:9]
.LBB30_61:
	s_or_b64 exec, exec, s[34:35]
	v_max_f64 v[32:33], v[68:69], v[68:69]
	v_max_f64 v[4:5], v[144:145], v[144:145]
	v_min_f64 v[6:7], v[4:5], v[32:33]
	v_cmp_u_f64_e32 vcc, v[144:145], v[144:145]
	v_max_f64 v[4:5], v[4:5], v[32:33]
	v_cmp_u_f64_e64 s[30:31], v[68:69], v[68:69]
	v_cndmask_b32_e32 v6, v6, v144, vcc
	v_cndmask_b32_e32 v7, v7, v145, vcc
	;; [unrolled: 1-line block ×4, first 2 shown]
	v_cndmask_b32_e64 v7, v7, v69, s[30:31]
	v_cndmask_b32_e64 v6, v6, v68, s[30:31]
	;; [unrolled: 1-line block ×4, first 2 shown]
	s_movk_i32 s44, 0x1f8
	v_cmp_neq_f64_e32 vcc, v[6:7], v[4:5]
	v_cmp_class_f64_e64 s[34:35], v[6:7], s44
	s_or_b64 vcc, vcc, s[34:35]
	s_and_saveexec_b64 s[38:39], vcc
	s_cbranch_execz .LBB30_63
; %bb.62:
	s_mov_b32 vcc_lo, 0x652b82fe
	v_add_f64 v[6:7], v[6:7], -v[4:5]
	s_mov_b32 vcc_hi, 0x3ff71547
	v_mul_f64 v[8:9], v[6:7], vcc
	v_rndne_f64_e32 v[8:9], v[8:9]
	s_mov_b32 s41, 0xbfe62e42
	s_mov_b32 s40, 0xfefa39ef
	v_fma_f64 v[34:35], s[40:41], v[8:9], v[6:7]
	s_mov_b32 s43, 0xbc7abc9e
	s_mov_b32 s42, 0x3b39803f
	s_mov_b32 vcc_lo, 0x6a5dcb37
	v_fmac_f64_e32 v[34:35], s[42:43], v[8:9]
	v_mov_b32_e32 v144, 0xfca7ab0c
	v_mov_b32_e32 v145, 0x3e928af3
	s_mov_b32 vcc_hi, 0x3e5ade15
	v_fmac_f64_e32 v[144:145], vcc, v[34:35]
	v_mov_b32_e32 v146, 0x623fde64
	v_mov_b32_e32 v147, 0x3ec71dee
	v_fmac_f64_e32 v[146:147], v[34:35], v[144:145]
	v_mov_b32_e32 v144, 0x7c89e6b0
	v_mov_b32_e32 v145, 0x3efa0199
	v_fmac_f64_e32 v[144:145], v[34:35], v[146:147]
	;; [unrolled: 3-line block ×8, first 2 shown]
	v_fma_f64 v[144:145], v[34:35], v[144:145], 1.0
	s_mov_b32 vcc_lo, 0
	s_mov_b32 s34, 0
	v_fma_f64 v[34:35], v[34:35], v[144:145], 1.0
	v_cvt_i32_f64_e32 v8, v[8:9]
	s_mov_b32 vcc_hi, 0x40900000
	s_mov_b32 s35, 0xc090cc00
	v_ldexp_f64 v[8:9], v[34:35], v8
	v_mov_b32_e32 v34, 0x7ff00000
	v_cmp_nlt_f64_e32 vcc, vcc, v[6:7]
	v_cmp_ngt_f64_e64 s[34:35], s[34:35], v[6:7]
	s_mov_b32 s41, 0x3fe62e42
	v_cndmask_b32_e32 v9, v34, v9, vcc
	s_and_b64 vcc, s[34:35], vcc
	v_cndmask_b32_e64 v7, 0, v9, s[34:35]
	v_cndmask_b32_e32 v6, 0, v8, vcc
	v_add_f64 v[8:9], v[6:7], 1.0
	v_add_f64 v[34:35], v[8:9], -1.0
	v_add_f64 v[144:145], v[34:35], -v[8:9]
	v_add_f64 v[144:145], v[144:145], 1.0
	v_add_f64 v[34:35], v[6:7], -v[34:35]
	s_mov_b32 vcc_lo, 0x55555555
	v_add_f64 v[34:35], v[34:35], v[144:145]
	v_frexp_mant_f64_e32 v[144:145], v[8:9]
	s_mov_b32 vcc_hi, 0x3fe55555
	v_frexp_exp_i32_f64_e32 v53, v[8:9]
	v_cmp_gt_f64_e32 vcc, vcc, v[144:145]
	s_mov_b32 s43, 0x3c7abc9e
	s_nop 0
	v_subbrev_co_u32_e32 v53, vcc, 0, v53, vcc
	v_sub_u32_e32 v144, 0, v53
	v_ldexp_f64 v[8:9], v[8:9], v144
	v_ldexp_f64 v[34:35], v[34:35], v144
	v_add_f64 v[144:145], v[8:9], -1.0
	v_add_f64 v[150:151], v[8:9], 1.0
	v_add_f64 v[146:147], v[144:145], 1.0
	v_add_f64 v[160:161], v[150:151], -1.0
	v_add_f64 v[146:147], v[8:9], -v[146:147]
	v_add_f64 v[8:9], v[8:9], -v[160:161]
	v_add_f64 v[8:9], v[34:35], v[8:9]
	v_add_f64 v[146:147], v[34:35], v[146:147]
	;; [unrolled: 1-line block ×3, first 2 shown]
	v_rcp_f64_e32 v[160:161], v[34:35]
	v_add_f64 v[148:149], v[144:145], v[146:147]
	v_add_f64 v[144:145], v[148:149], -v[144:145]
	v_add_f64 v[144:145], v[146:147], -v[144:145]
	;; [unrolled: 1-line block ×4, first 2 shown]
	v_fma_f64 v[146:147], -v[34:35], v[160:161], 1.0
	v_fmac_f64_e32 v[160:161], v[146:147], v[160:161]
	v_fma_f64 v[146:147], -v[34:35], v[160:161], 1.0
	v_fmac_f64_e32 v[160:161], v[146:147], v[160:161]
	v_mul_f64 v[146:147], v[148:149], v[160:161]
	v_mul_f64 v[150:151], v[34:35], v[146:147]
	v_fma_f64 v[162:163], v[146:147], v[34:35], -v[150:151]
	v_fmac_f64_e32 v[162:163], v[146:147], v[8:9]
	v_add_f64 v[164:165], v[150:151], v[162:163]
	v_add_f64 v[166:167], v[148:149], -v[164:165]
	v_add_f64 v[148:149], v[148:149], -v[166:167]
	;; [unrolled: 1-line block ×4, first 2 shown]
	v_add_f64 v[144:145], v[144:145], v[148:149]
	v_add_f64 v[148:149], v[150:151], -v[162:163]
	v_add_f64 v[144:145], v[148:149], v[144:145]
	v_add_f64 v[148:149], v[166:167], v[144:145]
	v_add_f64 v[150:151], v[166:167], -v[148:149]
	v_add_f64 v[144:145], v[144:145], v[150:151]
	v_mul_f64 v[150:151], v[160:161], v[148:149]
	v_mul_f64 v[162:163], v[34:35], v[150:151]
	v_fma_f64 v[34:35], v[150:151], v[34:35], -v[162:163]
	v_fmac_f64_e32 v[34:35], v[150:151], v[8:9]
	v_add_f64 v[8:9], v[162:163], v[34:35]
	v_add_f64 v[164:165], v[148:149], -v[8:9]
	v_add_f64 v[148:149], v[148:149], -v[164:165]
	;; [unrolled: 1-line block ×4, first 2 shown]
	v_add_f64 v[8:9], v[144:145], v[8:9]
	v_add_f64 v[34:35], v[162:163], -v[34:35]
	v_add_f64 v[8:9], v[34:35], v[8:9]
	v_add_f64 v[34:35], v[146:147], v[150:151]
	;; [unrolled: 1-line block ×3, first 2 shown]
	v_add_f64 v[144:145], v[34:35], -v[146:147]
	v_mul_f64 v[8:9], v[160:161], v[8:9]
	v_add_f64 v[144:145], v[150:151], -v[144:145]
	v_add_f64 v[8:9], v[144:145], v[8:9]
	v_add_f64 v[144:145], v[34:35], v[8:9]
	v_add_f64 v[34:35], v[144:145], -v[34:35]
	s_mov_b32 vcc_lo, 0xbf559e2b
	v_add_f64 v[8:9], v[8:9], -v[34:35]
	v_mul_f64 v[34:35], v[144:145], v[144:145]
	v_mov_b32_e32 v146, 0x6b47b09a
	v_mov_b32_e32 v147, 0x3fc38538
	s_mov_b32 vcc_hi, 0x3fc3ab76
	v_fmac_f64_e32 v[146:147], vcc, v[34:35]
	v_mov_b32_e32 v148, 0xd7f4df2e
	v_mov_b32_e32 v149, 0x3fc7474d
	v_fmac_f64_e32 v[148:149], v[34:35], v[146:147]
	v_mov_b32_e32 v146, 0x16291751
	v_mov_b32_e32 v147, 0x3fcc71c0
	v_fmac_f64_e32 v[146:147], v[34:35], v[148:149]
	;; [unrolled: 3-line block ×5, first 2 shown]
	v_cvt_f64_i32_e32 v[146:147], v53
	v_mul_f64 v[150:151], v[146:147], s[40:41]
	v_fma_f64 v[160:161], v[146:147], s[40:41], -v[150:151]
	v_fmac_f64_e32 v[160:161], s[42:43], v[146:147]
	v_add_f64 v[146:147], v[150:151], v[160:161]
	v_add_f64 v[150:151], v[146:147], -v[150:151]
	v_mul_f64 v[34:35], v[144:145], v[34:35]
	v_add_f64 v[150:151], v[160:161], -v[150:151]
	v_ldexp_f64 v[160:161], v[144:145], 1
	v_mul_f64 v[34:35], v[34:35], v[148:149]
	v_add_f64 v[144:145], v[160:161], v[34:35]
	v_add_f64 v[148:149], v[144:145], -v[160:161]
	v_ldexp_f64 v[8:9], v[8:9], 1
	v_add_f64 v[34:35], v[34:35], -v[148:149]
	v_add_f64 v[8:9], v[8:9], v[34:35]
	v_add_f64 v[34:35], v[144:145], v[8:9]
	v_add_f64 v[144:145], v[34:35], -v[144:145]
	v_add_f64 v[8:9], v[8:9], -v[144:145]
	v_add_f64 v[144:145], v[146:147], v[34:35]
	v_add_f64 v[148:149], v[144:145], -v[146:147]
	v_add_f64 v[160:161], v[144:145], -v[148:149]
	v_add_f64 v[146:147], v[146:147], -v[160:161]
	v_add_f64 v[34:35], v[34:35], -v[148:149]
	v_add_f64 v[34:35], v[34:35], v[146:147]
	v_add_f64 v[146:147], v[150:151], v[8:9]
	v_add_f64 v[148:149], v[146:147], -v[150:151]
	v_add_f64 v[34:35], v[146:147], v[34:35]
	v_add_f64 v[160:161], v[146:147], -v[148:149]
	;; [unrolled: 2-line block ×3, first 2 shown]
	v_add_f64 v[8:9], v[8:9], -v[148:149]
	v_add_f64 v[144:145], v[146:147], -v[144:145]
	v_add_f64 v[8:9], v[8:9], v[150:151]
	v_add_f64 v[34:35], v[34:35], -v[144:145]
	s_mov_b32 vcc_lo, 0
	v_add_f64 v[8:9], v[8:9], v[34:35]
	s_mov_b32 vcc_hi, 0x7ff00000
	v_add_f64 v[8:9], v[146:147], v[8:9]
	v_cmp_eq_f64_e32 vcc, vcc, v[6:7]
	v_mov_b32_e32 v34, 0x7ff80000
	s_nop 0
	v_cndmask_b32_e32 v8, v8, v6, vcc
	v_cndmask_b32_e32 v9, v9, v7, vcc
	v_cmp_ngt_f64_e32 vcc, -1.0, v[6:7]
	s_nop 1
	v_cndmask_b32_e32 v9, v34, v9, vcc
	v_cmp_nge_f64_e32 vcc, -1.0, v[6:7]
	v_mov_b32_e32 v34, 0xfff00000
	s_nop 0
	v_cndmask_b32_e32 v8, 0, v8, vcc
	v_cmp_neq_f64_e32 vcc, -1.0, v[6:7]
	s_nop 1
	v_cndmask_b32_e32 v9, v34, v9, vcc
	v_add_f64 v[144:145], v[4:5], v[8:9]
.LBB30_63:
	s_or_b64 exec, exec, s[38:39]
	v_max_f64 v[34:35], v[130:131], v[130:131]
	v_max_f64 v[4:5], v[144:145], v[144:145]
	v_min_f64 v[6:7], v[4:5], v[34:35]
	v_cmp_u_f64_e32 vcc, v[144:145], v[144:145]
	v_max_f64 v[4:5], v[4:5], v[34:35]
	v_cmp_u_f64_e64 s[34:35], v[130:131], v[130:131]
	v_cndmask_b32_e32 v6, v6, v144, vcc
	v_cndmask_b32_e32 v7, v7, v145, vcc
	;; [unrolled: 1-line block ×4, first 2 shown]
	v_cndmask_b32_e64 v7, v7, v131, s[34:35]
	v_cndmask_b32_e64 v6, v6, v130, s[34:35]
	;; [unrolled: 1-line block ×4, first 2 shown]
	v_cmp_neq_f64_e32 vcc, v[6:7], v[4:5]
	v_cmp_class_f64_e64 s[38:39], v[6:7], s44
	s_or_b64 vcc, vcc, s[38:39]
	s_and_saveexec_b64 s[40:41], vcc
	s_cbranch_execz .LBB30_65
; %bb.64:
	s_mov_b32 vcc_lo, 0x652b82fe
	v_add_f64 v[6:7], v[6:7], -v[4:5]
	s_mov_b32 vcc_hi, 0x3ff71547
	v_mul_f64 v[8:9], v[6:7], vcc
	v_rndne_f64_e32 v[8:9], v[8:9]
	s_mov_b32 s43, 0xbfe62e42
	s_mov_b32 s42, 0xfefa39ef
	v_fma_f64 v[144:145], s[42:43], v[8:9], v[6:7]
	s_mov_b32 s45, 0xbc7abc9e
	s_mov_b32 s44, 0x3b39803f
	s_mov_b32 vcc_lo, 0x6a5dcb37
	v_fmac_f64_e32 v[144:145], s[44:45], v[8:9]
	v_mov_b32_e32 v146, 0xfca7ab0c
	v_mov_b32_e32 v147, 0x3e928af3
	s_mov_b32 vcc_hi, 0x3e5ade15
	v_fmac_f64_e32 v[146:147], vcc, v[144:145]
	v_mov_b32_e32 v148, 0x623fde64
	v_mov_b32_e32 v149, 0x3ec71dee
	v_fmac_f64_e32 v[148:149], v[144:145], v[146:147]
	v_mov_b32_e32 v146, 0x7c89e6b0
	v_mov_b32_e32 v147, 0x3efa0199
	v_fmac_f64_e32 v[146:147], v[144:145], v[148:149]
	;; [unrolled: 3-line block ×8, first 2 shown]
	v_fma_f64 v[146:147], v[144:145], v[146:147], 1.0
	s_mov_b32 vcc_lo, 0
	s_mov_b32 s38, 0
	v_fma_f64 v[144:145], v[144:145], v[146:147], 1.0
	v_cvt_i32_f64_e32 v8, v[8:9]
	s_mov_b32 vcc_hi, 0x40900000
	s_mov_b32 s39, 0xc090cc00
	v_ldexp_f64 v[8:9], v[144:145], v8
	v_mov_b32_e32 v53, 0x7ff00000
	v_cmp_nlt_f64_e32 vcc, vcc, v[6:7]
	v_cmp_ngt_f64_e64 s[38:39], s[38:39], v[6:7]
	s_mov_b32 s43, 0x3fe62e42
	v_cndmask_b32_e32 v9, v53, v9, vcc
	s_and_b64 vcc, s[38:39], vcc
	v_cndmask_b32_e64 v7, 0, v9, s[38:39]
	v_cndmask_b32_e32 v6, 0, v8, vcc
	v_add_f64 v[8:9], v[6:7], 1.0
	v_add_f64 v[144:145], v[8:9], -1.0
	v_add_f64 v[146:147], v[144:145], -v[8:9]
	v_add_f64 v[146:147], v[146:147], 1.0
	v_add_f64 v[144:145], v[6:7], -v[144:145]
	s_mov_b32 vcc_lo, 0x55555555
	v_add_f64 v[144:145], v[144:145], v[146:147]
	v_frexp_mant_f64_e32 v[146:147], v[8:9]
	s_mov_b32 vcc_hi, 0x3fe55555
	v_frexp_exp_i32_f64_e32 v53, v[8:9]
	v_cmp_gt_f64_e32 vcc, vcc, v[146:147]
	s_mov_b32 s45, 0x3c7abc9e
	s_nop 0
	v_subbrev_co_u32_e32 v53, vcc, 0, v53, vcc
	v_sub_u32_e32 v146, 0, v53
	v_ldexp_f64 v[8:9], v[8:9], v146
	v_ldexp_f64 v[144:145], v[144:145], v146
	v_add_f64 v[146:147], v[8:9], -1.0
	v_add_f64 v[160:161], v[8:9], 1.0
	v_add_f64 v[148:149], v[146:147], 1.0
	v_add_f64 v[162:163], v[160:161], -1.0
	v_add_f64 v[148:149], v[8:9], -v[148:149]
	v_add_f64 v[8:9], v[8:9], -v[162:163]
	v_add_f64 v[8:9], v[144:145], v[8:9]
	v_add_f64 v[148:149], v[144:145], v[148:149]
	;; [unrolled: 1-line block ×3, first 2 shown]
	v_rcp_f64_e32 v[162:163], v[144:145]
	v_add_f64 v[150:151], v[146:147], v[148:149]
	v_add_f64 v[146:147], v[150:151], -v[146:147]
	v_add_f64 v[146:147], v[148:149], -v[146:147]
	;; [unrolled: 1-line block ×4, first 2 shown]
	v_fma_f64 v[148:149], -v[144:145], v[162:163], 1.0
	v_fmac_f64_e32 v[162:163], v[148:149], v[162:163]
	v_fma_f64 v[148:149], -v[144:145], v[162:163], 1.0
	v_fmac_f64_e32 v[162:163], v[148:149], v[162:163]
	v_mul_f64 v[148:149], v[150:151], v[162:163]
	v_mul_f64 v[160:161], v[144:145], v[148:149]
	v_fma_f64 v[164:165], v[148:149], v[144:145], -v[160:161]
	v_fmac_f64_e32 v[164:165], v[148:149], v[8:9]
	v_add_f64 v[166:167], v[160:161], v[164:165]
	v_add_f64 v[176:177], v[150:151], -v[166:167]
	v_add_f64 v[150:151], v[150:151], -v[176:177]
	v_add_f64 v[160:161], v[166:167], -v[160:161]
	v_add_f64 v[150:151], v[150:151], -v[166:167]
	v_add_f64 v[146:147], v[146:147], v[150:151]
	v_add_f64 v[150:151], v[160:161], -v[164:165]
	v_add_f64 v[146:147], v[150:151], v[146:147]
	v_add_f64 v[150:151], v[176:177], v[146:147]
	v_add_f64 v[160:161], v[176:177], -v[150:151]
	v_add_f64 v[146:147], v[146:147], v[160:161]
	v_mul_f64 v[160:161], v[162:163], v[150:151]
	v_mul_f64 v[164:165], v[144:145], v[160:161]
	v_fma_f64 v[144:145], v[160:161], v[144:145], -v[164:165]
	v_fmac_f64_e32 v[144:145], v[160:161], v[8:9]
	v_add_f64 v[8:9], v[164:165], v[144:145]
	v_add_f64 v[166:167], v[150:151], -v[8:9]
	v_add_f64 v[150:151], v[150:151], -v[166:167]
	;; [unrolled: 1-line block ×4, first 2 shown]
	v_add_f64 v[8:9], v[146:147], v[8:9]
	v_add_f64 v[144:145], v[164:165], -v[144:145]
	v_add_f64 v[8:9], v[144:145], v[8:9]
	v_add_f64 v[144:145], v[148:149], v[160:161]
	;; [unrolled: 1-line block ×3, first 2 shown]
	v_add_f64 v[146:147], v[144:145], -v[148:149]
	v_mul_f64 v[8:9], v[162:163], v[8:9]
	v_add_f64 v[146:147], v[160:161], -v[146:147]
	v_add_f64 v[8:9], v[146:147], v[8:9]
	v_add_f64 v[146:147], v[144:145], v[8:9]
	v_add_f64 v[144:145], v[146:147], -v[144:145]
	s_mov_b32 vcc_lo, 0xbf559e2b
	v_add_f64 v[8:9], v[8:9], -v[144:145]
	v_mul_f64 v[144:145], v[146:147], v[146:147]
	v_mov_b32_e32 v148, 0x6b47b09a
	v_mov_b32_e32 v149, 0x3fc38538
	s_mov_b32 vcc_hi, 0x3fc3ab76
	v_fmac_f64_e32 v[148:149], vcc, v[144:145]
	v_mov_b32_e32 v150, 0xd7f4df2e
	v_mov_b32_e32 v151, 0x3fc7474d
	v_fmac_f64_e32 v[150:151], v[144:145], v[148:149]
	v_mov_b32_e32 v148, 0x16291751
	v_mov_b32_e32 v149, 0x3fcc71c0
	v_fmac_f64_e32 v[148:149], v[144:145], v[150:151]
	;; [unrolled: 3-line block ×5, first 2 shown]
	v_cvt_f64_i32_e32 v[148:149], v53
	v_mul_f64 v[160:161], v[148:149], s[42:43]
	v_fma_f64 v[162:163], v[148:149], s[42:43], -v[160:161]
	v_fmac_f64_e32 v[162:163], s[44:45], v[148:149]
	v_add_f64 v[148:149], v[160:161], v[162:163]
	v_add_f64 v[160:161], v[148:149], -v[160:161]
	v_mul_f64 v[144:145], v[146:147], v[144:145]
	v_add_f64 v[160:161], v[162:163], -v[160:161]
	v_ldexp_f64 v[162:163], v[146:147], 1
	v_mul_f64 v[144:145], v[144:145], v[150:151]
	v_add_f64 v[146:147], v[162:163], v[144:145]
	v_add_f64 v[150:151], v[146:147], -v[162:163]
	v_ldexp_f64 v[8:9], v[8:9], 1
	v_add_f64 v[144:145], v[144:145], -v[150:151]
	v_add_f64 v[8:9], v[8:9], v[144:145]
	v_add_f64 v[144:145], v[146:147], v[8:9]
	v_add_f64 v[146:147], v[144:145], -v[146:147]
	v_add_f64 v[8:9], v[8:9], -v[146:147]
	v_add_f64 v[146:147], v[148:149], v[144:145]
	v_add_f64 v[150:151], v[146:147], -v[148:149]
	v_add_f64 v[162:163], v[146:147], -v[150:151]
	;; [unrolled: 1-line block ×4, first 2 shown]
	v_add_f64 v[144:145], v[144:145], v[148:149]
	v_add_f64 v[148:149], v[160:161], v[8:9]
	v_add_f64 v[150:151], v[148:149], -v[160:161]
	v_add_f64 v[144:145], v[148:149], v[144:145]
	v_add_f64 v[162:163], v[148:149], -v[150:151]
	;; [unrolled: 2-line block ×3, first 2 shown]
	v_add_f64 v[8:9], v[8:9], -v[150:151]
	v_add_f64 v[146:147], v[148:149], -v[146:147]
	v_add_f64 v[8:9], v[8:9], v[160:161]
	v_add_f64 v[144:145], v[144:145], -v[146:147]
	s_mov_b32 vcc_lo, 0
	v_add_f64 v[8:9], v[8:9], v[144:145]
	s_mov_b32 vcc_hi, 0x7ff00000
	v_add_f64 v[8:9], v[148:149], v[8:9]
	v_cmp_eq_f64_e32 vcc, vcc, v[6:7]
	v_mov_b32_e32 v53, 0x7ff80000
	s_nop 0
	v_cndmask_b32_e32 v8, v8, v6, vcc
	v_cndmask_b32_e32 v9, v9, v7, vcc
	v_cmp_ngt_f64_e32 vcc, -1.0, v[6:7]
	s_nop 1
	v_cndmask_b32_e32 v9, v53, v9, vcc
	v_cmp_nge_f64_e32 vcc, -1.0, v[6:7]
	v_mov_b32_e32 v53, 0xfff00000
	s_nop 0
	v_cndmask_b32_e32 v8, 0, v8, vcc
	v_cmp_neq_f64_e32 vcc, -1.0, v[6:7]
	s_nop 1
	v_cndmask_b32_e32 v9, v53, v9, vcc
	v_add_f64 v[144:145], v[4:5], v[8:9]
.LBB30_65:
	s_or_b64 exec, exec, s[40:41]
	v_lshrrev_b32_e32 v4, 5, v70
	v_add_lshl_u32 v4, v4, v70, 3
	v_cmp_gt_u32_e32 vcc, 64, v70
	ds_write_b64 v4, v[144:145]
	s_waitcnt lgkmcnt(0)
	s_barrier
	s_and_saveexec_b64 s[44:45], vcc
	s_cbranch_execz .LBB30_105
; %bb.66:
	v_lshlrev_b32_e32 v4, 2, v70
	v_lshrrev_b32_e32 v5, 3, v70
	v_add_lshl_u32 v53, v5, v4, 3
	ds_read2_b64 v[4:7], v53 offset1:1
	s_movk_i32 s52, 0x1f8
	s_waitcnt lgkmcnt(0)
	v_max_f64 v[146:147], v[6:7], v[6:7]
	v_max_f64 v[8:9], v[4:5], v[4:5]
	v_min_f64 v[148:149], v[8:9], v[146:147]
	v_cmp_u_f64_e64 s[38:39], v[4:5], v[4:5]
	v_max_f64 v[146:147], v[8:9], v[146:147]
	v_cmp_u_f64_e64 s[40:41], v[6:7], v[6:7]
	v_cndmask_b32_e64 v148, v148, v4, s[38:39]
	v_cndmask_b32_e64 v149, v149, v5, s[38:39]
	;; [unrolled: 1-line block ×8, first 2 shown]
	v_cmp_neq_f64_e64 s[40:41], v[148:149], v[146:147]
	v_cmp_class_f64_e64 s[42:43], v[148:149], s52
	s_or_b64 s[40:41], s[40:41], s[42:43]
	v_mov_b64_e32 v[6:7], v[4:5]
	s_and_saveexec_b64 s[46:47], s[40:41]
	s_cbranch_execz .LBB30_68
; %bb.67:
	s_mov_b32 s40, 0x652b82fe
	v_add_f64 v[6:7], v[148:149], -v[146:147]
	s_mov_b32 s41, 0x3ff71547
	v_mul_f64 v[148:149], v[6:7], s[40:41]
	v_rndne_f64_e32 v[148:149], v[148:149]
	s_mov_b32 s49, 0xbfe62e42
	s_mov_b32 s48, 0xfefa39ef
	v_fma_f64 v[150:151], s[48:49], v[148:149], v[6:7]
	s_mov_b32 s51, 0xbc7abc9e
	s_mov_b32 s50, 0x3b39803f
	;; [unrolled: 1-line block ×3, first 2 shown]
	v_fmac_f64_e32 v[150:151], s[50:51], v[148:149]
	v_mov_b32_e32 v160, 0xfca7ab0c
	v_mov_b32_e32 v161, 0x3e928af3
	s_mov_b32 s41, 0x3e5ade15
	v_fmac_f64_e32 v[160:161], s[40:41], v[150:151]
	v_mov_b32_e32 v162, 0x623fde64
	v_mov_b32_e32 v163, 0x3ec71dee
	v_fmac_f64_e32 v[162:163], v[150:151], v[160:161]
	v_mov_b32_e32 v160, 0x7c89e6b0
	v_mov_b32_e32 v161, 0x3efa0199
	v_fmac_f64_e32 v[160:161], v[150:151], v[162:163]
	v_mov_b32_e32 v162, 0x14761f6e
	v_mov_b32_e32 v163, 0x3f2a01a0
	v_fmac_f64_e32 v[162:163], v[150:151], v[160:161]
	v_mov_b32_e32 v160, 0x1852b7b0
	v_mov_b32_e32 v161, 0x3f56c16c
	v_fmac_f64_e32 v[160:161], v[150:151], v[162:163]
	v_mov_b32_e32 v162, 0x11122322
	v_mov_b32_e32 v163, 0x3f811111
	v_fmac_f64_e32 v[162:163], v[150:151], v[160:161]
	v_mov_b32_e32 v160, 0x555502a1
	v_mov_b32_e32 v161, 0x3fa55555
	v_fmac_f64_e32 v[160:161], v[150:151], v[162:163]
	v_mov_b32_e32 v162, 0x55555511
	v_mov_b32_e32 v163, 0x3fc55555
	v_fmac_f64_e32 v[162:163], v[150:151], v[160:161]
	v_mov_b32_e32 v160, 11
	v_mov_b32_e32 v161, 0x3fe00000
	v_fmac_f64_e32 v[160:161], v[150:151], v[162:163]
	v_fma_f64 v[160:161], v[150:151], v[160:161], 1.0
	s_mov_b32 s40, 0
	s_mov_b32 s42, 0
	v_fma_f64 v[150:151], v[150:151], v[160:161], 1.0
	v_cvt_i32_f64_e32 v148, v[148:149]
	s_mov_b32 s41, 0x40900000
	s_mov_b32 s43, 0xc090cc00
	v_ldexp_f64 v[148:149], v[150:151], v148
	v_mov_b32_e32 v150, 0x7ff00000
	v_cmp_nlt_f64_e64 s[40:41], s[40:41], v[6:7]
	v_cmp_ngt_f64_e64 s[42:43], s[42:43], v[6:7]
	s_mov_b32 s49, 0x3fe62e42
	v_cndmask_b32_e64 v149, v150, v149, s[40:41]
	s_and_b64 s[40:41], s[42:43], s[40:41]
	v_cndmask_b32_e64 v7, 0, v149, s[42:43]
	v_cndmask_b32_e64 v6, 0, v148, s[40:41]
	v_add_f64 v[148:149], v[6:7], 1.0
	v_add_f64 v[150:151], v[148:149], -1.0
	v_add_f64 v[160:161], v[150:151], -v[148:149]
	v_add_f64 v[160:161], v[160:161], 1.0
	v_add_f64 v[150:151], v[6:7], -v[150:151]
	s_mov_b32 s40, 0x55555555
	v_add_f64 v[150:151], v[150:151], v[160:161]
	v_frexp_mant_f64_e32 v[160:161], v[148:149]
	s_mov_b32 s41, 0x3fe55555
	v_frexp_exp_i32_f64_e32 v162, v[148:149]
	v_cmp_gt_f64_e64 s[40:41], s[40:41], v[160:161]
	s_mov_b32 s51, 0x3c7abc9e
	s_nop 0
	v_subbrev_co_u32_e64 v192, s[40:41], 0, v162, s[40:41]
	v_sub_u32_e32 v160, 0, v192
	v_ldexp_f64 v[148:149], v[148:149], v160
	v_ldexp_f64 v[150:151], v[150:151], v160
	v_add_f64 v[160:161], v[148:149], -1.0
	v_add_f64 v[166:167], v[148:149], 1.0
	v_add_f64 v[162:163], v[160:161], 1.0
	v_add_f64 v[176:177], v[166:167], -1.0
	v_add_f64 v[162:163], v[148:149], -v[162:163]
	v_add_f64 v[148:149], v[148:149], -v[176:177]
	v_add_f64 v[148:149], v[150:151], v[148:149]
	v_add_f64 v[162:163], v[150:151], v[162:163]
	;; [unrolled: 1-line block ×3, first 2 shown]
	v_rcp_f64_e32 v[176:177], v[150:151]
	v_add_f64 v[164:165], v[160:161], v[162:163]
	v_add_f64 v[160:161], v[164:165], -v[160:161]
	v_add_f64 v[160:161], v[162:163], -v[160:161]
	;; [unrolled: 1-line block ×4, first 2 shown]
	v_fma_f64 v[162:163], -v[150:151], v[176:177], 1.0
	v_fmac_f64_e32 v[176:177], v[162:163], v[176:177]
	v_fma_f64 v[162:163], -v[150:151], v[176:177], 1.0
	v_fmac_f64_e32 v[176:177], v[162:163], v[176:177]
	v_mul_f64 v[162:163], v[164:165], v[176:177]
	v_mul_f64 v[166:167], v[150:151], v[162:163]
	v_fma_f64 v[178:179], v[162:163], v[150:151], -v[166:167]
	v_fmac_f64_e32 v[178:179], v[162:163], v[148:149]
	v_add_f64 v[180:181], v[166:167], v[178:179]
	v_add_f64 v[182:183], v[164:165], -v[180:181]
	v_add_f64 v[164:165], v[164:165], -v[182:183]
	;; [unrolled: 1-line block ×4, first 2 shown]
	v_add_f64 v[160:161], v[160:161], v[164:165]
	v_add_f64 v[164:165], v[166:167], -v[178:179]
	v_add_f64 v[160:161], v[164:165], v[160:161]
	v_add_f64 v[164:165], v[182:183], v[160:161]
	v_add_f64 v[166:167], v[182:183], -v[164:165]
	v_add_f64 v[160:161], v[160:161], v[166:167]
	v_mul_f64 v[166:167], v[176:177], v[164:165]
	v_mul_f64 v[178:179], v[150:151], v[166:167]
	v_fma_f64 v[150:151], v[166:167], v[150:151], -v[178:179]
	v_fmac_f64_e32 v[150:151], v[166:167], v[148:149]
	v_add_f64 v[148:149], v[178:179], v[150:151]
	v_add_f64 v[180:181], v[164:165], -v[148:149]
	v_add_f64 v[164:165], v[164:165], -v[180:181]
	;; [unrolled: 1-line block ×4, first 2 shown]
	v_add_f64 v[148:149], v[160:161], v[148:149]
	v_add_f64 v[150:151], v[178:179], -v[150:151]
	v_add_f64 v[148:149], v[150:151], v[148:149]
	v_add_f64 v[150:151], v[162:163], v[166:167]
	;; [unrolled: 1-line block ×3, first 2 shown]
	v_add_f64 v[160:161], v[150:151], -v[162:163]
	v_mul_f64 v[148:149], v[176:177], v[148:149]
	v_add_f64 v[160:161], v[166:167], -v[160:161]
	v_add_f64 v[148:149], v[160:161], v[148:149]
	v_add_f64 v[160:161], v[150:151], v[148:149]
	v_add_f64 v[150:151], v[160:161], -v[150:151]
	s_mov_b32 s40, 0xbf559e2b
	v_add_f64 v[148:149], v[148:149], -v[150:151]
	v_mul_f64 v[150:151], v[160:161], v[160:161]
	v_mov_b32_e32 v162, 0x6b47b09a
	v_mov_b32_e32 v163, 0x3fc38538
	s_mov_b32 s41, 0x3fc3ab76
	v_fmac_f64_e32 v[162:163], s[40:41], v[150:151]
	v_mov_b32_e32 v164, 0xd7f4df2e
	v_mov_b32_e32 v165, 0x3fc7474d
	v_fmac_f64_e32 v[164:165], v[150:151], v[162:163]
	v_mov_b32_e32 v162, 0x16291751
	v_mov_b32_e32 v163, 0x3fcc71c0
	;; [unrolled: 3-line block ×5, first 2 shown]
	v_fmac_f64_e32 v[164:165], v[150:151], v[162:163]
	v_cvt_f64_i32_e32 v[162:163], v192
	v_mul_f64 v[166:167], v[162:163], s[48:49]
	v_fma_f64 v[176:177], v[162:163], s[48:49], -v[166:167]
	v_fmac_f64_e32 v[176:177], s[50:51], v[162:163]
	v_add_f64 v[162:163], v[166:167], v[176:177]
	v_add_f64 v[166:167], v[162:163], -v[166:167]
	v_mul_f64 v[150:151], v[160:161], v[150:151]
	v_add_f64 v[166:167], v[176:177], -v[166:167]
	v_ldexp_f64 v[176:177], v[160:161], 1
	v_mul_f64 v[150:151], v[150:151], v[164:165]
	v_add_f64 v[160:161], v[176:177], v[150:151]
	v_add_f64 v[164:165], v[160:161], -v[176:177]
	v_ldexp_f64 v[148:149], v[148:149], 1
	v_add_f64 v[150:151], v[150:151], -v[164:165]
	v_add_f64 v[148:149], v[148:149], v[150:151]
	v_add_f64 v[150:151], v[160:161], v[148:149]
	v_add_f64 v[160:161], v[150:151], -v[160:161]
	v_add_f64 v[148:149], v[148:149], -v[160:161]
	v_add_f64 v[160:161], v[162:163], v[150:151]
	v_add_f64 v[164:165], v[160:161], -v[162:163]
	v_add_f64 v[176:177], v[160:161], -v[164:165]
	;; [unrolled: 1-line block ×4, first 2 shown]
	v_add_f64 v[150:151], v[150:151], v[162:163]
	v_add_f64 v[162:163], v[166:167], v[148:149]
	v_add_f64 v[164:165], v[162:163], -v[166:167]
	v_add_f64 v[150:151], v[162:163], v[150:151]
	v_add_f64 v[176:177], v[162:163], -v[164:165]
	;; [unrolled: 2-line block ×3, first 2 shown]
	v_add_f64 v[148:149], v[148:149], -v[164:165]
	v_add_f64 v[160:161], v[162:163], -v[160:161]
	v_add_f64 v[148:149], v[148:149], v[166:167]
	v_add_f64 v[150:151], v[150:151], -v[160:161]
	s_mov_b32 s40, 0
	v_add_f64 v[148:149], v[148:149], v[150:151]
	s_mov_b32 s41, 0x7ff00000
	v_add_f64 v[148:149], v[162:163], v[148:149]
	v_cmp_eq_f64_e64 s[40:41], s[40:41], v[6:7]
	v_mov_b32_e32 v150, 0x7ff80000
	s_nop 0
	v_cndmask_b32_e64 v148, v148, v6, s[40:41]
	v_cndmask_b32_e64 v149, v149, v7, s[40:41]
	v_cmp_ngt_f64_e64 s[40:41], -1.0, v[6:7]
	s_nop 1
	v_cndmask_b32_e64 v149, v150, v149, s[40:41]
	v_cmp_nge_f64_e64 s[40:41], -1.0, v[6:7]
	v_mov_b32_e32 v150, 0xfff00000
	s_nop 0
	v_cndmask_b32_e64 v148, 0, v148, s[40:41]
	v_cmp_neq_f64_e64 s[40:41], -1.0, v[6:7]
	s_nop 1
	v_cndmask_b32_e64 v149, v150, v149, s[40:41]
	v_add_f64 v[6:7], v[146:147], v[148:149]
.LBB30_68:
	s_or_b64 exec, exec, s[46:47]
	ds_read_b64 v[146:147], v53 offset:16
	v_max_f64 v[150:151], v[6:7], v[6:7]
	v_cmp_u_f64_e64 s[40:41], v[6:7], v[6:7]
	s_waitcnt lgkmcnt(0)
	v_max_f64 v[160:161], v[146:147], v[146:147]
	v_min_f64 v[148:149], v[150:151], v[160:161]
	v_max_f64 v[150:151], v[150:151], v[160:161]
	v_cndmask_b32_e64 v148, v148, v6, s[40:41]
	v_cndmask_b32_e64 v149, v149, v7, s[40:41]
	v_cmp_u_f64_e64 s[42:43], v[146:147], v[146:147]
	v_cndmask_b32_e64 v150, v150, v6, s[40:41]
	v_cndmask_b32_e64 v151, v151, v7, s[40:41]
	;; [unrolled: 1-line block ×6, first 2 shown]
	v_cmp_neq_f64_e64 s[40:41], v[148:149], v[146:147]
	v_cmp_class_f64_e64 s[42:43], v[148:149], s52
	s_or_b64 s[40:41], s[40:41], s[42:43]
	s_and_saveexec_b64 s[46:47], s[40:41]
	s_cbranch_execz .LBB30_70
; %bb.69:
	s_mov_b32 s40, 0x652b82fe
	v_add_f64 v[6:7], v[148:149], -v[146:147]
	s_mov_b32 s41, 0x3ff71547
	v_mul_f64 v[148:149], v[6:7], s[40:41]
	v_rndne_f64_e32 v[148:149], v[148:149]
	s_mov_b32 s49, 0xbfe62e42
	s_mov_b32 s48, 0xfefa39ef
	v_fma_f64 v[150:151], s[48:49], v[148:149], v[6:7]
	s_mov_b32 s51, 0xbc7abc9e
	s_mov_b32 s50, 0x3b39803f
	;; [unrolled: 1-line block ×3, first 2 shown]
	v_fmac_f64_e32 v[150:151], s[50:51], v[148:149]
	v_mov_b32_e32 v160, 0xfca7ab0c
	v_mov_b32_e32 v161, 0x3e928af3
	s_mov_b32 s41, 0x3e5ade15
	v_fmac_f64_e32 v[160:161], s[40:41], v[150:151]
	v_mov_b32_e32 v162, 0x623fde64
	v_mov_b32_e32 v163, 0x3ec71dee
	v_fmac_f64_e32 v[162:163], v[150:151], v[160:161]
	v_mov_b32_e32 v160, 0x7c89e6b0
	v_mov_b32_e32 v161, 0x3efa0199
	;; [unrolled: 3-line block ×8, first 2 shown]
	v_fmac_f64_e32 v[160:161], v[150:151], v[162:163]
	v_fma_f64 v[160:161], v[150:151], v[160:161], 1.0
	s_mov_b32 s40, 0
	s_mov_b32 s42, 0
	v_fma_f64 v[150:151], v[150:151], v[160:161], 1.0
	v_cvt_i32_f64_e32 v148, v[148:149]
	s_mov_b32 s41, 0x40900000
	s_mov_b32 s43, 0xc090cc00
	v_ldexp_f64 v[148:149], v[150:151], v148
	v_mov_b32_e32 v150, 0x7ff00000
	v_cmp_nlt_f64_e64 s[40:41], s[40:41], v[6:7]
	v_cmp_ngt_f64_e64 s[42:43], s[42:43], v[6:7]
	s_mov_b32 s49, 0x3fe62e42
	v_cndmask_b32_e64 v149, v150, v149, s[40:41]
	s_and_b64 s[40:41], s[42:43], s[40:41]
	v_cndmask_b32_e64 v7, 0, v149, s[42:43]
	v_cndmask_b32_e64 v6, 0, v148, s[40:41]
	v_add_f64 v[148:149], v[6:7], 1.0
	v_add_f64 v[150:151], v[148:149], -1.0
	v_add_f64 v[160:161], v[150:151], -v[148:149]
	v_add_f64 v[160:161], v[160:161], 1.0
	v_add_f64 v[150:151], v[6:7], -v[150:151]
	s_mov_b32 s40, 0x55555555
	v_add_f64 v[150:151], v[150:151], v[160:161]
	v_frexp_mant_f64_e32 v[160:161], v[148:149]
	s_mov_b32 s41, 0x3fe55555
	v_frexp_exp_i32_f64_e32 v162, v[148:149]
	v_cmp_gt_f64_e64 s[40:41], s[40:41], v[160:161]
	s_mov_b32 s51, 0x3c7abc9e
	s_nop 0
	v_subbrev_co_u32_e64 v192, s[40:41], 0, v162, s[40:41]
	v_sub_u32_e32 v160, 0, v192
	v_ldexp_f64 v[148:149], v[148:149], v160
	v_ldexp_f64 v[150:151], v[150:151], v160
	v_add_f64 v[160:161], v[148:149], -1.0
	v_add_f64 v[166:167], v[148:149], 1.0
	v_add_f64 v[162:163], v[160:161], 1.0
	v_add_f64 v[176:177], v[166:167], -1.0
	v_add_f64 v[162:163], v[148:149], -v[162:163]
	v_add_f64 v[148:149], v[148:149], -v[176:177]
	v_add_f64 v[148:149], v[150:151], v[148:149]
	v_add_f64 v[162:163], v[150:151], v[162:163]
	;; [unrolled: 1-line block ×3, first 2 shown]
	v_rcp_f64_e32 v[176:177], v[150:151]
	v_add_f64 v[164:165], v[160:161], v[162:163]
	v_add_f64 v[160:161], v[164:165], -v[160:161]
	v_add_f64 v[160:161], v[162:163], -v[160:161]
	;; [unrolled: 1-line block ×4, first 2 shown]
	v_fma_f64 v[162:163], -v[150:151], v[176:177], 1.0
	v_fmac_f64_e32 v[176:177], v[162:163], v[176:177]
	v_fma_f64 v[162:163], -v[150:151], v[176:177], 1.0
	v_fmac_f64_e32 v[176:177], v[162:163], v[176:177]
	v_mul_f64 v[162:163], v[164:165], v[176:177]
	v_mul_f64 v[166:167], v[150:151], v[162:163]
	v_fma_f64 v[178:179], v[162:163], v[150:151], -v[166:167]
	v_fmac_f64_e32 v[178:179], v[162:163], v[148:149]
	v_add_f64 v[180:181], v[166:167], v[178:179]
	v_add_f64 v[182:183], v[164:165], -v[180:181]
	v_add_f64 v[164:165], v[164:165], -v[182:183]
	;; [unrolled: 1-line block ×4, first 2 shown]
	v_add_f64 v[160:161], v[160:161], v[164:165]
	v_add_f64 v[164:165], v[166:167], -v[178:179]
	v_add_f64 v[160:161], v[164:165], v[160:161]
	v_add_f64 v[164:165], v[182:183], v[160:161]
	v_add_f64 v[166:167], v[182:183], -v[164:165]
	v_add_f64 v[160:161], v[160:161], v[166:167]
	v_mul_f64 v[166:167], v[176:177], v[164:165]
	v_mul_f64 v[178:179], v[150:151], v[166:167]
	v_fma_f64 v[150:151], v[166:167], v[150:151], -v[178:179]
	v_fmac_f64_e32 v[150:151], v[166:167], v[148:149]
	v_add_f64 v[148:149], v[178:179], v[150:151]
	v_add_f64 v[180:181], v[164:165], -v[148:149]
	v_add_f64 v[164:165], v[164:165], -v[180:181]
	v_add_f64 v[178:179], v[148:149], -v[178:179]
	v_add_f64 v[148:149], v[164:165], -v[148:149]
	v_add_f64 v[148:149], v[160:161], v[148:149]
	v_add_f64 v[150:151], v[178:179], -v[150:151]
	v_add_f64 v[148:149], v[150:151], v[148:149]
	v_add_f64 v[150:151], v[162:163], v[166:167]
	;; [unrolled: 1-line block ×3, first 2 shown]
	v_add_f64 v[160:161], v[150:151], -v[162:163]
	v_mul_f64 v[148:149], v[176:177], v[148:149]
	v_add_f64 v[160:161], v[166:167], -v[160:161]
	v_add_f64 v[148:149], v[160:161], v[148:149]
	v_add_f64 v[160:161], v[150:151], v[148:149]
	v_add_f64 v[150:151], v[160:161], -v[150:151]
	s_mov_b32 s40, 0xbf559e2b
	v_add_f64 v[148:149], v[148:149], -v[150:151]
	v_mul_f64 v[150:151], v[160:161], v[160:161]
	v_mov_b32_e32 v162, 0x6b47b09a
	v_mov_b32_e32 v163, 0x3fc38538
	s_mov_b32 s41, 0x3fc3ab76
	v_fmac_f64_e32 v[162:163], s[40:41], v[150:151]
	v_mov_b32_e32 v164, 0xd7f4df2e
	v_mov_b32_e32 v165, 0x3fc7474d
	v_fmac_f64_e32 v[164:165], v[150:151], v[162:163]
	v_mov_b32_e32 v162, 0x16291751
	v_mov_b32_e32 v163, 0x3fcc71c0
	;; [unrolled: 3-line block ×5, first 2 shown]
	v_fmac_f64_e32 v[164:165], v[150:151], v[162:163]
	v_cvt_f64_i32_e32 v[162:163], v192
	v_mul_f64 v[166:167], v[162:163], s[48:49]
	v_fma_f64 v[176:177], v[162:163], s[48:49], -v[166:167]
	v_fmac_f64_e32 v[176:177], s[50:51], v[162:163]
	v_add_f64 v[162:163], v[166:167], v[176:177]
	v_add_f64 v[166:167], v[162:163], -v[166:167]
	v_mul_f64 v[150:151], v[160:161], v[150:151]
	v_add_f64 v[166:167], v[176:177], -v[166:167]
	v_ldexp_f64 v[176:177], v[160:161], 1
	v_mul_f64 v[150:151], v[150:151], v[164:165]
	v_add_f64 v[160:161], v[176:177], v[150:151]
	v_add_f64 v[164:165], v[160:161], -v[176:177]
	v_ldexp_f64 v[148:149], v[148:149], 1
	v_add_f64 v[150:151], v[150:151], -v[164:165]
	v_add_f64 v[148:149], v[148:149], v[150:151]
	v_add_f64 v[150:151], v[160:161], v[148:149]
	v_add_f64 v[160:161], v[150:151], -v[160:161]
	v_add_f64 v[148:149], v[148:149], -v[160:161]
	v_add_f64 v[160:161], v[162:163], v[150:151]
	v_add_f64 v[164:165], v[160:161], -v[162:163]
	v_add_f64 v[176:177], v[160:161], -v[164:165]
	;; [unrolled: 1-line block ×4, first 2 shown]
	v_add_f64 v[150:151], v[150:151], v[162:163]
	v_add_f64 v[162:163], v[166:167], v[148:149]
	v_add_f64 v[164:165], v[162:163], -v[166:167]
	v_add_f64 v[150:151], v[162:163], v[150:151]
	v_add_f64 v[176:177], v[162:163], -v[164:165]
	v_add_f64 v[162:163], v[160:161], v[150:151]
	v_add_f64 v[166:167], v[166:167], -v[176:177]
	v_add_f64 v[148:149], v[148:149], -v[164:165]
	v_add_f64 v[160:161], v[162:163], -v[160:161]
	v_add_f64 v[148:149], v[148:149], v[166:167]
	v_add_f64 v[150:151], v[150:151], -v[160:161]
	s_mov_b32 s40, 0
	v_add_f64 v[148:149], v[148:149], v[150:151]
	s_mov_b32 s41, 0x7ff00000
	v_add_f64 v[148:149], v[162:163], v[148:149]
	v_cmp_eq_f64_e64 s[40:41], s[40:41], v[6:7]
	v_mov_b32_e32 v150, 0x7ff80000
	s_nop 0
	v_cndmask_b32_e64 v148, v148, v6, s[40:41]
	v_cndmask_b32_e64 v149, v149, v7, s[40:41]
	v_cmp_ngt_f64_e64 s[40:41], -1.0, v[6:7]
	s_nop 1
	v_cndmask_b32_e64 v149, v150, v149, s[40:41]
	v_cmp_nge_f64_e64 s[40:41], -1.0, v[6:7]
	v_mov_b32_e32 v150, 0xfff00000
	s_nop 0
	v_cndmask_b32_e64 v148, 0, v148, s[40:41]
	v_cmp_neq_f64_e64 s[40:41], -1.0, v[6:7]
	s_nop 1
	v_cndmask_b32_e64 v149, v150, v149, s[40:41]
	v_add_f64 v[6:7], v[146:147], v[148:149]
.LBB30_70:
	s_or_b64 exec, exec, s[46:47]
	ds_read_b64 v[146:147], v53 offset:24
	v_max_f64 v[150:151], v[6:7], v[6:7]
	v_cmp_u_f64_e64 s[40:41], v[6:7], v[6:7]
	s_waitcnt lgkmcnt(0)
	v_max_f64 v[160:161], v[146:147], v[146:147]
	v_min_f64 v[148:149], v[150:151], v[160:161]
	v_max_f64 v[150:151], v[150:151], v[160:161]
	v_cndmask_b32_e64 v148, v148, v6, s[40:41]
	v_cndmask_b32_e64 v149, v149, v7, s[40:41]
	v_cmp_u_f64_e64 s[42:43], v[146:147], v[146:147]
	v_cndmask_b32_e64 v150, v150, v6, s[40:41]
	v_cndmask_b32_e64 v151, v151, v7, s[40:41]
	;; [unrolled: 1-line block ×6, first 2 shown]
	s_movk_i32 s42, 0x1f8
	v_cmp_neq_f64_e64 s[40:41], v[148:149], v[146:147]
	v_cmp_class_f64_e64 s[42:43], v[148:149], s42
	s_or_b64 s[40:41], s[40:41], s[42:43]
	s_and_saveexec_b64 s[46:47], s[40:41]
	s_cbranch_execz .LBB30_72
; %bb.71:
	s_mov_b32 s40, 0x652b82fe
	v_add_f64 v[6:7], v[148:149], -v[146:147]
	s_mov_b32 s41, 0x3ff71547
	v_mul_f64 v[148:149], v[6:7], s[40:41]
	v_rndne_f64_e32 v[148:149], v[148:149]
	s_mov_b32 s49, 0xbfe62e42
	s_mov_b32 s48, 0xfefa39ef
	v_fma_f64 v[150:151], s[48:49], v[148:149], v[6:7]
	s_mov_b32 s51, 0xbc7abc9e
	s_mov_b32 s50, 0x3b39803f
	;; [unrolled: 1-line block ×3, first 2 shown]
	v_fmac_f64_e32 v[150:151], s[50:51], v[148:149]
	v_mov_b32_e32 v160, 0xfca7ab0c
	v_mov_b32_e32 v161, 0x3e928af3
	s_mov_b32 s41, 0x3e5ade15
	v_fmac_f64_e32 v[160:161], s[40:41], v[150:151]
	v_mov_b32_e32 v162, 0x623fde64
	v_mov_b32_e32 v163, 0x3ec71dee
	v_fmac_f64_e32 v[162:163], v[150:151], v[160:161]
	v_mov_b32_e32 v160, 0x7c89e6b0
	v_mov_b32_e32 v161, 0x3efa0199
	;; [unrolled: 3-line block ×8, first 2 shown]
	v_fmac_f64_e32 v[160:161], v[150:151], v[162:163]
	v_fma_f64 v[160:161], v[150:151], v[160:161], 1.0
	s_mov_b32 s40, 0
	s_mov_b32 s42, 0
	v_fma_f64 v[150:151], v[150:151], v[160:161], 1.0
	v_cvt_i32_f64_e32 v148, v[148:149]
	s_mov_b32 s41, 0x40900000
	s_mov_b32 s43, 0xc090cc00
	v_ldexp_f64 v[148:149], v[150:151], v148
	v_mov_b32_e32 v150, 0x7ff00000
	v_cmp_nlt_f64_e64 s[40:41], s[40:41], v[6:7]
	v_cmp_ngt_f64_e64 s[42:43], s[42:43], v[6:7]
	s_mov_b32 s49, 0x3fe62e42
	v_cndmask_b32_e64 v149, v150, v149, s[40:41]
	s_and_b64 s[40:41], s[42:43], s[40:41]
	v_cndmask_b32_e64 v7, 0, v149, s[42:43]
	v_cndmask_b32_e64 v6, 0, v148, s[40:41]
	v_add_f64 v[148:149], v[6:7], 1.0
	v_add_f64 v[150:151], v[148:149], -1.0
	v_add_f64 v[160:161], v[150:151], -v[148:149]
	v_add_f64 v[160:161], v[160:161], 1.0
	v_add_f64 v[150:151], v[6:7], -v[150:151]
	s_mov_b32 s40, 0x55555555
	v_add_f64 v[150:151], v[150:151], v[160:161]
	v_frexp_mant_f64_e32 v[160:161], v[148:149]
	s_mov_b32 s41, 0x3fe55555
	v_frexp_exp_i32_f64_e32 v162, v[148:149]
	v_cmp_gt_f64_e64 s[40:41], s[40:41], v[160:161]
	s_mov_b32 s51, 0x3c7abc9e
	s_nop 0
	v_subbrev_co_u32_e64 v192, s[40:41], 0, v162, s[40:41]
	v_sub_u32_e32 v160, 0, v192
	v_ldexp_f64 v[148:149], v[148:149], v160
	v_ldexp_f64 v[150:151], v[150:151], v160
	v_add_f64 v[160:161], v[148:149], -1.0
	v_add_f64 v[166:167], v[148:149], 1.0
	v_add_f64 v[162:163], v[160:161], 1.0
	v_add_f64 v[176:177], v[166:167], -1.0
	v_add_f64 v[162:163], v[148:149], -v[162:163]
	v_add_f64 v[148:149], v[148:149], -v[176:177]
	v_add_f64 v[148:149], v[150:151], v[148:149]
	v_add_f64 v[162:163], v[150:151], v[162:163]
	;; [unrolled: 1-line block ×3, first 2 shown]
	v_rcp_f64_e32 v[176:177], v[150:151]
	v_add_f64 v[164:165], v[160:161], v[162:163]
	v_add_f64 v[160:161], v[164:165], -v[160:161]
	v_add_f64 v[160:161], v[162:163], -v[160:161]
	;; [unrolled: 1-line block ×4, first 2 shown]
	v_fma_f64 v[162:163], -v[150:151], v[176:177], 1.0
	v_fmac_f64_e32 v[176:177], v[162:163], v[176:177]
	v_fma_f64 v[162:163], -v[150:151], v[176:177], 1.0
	v_fmac_f64_e32 v[176:177], v[162:163], v[176:177]
	v_mul_f64 v[162:163], v[164:165], v[176:177]
	v_mul_f64 v[166:167], v[150:151], v[162:163]
	v_fma_f64 v[178:179], v[162:163], v[150:151], -v[166:167]
	v_fmac_f64_e32 v[178:179], v[162:163], v[148:149]
	v_add_f64 v[180:181], v[166:167], v[178:179]
	v_add_f64 v[182:183], v[164:165], -v[180:181]
	v_add_f64 v[164:165], v[164:165], -v[182:183]
	;; [unrolled: 1-line block ×4, first 2 shown]
	v_add_f64 v[160:161], v[160:161], v[164:165]
	v_add_f64 v[164:165], v[166:167], -v[178:179]
	v_add_f64 v[160:161], v[164:165], v[160:161]
	v_add_f64 v[164:165], v[182:183], v[160:161]
	v_add_f64 v[166:167], v[182:183], -v[164:165]
	v_add_f64 v[160:161], v[160:161], v[166:167]
	v_mul_f64 v[166:167], v[176:177], v[164:165]
	v_mul_f64 v[178:179], v[150:151], v[166:167]
	v_fma_f64 v[150:151], v[166:167], v[150:151], -v[178:179]
	v_fmac_f64_e32 v[150:151], v[166:167], v[148:149]
	v_add_f64 v[148:149], v[178:179], v[150:151]
	v_add_f64 v[180:181], v[164:165], -v[148:149]
	v_add_f64 v[164:165], v[164:165], -v[180:181]
	;; [unrolled: 1-line block ×4, first 2 shown]
	v_add_f64 v[148:149], v[160:161], v[148:149]
	v_add_f64 v[150:151], v[178:179], -v[150:151]
	v_add_f64 v[148:149], v[150:151], v[148:149]
	v_add_f64 v[150:151], v[162:163], v[166:167]
	;; [unrolled: 1-line block ×3, first 2 shown]
	v_add_f64 v[160:161], v[150:151], -v[162:163]
	v_mul_f64 v[148:149], v[176:177], v[148:149]
	v_add_f64 v[160:161], v[166:167], -v[160:161]
	v_add_f64 v[148:149], v[160:161], v[148:149]
	v_add_f64 v[160:161], v[150:151], v[148:149]
	v_add_f64 v[150:151], v[160:161], -v[150:151]
	s_mov_b32 s40, 0xbf559e2b
	v_add_f64 v[148:149], v[148:149], -v[150:151]
	v_mul_f64 v[150:151], v[160:161], v[160:161]
	v_mov_b32_e32 v162, 0x6b47b09a
	v_mov_b32_e32 v163, 0x3fc38538
	s_mov_b32 s41, 0x3fc3ab76
	v_fmac_f64_e32 v[162:163], s[40:41], v[150:151]
	v_mov_b32_e32 v164, 0xd7f4df2e
	v_mov_b32_e32 v165, 0x3fc7474d
	v_fmac_f64_e32 v[164:165], v[150:151], v[162:163]
	v_mov_b32_e32 v162, 0x16291751
	v_mov_b32_e32 v163, 0x3fcc71c0
	;; [unrolled: 3-line block ×5, first 2 shown]
	v_fmac_f64_e32 v[164:165], v[150:151], v[162:163]
	v_cvt_f64_i32_e32 v[162:163], v192
	v_mul_f64 v[166:167], v[162:163], s[48:49]
	v_fma_f64 v[176:177], v[162:163], s[48:49], -v[166:167]
	v_fmac_f64_e32 v[176:177], s[50:51], v[162:163]
	v_add_f64 v[162:163], v[166:167], v[176:177]
	v_add_f64 v[166:167], v[162:163], -v[166:167]
	v_mul_f64 v[150:151], v[160:161], v[150:151]
	v_add_f64 v[166:167], v[176:177], -v[166:167]
	v_ldexp_f64 v[176:177], v[160:161], 1
	v_mul_f64 v[150:151], v[150:151], v[164:165]
	v_add_f64 v[160:161], v[176:177], v[150:151]
	v_add_f64 v[164:165], v[160:161], -v[176:177]
	v_ldexp_f64 v[148:149], v[148:149], 1
	v_add_f64 v[150:151], v[150:151], -v[164:165]
	v_add_f64 v[148:149], v[148:149], v[150:151]
	v_add_f64 v[150:151], v[160:161], v[148:149]
	v_add_f64 v[160:161], v[150:151], -v[160:161]
	v_add_f64 v[148:149], v[148:149], -v[160:161]
	v_add_f64 v[160:161], v[162:163], v[150:151]
	v_add_f64 v[164:165], v[160:161], -v[162:163]
	v_add_f64 v[176:177], v[160:161], -v[164:165]
	;; [unrolled: 1-line block ×4, first 2 shown]
	v_add_f64 v[150:151], v[150:151], v[162:163]
	v_add_f64 v[162:163], v[166:167], v[148:149]
	v_add_f64 v[164:165], v[162:163], -v[166:167]
	v_add_f64 v[150:151], v[162:163], v[150:151]
	v_add_f64 v[176:177], v[162:163], -v[164:165]
	;; [unrolled: 2-line block ×3, first 2 shown]
	v_add_f64 v[148:149], v[148:149], -v[164:165]
	v_add_f64 v[160:161], v[162:163], -v[160:161]
	v_add_f64 v[148:149], v[148:149], v[166:167]
	v_add_f64 v[150:151], v[150:151], -v[160:161]
	s_mov_b32 s40, 0
	v_add_f64 v[148:149], v[148:149], v[150:151]
	s_mov_b32 s41, 0x7ff00000
	v_add_f64 v[148:149], v[162:163], v[148:149]
	v_cmp_eq_f64_e64 s[40:41], s[40:41], v[6:7]
	v_mov_b32_e32 v150, 0x7ff80000
	s_nop 0
	v_cndmask_b32_e64 v148, v148, v6, s[40:41]
	v_cndmask_b32_e64 v149, v149, v7, s[40:41]
	v_cmp_ngt_f64_e64 s[40:41], -1.0, v[6:7]
	s_nop 1
	v_cndmask_b32_e64 v149, v150, v149, s[40:41]
	v_cmp_nge_f64_e64 s[40:41], -1.0, v[6:7]
	v_mov_b32_e32 v150, 0xfff00000
	s_nop 0
	v_cndmask_b32_e64 v148, 0, v148, s[40:41]
	v_cmp_neq_f64_e64 s[40:41], -1.0, v[6:7]
	s_nop 1
	v_cndmask_b32_e64 v149, v150, v149, s[40:41]
	v_add_f64 v[6:7], v[146:147], v[148:149]
.LBB30_72:
	s_or_b64 exec, exec, s[46:47]
	v_mbcnt_lo_u32_b32 v146, -1, 0
	v_mbcnt_hi_u32_b32 v150, -1, v146
	v_and_b32_e32 v151, 15, v150
	v_mov_b32_dpp v146, v6 row_shr:1 row_mask:0xf bank_mask:0xf
	v_mov_b32_dpp v147, v7 row_shr:1 row_mask:0xf bank_mask:0xf
	v_cmp_ne_u32_e64 s[40:41], 0, v151
	v_mov_b32_e32 v148, v6
	v_mov_b32_e32 v149, v7
	s_and_saveexec_b64 s[42:43], s[40:41]
	s_xor_b64 s[46:47], exec, s[42:43]
	s_cbranch_execz .LBB30_76
; %bb.73:
	v_max_f64 v[160:161], v[146:147], v[146:147]
	v_max_f64 v[162:163], v[6:7], v[6:7]
	v_min_f64 v[148:149], v[160:161], v[162:163]
	v_cmp_u_f64_e64 s[40:41], v[146:147], v[146:147]
	v_max_f64 v[160:161], v[160:161], v[162:163]
	v_cmp_u_f64_e64 s[42:43], v[6:7], v[6:7]
	v_cndmask_b32_e64 v148, v148, v146, s[40:41]
	v_cndmask_b32_e64 v149, v149, v147, s[40:41]
	;; [unrolled: 1-line block ×8, first 2 shown]
	s_movk_i32 s42, 0x1f8
	v_cmp_neq_f64_e64 s[40:41], v[148:149], v[6:7]
	v_cmp_class_f64_e64 s[42:43], v[148:149], s42
	s_or_b64 s[40:41], s[40:41], s[42:43]
	s_and_saveexec_b64 s[48:49], s[40:41]
	s_cbranch_execz .LBB30_75
; %bb.74:
	s_mov_b32 s40, 0x652b82fe
	v_add_f64 v[146:147], v[148:149], -v[6:7]
	s_mov_b32 s41, 0x3ff71547
	v_mul_f64 v[148:149], v[146:147], s[40:41]
	v_rndne_f64_e32 v[148:149], v[148:149]
	s_mov_b32 s51, 0xbfe62e42
	s_mov_b32 s50, 0xfefa39ef
	v_fma_f64 v[160:161], s[50:51], v[148:149], v[146:147]
	s_mov_b32 s53, 0xbc7abc9e
	s_mov_b32 s52, 0x3b39803f
	;; [unrolled: 1-line block ×3, first 2 shown]
	v_fmac_f64_e32 v[160:161], s[52:53], v[148:149]
	v_mov_b32_e32 v162, 0xfca7ab0c
	v_mov_b32_e32 v163, 0x3e928af3
	s_mov_b32 s41, 0x3e5ade15
	v_fmac_f64_e32 v[162:163], s[40:41], v[160:161]
	v_mov_b32_e32 v164, 0x623fde64
	v_mov_b32_e32 v165, 0x3ec71dee
	v_fmac_f64_e32 v[164:165], v[160:161], v[162:163]
	v_mov_b32_e32 v162, 0x7c89e6b0
	v_mov_b32_e32 v163, 0x3efa0199
	v_fmac_f64_e32 v[162:163], v[160:161], v[164:165]
	v_mov_b32_e32 v164, 0x14761f6e
	v_mov_b32_e32 v165, 0x3f2a01a0
	v_fmac_f64_e32 v[164:165], v[160:161], v[162:163]
	v_mov_b32_e32 v162, 0x1852b7b0
	v_mov_b32_e32 v163, 0x3f56c16c
	v_fmac_f64_e32 v[162:163], v[160:161], v[164:165]
	v_mov_b32_e32 v164, 0x11122322
	v_mov_b32_e32 v165, 0x3f811111
	v_fmac_f64_e32 v[164:165], v[160:161], v[162:163]
	v_mov_b32_e32 v162, 0x555502a1
	v_mov_b32_e32 v163, 0x3fa55555
	v_fmac_f64_e32 v[162:163], v[160:161], v[164:165]
	v_mov_b32_e32 v164, 0x55555511
	v_mov_b32_e32 v165, 0x3fc55555
	v_fmac_f64_e32 v[164:165], v[160:161], v[162:163]
	v_mov_b32_e32 v162, 11
	v_mov_b32_e32 v163, 0x3fe00000
	v_fmac_f64_e32 v[162:163], v[160:161], v[164:165]
	v_fma_f64 v[162:163], v[160:161], v[162:163], 1.0
	s_mov_b32 s40, 0
	s_mov_b32 s42, 0
	v_fma_f64 v[160:161], v[160:161], v[162:163], 1.0
	v_cvt_i32_f64_e32 v148, v[148:149]
	s_mov_b32 s41, 0x40900000
	s_mov_b32 s43, 0xc090cc00
	v_ldexp_f64 v[148:149], v[160:161], v148
	v_mov_b32_e32 v160, 0x7ff00000
	v_cmp_nlt_f64_e64 s[40:41], s[40:41], v[146:147]
	v_cmp_ngt_f64_e64 s[42:43], s[42:43], v[146:147]
	s_mov_b32 s51, 0x3fe62e42
	v_cndmask_b32_e64 v149, v160, v149, s[40:41]
	s_and_b64 s[40:41], s[42:43], s[40:41]
	v_cndmask_b32_e64 v147, 0, v149, s[42:43]
	v_cndmask_b32_e64 v146, 0, v148, s[40:41]
	v_add_f64 v[148:149], v[146:147], 1.0
	v_add_f64 v[160:161], v[148:149], -1.0
	v_add_f64 v[162:163], v[160:161], -v[148:149]
	v_add_f64 v[162:163], v[162:163], 1.0
	v_add_f64 v[160:161], v[146:147], -v[160:161]
	s_mov_b32 s40, 0x55555555
	v_add_f64 v[160:161], v[160:161], v[162:163]
	v_frexp_mant_f64_e32 v[162:163], v[148:149]
	s_mov_b32 s41, 0x3fe55555
	v_frexp_exp_i32_f64_e32 v164, v[148:149]
	v_cmp_gt_f64_e64 s[40:41], s[40:41], v[162:163]
	s_mov_b32 s53, 0x3c7abc9e
	s_nop 0
	v_subbrev_co_u32_e64 v194, s[40:41], 0, v164, s[40:41]
	v_sub_u32_e32 v162, 0, v194
	v_ldexp_f64 v[148:149], v[148:149], v162
	v_ldexp_f64 v[160:161], v[160:161], v162
	v_add_f64 v[162:163], v[148:149], -1.0
	v_add_f64 v[176:177], v[148:149], 1.0
	v_add_f64 v[164:165], v[162:163], 1.0
	v_add_f64 v[178:179], v[176:177], -1.0
	v_add_f64 v[164:165], v[148:149], -v[164:165]
	v_add_f64 v[148:149], v[148:149], -v[178:179]
	v_add_f64 v[148:149], v[160:161], v[148:149]
	v_add_f64 v[164:165], v[160:161], v[164:165]
	;; [unrolled: 1-line block ×3, first 2 shown]
	v_rcp_f64_e32 v[178:179], v[160:161]
	v_add_f64 v[166:167], v[162:163], v[164:165]
	v_add_f64 v[162:163], v[166:167], -v[162:163]
	v_add_f64 v[162:163], v[164:165], -v[162:163]
	;; [unrolled: 1-line block ×4, first 2 shown]
	v_fma_f64 v[164:165], -v[160:161], v[178:179], 1.0
	v_fmac_f64_e32 v[178:179], v[164:165], v[178:179]
	v_fma_f64 v[164:165], -v[160:161], v[178:179], 1.0
	v_fmac_f64_e32 v[178:179], v[164:165], v[178:179]
	v_mul_f64 v[164:165], v[166:167], v[178:179]
	v_mul_f64 v[176:177], v[160:161], v[164:165]
	v_fma_f64 v[180:181], v[164:165], v[160:161], -v[176:177]
	v_fmac_f64_e32 v[180:181], v[164:165], v[148:149]
	v_add_f64 v[182:183], v[176:177], v[180:181]
	v_add_f64 v[192:193], v[166:167], -v[182:183]
	v_add_f64 v[166:167], v[166:167], -v[192:193]
	v_add_f64 v[176:177], v[182:183], -v[176:177]
	v_add_f64 v[166:167], v[166:167], -v[182:183]
	v_add_f64 v[162:163], v[162:163], v[166:167]
	v_add_f64 v[166:167], v[176:177], -v[180:181]
	v_add_f64 v[162:163], v[166:167], v[162:163]
	v_add_f64 v[166:167], v[192:193], v[162:163]
	v_add_f64 v[176:177], v[192:193], -v[166:167]
	v_add_f64 v[162:163], v[162:163], v[176:177]
	v_mul_f64 v[176:177], v[178:179], v[166:167]
	v_mul_f64 v[180:181], v[160:161], v[176:177]
	v_fma_f64 v[160:161], v[176:177], v[160:161], -v[180:181]
	v_fmac_f64_e32 v[160:161], v[176:177], v[148:149]
	v_add_f64 v[148:149], v[180:181], v[160:161]
	v_add_f64 v[182:183], v[166:167], -v[148:149]
	v_add_f64 v[166:167], v[166:167], -v[182:183]
	;; [unrolled: 1-line block ×4, first 2 shown]
	v_add_f64 v[148:149], v[162:163], v[148:149]
	v_add_f64 v[160:161], v[180:181], -v[160:161]
	v_add_f64 v[148:149], v[160:161], v[148:149]
	v_add_f64 v[160:161], v[164:165], v[176:177]
	;; [unrolled: 1-line block ×3, first 2 shown]
	v_add_f64 v[162:163], v[160:161], -v[164:165]
	v_mul_f64 v[148:149], v[178:179], v[148:149]
	v_add_f64 v[162:163], v[176:177], -v[162:163]
	v_add_f64 v[148:149], v[162:163], v[148:149]
	v_add_f64 v[162:163], v[160:161], v[148:149]
	v_add_f64 v[160:161], v[162:163], -v[160:161]
	s_mov_b32 s40, 0xbf559e2b
	v_add_f64 v[148:149], v[148:149], -v[160:161]
	v_mul_f64 v[160:161], v[162:163], v[162:163]
	v_mov_b32_e32 v164, 0x6b47b09a
	v_mov_b32_e32 v165, 0x3fc38538
	s_mov_b32 s41, 0x3fc3ab76
	v_fmac_f64_e32 v[164:165], s[40:41], v[160:161]
	v_mov_b32_e32 v166, 0xd7f4df2e
	v_mov_b32_e32 v167, 0x3fc7474d
	v_fmac_f64_e32 v[166:167], v[160:161], v[164:165]
	v_mov_b32_e32 v164, 0x16291751
	v_mov_b32_e32 v165, 0x3fcc71c0
	;; [unrolled: 3-line block ×5, first 2 shown]
	v_fmac_f64_e32 v[166:167], v[160:161], v[164:165]
	v_cvt_f64_i32_e32 v[164:165], v194
	v_mul_f64 v[176:177], v[164:165], s[50:51]
	v_fma_f64 v[178:179], v[164:165], s[50:51], -v[176:177]
	v_fmac_f64_e32 v[178:179], s[52:53], v[164:165]
	v_add_f64 v[164:165], v[176:177], v[178:179]
	v_add_f64 v[176:177], v[164:165], -v[176:177]
	v_mul_f64 v[160:161], v[162:163], v[160:161]
	v_add_f64 v[176:177], v[178:179], -v[176:177]
	v_ldexp_f64 v[178:179], v[162:163], 1
	v_mul_f64 v[160:161], v[160:161], v[166:167]
	v_add_f64 v[162:163], v[178:179], v[160:161]
	v_add_f64 v[166:167], v[162:163], -v[178:179]
	v_ldexp_f64 v[148:149], v[148:149], 1
	v_add_f64 v[160:161], v[160:161], -v[166:167]
	v_add_f64 v[148:149], v[148:149], v[160:161]
	v_add_f64 v[160:161], v[162:163], v[148:149]
	v_add_f64 v[162:163], v[160:161], -v[162:163]
	v_add_f64 v[148:149], v[148:149], -v[162:163]
	v_add_f64 v[162:163], v[164:165], v[160:161]
	v_add_f64 v[166:167], v[162:163], -v[164:165]
	v_add_f64 v[178:179], v[162:163], -v[166:167]
	;; [unrolled: 1-line block ×4, first 2 shown]
	v_add_f64 v[160:161], v[160:161], v[164:165]
	v_add_f64 v[164:165], v[176:177], v[148:149]
	v_add_f64 v[166:167], v[164:165], -v[176:177]
	v_add_f64 v[160:161], v[164:165], v[160:161]
	v_add_f64 v[178:179], v[164:165], -v[166:167]
	;; [unrolled: 2-line block ×3, first 2 shown]
	v_add_f64 v[148:149], v[148:149], -v[166:167]
	v_add_f64 v[162:163], v[164:165], -v[162:163]
	v_add_f64 v[148:149], v[148:149], v[176:177]
	v_add_f64 v[160:161], v[160:161], -v[162:163]
	s_mov_b32 s40, 0
	v_add_f64 v[148:149], v[148:149], v[160:161]
	s_mov_b32 s41, 0x7ff00000
	v_add_f64 v[148:149], v[164:165], v[148:149]
	v_cmp_eq_f64_e64 s[40:41], s[40:41], v[146:147]
	v_mov_b32_e32 v160, 0x7ff80000
	s_nop 0
	v_cndmask_b32_e64 v148, v148, v146, s[40:41]
	v_cndmask_b32_e64 v149, v149, v147, s[40:41]
	v_cmp_ngt_f64_e64 s[40:41], -1.0, v[146:147]
	s_nop 1
	v_cndmask_b32_e64 v149, v160, v149, s[40:41]
	v_cmp_nge_f64_e64 s[40:41], -1.0, v[146:147]
	v_mov_b32_e32 v160, 0xfff00000
	s_nop 0
	v_cndmask_b32_e64 v148, 0, v148, s[40:41]
	v_cmp_neq_f64_e64 s[40:41], -1.0, v[146:147]
	s_nop 1
	v_cndmask_b32_e64 v149, v160, v149, s[40:41]
	v_add_f64 v[146:147], v[6:7], v[148:149]
.LBB30_75:
	s_or_b64 exec, exec, s[48:49]
	v_mov_b32_e32 v148, v146
	v_mov_b32_e32 v149, v147
	v_mov_b64_e32 v[6:7], v[146:147]
.LBB30_76:
	s_or_b64 exec, exec, s[46:47]
	v_mov_b32_dpp v146, v148 row_shr:2 row_mask:0xf bank_mask:0xf
	v_mov_b32_dpp v147, v149 row_shr:2 row_mask:0xf bank_mask:0xf
	v_cmp_lt_u32_e64 s[40:41], 1, v151
	s_and_saveexec_b64 s[46:47], s[40:41]
	s_cbranch_execz .LBB30_80
; %bb.77:
	v_max_f64 v[160:161], v[146:147], v[146:147]
	v_max_f64 v[162:163], v[6:7], v[6:7]
	v_min_f64 v[148:149], v[160:161], v[162:163]
	v_cmp_u_f64_e64 s[40:41], v[146:147], v[146:147]
	v_max_f64 v[160:161], v[160:161], v[162:163]
	v_cmp_u_f64_e64 s[42:43], v[6:7], v[6:7]
	v_cndmask_b32_e64 v148, v148, v146, s[40:41]
	v_cndmask_b32_e64 v149, v149, v147, s[40:41]
	;; [unrolled: 1-line block ×8, first 2 shown]
	s_movk_i32 s42, 0x1f8
	v_cmp_neq_f64_e64 s[40:41], v[148:149], v[6:7]
	v_cmp_class_f64_e64 s[42:43], v[148:149], s42
	s_or_b64 s[40:41], s[40:41], s[42:43]
	s_and_saveexec_b64 s[48:49], s[40:41]
	s_cbranch_execz .LBB30_79
; %bb.78:
	s_mov_b32 s40, 0x652b82fe
	v_add_f64 v[146:147], v[148:149], -v[6:7]
	s_mov_b32 s41, 0x3ff71547
	v_mul_f64 v[148:149], v[146:147], s[40:41]
	v_rndne_f64_e32 v[148:149], v[148:149]
	s_mov_b32 s51, 0xbfe62e42
	s_mov_b32 s50, 0xfefa39ef
	v_fma_f64 v[160:161], s[50:51], v[148:149], v[146:147]
	s_mov_b32 s53, 0xbc7abc9e
	s_mov_b32 s52, 0x3b39803f
	;; [unrolled: 1-line block ×3, first 2 shown]
	v_fmac_f64_e32 v[160:161], s[52:53], v[148:149]
	v_mov_b32_e32 v162, 0xfca7ab0c
	v_mov_b32_e32 v163, 0x3e928af3
	s_mov_b32 s41, 0x3e5ade15
	v_fmac_f64_e32 v[162:163], s[40:41], v[160:161]
	v_mov_b32_e32 v164, 0x623fde64
	v_mov_b32_e32 v165, 0x3ec71dee
	v_fmac_f64_e32 v[164:165], v[160:161], v[162:163]
	v_mov_b32_e32 v162, 0x7c89e6b0
	v_mov_b32_e32 v163, 0x3efa0199
	;; [unrolled: 3-line block ×8, first 2 shown]
	v_fmac_f64_e32 v[162:163], v[160:161], v[164:165]
	v_fma_f64 v[162:163], v[160:161], v[162:163], 1.0
	s_mov_b32 s40, 0
	s_mov_b32 s42, 0
	v_fma_f64 v[160:161], v[160:161], v[162:163], 1.0
	v_cvt_i32_f64_e32 v148, v[148:149]
	s_mov_b32 s41, 0x40900000
	s_mov_b32 s43, 0xc090cc00
	v_ldexp_f64 v[148:149], v[160:161], v148
	v_mov_b32_e32 v160, 0x7ff00000
	v_cmp_nlt_f64_e64 s[40:41], s[40:41], v[146:147]
	v_cmp_ngt_f64_e64 s[42:43], s[42:43], v[146:147]
	s_mov_b32 s51, 0x3fe62e42
	v_cndmask_b32_e64 v149, v160, v149, s[40:41]
	s_and_b64 s[40:41], s[42:43], s[40:41]
	v_cndmask_b32_e64 v147, 0, v149, s[42:43]
	v_cndmask_b32_e64 v146, 0, v148, s[40:41]
	v_add_f64 v[148:149], v[146:147], 1.0
	v_add_f64 v[160:161], v[148:149], -1.0
	v_add_f64 v[162:163], v[160:161], -v[148:149]
	v_add_f64 v[162:163], v[162:163], 1.0
	v_add_f64 v[160:161], v[146:147], -v[160:161]
	s_mov_b32 s40, 0x55555555
	v_add_f64 v[160:161], v[160:161], v[162:163]
	v_frexp_mant_f64_e32 v[162:163], v[148:149]
	s_mov_b32 s41, 0x3fe55555
	v_frexp_exp_i32_f64_e32 v164, v[148:149]
	v_cmp_gt_f64_e64 s[40:41], s[40:41], v[162:163]
	s_mov_b32 s53, 0x3c7abc9e
	s_nop 0
	v_subbrev_co_u32_e64 v194, s[40:41], 0, v164, s[40:41]
	v_sub_u32_e32 v162, 0, v194
	v_ldexp_f64 v[148:149], v[148:149], v162
	v_ldexp_f64 v[160:161], v[160:161], v162
	v_add_f64 v[162:163], v[148:149], -1.0
	v_add_f64 v[176:177], v[148:149], 1.0
	v_add_f64 v[164:165], v[162:163], 1.0
	v_add_f64 v[178:179], v[176:177], -1.0
	v_add_f64 v[164:165], v[148:149], -v[164:165]
	v_add_f64 v[148:149], v[148:149], -v[178:179]
	v_add_f64 v[148:149], v[160:161], v[148:149]
	v_add_f64 v[164:165], v[160:161], v[164:165]
	;; [unrolled: 1-line block ×3, first 2 shown]
	v_rcp_f64_e32 v[178:179], v[160:161]
	v_add_f64 v[166:167], v[162:163], v[164:165]
	v_add_f64 v[162:163], v[166:167], -v[162:163]
	v_add_f64 v[162:163], v[164:165], -v[162:163]
	;; [unrolled: 1-line block ×4, first 2 shown]
	v_fma_f64 v[164:165], -v[160:161], v[178:179], 1.0
	v_fmac_f64_e32 v[178:179], v[164:165], v[178:179]
	v_fma_f64 v[164:165], -v[160:161], v[178:179], 1.0
	v_fmac_f64_e32 v[178:179], v[164:165], v[178:179]
	v_mul_f64 v[164:165], v[166:167], v[178:179]
	v_mul_f64 v[176:177], v[160:161], v[164:165]
	v_fma_f64 v[180:181], v[164:165], v[160:161], -v[176:177]
	v_fmac_f64_e32 v[180:181], v[164:165], v[148:149]
	v_add_f64 v[182:183], v[176:177], v[180:181]
	v_add_f64 v[192:193], v[166:167], -v[182:183]
	v_add_f64 v[166:167], v[166:167], -v[192:193]
	;; [unrolled: 1-line block ×4, first 2 shown]
	v_add_f64 v[162:163], v[162:163], v[166:167]
	v_add_f64 v[166:167], v[176:177], -v[180:181]
	v_add_f64 v[162:163], v[166:167], v[162:163]
	v_add_f64 v[166:167], v[192:193], v[162:163]
	v_add_f64 v[176:177], v[192:193], -v[166:167]
	v_add_f64 v[162:163], v[162:163], v[176:177]
	v_mul_f64 v[176:177], v[178:179], v[166:167]
	v_mul_f64 v[180:181], v[160:161], v[176:177]
	v_fma_f64 v[160:161], v[176:177], v[160:161], -v[180:181]
	v_fmac_f64_e32 v[160:161], v[176:177], v[148:149]
	v_add_f64 v[148:149], v[180:181], v[160:161]
	v_add_f64 v[182:183], v[166:167], -v[148:149]
	v_add_f64 v[166:167], v[166:167], -v[182:183]
	;; [unrolled: 1-line block ×4, first 2 shown]
	v_add_f64 v[148:149], v[162:163], v[148:149]
	v_add_f64 v[160:161], v[180:181], -v[160:161]
	v_add_f64 v[148:149], v[160:161], v[148:149]
	v_add_f64 v[160:161], v[164:165], v[176:177]
	;; [unrolled: 1-line block ×3, first 2 shown]
	v_add_f64 v[162:163], v[160:161], -v[164:165]
	v_mul_f64 v[148:149], v[178:179], v[148:149]
	v_add_f64 v[162:163], v[176:177], -v[162:163]
	v_add_f64 v[148:149], v[162:163], v[148:149]
	v_add_f64 v[162:163], v[160:161], v[148:149]
	v_add_f64 v[160:161], v[162:163], -v[160:161]
	s_mov_b32 s40, 0xbf559e2b
	v_add_f64 v[148:149], v[148:149], -v[160:161]
	v_mul_f64 v[160:161], v[162:163], v[162:163]
	v_mov_b32_e32 v164, 0x6b47b09a
	v_mov_b32_e32 v165, 0x3fc38538
	s_mov_b32 s41, 0x3fc3ab76
	v_fmac_f64_e32 v[164:165], s[40:41], v[160:161]
	v_mov_b32_e32 v166, 0xd7f4df2e
	v_mov_b32_e32 v167, 0x3fc7474d
	v_fmac_f64_e32 v[166:167], v[160:161], v[164:165]
	v_mov_b32_e32 v164, 0x16291751
	v_mov_b32_e32 v165, 0x3fcc71c0
	;; [unrolled: 3-line block ×5, first 2 shown]
	v_fmac_f64_e32 v[166:167], v[160:161], v[164:165]
	v_cvt_f64_i32_e32 v[164:165], v194
	v_mul_f64 v[176:177], v[164:165], s[50:51]
	v_fma_f64 v[178:179], v[164:165], s[50:51], -v[176:177]
	v_fmac_f64_e32 v[178:179], s[52:53], v[164:165]
	v_add_f64 v[164:165], v[176:177], v[178:179]
	v_add_f64 v[176:177], v[164:165], -v[176:177]
	v_mul_f64 v[160:161], v[162:163], v[160:161]
	v_add_f64 v[176:177], v[178:179], -v[176:177]
	v_ldexp_f64 v[178:179], v[162:163], 1
	v_mul_f64 v[160:161], v[160:161], v[166:167]
	v_add_f64 v[162:163], v[178:179], v[160:161]
	v_add_f64 v[166:167], v[162:163], -v[178:179]
	v_ldexp_f64 v[148:149], v[148:149], 1
	v_add_f64 v[160:161], v[160:161], -v[166:167]
	v_add_f64 v[148:149], v[148:149], v[160:161]
	v_add_f64 v[160:161], v[162:163], v[148:149]
	v_add_f64 v[162:163], v[160:161], -v[162:163]
	v_add_f64 v[148:149], v[148:149], -v[162:163]
	v_add_f64 v[162:163], v[164:165], v[160:161]
	v_add_f64 v[166:167], v[162:163], -v[164:165]
	v_add_f64 v[178:179], v[162:163], -v[166:167]
	;; [unrolled: 1-line block ×4, first 2 shown]
	v_add_f64 v[160:161], v[160:161], v[164:165]
	v_add_f64 v[164:165], v[176:177], v[148:149]
	v_add_f64 v[166:167], v[164:165], -v[176:177]
	v_add_f64 v[160:161], v[164:165], v[160:161]
	v_add_f64 v[178:179], v[164:165], -v[166:167]
	;; [unrolled: 2-line block ×3, first 2 shown]
	v_add_f64 v[148:149], v[148:149], -v[166:167]
	v_add_f64 v[162:163], v[164:165], -v[162:163]
	v_add_f64 v[148:149], v[148:149], v[176:177]
	v_add_f64 v[160:161], v[160:161], -v[162:163]
	s_mov_b32 s40, 0
	v_add_f64 v[148:149], v[148:149], v[160:161]
	s_mov_b32 s41, 0x7ff00000
	v_add_f64 v[148:149], v[164:165], v[148:149]
	v_cmp_eq_f64_e64 s[40:41], s[40:41], v[146:147]
	v_mov_b32_e32 v160, 0x7ff80000
	s_nop 0
	v_cndmask_b32_e64 v148, v148, v146, s[40:41]
	v_cndmask_b32_e64 v149, v149, v147, s[40:41]
	v_cmp_ngt_f64_e64 s[40:41], -1.0, v[146:147]
	s_nop 1
	v_cndmask_b32_e64 v149, v160, v149, s[40:41]
	v_cmp_nge_f64_e64 s[40:41], -1.0, v[146:147]
	v_mov_b32_e32 v160, 0xfff00000
	s_nop 0
	v_cndmask_b32_e64 v148, 0, v148, s[40:41]
	v_cmp_neq_f64_e64 s[40:41], -1.0, v[146:147]
	s_nop 1
	v_cndmask_b32_e64 v149, v160, v149, s[40:41]
	v_add_f64 v[146:147], v[6:7], v[148:149]
.LBB30_79:
	s_or_b64 exec, exec, s[48:49]
	v_mov_b64_e32 v[6:7], v[146:147]
	v_mov_b32_e32 v148, v146
	v_mov_b32_e32 v149, v147
.LBB30_80:
	s_or_b64 exec, exec, s[46:47]
	v_mov_b32_dpp v146, v148 row_shr:4 row_mask:0xf bank_mask:0xf
	v_mov_b32_dpp v147, v149 row_shr:4 row_mask:0xf bank_mask:0xf
	v_cmp_lt_u32_e64 s[40:41], 3, v151
	s_and_saveexec_b64 s[46:47], s[40:41]
	s_cbranch_execz .LBB30_84
; %bb.81:
	v_max_f64 v[160:161], v[146:147], v[146:147]
	v_max_f64 v[162:163], v[6:7], v[6:7]
	v_min_f64 v[148:149], v[160:161], v[162:163]
	v_cmp_u_f64_e64 s[40:41], v[146:147], v[146:147]
	v_max_f64 v[160:161], v[160:161], v[162:163]
	v_cmp_u_f64_e64 s[42:43], v[6:7], v[6:7]
	v_cndmask_b32_e64 v148, v148, v146, s[40:41]
	v_cndmask_b32_e64 v149, v149, v147, s[40:41]
	;; [unrolled: 1-line block ×8, first 2 shown]
	s_movk_i32 s42, 0x1f8
	v_cmp_neq_f64_e64 s[40:41], v[148:149], v[6:7]
	v_cmp_class_f64_e64 s[42:43], v[148:149], s42
	s_or_b64 s[40:41], s[40:41], s[42:43]
	s_and_saveexec_b64 s[48:49], s[40:41]
	s_cbranch_execz .LBB30_83
; %bb.82:
	s_mov_b32 s40, 0x652b82fe
	v_add_f64 v[146:147], v[148:149], -v[6:7]
	s_mov_b32 s41, 0x3ff71547
	v_mul_f64 v[148:149], v[146:147], s[40:41]
	v_rndne_f64_e32 v[148:149], v[148:149]
	s_mov_b32 s51, 0xbfe62e42
	s_mov_b32 s50, 0xfefa39ef
	v_fma_f64 v[160:161], s[50:51], v[148:149], v[146:147]
	s_mov_b32 s53, 0xbc7abc9e
	s_mov_b32 s52, 0x3b39803f
	;; [unrolled: 1-line block ×3, first 2 shown]
	v_fmac_f64_e32 v[160:161], s[52:53], v[148:149]
	v_mov_b32_e32 v162, 0xfca7ab0c
	v_mov_b32_e32 v163, 0x3e928af3
	s_mov_b32 s41, 0x3e5ade15
	v_fmac_f64_e32 v[162:163], s[40:41], v[160:161]
	v_mov_b32_e32 v164, 0x623fde64
	v_mov_b32_e32 v165, 0x3ec71dee
	v_fmac_f64_e32 v[164:165], v[160:161], v[162:163]
	v_mov_b32_e32 v162, 0x7c89e6b0
	v_mov_b32_e32 v163, 0x3efa0199
	;; [unrolled: 3-line block ×8, first 2 shown]
	v_fmac_f64_e32 v[162:163], v[160:161], v[164:165]
	v_fma_f64 v[162:163], v[160:161], v[162:163], 1.0
	s_mov_b32 s40, 0
	s_mov_b32 s42, 0
	v_fma_f64 v[160:161], v[160:161], v[162:163], 1.0
	v_cvt_i32_f64_e32 v148, v[148:149]
	s_mov_b32 s41, 0x40900000
	s_mov_b32 s43, 0xc090cc00
	v_ldexp_f64 v[148:149], v[160:161], v148
	v_mov_b32_e32 v160, 0x7ff00000
	v_cmp_nlt_f64_e64 s[40:41], s[40:41], v[146:147]
	v_cmp_ngt_f64_e64 s[42:43], s[42:43], v[146:147]
	s_mov_b32 s51, 0x3fe62e42
	v_cndmask_b32_e64 v149, v160, v149, s[40:41]
	s_and_b64 s[40:41], s[42:43], s[40:41]
	v_cndmask_b32_e64 v147, 0, v149, s[42:43]
	v_cndmask_b32_e64 v146, 0, v148, s[40:41]
	v_add_f64 v[148:149], v[146:147], 1.0
	v_add_f64 v[160:161], v[148:149], -1.0
	v_add_f64 v[162:163], v[160:161], -v[148:149]
	v_add_f64 v[162:163], v[162:163], 1.0
	v_add_f64 v[160:161], v[146:147], -v[160:161]
	s_mov_b32 s40, 0x55555555
	v_add_f64 v[160:161], v[160:161], v[162:163]
	v_frexp_mant_f64_e32 v[162:163], v[148:149]
	s_mov_b32 s41, 0x3fe55555
	v_frexp_exp_i32_f64_e32 v164, v[148:149]
	v_cmp_gt_f64_e64 s[40:41], s[40:41], v[162:163]
	s_mov_b32 s53, 0x3c7abc9e
	s_nop 0
	v_subbrev_co_u32_e64 v194, s[40:41], 0, v164, s[40:41]
	v_sub_u32_e32 v162, 0, v194
	v_ldexp_f64 v[148:149], v[148:149], v162
	v_ldexp_f64 v[160:161], v[160:161], v162
	v_add_f64 v[162:163], v[148:149], -1.0
	v_add_f64 v[176:177], v[148:149], 1.0
	v_add_f64 v[164:165], v[162:163], 1.0
	v_add_f64 v[178:179], v[176:177], -1.0
	v_add_f64 v[164:165], v[148:149], -v[164:165]
	v_add_f64 v[148:149], v[148:149], -v[178:179]
	v_add_f64 v[148:149], v[160:161], v[148:149]
	v_add_f64 v[164:165], v[160:161], v[164:165]
	;; [unrolled: 1-line block ×3, first 2 shown]
	v_rcp_f64_e32 v[178:179], v[160:161]
	v_add_f64 v[166:167], v[162:163], v[164:165]
	v_add_f64 v[162:163], v[166:167], -v[162:163]
	v_add_f64 v[162:163], v[164:165], -v[162:163]
	;; [unrolled: 1-line block ×4, first 2 shown]
	v_fma_f64 v[164:165], -v[160:161], v[178:179], 1.0
	v_fmac_f64_e32 v[178:179], v[164:165], v[178:179]
	v_fma_f64 v[164:165], -v[160:161], v[178:179], 1.0
	v_fmac_f64_e32 v[178:179], v[164:165], v[178:179]
	v_mul_f64 v[164:165], v[166:167], v[178:179]
	v_mul_f64 v[176:177], v[160:161], v[164:165]
	v_fma_f64 v[180:181], v[164:165], v[160:161], -v[176:177]
	v_fmac_f64_e32 v[180:181], v[164:165], v[148:149]
	v_add_f64 v[182:183], v[176:177], v[180:181]
	v_add_f64 v[192:193], v[166:167], -v[182:183]
	v_add_f64 v[166:167], v[166:167], -v[192:193]
	;; [unrolled: 1-line block ×4, first 2 shown]
	v_add_f64 v[162:163], v[162:163], v[166:167]
	v_add_f64 v[166:167], v[176:177], -v[180:181]
	v_add_f64 v[162:163], v[166:167], v[162:163]
	v_add_f64 v[166:167], v[192:193], v[162:163]
	v_add_f64 v[176:177], v[192:193], -v[166:167]
	v_add_f64 v[162:163], v[162:163], v[176:177]
	v_mul_f64 v[176:177], v[178:179], v[166:167]
	v_mul_f64 v[180:181], v[160:161], v[176:177]
	v_fma_f64 v[160:161], v[176:177], v[160:161], -v[180:181]
	v_fmac_f64_e32 v[160:161], v[176:177], v[148:149]
	v_add_f64 v[148:149], v[180:181], v[160:161]
	v_add_f64 v[182:183], v[166:167], -v[148:149]
	v_add_f64 v[166:167], v[166:167], -v[182:183]
	;; [unrolled: 1-line block ×4, first 2 shown]
	v_add_f64 v[148:149], v[162:163], v[148:149]
	v_add_f64 v[160:161], v[180:181], -v[160:161]
	v_add_f64 v[148:149], v[160:161], v[148:149]
	v_add_f64 v[160:161], v[164:165], v[176:177]
	;; [unrolled: 1-line block ×3, first 2 shown]
	v_add_f64 v[162:163], v[160:161], -v[164:165]
	v_mul_f64 v[148:149], v[178:179], v[148:149]
	v_add_f64 v[162:163], v[176:177], -v[162:163]
	v_add_f64 v[148:149], v[162:163], v[148:149]
	v_add_f64 v[162:163], v[160:161], v[148:149]
	v_add_f64 v[160:161], v[162:163], -v[160:161]
	s_mov_b32 s40, 0xbf559e2b
	v_add_f64 v[148:149], v[148:149], -v[160:161]
	v_mul_f64 v[160:161], v[162:163], v[162:163]
	v_mov_b32_e32 v164, 0x6b47b09a
	v_mov_b32_e32 v165, 0x3fc38538
	s_mov_b32 s41, 0x3fc3ab76
	v_fmac_f64_e32 v[164:165], s[40:41], v[160:161]
	v_mov_b32_e32 v166, 0xd7f4df2e
	v_mov_b32_e32 v167, 0x3fc7474d
	v_fmac_f64_e32 v[166:167], v[160:161], v[164:165]
	v_mov_b32_e32 v164, 0x16291751
	v_mov_b32_e32 v165, 0x3fcc71c0
	;; [unrolled: 3-line block ×5, first 2 shown]
	v_fmac_f64_e32 v[166:167], v[160:161], v[164:165]
	v_cvt_f64_i32_e32 v[164:165], v194
	v_mul_f64 v[176:177], v[164:165], s[50:51]
	v_fma_f64 v[178:179], v[164:165], s[50:51], -v[176:177]
	v_fmac_f64_e32 v[178:179], s[52:53], v[164:165]
	v_add_f64 v[164:165], v[176:177], v[178:179]
	v_add_f64 v[176:177], v[164:165], -v[176:177]
	v_mul_f64 v[160:161], v[162:163], v[160:161]
	v_add_f64 v[176:177], v[178:179], -v[176:177]
	v_ldexp_f64 v[178:179], v[162:163], 1
	v_mul_f64 v[160:161], v[160:161], v[166:167]
	v_add_f64 v[162:163], v[178:179], v[160:161]
	v_add_f64 v[166:167], v[162:163], -v[178:179]
	v_ldexp_f64 v[148:149], v[148:149], 1
	v_add_f64 v[160:161], v[160:161], -v[166:167]
	v_add_f64 v[148:149], v[148:149], v[160:161]
	v_add_f64 v[160:161], v[162:163], v[148:149]
	v_add_f64 v[162:163], v[160:161], -v[162:163]
	v_add_f64 v[148:149], v[148:149], -v[162:163]
	v_add_f64 v[162:163], v[164:165], v[160:161]
	v_add_f64 v[166:167], v[162:163], -v[164:165]
	v_add_f64 v[178:179], v[162:163], -v[166:167]
	;; [unrolled: 1-line block ×4, first 2 shown]
	v_add_f64 v[160:161], v[160:161], v[164:165]
	v_add_f64 v[164:165], v[176:177], v[148:149]
	v_add_f64 v[166:167], v[164:165], -v[176:177]
	v_add_f64 v[160:161], v[164:165], v[160:161]
	v_add_f64 v[178:179], v[164:165], -v[166:167]
	;; [unrolled: 2-line block ×3, first 2 shown]
	v_add_f64 v[148:149], v[148:149], -v[166:167]
	v_add_f64 v[162:163], v[164:165], -v[162:163]
	v_add_f64 v[148:149], v[148:149], v[176:177]
	v_add_f64 v[160:161], v[160:161], -v[162:163]
	s_mov_b32 s40, 0
	v_add_f64 v[148:149], v[148:149], v[160:161]
	s_mov_b32 s41, 0x7ff00000
	v_add_f64 v[148:149], v[164:165], v[148:149]
	v_cmp_eq_f64_e64 s[40:41], s[40:41], v[146:147]
	v_mov_b32_e32 v160, 0x7ff80000
	s_nop 0
	v_cndmask_b32_e64 v148, v148, v146, s[40:41]
	v_cndmask_b32_e64 v149, v149, v147, s[40:41]
	v_cmp_ngt_f64_e64 s[40:41], -1.0, v[146:147]
	s_nop 1
	v_cndmask_b32_e64 v149, v160, v149, s[40:41]
	v_cmp_nge_f64_e64 s[40:41], -1.0, v[146:147]
	v_mov_b32_e32 v160, 0xfff00000
	s_nop 0
	v_cndmask_b32_e64 v148, 0, v148, s[40:41]
	v_cmp_neq_f64_e64 s[40:41], -1.0, v[146:147]
	s_nop 1
	v_cndmask_b32_e64 v149, v160, v149, s[40:41]
	v_add_f64 v[146:147], v[6:7], v[148:149]
.LBB30_83:
	s_or_b64 exec, exec, s[48:49]
	v_mov_b64_e32 v[6:7], v[146:147]
	v_mov_b32_e32 v148, v146
	v_mov_b32_e32 v149, v147
.LBB30_84:
	s_or_b64 exec, exec, s[46:47]
	v_mov_b32_dpp v146, v148 row_shr:8 row_mask:0xf bank_mask:0xf
	v_mov_b32_dpp v147, v149 row_shr:8 row_mask:0xf bank_mask:0xf
	v_cmp_lt_u32_e64 s[40:41], 7, v151
	s_and_saveexec_b64 s[46:47], s[40:41]
	s_cbranch_execz .LBB30_88
; %bb.85:
	v_max_f64 v[160:161], v[146:147], v[146:147]
	v_max_f64 v[162:163], v[6:7], v[6:7]
	v_min_f64 v[148:149], v[160:161], v[162:163]
	v_cmp_u_f64_e64 s[40:41], v[146:147], v[146:147]
	v_max_f64 v[160:161], v[160:161], v[162:163]
	v_cmp_u_f64_e64 s[42:43], v[6:7], v[6:7]
	v_cndmask_b32_e64 v148, v148, v146, s[40:41]
	v_cndmask_b32_e64 v149, v149, v147, s[40:41]
	;; [unrolled: 1-line block ×8, first 2 shown]
	s_movk_i32 s42, 0x1f8
	v_cmp_neq_f64_e64 s[40:41], v[148:149], v[6:7]
	v_cmp_class_f64_e64 s[42:43], v[148:149], s42
	s_or_b64 s[40:41], s[40:41], s[42:43]
	s_and_saveexec_b64 s[48:49], s[40:41]
	s_cbranch_execz .LBB30_87
; %bb.86:
	s_mov_b32 s40, 0x652b82fe
	v_add_f64 v[146:147], v[148:149], -v[6:7]
	s_mov_b32 s41, 0x3ff71547
	v_mul_f64 v[148:149], v[146:147], s[40:41]
	v_rndne_f64_e32 v[148:149], v[148:149]
	s_mov_b32 s51, 0xbfe62e42
	s_mov_b32 s50, 0xfefa39ef
	v_fma_f64 v[160:161], s[50:51], v[148:149], v[146:147]
	s_mov_b32 s53, 0xbc7abc9e
	s_mov_b32 s52, 0x3b39803f
	;; [unrolled: 1-line block ×3, first 2 shown]
	v_fmac_f64_e32 v[160:161], s[52:53], v[148:149]
	v_mov_b32_e32 v162, 0xfca7ab0c
	v_mov_b32_e32 v163, 0x3e928af3
	s_mov_b32 s41, 0x3e5ade15
	v_fmac_f64_e32 v[162:163], s[40:41], v[160:161]
	v_mov_b32_e32 v164, 0x623fde64
	v_mov_b32_e32 v165, 0x3ec71dee
	v_fmac_f64_e32 v[164:165], v[160:161], v[162:163]
	v_mov_b32_e32 v162, 0x7c89e6b0
	v_mov_b32_e32 v163, 0x3efa0199
	v_fmac_f64_e32 v[162:163], v[160:161], v[164:165]
	v_mov_b32_e32 v164, 0x14761f6e
	v_mov_b32_e32 v165, 0x3f2a01a0
	v_fmac_f64_e32 v[164:165], v[160:161], v[162:163]
	v_mov_b32_e32 v162, 0x1852b7b0
	v_mov_b32_e32 v163, 0x3f56c16c
	v_fmac_f64_e32 v[162:163], v[160:161], v[164:165]
	v_mov_b32_e32 v164, 0x11122322
	v_mov_b32_e32 v165, 0x3f811111
	v_fmac_f64_e32 v[164:165], v[160:161], v[162:163]
	v_mov_b32_e32 v162, 0x555502a1
	v_mov_b32_e32 v163, 0x3fa55555
	v_fmac_f64_e32 v[162:163], v[160:161], v[164:165]
	v_mov_b32_e32 v164, 0x55555511
	v_mov_b32_e32 v165, 0x3fc55555
	v_fmac_f64_e32 v[164:165], v[160:161], v[162:163]
	v_mov_b32_e32 v162, 11
	v_mov_b32_e32 v163, 0x3fe00000
	v_fmac_f64_e32 v[162:163], v[160:161], v[164:165]
	v_fma_f64 v[162:163], v[160:161], v[162:163], 1.0
	s_mov_b32 s40, 0
	s_mov_b32 s42, 0
	v_fma_f64 v[160:161], v[160:161], v[162:163], 1.0
	v_cvt_i32_f64_e32 v148, v[148:149]
	s_mov_b32 s41, 0x40900000
	s_mov_b32 s43, 0xc090cc00
	v_ldexp_f64 v[148:149], v[160:161], v148
	v_mov_b32_e32 v151, 0x7ff00000
	v_cmp_nlt_f64_e64 s[40:41], s[40:41], v[146:147]
	v_cmp_ngt_f64_e64 s[42:43], s[42:43], v[146:147]
	s_mov_b32 s51, 0x3fe62e42
	v_cndmask_b32_e64 v149, v151, v149, s[40:41]
	s_and_b64 s[40:41], s[42:43], s[40:41]
	v_cndmask_b32_e64 v147, 0, v149, s[42:43]
	v_cndmask_b32_e64 v146, 0, v148, s[40:41]
	v_add_f64 v[148:149], v[146:147], 1.0
	v_add_f64 v[160:161], v[148:149], -1.0
	v_add_f64 v[162:163], v[160:161], -v[148:149]
	v_add_f64 v[162:163], v[162:163], 1.0
	v_add_f64 v[160:161], v[146:147], -v[160:161]
	s_mov_b32 s40, 0x55555555
	v_add_f64 v[160:161], v[160:161], v[162:163]
	v_frexp_mant_f64_e32 v[162:163], v[148:149]
	s_mov_b32 s41, 0x3fe55555
	v_frexp_exp_i32_f64_e32 v151, v[148:149]
	v_cmp_gt_f64_e64 s[40:41], s[40:41], v[162:163]
	s_mov_b32 s53, 0x3c7abc9e
	s_nop 0
	v_subbrev_co_u32_e64 v151, s[40:41], 0, v151, s[40:41]
	v_sub_u32_e32 v162, 0, v151
	v_ldexp_f64 v[148:149], v[148:149], v162
	v_ldexp_f64 v[160:161], v[160:161], v162
	v_add_f64 v[162:163], v[148:149], -1.0
	v_add_f64 v[176:177], v[148:149], 1.0
	v_add_f64 v[164:165], v[162:163], 1.0
	v_add_f64 v[178:179], v[176:177], -1.0
	v_add_f64 v[164:165], v[148:149], -v[164:165]
	v_add_f64 v[148:149], v[148:149], -v[178:179]
	v_add_f64 v[148:149], v[160:161], v[148:149]
	v_add_f64 v[164:165], v[160:161], v[164:165]
	;; [unrolled: 1-line block ×3, first 2 shown]
	v_rcp_f64_e32 v[178:179], v[160:161]
	v_add_f64 v[166:167], v[162:163], v[164:165]
	v_add_f64 v[162:163], v[166:167], -v[162:163]
	v_add_f64 v[162:163], v[164:165], -v[162:163]
	;; [unrolled: 1-line block ×4, first 2 shown]
	v_fma_f64 v[164:165], -v[160:161], v[178:179], 1.0
	v_fmac_f64_e32 v[178:179], v[164:165], v[178:179]
	v_fma_f64 v[164:165], -v[160:161], v[178:179], 1.0
	v_fmac_f64_e32 v[178:179], v[164:165], v[178:179]
	v_mul_f64 v[164:165], v[166:167], v[178:179]
	v_mul_f64 v[176:177], v[160:161], v[164:165]
	v_fma_f64 v[180:181], v[164:165], v[160:161], -v[176:177]
	v_fmac_f64_e32 v[180:181], v[164:165], v[148:149]
	v_add_f64 v[182:183], v[176:177], v[180:181]
	v_add_f64 v[192:193], v[166:167], -v[182:183]
	v_add_f64 v[166:167], v[166:167], -v[192:193]
	;; [unrolled: 1-line block ×4, first 2 shown]
	v_add_f64 v[162:163], v[162:163], v[166:167]
	v_add_f64 v[166:167], v[176:177], -v[180:181]
	v_add_f64 v[162:163], v[166:167], v[162:163]
	v_add_f64 v[166:167], v[192:193], v[162:163]
	v_add_f64 v[176:177], v[192:193], -v[166:167]
	v_add_f64 v[162:163], v[162:163], v[176:177]
	v_mul_f64 v[176:177], v[178:179], v[166:167]
	v_mul_f64 v[180:181], v[160:161], v[176:177]
	v_fma_f64 v[160:161], v[176:177], v[160:161], -v[180:181]
	v_fmac_f64_e32 v[160:161], v[176:177], v[148:149]
	v_add_f64 v[148:149], v[180:181], v[160:161]
	v_add_f64 v[182:183], v[166:167], -v[148:149]
	v_add_f64 v[166:167], v[166:167], -v[182:183]
	;; [unrolled: 1-line block ×4, first 2 shown]
	v_add_f64 v[148:149], v[162:163], v[148:149]
	v_add_f64 v[160:161], v[180:181], -v[160:161]
	v_add_f64 v[148:149], v[160:161], v[148:149]
	v_add_f64 v[160:161], v[164:165], v[176:177]
	;; [unrolled: 1-line block ×3, first 2 shown]
	v_add_f64 v[162:163], v[160:161], -v[164:165]
	v_mul_f64 v[148:149], v[178:179], v[148:149]
	v_add_f64 v[162:163], v[176:177], -v[162:163]
	v_add_f64 v[148:149], v[162:163], v[148:149]
	v_add_f64 v[162:163], v[160:161], v[148:149]
	v_add_f64 v[160:161], v[162:163], -v[160:161]
	s_mov_b32 s40, 0xbf559e2b
	v_add_f64 v[148:149], v[148:149], -v[160:161]
	v_mul_f64 v[160:161], v[162:163], v[162:163]
	v_mov_b32_e32 v164, 0x6b47b09a
	v_mov_b32_e32 v165, 0x3fc38538
	s_mov_b32 s41, 0x3fc3ab76
	v_fmac_f64_e32 v[164:165], s[40:41], v[160:161]
	v_mov_b32_e32 v166, 0xd7f4df2e
	v_mov_b32_e32 v167, 0x3fc7474d
	v_fmac_f64_e32 v[166:167], v[160:161], v[164:165]
	v_mov_b32_e32 v164, 0x16291751
	v_mov_b32_e32 v165, 0x3fcc71c0
	v_fmac_f64_e32 v[164:165], v[160:161], v[166:167]
	v_mov_b32_e32 v166, 0x9b27acf1
	v_mov_b32_e32 v167, 0x3fd24924
	v_fmac_f64_e32 v[166:167], v[160:161], v[164:165]
	v_mov_b32_e32 v164, 0x998ef7b6
	v_mov_b32_e32 v165, 0x3fd99999
	v_fmac_f64_e32 v[164:165], v[160:161], v[166:167]
	v_mov_b32_e32 v166, 0x55555780
	v_mov_b32_e32 v167, 0x3fe55555
	v_fmac_f64_e32 v[166:167], v[160:161], v[164:165]
	v_cvt_f64_i32_e32 v[164:165], v151
	v_mul_f64 v[176:177], v[164:165], s[50:51]
	v_fma_f64 v[178:179], v[164:165], s[50:51], -v[176:177]
	v_fmac_f64_e32 v[178:179], s[52:53], v[164:165]
	v_add_f64 v[164:165], v[176:177], v[178:179]
	v_add_f64 v[176:177], v[164:165], -v[176:177]
	v_mul_f64 v[160:161], v[162:163], v[160:161]
	v_add_f64 v[176:177], v[178:179], -v[176:177]
	v_ldexp_f64 v[178:179], v[162:163], 1
	v_mul_f64 v[160:161], v[160:161], v[166:167]
	v_add_f64 v[162:163], v[178:179], v[160:161]
	v_add_f64 v[166:167], v[162:163], -v[178:179]
	v_ldexp_f64 v[148:149], v[148:149], 1
	v_add_f64 v[160:161], v[160:161], -v[166:167]
	v_add_f64 v[148:149], v[148:149], v[160:161]
	v_add_f64 v[160:161], v[162:163], v[148:149]
	v_add_f64 v[162:163], v[160:161], -v[162:163]
	v_add_f64 v[148:149], v[148:149], -v[162:163]
	v_add_f64 v[162:163], v[164:165], v[160:161]
	v_add_f64 v[166:167], v[162:163], -v[164:165]
	v_add_f64 v[178:179], v[162:163], -v[166:167]
	v_add_f64 v[164:165], v[164:165], -v[178:179]
	v_add_f64 v[160:161], v[160:161], -v[166:167]
	v_add_f64 v[160:161], v[160:161], v[164:165]
	v_add_f64 v[164:165], v[176:177], v[148:149]
	v_add_f64 v[166:167], v[164:165], -v[176:177]
	v_add_f64 v[160:161], v[164:165], v[160:161]
	v_add_f64 v[178:179], v[164:165], -v[166:167]
	;; [unrolled: 2-line block ×3, first 2 shown]
	v_add_f64 v[148:149], v[148:149], -v[166:167]
	v_add_f64 v[162:163], v[164:165], -v[162:163]
	v_add_f64 v[148:149], v[148:149], v[176:177]
	v_add_f64 v[160:161], v[160:161], -v[162:163]
	s_mov_b32 s40, 0
	v_add_f64 v[148:149], v[148:149], v[160:161]
	s_mov_b32 s41, 0x7ff00000
	v_add_f64 v[148:149], v[164:165], v[148:149]
	v_cmp_eq_f64_e64 s[40:41], s[40:41], v[146:147]
	v_mov_b32_e32 v151, 0x7ff80000
	s_nop 0
	v_cndmask_b32_e64 v148, v148, v146, s[40:41]
	v_cndmask_b32_e64 v149, v149, v147, s[40:41]
	v_cmp_ngt_f64_e64 s[40:41], -1.0, v[146:147]
	s_nop 1
	v_cndmask_b32_e64 v149, v151, v149, s[40:41]
	v_cmp_nge_f64_e64 s[40:41], -1.0, v[146:147]
	v_mov_b32_e32 v151, 0xfff00000
	s_nop 0
	v_cndmask_b32_e64 v148, 0, v148, s[40:41]
	v_cmp_neq_f64_e64 s[40:41], -1.0, v[146:147]
	s_nop 1
	v_cndmask_b32_e64 v149, v151, v149, s[40:41]
	v_add_f64 v[146:147], v[6:7], v[148:149]
.LBB30_87:
	s_or_b64 exec, exec, s[48:49]
	v_mov_b64_e32 v[6:7], v[146:147]
	v_mov_b32_e32 v148, v146
	v_mov_b32_e32 v149, v147
.LBB30_88:
	s_or_b64 exec, exec, s[46:47]
	v_and_b32_e32 v151, 16, v150
	v_mov_b32_dpp v146, v148 row_bcast:15 row_mask:0xf bank_mask:0xf
	v_mov_b32_dpp v147, v149 row_bcast:15 row_mask:0xf bank_mask:0xf
	v_cmp_ne_u32_e64 s[40:41], 0, v151
	s_and_saveexec_b64 s[46:47], s[40:41]
	s_cbranch_execz .LBB30_92
; %bb.89:
	v_max_f64 v[160:161], v[146:147], v[146:147]
	v_max_f64 v[162:163], v[6:7], v[6:7]
	v_min_f64 v[148:149], v[160:161], v[162:163]
	v_cmp_u_f64_e64 s[40:41], v[146:147], v[146:147]
	v_max_f64 v[160:161], v[160:161], v[162:163]
	v_cmp_u_f64_e64 s[42:43], v[6:7], v[6:7]
	v_cndmask_b32_e64 v148, v148, v146, s[40:41]
	v_cndmask_b32_e64 v149, v149, v147, s[40:41]
	;; [unrolled: 1-line block ×8, first 2 shown]
	s_movk_i32 s42, 0x1f8
	v_cmp_neq_f64_e64 s[40:41], v[148:149], v[6:7]
	v_cmp_class_f64_e64 s[42:43], v[148:149], s42
	s_or_b64 s[40:41], s[40:41], s[42:43]
	s_and_saveexec_b64 s[48:49], s[40:41]
	s_cbranch_execz .LBB30_91
; %bb.90:
	s_mov_b32 s40, 0x652b82fe
	v_add_f64 v[146:147], v[148:149], -v[6:7]
	s_mov_b32 s41, 0x3ff71547
	v_mul_f64 v[148:149], v[146:147], s[40:41]
	v_rndne_f64_e32 v[148:149], v[148:149]
	s_mov_b32 s51, 0xbfe62e42
	s_mov_b32 s50, 0xfefa39ef
	v_fma_f64 v[160:161], s[50:51], v[148:149], v[146:147]
	s_mov_b32 s53, 0xbc7abc9e
	s_mov_b32 s52, 0x3b39803f
	;; [unrolled: 1-line block ×3, first 2 shown]
	v_fmac_f64_e32 v[160:161], s[52:53], v[148:149]
	v_mov_b32_e32 v162, 0xfca7ab0c
	v_mov_b32_e32 v163, 0x3e928af3
	s_mov_b32 s41, 0x3e5ade15
	v_fmac_f64_e32 v[162:163], s[40:41], v[160:161]
	v_mov_b32_e32 v164, 0x623fde64
	v_mov_b32_e32 v165, 0x3ec71dee
	v_fmac_f64_e32 v[164:165], v[160:161], v[162:163]
	v_mov_b32_e32 v162, 0x7c89e6b0
	v_mov_b32_e32 v163, 0x3efa0199
	;; [unrolled: 3-line block ×8, first 2 shown]
	v_fmac_f64_e32 v[162:163], v[160:161], v[164:165]
	v_fma_f64 v[162:163], v[160:161], v[162:163], 1.0
	s_mov_b32 s40, 0
	s_mov_b32 s42, 0
	v_fma_f64 v[160:161], v[160:161], v[162:163], 1.0
	v_cvt_i32_f64_e32 v148, v[148:149]
	s_mov_b32 s41, 0x40900000
	s_mov_b32 s43, 0xc090cc00
	v_ldexp_f64 v[148:149], v[160:161], v148
	v_mov_b32_e32 v151, 0x7ff00000
	v_cmp_nlt_f64_e64 s[40:41], s[40:41], v[146:147]
	v_cmp_ngt_f64_e64 s[42:43], s[42:43], v[146:147]
	s_mov_b32 s51, 0x3fe62e42
	v_cndmask_b32_e64 v149, v151, v149, s[40:41]
	s_and_b64 s[40:41], s[42:43], s[40:41]
	v_cndmask_b32_e64 v147, 0, v149, s[42:43]
	v_cndmask_b32_e64 v146, 0, v148, s[40:41]
	v_add_f64 v[148:149], v[146:147], 1.0
	v_add_f64 v[160:161], v[148:149], -1.0
	v_add_f64 v[162:163], v[160:161], -v[148:149]
	v_add_f64 v[162:163], v[162:163], 1.0
	v_add_f64 v[160:161], v[146:147], -v[160:161]
	s_mov_b32 s40, 0x55555555
	v_add_f64 v[160:161], v[160:161], v[162:163]
	v_frexp_mant_f64_e32 v[162:163], v[148:149]
	s_mov_b32 s41, 0x3fe55555
	v_frexp_exp_i32_f64_e32 v151, v[148:149]
	v_cmp_gt_f64_e64 s[40:41], s[40:41], v[162:163]
	s_mov_b32 s53, 0x3c7abc9e
	s_nop 0
	v_subbrev_co_u32_e64 v151, s[40:41], 0, v151, s[40:41]
	v_sub_u32_e32 v162, 0, v151
	v_ldexp_f64 v[148:149], v[148:149], v162
	v_ldexp_f64 v[160:161], v[160:161], v162
	v_add_f64 v[162:163], v[148:149], -1.0
	v_add_f64 v[176:177], v[148:149], 1.0
	v_add_f64 v[164:165], v[162:163], 1.0
	v_add_f64 v[178:179], v[176:177], -1.0
	v_add_f64 v[164:165], v[148:149], -v[164:165]
	v_add_f64 v[148:149], v[148:149], -v[178:179]
	v_add_f64 v[148:149], v[160:161], v[148:149]
	v_add_f64 v[164:165], v[160:161], v[164:165]
	;; [unrolled: 1-line block ×3, first 2 shown]
	v_rcp_f64_e32 v[178:179], v[160:161]
	v_add_f64 v[166:167], v[162:163], v[164:165]
	v_add_f64 v[162:163], v[166:167], -v[162:163]
	v_add_f64 v[162:163], v[164:165], -v[162:163]
	;; [unrolled: 1-line block ×4, first 2 shown]
	v_fma_f64 v[164:165], -v[160:161], v[178:179], 1.0
	v_fmac_f64_e32 v[178:179], v[164:165], v[178:179]
	v_fma_f64 v[164:165], -v[160:161], v[178:179], 1.0
	v_fmac_f64_e32 v[178:179], v[164:165], v[178:179]
	v_mul_f64 v[164:165], v[166:167], v[178:179]
	v_mul_f64 v[176:177], v[160:161], v[164:165]
	v_fma_f64 v[180:181], v[164:165], v[160:161], -v[176:177]
	v_fmac_f64_e32 v[180:181], v[164:165], v[148:149]
	v_add_f64 v[182:183], v[176:177], v[180:181]
	v_add_f64 v[192:193], v[166:167], -v[182:183]
	v_add_f64 v[166:167], v[166:167], -v[192:193]
	;; [unrolled: 1-line block ×4, first 2 shown]
	v_add_f64 v[162:163], v[162:163], v[166:167]
	v_add_f64 v[166:167], v[176:177], -v[180:181]
	v_add_f64 v[162:163], v[166:167], v[162:163]
	v_add_f64 v[166:167], v[192:193], v[162:163]
	v_add_f64 v[176:177], v[192:193], -v[166:167]
	v_add_f64 v[162:163], v[162:163], v[176:177]
	v_mul_f64 v[176:177], v[178:179], v[166:167]
	v_mul_f64 v[180:181], v[160:161], v[176:177]
	v_fma_f64 v[160:161], v[176:177], v[160:161], -v[180:181]
	v_fmac_f64_e32 v[160:161], v[176:177], v[148:149]
	v_add_f64 v[148:149], v[180:181], v[160:161]
	v_add_f64 v[182:183], v[166:167], -v[148:149]
	v_add_f64 v[166:167], v[166:167], -v[182:183]
	v_add_f64 v[180:181], v[148:149], -v[180:181]
	v_add_f64 v[148:149], v[166:167], -v[148:149]
	v_add_f64 v[148:149], v[162:163], v[148:149]
	v_add_f64 v[160:161], v[180:181], -v[160:161]
	v_add_f64 v[148:149], v[160:161], v[148:149]
	v_add_f64 v[160:161], v[164:165], v[176:177]
	v_add_f64 v[148:149], v[182:183], v[148:149]
	v_add_f64 v[162:163], v[160:161], -v[164:165]
	v_mul_f64 v[148:149], v[178:179], v[148:149]
	v_add_f64 v[162:163], v[176:177], -v[162:163]
	v_add_f64 v[148:149], v[162:163], v[148:149]
	v_add_f64 v[162:163], v[160:161], v[148:149]
	v_add_f64 v[160:161], v[162:163], -v[160:161]
	s_mov_b32 s40, 0xbf559e2b
	v_add_f64 v[148:149], v[148:149], -v[160:161]
	v_mul_f64 v[160:161], v[162:163], v[162:163]
	v_mov_b32_e32 v164, 0x6b47b09a
	v_mov_b32_e32 v165, 0x3fc38538
	s_mov_b32 s41, 0x3fc3ab76
	v_fmac_f64_e32 v[164:165], s[40:41], v[160:161]
	v_mov_b32_e32 v166, 0xd7f4df2e
	v_mov_b32_e32 v167, 0x3fc7474d
	v_fmac_f64_e32 v[166:167], v[160:161], v[164:165]
	v_mov_b32_e32 v164, 0x16291751
	v_mov_b32_e32 v165, 0x3fcc71c0
	;; [unrolled: 3-line block ×5, first 2 shown]
	v_fmac_f64_e32 v[166:167], v[160:161], v[164:165]
	v_cvt_f64_i32_e32 v[164:165], v151
	v_mul_f64 v[176:177], v[164:165], s[50:51]
	v_fma_f64 v[178:179], v[164:165], s[50:51], -v[176:177]
	v_fmac_f64_e32 v[178:179], s[52:53], v[164:165]
	v_add_f64 v[164:165], v[176:177], v[178:179]
	v_add_f64 v[176:177], v[164:165], -v[176:177]
	v_mul_f64 v[160:161], v[162:163], v[160:161]
	v_add_f64 v[176:177], v[178:179], -v[176:177]
	v_ldexp_f64 v[178:179], v[162:163], 1
	v_mul_f64 v[160:161], v[160:161], v[166:167]
	v_add_f64 v[162:163], v[178:179], v[160:161]
	v_add_f64 v[166:167], v[162:163], -v[178:179]
	v_ldexp_f64 v[148:149], v[148:149], 1
	v_add_f64 v[160:161], v[160:161], -v[166:167]
	v_add_f64 v[148:149], v[148:149], v[160:161]
	v_add_f64 v[160:161], v[162:163], v[148:149]
	v_add_f64 v[162:163], v[160:161], -v[162:163]
	v_add_f64 v[148:149], v[148:149], -v[162:163]
	v_add_f64 v[162:163], v[164:165], v[160:161]
	v_add_f64 v[166:167], v[162:163], -v[164:165]
	v_add_f64 v[178:179], v[162:163], -v[166:167]
	v_add_f64 v[164:165], v[164:165], -v[178:179]
	v_add_f64 v[160:161], v[160:161], -v[166:167]
	v_add_f64 v[160:161], v[160:161], v[164:165]
	v_add_f64 v[164:165], v[176:177], v[148:149]
	v_add_f64 v[166:167], v[164:165], -v[176:177]
	v_add_f64 v[160:161], v[164:165], v[160:161]
	v_add_f64 v[178:179], v[164:165], -v[166:167]
	;; [unrolled: 2-line block ×3, first 2 shown]
	v_add_f64 v[148:149], v[148:149], -v[166:167]
	v_add_f64 v[162:163], v[164:165], -v[162:163]
	v_add_f64 v[148:149], v[148:149], v[176:177]
	v_add_f64 v[160:161], v[160:161], -v[162:163]
	s_mov_b32 s40, 0
	v_add_f64 v[148:149], v[148:149], v[160:161]
	s_mov_b32 s41, 0x7ff00000
	v_add_f64 v[148:149], v[164:165], v[148:149]
	v_cmp_eq_f64_e64 s[40:41], s[40:41], v[146:147]
	v_mov_b32_e32 v151, 0x7ff80000
	s_nop 0
	v_cndmask_b32_e64 v148, v148, v146, s[40:41]
	v_cndmask_b32_e64 v149, v149, v147, s[40:41]
	v_cmp_ngt_f64_e64 s[40:41], -1.0, v[146:147]
	s_nop 1
	v_cndmask_b32_e64 v149, v151, v149, s[40:41]
	v_cmp_nge_f64_e64 s[40:41], -1.0, v[146:147]
	v_mov_b32_e32 v151, 0xfff00000
	s_nop 0
	v_cndmask_b32_e64 v148, 0, v148, s[40:41]
	v_cmp_neq_f64_e64 s[40:41], -1.0, v[146:147]
	s_nop 1
	v_cndmask_b32_e64 v149, v151, v149, s[40:41]
	v_add_f64 v[146:147], v[6:7], v[148:149]
.LBB30_91:
	s_or_b64 exec, exec, s[48:49]
	v_mov_b32_e32 v148, v146
	v_mov_b32_e32 v149, v147
	v_mov_b64_e32 v[6:7], v[146:147]
.LBB30_92:
	s_or_b64 exec, exec, s[46:47]
	v_mov_b32_dpp v146, v148 row_bcast:31 row_mask:0xf bank_mask:0xf
	v_mov_b32_dpp v147, v149 row_bcast:31 row_mask:0xf bank_mask:0xf
	v_cmp_lt_u32_e64 s[40:41], 31, v150
	s_and_saveexec_b64 s[46:47], s[40:41]
	s_cbranch_execz .LBB30_96
; %bb.93:
	v_max_f64 v[160:161], v[146:147], v[146:147]
	v_max_f64 v[162:163], v[6:7], v[6:7]
	v_min_f64 v[148:149], v[160:161], v[162:163]
	v_cmp_u_f64_e64 s[40:41], v[146:147], v[146:147]
	v_max_f64 v[160:161], v[160:161], v[162:163]
	v_cmp_u_f64_e64 s[42:43], v[6:7], v[6:7]
	v_cndmask_b32_e64 v148, v148, v146, s[40:41]
	v_cndmask_b32_e64 v149, v149, v147, s[40:41]
	;; [unrolled: 1-line block ×8, first 2 shown]
	s_movk_i32 s42, 0x1f8
	v_cmp_neq_f64_e64 s[40:41], v[148:149], v[6:7]
	v_cmp_class_f64_e64 s[42:43], v[148:149], s42
	s_or_b64 s[40:41], s[40:41], s[42:43]
	s_and_saveexec_b64 s[48:49], s[40:41]
	s_cbranch_execz .LBB30_95
; %bb.94:
	s_mov_b32 s40, 0x652b82fe
	v_add_f64 v[146:147], v[148:149], -v[6:7]
	s_mov_b32 s41, 0x3ff71547
	v_mul_f64 v[148:149], v[146:147], s[40:41]
	v_rndne_f64_e32 v[148:149], v[148:149]
	s_mov_b32 s51, 0xbfe62e42
	s_mov_b32 s50, 0xfefa39ef
	v_fma_f64 v[160:161], s[50:51], v[148:149], v[146:147]
	s_mov_b32 s53, 0xbc7abc9e
	s_mov_b32 s52, 0x3b39803f
	;; [unrolled: 1-line block ×3, first 2 shown]
	v_fmac_f64_e32 v[160:161], s[52:53], v[148:149]
	v_mov_b32_e32 v162, 0xfca7ab0c
	v_mov_b32_e32 v163, 0x3e928af3
	s_mov_b32 s41, 0x3e5ade15
	v_fmac_f64_e32 v[162:163], s[40:41], v[160:161]
	v_mov_b32_e32 v164, 0x623fde64
	v_mov_b32_e32 v165, 0x3ec71dee
	v_fmac_f64_e32 v[164:165], v[160:161], v[162:163]
	v_mov_b32_e32 v162, 0x7c89e6b0
	v_mov_b32_e32 v163, 0x3efa0199
	v_fmac_f64_e32 v[162:163], v[160:161], v[164:165]
	v_mov_b32_e32 v164, 0x14761f6e
	v_mov_b32_e32 v165, 0x3f2a01a0
	v_fmac_f64_e32 v[164:165], v[160:161], v[162:163]
	v_mov_b32_e32 v162, 0x1852b7b0
	v_mov_b32_e32 v163, 0x3f56c16c
	v_fmac_f64_e32 v[162:163], v[160:161], v[164:165]
	v_mov_b32_e32 v164, 0x11122322
	v_mov_b32_e32 v165, 0x3f811111
	v_fmac_f64_e32 v[164:165], v[160:161], v[162:163]
	v_mov_b32_e32 v162, 0x555502a1
	v_mov_b32_e32 v163, 0x3fa55555
	v_fmac_f64_e32 v[162:163], v[160:161], v[164:165]
	v_mov_b32_e32 v164, 0x55555511
	v_mov_b32_e32 v165, 0x3fc55555
	v_fmac_f64_e32 v[164:165], v[160:161], v[162:163]
	v_mov_b32_e32 v162, 11
	v_mov_b32_e32 v163, 0x3fe00000
	v_fmac_f64_e32 v[162:163], v[160:161], v[164:165]
	v_fma_f64 v[162:163], v[160:161], v[162:163], 1.0
	s_mov_b32 s40, 0
	s_mov_b32 s42, 0
	v_fma_f64 v[160:161], v[160:161], v[162:163], 1.0
	v_cvt_i32_f64_e32 v148, v[148:149]
	s_mov_b32 s41, 0x40900000
	s_mov_b32 s43, 0xc090cc00
	v_ldexp_f64 v[148:149], v[160:161], v148
	v_mov_b32_e32 v151, 0x7ff00000
	v_cmp_nlt_f64_e64 s[40:41], s[40:41], v[146:147]
	v_cmp_ngt_f64_e64 s[42:43], s[42:43], v[146:147]
	s_mov_b32 s51, 0x3fe62e42
	v_cndmask_b32_e64 v149, v151, v149, s[40:41]
	s_and_b64 s[40:41], s[42:43], s[40:41]
	v_cndmask_b32_e64 v147, 0, v149, s[42:43]
	v_cndmask_b32_e64 v146, 0, v148, s[40:41]
	v_add_f64 v[148:149], v[146:147], 1.0
	v_add_f64 v[160:161], v[148:149], -1.0
	v_add_f64 v[162:163], v[160:161], -v[148:149]
	v_add_f64 v[162:163], v[162:163], 1.0
	v_add_f64 v[160:161], v[146:147], -v[160:161]
	s_mov_b32 s40, 0x55555555
	v_add_f64 v[160:161], v[160:161], v[162:163]
	v_frexp_mant_f64_e32 v[162:163], v[148:149]
	s_mov_b32 s41, 0x3fe55555
	v_frexp_exp_i32_f64_e32 v151, v[148:149]
	v_cmp_gt_f64_e64 s[40:41], s[40:41], v[162:163]
	s_mov_b32 s53, 0x3c7abc9e
	s_nop 0
	v_subbrev_co_u32_e64 v151, s[40:41], 0, v151, s[40:41]
	v_sub_u32_e32 v162, 0, v151
	v_ldexp_f64 v[148:149], v[148:149], v162
	v_ldexp_f64 v[160:161], v[160:161], v162
	v_add_f64 v[162:163], v[148:149], -1.0
	v_add_f64 v[176:177], v[148:149], 1.0
	v_add_f64 v[164:165], v[162:163], 1.0
	v_add_f64 v[178:179], v[176:177], -1.0
	v_add_f64 v[164:165], v[148:149], -v[164:165]
	v_add_f64 v[148:149], v[148:149], -v[178:179]
	v_add_f64 v[148:149], v[160:161], v[148:149]
	v_add_f64 v[164:165], v[160:161], v[164:165]
	;; [unrolled: 1-line block ×3, first 2 shown]
	v_rcp_f64_e32 v[178:179], v[160:161]
	v_add_f64 v[166:167], v[162:163], v[164:165]
	v_add_f64 v[162:163], v[166:167], -v[162:163]
	v_add_f64 v[162:163], v[164:165], -v[162:163]
	;; [unrolled: 1-line block ×4, first 2 shown]
	v_fma_f64 v[164:165], -v[160:161], v[178:179], 1.0
	v_fmac_f64_e32 v[178:179], v[164:165], v[178:179]
	v_fma_f64 v[164:165], -v[160:161], v[178:179], 1.0
	v_fmac_f64_e32 v[178:179], v[164:165], v[178:179]
	v_mul_f64 v[164:165], v[166:167], v[178:179]
	v_mul_f64 v[176:177], v[160:161], v[164:165]
	v_fma_f64 v[180:181], v[164:165], v[160:161], -v[176:177]
	v_fmac_f64_e32 v[180:181], v[164:165], v[148:149]
	v_add_f64 v[182:183], v[176:177], v[180:181]
	v_add_f64 v[192:193], v[166:167], -v[182:183]
	v_add_f64 v[166:167], v[166:167], -v[192:193]
	;; [unrolled: 1-line block ×4, first 2 shown]
	v_add_f64 v[162:163], v[162:163], v[166:167]
	v_add_f64 v[166:167], v[176:177], -v[180:181]
	v_add_f64 v[162:163], v[166:167], v[162:163]
	v_add_f64 v[166:167], v[192:193], v[162:163]
	v_add_f64 v[176:177], v[192:193], -v[166:167]
	v_add_f64 v[162:163], v[162:163], v[176:177]
	v_mul_f64 v[176:177], v[178:179], v[166:167]
	v_mul_f64 v[180:181], v[160:161], v[176:177]
	v_fma_f64 v[160:161], v[176:177], v[160:161], -v[180:181]
	v_fmac_f64_e32 v[160:161], v[176:177], v[148:149]
	v_add_f64 v[148:149], v[180:181], v[160:161]
	v_add_f64 v[182:183], v[166:167], -v[148:149]
	v_add_f64 v[166:167], v[166:167], -v[182:183]
	;; [unrolled: 1-line block ×4, first 2 shown]
	v_add_f64 v[148:149], v[162:163], v[148:149]
	v_add_f64 v[160:161], v[180:181], -v[160:161]
	v_add_f64 v[148:149], v[160:161], v[148:149]
	v_add_f64 v[160:161], v[164:165], v[176:177]
	;; [unrolled: 1-line block ×3, first 2 shown]
	v_add_f64 v[162:163], v[160:161], -v[164:165]
	v_mul_f64 v[148:149], v[178:179], v[148:149]
	v_add_f64 v[162:163], v[176:177], -v[162:163]
	v_add_f64 v[148:149], v[162:163], v[148:149]
	v_add_f64 v[162:163], v[160:161], v[148:149]
	v_add_f64 v[160:161], v[162:163], -v[160:161]
	s_mov_b32 s40, 0xbf559e2b
	v_add_f64 v[148:149], v[148:149], -v[160:161]
	v_mul_f64 v[160:161], v[162:163], v[162:163]
	v_mov_b32_e32 v164, 0x6b47b09a
	v_mov_b32_e32 v165, 0x3fc38538
	s_mov_b32 s41, 0x3fc3ab76
	v_fmac_f64_e32 v[164:165], s[40:41], v[160:161]
	v_mov_b32_e32 v166, 0xd7f4df2e
	v_mov_b32_e32 v167, 0x3fc7474d
	v_fmac_f64_e32 v[166:167], v[160:161], v[164:165]
	v_mov_b32_e32 v164, 0x16291751
	v_mov_b32_e32 v165, 0x3fcc71c0
	;; [unrolled: 3-line block ×5, first 2 shown]
	v_fmac_f64_e32 v[166:167], v[160:161], v[164:165]
	v_cvt_f64_i32_e32 v[164:165], v151
	v_mul_f64 v[176:177], v[164:165], s[50:51]
	v_fma_f64 v[178:179], v[164:165], s[50:51], -v[176:177]
	v_fmac_f64_e32 v[178:179], s[52:53], v[164:165]
	v_add_f64 v[164:165], v[176:177], v[178:179]
	v_add_f64 v[176:177], v[164:165], -v[176:177]
	v_mul_f64 v[160:161], v[162:163], v[160:161]
	v_add_f64 v[176:177], v[178:179], -v[176:177]
	v_ldexp_f64 v[178:179], v[162:163], 1
	v_mul_f64 v[160:161], v[160:161], v[166:167]
	v_add_f64 v[162:163], v[178:179], v[160:161]
	v_add_f64 v[166:167], v[162:163], -v[178:179]
	v_ldexp_f64 v[148:149], v[148:149], 1
	v_add_f64 v[160:161], v[160:161], -v[166:167]
	v_add_f64 v[148:149], v[148:149], v[160:161]
	v_add_f64 v[160:161], v[162:163], v[148:149]
	v_add_f64 v[162:163], v[160:161], -v[162:163]
	v_add_f64 v[148:149], v[148:149], -v[162:163]
	v_add_f64 v[162:163], v[164:165], v[160:161]
	v_add_f64 v[166:167], v[162:163], -v[164:165]
	v_add_f64 v[178:179], v[162:163], -v[166:167]
	;; [unrolled: 1-line block ×4, first 2 shown]
	v_add_f64 v[160:161], v[160:161], v[164:165]
	v_add_f64 v[164:165], v[176:177], v[148:149]
	v_add_f64 v[166:167], v[164:165], -v[176:177]
	v_add_f64 v[160:161], v[164:165], v[160:161]
	v_add_f64 v[178:179], v[164:165], -v[166:167]
	;; [unrolled: 2-line block ×3, first 2 shown]
	v_add_f64 v[148:149], v[148:149], -v[166:167]
	v_add_f64 v[162:163], v[164:165], -v[162:163]
	v_add_f64 v[148:149], v[148:149], v[176:177]
	v_add_f64 v[160:161], v[160:161], -v[162:163]
	s_mov_b32 s40, 0
	v_add_f64 v[148:149], v[148:149], v[160:161]
	s_mov_b32 s41, 0x7ff00000
	v_add_f64 v[148:149], v[164:165], v[148:149]
	v_cmp_eq_f64_e64 s[40:41], s[40:41], v[146:147]
	v_mov_b32_e32 v151, 0x7ff80000
	s_nop 0
	v_cndmask_b32_e64 v148, v148, v146, s[40:41]
	v_cndmask_b32_e64 v149, v149, v147, s[40:41]
	v_cmp_ngt_f64_e64 s[40:41], -1.0, v[146:147]
	s_nop 1
	v_cndmask_b32_e64 v149, v151, v149, s[40:41]
	v_cmp_nge_f64_e64 s[40:41], -1.0, v[146:147]
	v_mov_b32_e32 v151, 0xfff00000
	s_nop 0
	v_cndmask_b32_e64 v148, 0, v148, s[40:41]
	v_cmp_neq_f64_e64 s[40:41], -1.0, v[146:147]
	s_nop 1
	v_cndmask_b32_e64 v149, v151, v149, s[40:41]
	v_add_f64 v[146:147], v[6:7], v[148:149]
.LBB30_95:
	s_or_b64 exec, exec, s[48:49]
	v_mov_b64_e32 v[6:7], v[146:147]
.LBB30_96:
	s_or_b64 exec, exec, s[46:47]
	v_add_u32_e32 v146, -1, v150
	v_and_b32_e32 v147, 64, v150
	v_cmp_lt_i32_e64 s[40:41], v146, v147
	s_movk_i32 s50, 0x1f8
	s_nop 0
	v_cndmask_b32_e64 v146, v146, v150, s[40:41]
	v_lshlrev_b32_e32 v146, 2, v146
	ds_bpermute_b32 v6, v146, v6
	ds_bpermute_b32 v7, v146, v7
	s_waitcnt lgkmcnt(0)
	v_max_f64 v[148:149], v[6:7], v[6:7]
	v_min_f64 v[146:147], v[148:149], v[8:9]
	v_cmp_u_f64_e64 s[40:41], v[6:7], v[6:7]
	v_max_f64 v[8:9], v[148:149], v[8:9]
	s_nop 0
	v_cndmask_b32_e64 v146, v146, v6, s[40:41]
	v_cndmask_b32_e64 v147, v147, v7, s[40:41]
	;; [unrolled: 1-line block ×8, first 2 shown]
	v_cmp_neq_f64_e64 s[38:39], v[146:147], v[4:5]
	v_cmp_class_f64_e64 s[40:41], v[146:147], s50
	s_or_b64 s[38:39], s[38:39], s[40:41]
	s_and_saveexec_b64 s[42:43], s[38:39]
	s_cbranch_execz .LBB30_98
; %bb.97:
	s_mov_b32 s38, 0x652b82fe
	v_add_f64 v[6:7], v[146:147], -v[4:5]
	s_mov_b32 s39, 0x3ff71547
	v_mul_f64 v[8:9], v[6:7], s[38:39]
	v_rndne_f64_e32 v[8:9], v[8:9]
	s_mov_b32 s47, 0xbfe62e42
	s_mov_b32 s46, 0xfefa39ef
	v_fma_f64 v[146:147], s[46:47], v[8:9], v[6:7]
	s_mov_b32 s49, 0xbc7abc9e
	s_mov_b32 s48, 0x3b39803f
	;; [unrolled: 1-line block ×3, first 2 shown]
	v_fmac_f64_e32 v[146:147], s[48:49], v[8:9]
	v_mov_b32_e32 v148, 0xfca7ab0c
	v_mov_b32_e32 v149, 0x3e928af3
	s_mov_b32 s39, 0x3e5ade15
	v_fmac_f64_e32 v[148:149], s[38:39], v[146:147]
	v_mov_b32_e32 v150, 0x623fde64
	v_mov_b32_e32 v151, 0x3ec71dee
	v_fmac_f64_e32 v[150:151], v[146:147], v[148:149]
	v_mov_b32_e32 v148, 0x7c89e6b0
	v_mov_b32_e32 v149, 0x3efa0199
	;; [unrolled: 3-line block ×8, first 2 shown]
	v_fmac_f64_e32 v[148:149], v[146:147], v[150:151]
	v_fma_f64 v[148:149], v[146:147], v[148:149], 1.0
	s_mov_b32 s38, 0
	s_mov_b32 s40, 0
	v_fma_f64 v[146:147], v[146:147], v[148:149], 1.0
	v_cvt_i32_f64_e32 v8, v[8:9]
	s_mov_b32 s39, 0x40900000
	s_mov_b32 s41, 0xc090cc00
	v_ldexp_f64 v[8:9], v[146:147], v8
	v_mov_b32_e32 v146, 0x7ff00000
	v_cmp_nlt_f64_e64 s[38:39], s[38:39], v[6:7]
	v_cmp_ngt_f64_e64 s[40:41], s[40:41], v[6:7]
	s_mov_b32 s47, 0x3fe62e42
	v_cndmask_b32_e64 v9, v146, v9, s[38:39]
	s_and_b64 s[38:39], s[40:41], s[38:39]
	v_cndmask_b32_e64 v7, 0, v9, s[40:41]
	v_cndmask_b32_e64 v6, 0, v8, s[38:39]
	v_add_f64 v[8:9], v[6:7], 1.0
	v_add_f64 v[146:147], v[8:9], -1.0
	v_add_f64 v[148:149], v[146:147], -v[8:9]
	v_add_f64 v[148:149], v[148:149], 1.0
	v_add_f64 v[146:147], v[6:7], -v[146:147]
	s_mov_b32 s38, 0x55555555
	v_add_f64 v[146:147], v[146:147], v[148:149]
	v_frexp_mant_f64_e32 v[148:149], v[8:9]
	s_mov_b32 s39, 0x3fe55555
	v_frexp_exp_i32_f64_e32 v150, v[8:9]
	v_cmp_gt_f64_e64 s[38:39], s[38:39], v[148:149]
	s_mov_b32 s49, 0x3c7abc9e
	s_nop 0
	v_subbrev_co_u32_e64 v180, s[38:39], 0, v150, s[38:39]
	v_sub_u32_e32 v148, 0, v180
	v_ldexp_f64 v[8:9], v[8:9], v148
	v_ldexp_f64 v[146:147], v[146:147], v148
	v_add_f64 v[148:149], v[8:9], -1.0
	v_add_f64 v[162:163], v[8:9], 1.0
	v_add_f64 v[150:151], v[148:149], 1.0
	v_add_f64 v[164:165], v[162:163], -1.0
	v_add_f64 v[150:151], v[8:9], -v[150:151]
	v_add_f64 v[8:9], v[8:9], -v[164:165]
	v_add_f64 v[8:9], v[146:147], v[8:9]
	v_add_f64 v[150:151], v[146:147], v[150:151]
	;; [unrolled: 1-line block ×3, first 2 shown]
	v_rcp_f64_e32 v[164:165], v[146:147]
	v_add_f64 v[160:161], v[148:149], v[150:151]
	v_add_f64 v[148:149], v[160:161], -v[148:149]
	v_add_f64 v[148:149], v[150:151], -v[148:149]
	;; [unrolled: 1-line block ×4, first 2 shown]
	v_fma_f64 v[150:151], -v[146:147], v[164:165], 1.0
	v_fmac_f64_e32 v[164:165], v[150:151], v[164:165]
	v_fma_f64 v[150:151], -v[146:147], v[164:165], 1.0
	v_fmac_f64_e32 v[164:165], v[150:151], v[164:165]
	v_mul_f64 v[150:151], v[160:161], v[164:165]
	v_mul_f64 v[162:163], v[146:147], v[150:151]
	v_fma_f64 v[166:167], v[150:151], v[146:147], -v[162:163]
	v_fmac_f64_e32 v[166:167], v[150:151], v[8:9]
	v_add_f64 v[176:177], v[162:163], v[166:167]
	v_add_f64 v[178:179], v[160:161], -v[176:177]
	v_add_f64 v[160:161], v[160:161], -v[178:179]
	;; [unrolled: 1-line block ×4, first 2 shown]
	v_add_f64 v[148:149], v[148:149], v[160:161]
	v_add_f64 v[160:161], v[162:163], -v[166:167]
	v_add_f64 v[148:149], v[160:161], v[148:149]
	v_add_f64 v[160:161], v[178:179], v[148:149]
	v_add_f64 v[162:163], v[178:179], -v[160:161]
	v_add_f64 v[148:149], v[148:149], v[162:163]
	v_mul_f64 v[162:163], v[164:165], v[160:161]
	v_mul_f64 v[166:167], v[146:147], v[162:163]
	v_fma_f64 v[146:147], v[162:163], v[146:147], -v[166:167]
	v_fmac_f64_e32 v[146:147], v[162:163], v[8:9]
	v_add_f64 v[8:9], v[166:167], v[146:147]
	v_add_f64 v[176:177], v[160:161], -v[8:9]
	v_add_f64 v[160:161], v[160:161], -v[176:177]
	;; [unrolled: 1-line block ×4, first 2 shown]
	v_add_f64 v[8:9], v[148:149], v[8:9]
	v_add_f64 v[146:147], v[166:167], -v[146:147]
	v_add_f64 v[8:9], v[146:147], v[8:9]
	v_add_f64 v[146:147], v[150:151], v[162:163]
	;; [unrolled: 1-line block ×3, first 2 shown]
	v_add_f64 v[148:149], v[146:147], -v[150:151]
	v_mul_f64 v[8:9], v[164:165], v[8:9]
	v_add_f64 v[148:149], v[162:163], -v[148:149]
	v_add_f64 v[8:9], v[148:149], v[8:9]
	v_add_f64 v[148:149], v[146:147], v[8:9]
	v_add_f64 v[146:147], v[148:149], -v[146:147]
	s_mov_b32 s38, 0xbf559e2b
	v_add_f64 v[8:9], v[8:9], -v[146:147]
	v_mul_f64 v[146:147], v[148:149], v[148:149]
	v_mov_b32_e32 v150, 0x6b47b09a
	v_mov_b32_e32 v151, 0x3fc38538
	s_mov_b32 s39, 0x3fc3ab76
	v_fmac_f64_e32 v[150:151], s[38:39], v[146:147]
	v_mov_b32_e32 v160, 0xd7f4df2e
	v_mov_b32_e32 v161, 0x3fc7474d
	v_fmac_f64_e32 v[160:161], v[146:147], v[150:151]
	v_mov_b32_e32 v150, 0x16291751
	v_mov_b32_e32 v151, 0x3fcc71c0
	;; [unrolled: 3-line block ×5, first 2 shown]
	v_fmac_f64_e32 v[160:161], v[146:147], v[150:151]
	v_cvt_f64_i32_e32 v[150:151], v180
	v_mul_f64 v[162:163], v[150:151], s[46:47]
	v_fma_f64 v[164:165], v[150:151], s[46:47], -v[162:163]
	v_fmac_f64_e32 v[164:165], s[48:49], v[150:151]
	v_add_f64 v[150:151], v[162:163], v[164:165]
	v_add_f64 v[162:163], v[150:151], -v[162:163]
	v_mul_f64 v[146:147], v[148:149], v[146:147]
	v_add_f64 v[162:163], v[164:165], -v[162:163]
	v_ldexp_f64 v[164:165], v[148:149], 1
	v_mul_f64 v[146:147], v[146:147], v[160:161]
	v_add_f64 v[148:149], v[164:165], v[146:147]
	v_add_f64 v[160:161], v[148:149], -v[164:165]
	v_ldexp_f64 v[8:9], v[8:9], 1
	v_add_f64 v[146:147], v[146:147], -v[160:161]
	v_add_f64 v[8:9], v[8:9], v[146:147]
	v_add_f64 v[146:147], v[148:149], v[8:9]
	v_add_f64 v[148:149], v[146:147], -v[148:149]
	v_add_f64 v[8:9], v[8:9], -v[148:149]
	v_add_f64 v[148:149], v[150:151], v[146:147]
	v_add_f64 v[160:161], v[148:149], -v[150:151]
	v_add_f64 v[164:165], v[148:149], -v[160:161]
	v_add_f64 v[150:151], v[150:151], -v[164:165]
	v_add_f64 v[146:147], v[146:147], -v[160:161]
	v_add_f64 v[146:147], v[146:147], v[150:151]
	v_add_f64 v[150:151], v[162:163], v[8:9]
	v_add_f64 v[160:161], v[150:151], -v[162:163]
	v_add_f64 v[146:147], v[150:151], v[146:147]
	v_add_f64 v[164:165], v[150:151], -v[160:161]
	;; [unrolled: 2-line block ×3, first 2 shown]
	v_add_f64 v[8:9], v[8:9], -v[160:161]
	v_add_f64 v[148:149], v[150:151], -v[148:149]
	v_add_f64 v[8:9], v[8:9], v[162:163]
	v_add_f64 v[146:147], v[146:147], -v[148:149]
	s_mov_b32 s38, 0
	v_add_f64 v[8:9], v[8:9], v[146:147]
	s_mov_b32 s39, 0x7ff00000
	v_add_f64 v[8:9], v[150:151], v[8:9]
	v_cmp_eq_f64_e64 s[38:39], s[38:39], v[6:7]
	v_mov_b32_e32 v146, 0x7ff80000
	s_nop 0
	v_cndmask_b32_e64 v8, v8, v6, s[38:39]
	v_cndmask_b32_e64 v9, v9, v7, s[38:39]
	v_cmp_ngt_f64_e64 s[38:39], -1.0, v[6:7]
	s_nop 1
	v_cndmask_b32_e64 v9, v146, v9, s[38:39]
	v_cmp_nge_f64_e64 s[38:39], -1.0, v[6:7]
	v_mov_b32_e32 v146, 0xfff00000
	s_nop 0
	v_cndmask_b32_e64 v8, 0, v8, s[38:39]
	v_cmp_neq_f64_e64 s[38:39], -1.0, v[6:7]
	s_nop 1
	v_cndmask_b32_e64 v9, v146, v9, s[38:39]
	v_add_f64 v[6:7], v[4:5], v[8:9]
.LBB30_98:
	s_or_b64 exec, exec, s[42:43]
	v_cndmask_b32_e64 v7, v7, v145, s[4:5]
	v_cndmask_b32_e64 v6, v6, v144, s[4:5]
	; wave barrier
	ds_write_b64 v53, v[6:7]
	; wave barrier
	ds_read_b64 v[4:5], v53 offset:8
	v_max_f64 v[146:147], v[6:7], v[6:7]
	v_cmp_u_f64_e64 s[38:39], v[6:7], v[6:7]
	s_waitcnt lgkmcnt(0)
	v_max_f64 v[148:149], v[4:5], v[4:5]
	v_min_f64 v[8:9], v[146:147], v[148:149]
	v_max_f64 v[146:147], v[146:147], v[148:149]
	v_cndmask_b32_e64 v8, v8, v6, s[38:39]
	v_cndmask_b32_e64 v9, v9, v7, s[38:39]
	v_cmp_u_f64_e64 s[40:41], v[4:5], v[4:5]
	v_cndmask_b32_e64 v146, v146, v6, s[38:39]
	v_cndmask_b32_e64 v147, v147, v7, s[38:39]
	;; [unrolled: 1-line block ×6, first 2 shown]
	v_cmp_neq_f64_e64 s[38:39], v[8:9], v[4:5]
	v_cmp_class_f64_e64 s[40:41], v[8:9], s50
	s_or_b64 s[38:39], s[38:39], s[40:41]
	s_and_saveexec_b64 s[42:43], s[38:39]
	s_cbranch_execz .LBB30_100
; %bb.99:
	s_mov_b32 s38, 0x652b82fe
	v_add_f64 v[6:7], v[8:9], -v[4:5]
	s_mov_b32 s39, 0x3ff71547
	v_mul_f64 v[8:9], v[6:7], s[38:39]
	v_rndne_f64_e32 v[8:9], v[8:9]
	s_mov_b32 s47, 0xbfe62e42
	s_mov_b32 s46, 0xfefa39ef
	v_fma_f64 v[146:147], s[46:47], v[8:9], v[6:7]
	s_mov_b32 s49, 0xbc7abc9e
	s_mov_b32 s48, 0x3b39803f
	;; [unrolled: 1-line block ×3, first 2 shown]
	v_fmac_f64_e32 v[146:147], s[48:49], v[8:9]
	v_mov_b32_e32 v148, 0xfca7ab0c
	v_mov_b32_e32 v149, 0x3e928af3
	s_mov_b32 s39, 0x3e5ade15
	v_fmac_f64_e32 v[148:149], s[38:39], v[146:147]
	v_mov_b32_e32 v150, 0x623fde64
	v_mov_b32_e32 v151, 0x3ec71dee
	v_fmac_f64_e32 v[150:151], v[146:147], v[148:149]
	v_mov_b32_e32 v148, 0x7c89e6b0
	v_mov_b32_e32 v149, 0x3efa0199
	;; [unrolled: 3-line block ×8, first 2 shown]
	v_fmac_f64_e32 v[148:149], v[146:147], v[150:151]
	v_fma_f64 v[148:149], v[146:147], v[148:149], 1.0
	s_mov_b32 s38, 0
	s_mov_b32 s40, 0
	v_fma_f64 v[146:147], v[146:147], v[148:149], 1.0
	v_cvt_i32_f64_e32 v8, v[8:9]
	s_mov_b32 s39, 0x40900000
	s_mov_b32 s41, 0xc090cc00
	v_ldexp_f64 v[8:9], v[146:147], v8
	v_mov_b32_e32 v146, 0x7ff00000
	v_cmp_nlt_f64_e64 s[38:39], s[38:39], v[6:7]
	v_cmp_ngt_f64_e64 s[40:41], s[40:41], v[6:7]
	s_mov_b32 s47, 0x3fe62e42
	v_cndmask_b32_e64 v9, v146, v9, s[38:39]
	s_and_b64 s[38:39], s[40:41], s[38:39]
	v_cndmask_b32_e64 v7, 0, v9, s[40:41]
	v_cndmask_b32_e64 v6, 0, v8, s[38:39]
	v_add_f64 v[8:9], v[6:7], 1.0
	v_add_f64 v[146:147], v[8:9], -1.0
	v_add_f64 v[148:149], v[146:147], -v[8:9]
	v_add_f64 v[148:149], v[148:149], 1.0
	v_add_f64 v[146:147], v[6:7], -v[146:147]
	s_mov_b32 s38, 0x55555555
	v_add_f64 v[146:147], v[146:147], v[148:149]
	v_frexp_mant_f64_e32 v[148:149], v[8:9]
	s_mov_b32 s39, 0x3fe55555
	v_frexp_exp_i32_f64_e32 v150, v[8:9]
	v_cmp_gt_f64_e64 s[38:39], s[38:39], v[148:149]
	s_mov_b32 s49, 0x3c7abc9e
	s_nop 0
	v_subbrev_co_u32_e64 v180, s[38:39], 0, v150, s[38:39]
	v_sub_u32_e32 v148, 0, v180
	v_ldexp_f64 v[8:9], v[8:9], v148
	v_ldexp_f64 v[146:147], v[146:147], v148
	v_add_f64 v[148:149], v[8:9], -1.0
	v_add_f64 v[162:163], v[8:9], 1.0
	v_add_f64 v[150:151], v[148:149], 1.0
	v_add_f64 v[164:165], v[162:163], -1.0
	v_add_f64 v[150:151], v[8:9], -v[150:151]
	v_add_f64 v[8:9], v[8:9], -v[164:165]
	v_add_f64 v[8:9], v[146:147], v[8:9]
	v_add_f64 v[150:151], v[146:147], v[150:151]
	;; [unrolled: 1-line block ×3, first 2 shown]
	v_rcp_f64_e32 v[164:165], v[146:147]
	v_add_f64 v[160:161], v[148:149], v[150:151]
	v_add_f64 v[148:149], v[160:161], -v[148:149]
	v_add_f64 v[148:149], v[150:151], -v[148:149]
	;; [unrolled: 1-line block ×4, first 2 shown]
	v_fma_f64 v[150:151], -v[146:147], v[164:165], 1.0
	v_fmac_f64_e32 v[164:165], v[150:151], v[164:165]
	v_fma_f64 v[150:151], -v[146:147], v[164:165], 1.0
	v_fmac_f64_e32 v[164:165], v[150:151], v[164:165]
	v_mul_f64 v[150:151], v[160:161], v[164:165]
	v_mul_f64 v[162:163], v[146:147], v[150:151]
	v_fma_f64 v[166:167], v[150:151], v[146:147], -v[162:163]
	v_fmac_f64_e32 v[166:167], v[150:151], v[8:9]
	v_add_f64 v[176:177], v[162:163], v[166:167]
	v_add_f64 v[178:179], v[160:161], -v[176:177]
	v_add_f64 v[160:161], v[160:161], -v[178:179]
	;; [unrolled: 1-line block ×4, first 2 shown]
	v_add_f64 v[148:149], v[148:149], v[160:161]
	v_add_f64 v[160:161], v[162:163], -v[166:167]
	v_add_f64 v[148:149], v[160:161], v[148:149]
	v_add_f64 v[160:161], v[178:179], v[148:149]
	v_add_f64 v[162:163], v[178:179], -v[160:161]
	v_add_f64 v[148:149], v[148:149], v[162:163]
	v_mul_f64 v[162:163], v[164:165], v[160:161]
	v_mul_f64 v[166:167], v[146:147], v[162:163]
	v_fma_f64 v[146:147], v[162:163], v[146:147], -v[166:167]
	v_fmac_f64_e32 v[146:147], v[162:163], v[8:9]
	v_add_f64 v[8:9], v[166:167], v[146:147]
	v_add_f64 v[176:177], v[160:161], -v[8:9]
	v_add_f64 v[160:161], v[160:161], -v[176:177]
	;; [unrolled: 1-line block ×4, first 2 shown]
	v_add_f64 v[8:9], v[148:149], v[8:9]
	v_add_f64 v[146:147], v[166:167], -v[146:147]
	v_add_f64 v[8:9], v[146:147], v[8:9]
	v_add_f64 v[146:147], v[150:151], v[162:163]
	;; [unrolled: 1-line block ×3, first 2 shown]
	v_add_f64 v[148:149], v[146:147], -v[150:151]
	v_mul_f64 v[8:9], v[164:165], v[8:9]
	v_add_f64 v[148:149], v[162:163], -v[148:149]
	v_add_f64 v[8:9], v[148:149], v[8:9]
	v_add_f64 v[148:149], v[146:147], v[8:9]
	v_add_f64 v[146:147], v[148:149], -v[146:147]
	s_mov_b32 s38, 0xbf559e2b
	v_add_f64 v[8:9], v[8:9], -v[146:147]
	v_mul_f64 v[146:147], v[148:149], v[148:149]
	v_mov_b32_e32 v150, 0x6b47b09a
	v_mov_b32_e32 v151, 0x3fc38538
	s_mov_b32 s39, 0x3fc3ab76
	v_fmac_f64_e32 v[150:151], s[38:39], v[146:147]
	v_mov_b32_e32 v160, 0xd7f4df2e
	v_mov_b32_e32 v161, 0x3fc7474d
	v_fmac_f64_e32 v[160:161], v[146:147], v[150:151]
	v_mov_b32_e32 v150, 0x16291751
	v_mov_b32_e32 v151, 0x3fcc71c0
	;; [unrolled: 3-line block ×5, first 2 shown]
	v_fmac_f64_e32 v[160:161], v[146:147], v[150:151]
	v_cvt_f64_i32_e32 v[150:151], v180
	v_mul_f64 v[162:163], v[150:151], s[46:47]
	v_fma_f64 v[164:165], v[150:151], s[46:47], -v[162:163]
	v_fmac_f64_e32 v[164:165], s[48:49], v[150:151]
	v_add_f64 v[150:151], v[162:163], v[164:165]
	v_add_f64 v[162:163], v[150:151], -v[162:163]
	v_mul_f64 v[146:147], v[148:149], v[146:147]
	v_add_f64 v[162:163], v[164:165], -v[162:163]
	v_ldexp_f64 v[164:165], v[148:149], 1
	v_mul_f64 v[146:147], v[146:147], v[160:161]
	v_add_f64 v[148:149], v[164:165], v[146:147]
	v_add_f64 v[160:161], v[148:149], -v[164:165]
	v_ldexp_f64 v[8:9], v[8:9], 1
	v_add_f64 v[146:147], v[146:147], -v[160:161]
	v_add_f64 v[8:9], v[8:9], v[146:147]
	v_add_f64 v[146:147], v[148:149], v[8:9]
	v_add_f64 v[148:149], v[146:147], -v[148:149]
	v_add_f64 v[8:9], v[8:9], -v[148:149]
	v_add_f64 v[148:149], v[150:151], v[146:147]
	v_add_f64 v[160:161], v[148:149], -v[150:151]
	v_add_f64 v[164:165], v[148:149], -v[160:161]
	;; [unrolled: 1-line block ×4, first 2 shown]
	v_add_f64 v[146:147], v[146:147], v[150:151]
	v_add_f64 v[150:151], v[162:163], v[8:9]
	v_add_f64 v[160:161], v[150:151], -v[162:163]
	v_add_f64 v[146:147], v[150:151], v[146:147]
	v_add_f64 v[164:165], v[150:151], -v[160:161]
	;; [unrolled: 2-line block ×3, first 2 shown]
	v_add_f64 v[8:9], v[8:9], -v[160:161]
	v_add_f64 v[148:149], v[150:151], -v[148:149]
	v_add_f64 v[8:9], v[8:9], v[162:163]
	v_add_f64 v[146:147], v[146:147], -v[148:149]
	s_mov_b32 s38, 0
	v_add_f64 v[8:9], v[8:9], v[146:147]
	s_mov_b32 s39, 0x7ff00000
	v_add_f64 v[8:9], v[150:151], v[8:9]
	v_cmp_eq_f64_e64 s[38:39], s[38:39], v[6:7]
	v_mov_b32_e32 v146, 0x7ff80000
	s_nop 0
	v_cndmask_b32_e64 v8, v8, v6, s[38:39]
	v_cndmask_b32_e64 v9, v9, v7, s[38:39]
	v_cmp_ngt_f64_e64 s[38:39], -1.0, v[6:7]
	s_nop 1
	v_cndmask_b32_e64 v9, v146, v9, s[38:39]
	v_cmp_nge_f64_e64 s[38:39], -1.0, v[6:7]
	v_mov_b32_e32 v146, 0xfff00000
	s_nop 0
	v_cndmask_b32_e64 v8, 0, v8, s[38:39]
	v_cmp_neq_f64_e64 s[38:39], -1.0, v[6:7]
	s_nop 1
	v_cndmask_b32_e64 v9, v146, v9, s[38:39]
	v_add_f64 v[6:7], v[4:5], v[8:9]
.LBB30_100:
	s_or_b64 exec, exec, s[42:43]
	ds_read_b64 v[4:5], v53 offset:16
	v_max_f64 v[146:147], v[6:7], v[6:7]
	v_cmp_u_f64_e64 s[38:39], v[6:7], v[6:7]
	ds_write_b64 v53, v[6:7] offset:8
	s_waitcnt lgkmcnt(1)
	v_max_f64 v[148:149], v[4:5], v[4:5]
	v_min_f64 v[8:9], v[146:147], v[148:149]
	v_max_f64 v[146:147], v[146:147], v[148:149]
	v_cndmask_b32_e64 v8, v8, v6, s[38:39]
	v_cndmask_b32_e64 v9, v9, v7, s[38:39]
	v_cmp_u_f64_e64 s[40:41], v[4:5], v[4:5]
	v_cndmask_b32_e64 v146, v146, v6, s[38:39]
	v_cndmask_b32_e64 v147, v147, v7, s[38:39]
	;; [unrolled: 1-line block ×6, first 2 shown]
	v_cmp_neq_f64_e64 s[38:39], v[8:9], v[4:5]
	v_cmp_class_f64_e64 s[40:41], v[8:9], s50
	s_or_b64 s[38:39], s[38:39], s[40:41]
	s_and_saveexec_b64 s[42:43], s[38:39]
	s_cbranch_execz .LBB30_102
; %bb.101:
	s_mov_b32 s38, 0x652b82fe
	v_add_f64 v[6:7], v[8:9], -v[4:5]
	s_mov_b32 s39, 0x3ff71547
	v_mul_f64 v[8:9], v[6:7], s[38:39]
	v_rndne_f64_e32 v[8:9], v[8:9]
	s_mov_b32 s47, 0xbfe62e42
	s_mov_b32 s46, 0xfefa39ef
	v_fma_f64 v[146:147], s[46:47], v[8:9], v[6:7]
	s_mov_b32 s49, 0xbc7abc9e
	s_mov_b32 s48, 0x3b39803f
	s_mov_b32 s38, 0x6a5dcb37
	v_fmac_f64_e32 v[146:147], s[48:49], v[8:9]
	v_mov_b32_e32 v148, 0xfca7ab0c
	v_mov_b32_e32 v149, 0x3e928af3
	s_mov_b32 s39, 0x3e5ade15
	v_fmac_f64_e32 v[148:149], s[38:39], v[146:147]
	v_mov_b32_e32 v150, 0x623fde64
	v_mov_b32_e32 v151, 0x3ec71dee
	v_fmac_f64_e32 v[150:151], v[146:147], v[148:149]
	v_mov_b32_e32 v148, 0x7c89e6b0
	v_mov_b32_e32 v149, 0x3efa0199
	;; [unrolled: 3-line block ×8, first 2 shown]
	v_fmac_f64_e32 v[148:149], v[146:147], v[150:151]
	v_fma_f64 v[148:149], v[146:147], v[148:149], 1.0
	s_mov_b32 s38, 0
	s_mov_b32 s40, 0
	v_fma_f64 v[146:147], v[146:147], v[148:149], 1.0
	v_cvt_i32_f64_e32 v8, v[8:9]
	s_mov_b32 s39, 0x40900000
	s_mov_b32 s41, 0xc090cc00
	v_ldexp_f64 v[8:9], v[146:147], v8
	v_mov_b32_e32 v146, 0x7ff00000
	v_cmp_nlt_f64_e64 s[38:39], s[38:39], v[6:7]
	v_cmp_ngt_f64_e64 s[40:41], s[40:41], v[6:7]
	s_mov_b32 s47, 0x3fe62e42
	v_cndmask_b32_e64 v9, v146, v9, s[38:39]
	s_and_b64 s[38:39], s[40:41], s[38:39]
	v_cndmask_b32_e64 v7, 0, v9, s[40:41]
	v_cndmask_b32_e64 v6, 0, v8, s[38:39]
	v_add_f64 v[8:9], v[6:7], 1.0
	v_add_f64 v[146:147], v[8:9], -1.0
	v_add_f64 v[148:149], v[146:147], -v[8:9]
	v_add_f64 v[148:149], v[148:149], 1.0
	v_add_f64 v[146:147], v[6:7], -v[146:147]
	s_mov_b32 s38, 0x55555555
	v_add_f64 v[146:147], v[146:147], v[148:149]
	v_frexp_mant_f64_e32 v[148:149], v[8:9]
	s_mov_b32 s39, 0x3fe55555
	v_frexp_exp_i32_f64_e32 v150, v[8:9]
	v_cmp_gt_f64_e64 s[38:39], s[38:39], v[148:149]
	s_mov_b32 s49, 0x3c7abc9e
	s_nop 0
	v_subbrev_co_u32_e64 v180, s[38:39], 0, v150, s[38:39]
	v_sub_u32_e32 v148, 0, v180
	v_ldexp_f64 v[8:9], v[8:9], v148
	v_ldexp_f64 v[146:147], v[146:147], v148
	v_add_f64 v[148:149], v[8:9], -1.0
	v_add_f64 v[162:163], v[8:9], 1.0
	v_add_f64 v[150:151], v[148:149], 1.0
	v_add_f64 v[164:165], v[162:163], -1.0
	v_add_f64 v[150:151], v[8:9], -v[150:151]
	v_add_f64 v[8:9], v[8:9], -v[164:165]
	v_add_f64 v[8:9], v[146:147], v[8:9]
	v_add_f64 v[150:151], v[146:147], v[150:151]
	;; [unrolled: 1-line block ×3, first 2 shown]
	v_rcp_f64_e32 v[164:165], v[146:147]
	v_add_f64 v[160:161], v[148:149], v[150:151]
	v_add_f64 v[148:149], v[160:161], -v[148:149]
	v_add_f64 v[148:149], v[150:151], -v[148:149]
	;; [unrolled: 1-line block ×4, first 2 shown]
	v_fma_f64 v[150:151], -v[146:147], v[164:165], 1.0
	v_fmac_f64_e32 v[164:165], v[150:151], v[164:165]
	v_fma_f64 v[150:151], -v[146:147], v[164:165], 1.0
	v_fmac_f64_e32 v[164:165], v[150:151], v[164:165]
	v_mul_f64 v[150:151], v[160:161], v[164:165]
	v_mul_f64 v[162:163], v[146:147], v[150:151]
	v_fma_f64 v[166:167], v[150:151], v[146:147], -v[162:163]
	v_fmac_f64_e32 v[166:167], v[150:151], v[8:9]
	v_add_f64 v[176:177], v[162:163], v[166:167]
	v_add_f64 v[178:179], v[160:161], -v[176:177]
	v_add_f64 v[160:161], v[160:161], -v[178:179]
	;; [unrolled: 1-line block ×4, first 2 shown]
	v_add_f64 v[148:149], v[148:149], v[160:161]
	v_add_f64 v[160:161], v[162:163], -v[166:167]
	v_add_f64 v[148:149], v[160:161], v[148:149]
	v_add_f64 v[160:161], v[178:179], v[148:149]
	v_add_f64 v[162:163], v[178:179], -v[160:161]
	v_add_f64 v[148:149], v[148:149], v[162:163]
	v_mul_f64 v[162:163], v[164:165], v[160:161]
	v_mul_f64 v[166:167], v[146:147], v[162:163]
	v_fma_f64 v[146:147], v[162:163], v[146:147], -v[166:167]
	v_fmac_f64_e32 v[146:147], v[162:163], v[8:9]
	v_add_f64 v[8:9], v[166:167], v[146:147]
	v_add_f64 v[176:177], v[160:161], -v[8:9]
	v_add_f64 v[160:161], v[160:161], -v[176:177]
	;; [unrolled: 1-line block ×4, first 2 shown]
	v_add_f64 v[8:9], v[148:149], v[8:9]
	v_add_f64 v[146:147], v[166:167], -v[146:147]
	v_add_f64 v[8:9], v[146:147], v[8:9]
	v_add_f64 v[146:147], v[150:151], v[162:163]
	v_add_f64 v[8:9], v[176:177], v[8:9]
	v_add_f64 v[148:149], v[146:147], -v[150:151]
	v_mul_f64 v[8:9], v[164:165], v[8:9]
	v_add_f64 v[148:149], v[162:163], -v[148:149]
	v_add_f64 v[8:9], v[148:149], v[8:9]
	v_add_f64 v[148:149], v[146:147], v[8:9]
	v_add_f64 v[146:147], v[148:149], -v[146:147]
	s_mov_b32 s38, 0xbf559e2b
	v_add_f64 v[8:9], v[8:9], -v[146:147]
	v_mul_f64 v[146:147], v[148:149], v[148:149]
	v_mov_b32_e32 v150, 0x6b47b09a
	v_mov_b32_e32 v151, 0x3fc38538
	s_mov_b32 s39, 0x3fc3ab76
	v_fmac_f64_e32 v[150:151], s[38:39], v[146:147]
	v_mov_b32_e32 v160, 0xd7f4df2e
	v_mov_b32_e32 v161, 0x3fc7474d
	v_fmac_f64_e32 v[160:161], v[146:147], v[150:151]
	v_mov_b32_e32 v150, 0x16291751
	v_mov_b32_e32 v151, 0x3fcc71c0
	;; [unrolled: 3-line block ×5, first 2 shown]
	v_fmac_f64_e32 v[160:161], v[146:147], v[150:151]
	v_cvt_f64_i32_e32 v[150:151], v180
	v_mul_f64 v[162:163], v[150:151], s[46:47]
	v_fma_f64 v[164:165], v[150:151], s[46:47], -v[162:163]
	v_fmac_f64_e32 v[164:165], s[48:49], v[150:151]
	v_add_f64 v[150:151], v[162:163], v[164:165]
	v_add_f64 v[162:163], v[150:151], -v[162:163]
	v_mul_f64 v[146:147], v[148:149], v[146:147]
	v_add_f64 v[162:163], v[164:165], -v[162:163]
	v_ldexp_f64 v[164:165], v[148:149], 1
	v_mul_f64 v[146:147], v[146:147], v[160:161]
	v_add_f64 v[148:149], v[164:165], v[146:147]
	v_add_f64 v[160:161], v[148:149], -v[164:165]
	v_ldexp_f64 v[8:9], v[8:9], 1
	v_add_f64 v[146:147], v[146:147], -v[160:161]
	v_add_f64 v[8:9], v[8:9], v[146:147]
	v_add_f64 v[146:147], v[148:149], v[8:9]
	v_add_f64 v[148:149], v[146:147], -v[148:149]
	v_add_f64 v[8:9], v[8:9], -v[148:149]
	v_add_f64 v[148:149], v[150:151], v[146:147]
	v_add_f64 v[160:161], v[148:149], -v[150:151]
	v_add_f64 v[164:165], v[148:149], -v[160:161]
	;; [unrolled: 1-line block ×4, first 2 shown]
	v_add_f64 v[146:147], v[146:147], v[150:151]
	v_add_f64 v[150:151], v[162:163], v[8:9]
	v_add_f64 v[160:161], v[150:151], -v[162:163]
	v_add_f64 v[146:147], v[150:151], v[146:147]
	v_add_f64 v[164:165], v[150:151], -v[160:161]
	;; [unrolled: 2-line block ×3, first 2 shown]
	v_add_f64 v[8:9], v[8:9], -v[160:161]
	v_add_f64 v[148:149], v[150:151], -v[148:149]
	v_add_f64 v[8:9], v[8:9], v[162:163]
	v_add_f64 v[146:147], v[146:147], -v[148:149]
	s_mov_b32 s38, 0
	v_add_f64 v[8:9], v[8:9], v[146:147]
	s_mov_b32 s39, 0x7ff00000
	v_add_f64 v[8:9], v[150:151], v[8:9]
	v_cmp_eq_f64_e64 s[38:39], s[38:39], v[6:7]
	v_mov_b32_e32 v146, 0x7ff80000
	s_nop 0
	v_cndmask_b32_e64 v8, v8, v6, s[38:39]
	v_cndmask_b32_e64 v9, v9, v7, s[38:39]
	v_cmp_ngt_f64_e64 s[38:39], -1.0, v[6:7]
	s_nop 1
	v_cndmask_b32_e64 v9, v146, v9, s[38:39]
	v_cmp_nge_f64_e64 s[38:39], -1.0, v[6:7]
	v_mov_b32_e32 v146, 0xfff00000
	s_nop 0
	v_cndmask_b32_e64 v8, 0, v8, s[38:39]
	v_cmp_neq_f64_e64 s[38:39], -1.0, v[6:7]
	s_nop 1
	v_cndmask_b32_e64 v9, v146, v9, s[38:39]
	v_add_f64 v[6:7], v[4:5], v[8:9]
.LBB30_102:
	s_or_b64 exec, exec, s[42:43]
	ds_read_b64 v[4:5], v53 offset:24
	v_max_f64 v[146:147], v[6:7], v[6:7]
	v_cmp_u_f64_e64 s[38:39], v[6:7], v[6:7]
	ds_write_b64 v53, v[6:7] offset:16
	s_waitcnt lgkmcnt(1)
	v_max_f64 v[148:149], v[4:5], v[4:5]
	v_min_f64 v[8:9], v[146:147], v[148:149]
	v_max_f64 v[146:147], v[146:147], v[148:149]
	v_cndmask_b32_e64 v8, v8, v6, s[38:39]
	v_cndmask_b32_e64 v9, v9, v7, s[38:39]
	v_cmp_u_f64_e64 s[40:41], v[4:5], v[4:5]
	v_cndmask_b32_e64 v146, v146, v6, s[38:39]
	v_cndmask_b32_e64 v147, v147, v7, s[38:39]
	;; [unrolled: 1-line block ×6, first 2 shown]
	v_cmp_neq_f64_e64 s[38:39], v[8:9], v[4:5]
	v_cmp_class_f64_e64 s[40:41], v[8:9], s50
	s_or_b64 s[38:39], s[38:39], s[40:41]
	s_and_saveexec_b64 s[42:43], s[38:39]
	s_cbranch_execz .LBB30_104
; %bb.103:
	s_mov_b32 s38, 0x652b82fe
	v_add_f64 v[6:7], v[8:9], -v[4:5]
	s_mov_b32 s39, 0x3ff71547
	v_mul_f64 v[8:9], v[6:7], s[38:39]
	v_rndne_f64_e32 v[8:9], v[8:9]
	s_mov_b32 s47, 0xbfe62e42
	s_mov_b32 s46, 0xfefa39ef
	v_fma_f64 v[146:147], s[46:47], v[8:9], v[6:7]
	s_mov_b32 s49, 0xbc7abc9e
	s_mov_b32 s48, 0x3b39803f
	;; [unrolled: 1-line block ×3, first 2 shown]
	v_fmac_f64_e32 v[146:147], s[48:49], v[8:9]
	v_mov_b32_e32 v148, 0xfca7ab0c
	v_mov_b32_e32 v149, 0x3e928af3
	s_mov_b32 s39, 0x3e5ade15
	v_fmac_f64_e32 v[148:149], s[38:39], v[146:147]
	v_mov_b32_e32 v150, 0x623fde64
	v_mov_b32_e32 v151, 0x3ec71dee
	v_fmac_f64_e32 v[150:151], v[146:147], v[148:149]
	v_mov_b32_e32 v148, 0x7c89e6b0
	v_mov_b32_e32 v149, 0x3efa0199
	;; [unrolled: 3-line block ×8, first 2 shown]
	v_fmac_f64_e32 v[148:149], v[146:147], v[150:151]
	v_fma_f64 v[148:149], v[146:147], v[148:149], 1.0
	s_mov_b32 s38, 0
	s_mov_b32 s40, 0
	v_fma_f64 v[146:147], v[146:147], v[148:149], 1.0
	v_cvt_i32_f64_e32 v8, v[8:9]
	s_mov_b32 s39, 0x40900000
	s_mov_b32 s41, 0xc090cc00
	v_ldexp_f64 v[8:9], v[146:147], v8
	v_mov_b32_e32 v146, 0x7ff00000
	v_cmp_nlt_f64_e64 s[38:39], s[38:39], v[6:7]
	v_cmp_ngt_f64_e64 s[40:41], s[40:41], v[6:7]
	s_mov_b32 s47, 0x3fe62e42
	v_cndmask_b32_e64 v9, v146, v9, s[38:39]
	s_and_b64 s[38:39], s[40:41], s[38:39]
	v_cndmask_b32_e64 v7, 0, v9, s[40:41]
	v_cndmask_b32_e64 v6, 0, v8, s[38:39]
	v_add_f64 v[8:9], v[6:7], 1.0
	v_add_f64 v[146:147], v[8:9], -1.0
	v_add_f64 v[148:149], v[146:147], -v[8:9]
	v_add_f64 v[148:149], v[148:149], 1.0
	v_add_f64 v[146:147], v[6:7], -v[146:147]
	s_mov_b32 s38, 0x55555555
	v_add_f64 v[146:147], v[146:147], v[148:149]
	v_frexp_mant_f64_e32 v[148:149], v[8:9]
	s_mov_b32 s39, 0x3fe55555
	v_frexp_exp_i32_f64_e32 v150, v[8:9]
	v_cmp_gt_f64_e64 s[38:39], s[38:39], v[148:149]
	s_mov_b32 s49, 0x3c7abc9e
	s_nop 0
	v_subbrev_co_u32_e64 v180, s[38:39], 0, v150, s[38:39]
	v_sub_u32_e32 v148, 0, v180
	v_ldexp_f64 v[8:9], v[8:9], v148
	v_ldexp_f64 v[146:147], v[146:147], v148
	v_add_f64 v[148:149], v[8:9], -1.0
	v_add_f64 v[162:163], v[8:9], 1.0
	v_add_f64 v[150:151], v[148:149], 1.0
	v_add_f64 v[164:165], v[162:163], -1.0
	v_add_f64 v[150:151], v[8:9], -v[150:151]
	v_add_f64 v[8:9], v[8:9], -v[164:165]
	v_add_f64 v[8:9], v[146:147], v[8:9]
	v_add_f64 v[150:151], v[146:147], v[150:151]
	;; [unrolled: 1-line block ×3, first 2 shown]
	v_rcp_f64_e32 v[164:165], v[146:147]
	v_add_f64 v[160:161], v[148:149], v[150:151]
	v_add_f64 v[148:149], v[160:161], -v[148:149]
	v_add_f64 v[148:149], v[150:151], -v[148:149]
	;; [unrolled: 1-line block ×4, first 2 shown]
	v_fma_f64 v[150:151], -v[146:147], v[164:165], 1.0
	v_fmac_f64_e32 v[164:165], v[150:151], v[164:165]
	v_fma_f64 v[150:151], -v[146:147], v[164:165], 1.0
	v_fmac_f64_e32 v[164:165], v[150:151], v[164:165]
	v_mul_f64 v[150:151], v[160:161], v[164:165]
	v_mul_f64 v[162:163], v[146:147], v[150:151]
	v_fma_f64 v[166:167], v[150:151], v[146:147], -v[162:163]
	v_fmac_f64_e32 v[166:167], v[150:151], v[8:9]
	v_add_f64 v[176:177], v[162:163], v[166:167]
	v_add_f64 v[178:179], v[160:161], -v[176:177]
	v_add_f64 v[160:161], v[160:161], -v[178:179]
	;; [unrolled: 1-line block ×4, first 2 shown]
	v_add_f64 v[148:149], v[148:149], v[160:161]
	v_add_f64 v[160:161], v[162:163], -v[166:167]
	v_add_f64 v[148:149], v[160:161], v[148:149]
	v_add_f64 v[160:161], v[178:179], v[148:149]
	v_add_f64 v[162:163], v[178:179], -v[160:161]
	v_add_f64 v[148:149], v[148:149], v[162:163]
	v_mul_f64 v[162:163], v[164:165], v[160:161]
	v_mul_f64 v[166:167], v[146:147], v[162:163]
	v_fma_f64 v[146:147], v[162:163], v[146:147], -v[166:167]
	v_fmac_f64_e32 v[146:147], v[162:163], v[8:9]
	v_add_f64 v[8:9], v[166:167], v[146:147]
	v_add_f64 v[176:177], v[160:161], -v[8:9]
	v_add_f64 v[160:161], v[160:161], -v[176:177]
	;; [unrolled: 1-line block ×4, first 2 shown]
	v_add_f64 v[8:9], v[148:149], v[8:9]
	v_add_f64 v[146:147], v[166:167], -v[146:147]
	v_add_f64 v[8:9], v[146:147], v[8:9]
	v_add_f64 v[146:147], v[150:151], v[162:163]
	v_add_f64 v[8:9], v[176:177], v[8:9]
	v_add_f64 v[148:149], v[146:147], -v[150:151]
	v_mul_f64 v[8:9], v[164:165], v[8:9]
	v_add_f64 v[148:149], v[162:163], -v[148:149]
	v_add_f64 v[8:9], v[148:149], v[8:9]
	v_add_f64 v[148:149], v[146:147], v[8:9]
	v_add_f64 v[146:147], v[148:149], -v[146:147]
	s_mov_b32 s38, 0xbf559e2b
	v_add_f64 v[8:9], v[8:9], -v[146:147]
	v_mul_f64 v[146:147], v[148:149], v[148:149]
	v_mov_b32_e32 v150, 0x6b47b09a
	v_mov_b32_e32 v151, 0x3fc38538
	s_mov_b32 s39, 0x3fc3ab76
	v_fmac_f64_e32 v[150:151], s[38:39], v[146:147]
	v_mov_b32_e32 v160, 0xd7f4df2e
	v_mov_b32_e32 v161, 0x3fc7474d
	v_fmac_f64_e32 v[160:161], v[146:147], v[150:151]
	v_mov_b32_e32 v150, 0x16291751
	v_mov_b32_e32 v151, 0x3fcc71c0
	;; [unrolled: 3-line block ×5, first 2 shown]
	v_fmac_f64_e32 v[160:161], v[146:147], v[150:151]
	v_cvt_f64_i32_e32 v[150:151], v180
	v_mul_f64 v[162:163], v[150:151], s[46:47]
	v_fma_f64 v[164:165], v[150:151], s[46:47], -v[162:163]
	v_fmac_f64_e32 v[164:165], s[48:49], v[150:151]
	v_add_f64 v[150:151], v[162:163], v[164:165]
	v_add_f64 v[162:163], v[150:151], -v[162:163]
	v_mul_f64 v[146:147], v[148:149], v[146:147]
	v_add_f64 v[162:163], v[164:165], -v[162:163]
	v_ldexp_f64 v[164:165], v[148:149], 1
	v_mul_f64 v[146:147], v[146:147], v[160:161]
	v_add_f64 v[148:149], v[164:165], v[146:147]
	v_add_f64 v[160:161], v[148:149], -v[164:165]
	v_ldexp_f64 v[8:9], v[8:9], 1
	v_add_f64 v[146:147], v[146:147], -v[160:161]
	v_add_f64 v[8:9], v[8:9], v[146:147]
	v_add_f64 v[146:147], v[148:149], v[8:9]
	v_add_f64 v[148:149], v[146:147], -v[148:149]
	v_add_f64 v[8:9], v[8:9], -v[148:149]
	v_add_f64 v[148:149], v[150:151], v[146:147]
	v_add_f64 v[160:161], v[148:149], -v[150:151]
	v_add_f64 v[164:165], v[148:149], -v[160:161]
	;; [unrolled: 1-line block ×4, first 2 shown]
	v_add_f64 v[146:147], v[146:147], v[150:151]
	v_add_f64 v[150:151], v[162:163], v[8:9]
	v_add_f64 v[160:161], v[150:151], -v[162:163]
	v_add_f64 v[146:147], v[150:151], v[146:147]
	v_add_f64 v[164:165], v[150:151], -v[160:161]
	;; [unrolled: 2-line block ×3, first 2 shown]
	v_add_f64 v[8:9], v[8:9], -v[160:161]
	v_add_f64 v[148:149], v[150:151], -v[148:149]
	v_add_f64 v[8:9], v[8:9], v[162:163]
	v_add_f64 v[146:147], v[146:147], -v[148:149]
	s_mov_b32 s38, 0
	v_add_f64 v[8:9], v[8:9], v[146:147]
	s_mov_b32 s39, 0x7ff00000
	v_add_f64 v[8:9], v[150:151], v[8:9]
	v_cmp_eq_f64_e64 s[38:39], s[38:39], v[6:7]
	v_mov_b32_e32 v146, 0x7ff80000
	s_nop 0
	v_cndmask_b32_e64 v8, v8, v6, s[38:39]
	v_cndmask_b32_e64 v9, v9, v7, s[38:39]
	v_cmp_ngt_f64_e64 s[38:39], -1.0, v[6:7]
	s_nop 1
	v_cndmask_b32_e64 v9, v146, v9, s[38:39]
	v_cmp_nge_f64_e64 s[38:39], -1.0, v[6:7]
	v_mov_b32_e32 v146, 0xfff00000
	s_nop 0
	v_cndmask_b32_e64 v8, 0, v8, s[38:39]
	v_cmp_neq_f64_e64 s[38:39], -1.0, v[6:7]
	s_nop 1
	v_cndmask_b32_e64 v9, v146, v9, s[38:39]
	v_add_f64 v[6:7], v[4:5], v[8:9]
.LBB30_104:
	s_or_b64 exec, exec, s[42:43]
	ds_write_b64 v53, v[6:7] offset:24
.LBB30_105:
	s_or_b64 exec, exec, s[44:45]
	s_waitcnt lgkmcnt(0)
	s_barrier
	s_and_saveexec_b64 s[38:39], s[2:3]
	s_cbranch_execz .LBB30_107
; %bb.106:
	v_add_u32_e32 v4, -1, v70
	v_lshrrev_b32_e32 v5, 5, v4
	v_add_lshl_u32 v4, v5, v4, 3
	ds_read_b64 v[144:145], v4
.LBB30_107:
	s_or_b64 exec, exec, s[38:39]
	s_and_saveexec_b64 s[44:45], vcc
	s_cbranch_execz .LBB30_229
; %bb.108:
	v_mov_b32_e32 v9, 0
	ds_read_b64 v[4:5], v9 offset:2096
	v_mbcnt_lo_u32_b32 v6, -1, 0
	v_mbcnt_hi_u32_b32 v182, -1, v6
	v_cmp_eq_u32_e64 s[38:39], 0, v182
	v_add_u32_e32 v146, 64, v71
	s_and_saveexec_b64 s[40:41], s[38:39]
	s_cbranch_execz .LBB30_117
; %bb.109:
	v_mov_b32_e32 v147, v9
	v_lshl_add_u64 v[148:149], v[146:147], 4, v[116:117]
	s_mov_b64 vcc, src_shared_base
	v_cmp_ne_u32_e32 vcc, vcc_hi, v149
	s_and_saveexec_b64 s[42:43], vcc
	s_xor_b64 s[42:43], exec, s[42:43]
	s_cbranch_execz .LBB30_115
; %bb.110:
	s_mov_b64 vcc, src_private_base
	v_cmp_ne_u32_e32 vcc, vcc_hi, v149
	s_and_saveexec_b64 s[46:47], vcc
	s_xor_b64 vcc, exec, s[46:47]
	s_cbranch_execz .LBB30_112
; %bb.111:
	v_mov_b32_e32 v6, 1
	v_mov_b32_e32 v7, 0
	s_waitcnt lgkmcnt(0)
	;;#ASMSTART
	global_store_dwordx4 v[148:149], v[4:7] off sc1	
s_waitcnt vmcnt(0)
	;;#ASMEND
                                        ; implicit-def: $vgpr148_vgpr149
.LBB30_112:
	s_andn2_saveexec_b64 vcc, vcc
	s_cbranch_execz .LBB30_114
; %bb.113:
	v_mov_b32_e32 v6, 1
	v_mov_b32_e32 v7, 0
	s_waitcnt lgkmcnt(0)
	;;#ASMSTART
	flat_store_dwordx4 v[148:149], v[4:7] sc1	
s_waitcnt vmcnt(0)
	;;#ASMEND
.LBB30_114:
	s_or_b64 exec, exec, vcc
                                        ; implicit-def: $vgpr148_vgpr149
.LBB30_115:
	s_andn2_saveexec_b64 vcc, s[42:43]
	s_cbranch_execz .LBB30_117
; %bb.116:
	v_cmp_ne_u64_e32 vcc, 0, v[148:149]
	v_mov_b32_e32 v6, 1
	v_mov_b32_e32 v7, 0
	v_cndmask_b32_e32 v8, -1, v148, vcc
	s_waitcnt lgkmcnt(0)
	;;#ASMSTART
	ds_write_b128 v8, v[4:7] 	
s_waitcnt lgkmcnt(0)
	;;#ASMEND
.LBB30_117:
	s_or_b64 exec, exec, s[40:41]
	v_xad_u32 v148, v182, -1, v71
	v_add_u32_e32 v8, 64, v148
	v_lshl_add_u64 v[150:151], v[8:9], 4, v[116:117]
	s_mov_b64 vcc, src_shared_base
	v_cmp_ne_u32_e32 vcc, vcc_hi, v151
                                        ; implicit-def: $vgpr8
                                        ; implicit-def: $vgpr180_vgpr181
                                        ; implicit-def: $vgpr178_vgpr179
                                        ; implicit-def: $vgpr176_vgpr177
                                        ; implicit-def: $vgpr166_vgpr167
                                        ; implicit-def: $vgpr164_vgpr165
                                        ; implicit-def: $vgpr162_vgpr163
                                        ; implicit-def: $vgpr160_vgpr161
	s_and_saveexec_b64 s[40:41], vcc
	s_xor_b64 s[42:43], exec, s[40:41]
	s_cbranch_execz .LBB30_123
; %bb.118:
	s_mov_b64 s[40:41], src_private_base
	v_cmp_ne_u32_e64 s[40:41], s41, v151
                                        ; implicit-def: $vgpr8
                                        ; implicit-def: $vgpr180_vgpr181
                                        ; implicit-def: $vgpr178_vgpr179
                                        ; implicit-def: $vgpr176_vgpr177
                                        ; implicit-def: $vgpr166_vgpr167
                                        ; implicit-def: $vgpr164_vgpr165
                                        ; implicit-def: $vgpr162_vgpr163
                                        ; implicit-def: $vgpr160_vgpr161
	s_and_saveexec_b64 s[46:47], s[40:41]
	s_xor_b64 s[40:41], exec, s[46:47]
	s_cbranch_execz .LBB30_120
; %bb.119:
	;;#ASMSTART
	global_load_dwordx4 v[6:9], v[150:151] off sc1	
s_waitcnt vmcnt(0)
	;;#ASMEND
	s_nop 0
	v_lshlrev_b64 v[176:177], 24, v[8:9]
	v_lshrrev_b32_e32 v53, 8, v7
	v_lshlrev_b64 v[178:179], 16, v[8:9]
	v_lshlrev_b64 v[180:181], 8, v[8:9]
	v_lshrrev_b64 v[160:161], 8, v[6:7]
	v_lshrrev_b64 v[162:163], 16, v[6:7]
	;; [unrolled: 1-line block ×3, first 2 shown]
	v_mov_b32_e32 v166, v7
	v_or_b32_e32 v176, v53, v176
	v_or_b32_sdwa v178, v7, v178 dst_sel:DWORD dst_unused:UNUSED_PAD src0_sel:WORD_1 src1_sel:DWORD
	v_or_b32_sdwa v180, v7, v180 dst_sel:DWORD dst_unused:UNUSED_PAD src0_sel:BYTE_3 src1_sel:DWORD
.LBB30_120:
	s_andn2_saveexec_b64 s[40:41], s[40:41]
	s_cbranch_execz .LBB30_122
; %bb.121:
	;;#ASMSTART
	flat_load_dwordx4 v[6:9], v[150:151] sc1	
s_waitcnt vmcnt(0)
	;;#ASMEND
	s_nop 0
	v_lshlrev_b64 v[176:177], 24, v[8:9]
	v_lshrrev_b32_e32 v53, 8, v7
	v_lshlrev_b64 v[178:179], 16, v[8:9]
	v_lshlrev_b64 v[180:181], 8, v[8:9]
	v_lshrrev_b64 v[160:161], 8, v[6:7]
	v_lshrrev_b64 v[162:163], 16, v[6:7]
	;; [unrolled: 1-line block ×3, first 2 shown]
	v_mov_b32_e32 v166, v7
	v_or_b32_e32 v176, v53, v176
	v_or_b32_sdwa v178, v7, v178 dst_sel:DWORD dst_unused:UNUSED_PAD src0_sel:WORD_1 src1_sel:DWORD
	v_or_b32_sdwa v180, v7, v180 dst_sel:DWORD dst_unused:UNUSED_PAD src0_sel:BYTE_3 src1_sel:DWORD
.LBB30_122:
	s_or_b64 exec, exec, s[40:41]
.LBB30_123:
	s_andn2_saveexec_b64 s[42:43], s[42:43]
	s_cbranch_execz .LBB30_125
; %bb.124:
	v_cmp_ne_u64_e64 s[40:41], 0, v[150:151]
	s_nop 1
	v_cndmask_b32_e64 v6, -1, v150, s[40:41]
	;;#ASMSTART
	ds_read_b128 v[6:9], v6 	
s_waitcnt lgkmcnt(0)
	;;#ASMEND
	s_nop 0
	v_lshlrev_b64 v[176:177], 24, v[8:9]
	v_lshrrev_b32_e32 v53, 8, v7
	v_lshlrev_b64 v[178:179], 16, v[8:9]
	v_lshlrev_b64 v[180:181], 8, v[8:9]
	v_lshrrev_b64 v[160:161], 8, v[6:7]
	v_lshrrev_b64 v[162:163], 16, v[6:7]
	;; [unrolled: 1-line block ×3, first 2 shown]
	v_mov_b32_e32 v166, v7
	v_or_b32_e32 v176, v53, v176
	v_or_b32_sdwa v178, v7, v178 dst_sel:DWORD dst_unused:UNUSED_PAD src0_sel:WORD_1 src1_sel:DWORD
	v_or_b32_sdwa v180, v7, v180 dst_sel:DWORD dst_unused:UNUSED_PAD src0_sel:BYTE_3 src1_sel:DWORD
.LBB30_125:
	s_or_b64 exec, exec, s[42:43]
	v_lshlrev_b32_e32 v7, 8, v160
	s_mov_b32 s40, 0xc0c0500
	v_perm_b32 v6, v7, v6, s40
	v_lshlrev_b32_e32 v7, 16, v162
	v_and_b32_e32 v7, 0xff0000, v7
	v_lshlrev_b32_e32 v9, 24, v164
	v_or3_b32 v6, v6, v7, v9
	v_lshlrev_b32_e32 v9, 8, v176
	v_and_b32_e32 v7, 0xff, v166
	v_and_b32_e32 v9, 0xff00, v9
	v_lshlrev_b32_e32 v53, 16, v178
	v_or3_b32 v7, 0, v7, v9
	v_lshlrev_b32_e32 v9, 24, v180
	v_and_b32_e32 v53, 0xff0000, v53
	v_or3_b32 v6, v6, 0, 0
	v_or3_b32 v161, v7, v53, v9
	v_mov_b32_e32 v53, 0
	v_or3_b32 v160, v6, 0, 0
	v_cmp_eq_u16_sdwa s[40:41], v8, v53 src0_sel:BYTE_0 src1_sel:DWORD
	s_and_saveexec_b64 s[46:47], s[40:41]
	s_cbranch_execz .LBB30_140
; %bb.126:
	s_mov_b64 s[40:41], src_private_base
	v_cmp_ne_u64_e64 s[42:43], 0, v[150:151]
	v_cmp_ne_u32_e64 s[40:41], s41, v151
	s_mov_b64 s[48:49], 0
	v_cndmask_b32_e64 v71, -1, v150, s[42:43]
	s_mov_b32 s52, 1
	s_branch .LBB30_128
.LBB30_127:                             ;   in Loop: Header=BB30_128 Depth=1
	s_or_b64 exec, exec, s[42:43]
	s_cmp_lt_u32 s52, 32
	s_cselect_b64 s[42:43], -1, 0
	s_cmp_lg_u64 s[42:43], 0
	s_addc_u32 s52, s52, 0
	v_cmp_ne_u16_sdwa s[42:43], v8, v53 src0_sel:BYTE_0 src1_sel:DWORD
	s_or_b64 s[48:49], s[42:43], s[48:49]
	s_andn2_b64 exec, exec, s[48:49]
	s_cbranch_execz .LBB30_139
.LBB30_128:                             ; =>This Loop Header: Depth=1
                                        ;     Child Loop BB30_129 Depth 2
	s_max_u32 s42, s52, 1
.LBB30_129:                             ;   Parent Loop BB30_128 Depth=1
                                        ; =>  This Inner Loop Header: Depth=2
	s_add_i32 s42, s42, -1
	s_cmp_eq_u32 s42, 0
	s_sleep 1
	s_cbranch_scc0 .LBB30_129
; %bb.130:                              ;   in Loop: Header=BB30_128 Depth=1
                                        ; implicit-def: $vgpr8
                                        ; implicit-def: $vgpr180_vgpr181
                                        ; implicit-def: $vgpr178_vgpr179
                                        ; implicit-def: $vgpr176_vgpr177
                                        ; implicit-def: $vgpr166_vgpr167
                                        ; implicit-def: $vgpr164_vgpr165
                                        ; implicit-def: $vgpr162_vgpr163
                                        ; implicit-def: $vgpr160_vgpr161
	s_and_saveexec_b64 s[42:43], vcc
	s_xor_b64 s[42:43], exec, s[42:43]
	s_cbranch_execz .LBB30_136
; %bb.131:                              ;   in Loop: Header=BB30_128 Depth=1
                                        ; implicit-def: $vgpr8
                                        ; implicit-def: $vgpr180_vgpr181
                                        ; implicit-def: $vgpr178_vgpr179
                                        ; implicit-def: $vgpr176_vgpr177
                                        ; implicit-def: $vgpr166_vgpr167
                                        ; implicit-def: $vgpr164_vgpr165
                                        ; implicit-def: $vgpr162_vgpr163
                                        ; implicit-def: $vgpr160_vgpr161
	s_and_saveexec_b64 s[50:51], s[40:41]
	s_xor_b64 s[50:51], exec, s[50:51]
	s_cbranch_execz .LBB30_133
; %bb.132:                              ;   in Loop: Header=BB30_128 Depth=1
	;;#ASMSTART
	global_load_dwordx4 v[6:9], v[150:151] off sc1	
s_waitcnt vmcnt(0)
	;;#ASMEND
	s_nop 0
	v_lshlrev_b64 v[176:177], 24, v[8:9]
	v_lshrrev_b32_e32 v147, 8, v7
	v_lshlrev_b64 v[178:179], 16, v[8:9]
	v_lshlrev_b64 v[180:181], 8, v[8:9]
	v_lshrrev_b64 v[160:161], 8, v[6:7]
	v_lshrrev_b64 v[162:163], 16, v[6:7]
	;; [unrolled: 1-line block ×3, first 2 shown]
	v_mov_b32_e32 v166, v7
	v_or_b32_e32 v176, v147, v176
	v_or_b32_sdwa v178, v7, v178 dst_sel:DWORD dst_unused:UNUSED_PAD src0_sel:WORD_1 src1_sel:DWORD
	v_or_b32_sdwa v180, v7, v180 dst_sel:DWORD dst_unused:UNUSED_PAD src0_sel:BYTE_3 src1_sel:DWORD
.LBB30_133:                             ;   in Loop: Header=BB30_128 Depth=1
	s_andn2_saveexec_b64 s[50:51], s[50:51]
	s_cbranch_execz .LBB30_135
; %bb.134:                              ;   in Loop: Header=BB30_128 Depth=1
	;;#ASMSTART
	flat_load_dwordx4 v[6:9], v[150:151] sc1	
s_waitcnt vmcnt(0)
	;;#ASMEND
	s_nop 0
	v_lshlrev_b64 v[176:177], 24, v[8:9]
	v_lshrrev_b32_e32 v147, 8, v7
	v_lshlrev_b64 v[178:179], 16, v[8:9]
	v_lshlrev_b64 v[180:181], 8, v[8:9]
	v_lshrrev_b64 v[160:161], 8, v[6:7]
	v_lshrrev_b64 v[162:163], 16, v[6:7]
	;; [unrolled: 1-line block ×3, first 2 shown]
	v_mov_b32_e32 v166, v7
	v_or_b32_e32 v176, v147, v176
	v_or_b32_sdwa v178, v7, v178 dst_sel:DWORD dst_unused:UNUSED_PAD src0_sel:WORD_1 src1_sel:DWORD
	v_or_b32_sdwa v180, v7, v180 dst_sel:DWORD dst_unused:UNUSED_PAD src0_sel:BYTE_3 src1_sel:DWORD
.LBB30_135:                             ;   in Loop: Header=BB30_128 Depth=1
	s_or_b64 exec, exec, s[50:51]
.LBB30_136:                             ;   in Loop: Header=BB30_128 Depth=1
	s_andn2_saveexec_b64 s[42:43], s[42:43]
	s_cbranch_execz .LBB30_127
; %bb.137:                              ;   in Loop: Header=BB30_128 Depth=1
	;;#ASMSTART
	ds_read_b128 v[6:9], v71 	
s_waitcnt lgkmcnt(0)
	;;#ASMEND
	s_nop 0
	v_lshlrev_b64 v[176:177], 24, v[8:9]
	v_lshrrev_b32_e32 v147, 8, v7
	v_lshlrev_b64 v[178:179], 16, v[8:9]
	v_lshlrev_b64 v[180:181], 8, v[8:9]
	v_lshrrev_b64 v[160:161], 8, v[6:7]
	v_lshrrev_b64 v[162:163], 16, v[6:7]
	;; [unrolled: 1-line block ×3, first 2 shown]
	v_mov_b32_e32 v166, v7
	v_or_b32_e32 v176, v147, v176
	v_or_b32_sdwa v178, v7, v178 dst_sel:DWORD dst_unused:UNUSED_PAD src0_sel:WORD_1 src1_sel:DWORD
	v_or_b32_sdwa v180, v7, v180 dst_sel:DWORD dst_unused:UNUSED_PAD src0_sel:BYTE_3 src1_sel:DWORD
	s_branch .LBB30_127
.LBB30_138:
                                        ; implicit-def: $vgpr4_vgpr5_vgpr6_vgpr7_vgpr8_vgpr9_vgpr10_vgpr11_vgpr12_vgpr13_vgpr14_vgpr15_vgpr16_vgpr17_vgpr18_vgpr19_vgpr20_vgpr21_vgpr22_vgpr23_vgpr24_vgpr25_vgpr26_vgpr27_vgpr28_vgpr29_vgpr30_vgpr31_vgpr32_vgpr33_vgpr34_vgpr35
	s_cbranch_execnz .LBB30_264
	s_branch .LBB30_381
.LBB30_139:
	s_or_b64 exec, exec, s[48:49]
	v_lshlrev_b32_e32 v7, 8, v160
	s_mov_b32 vcc_lo, 0xc0c0500
	v_perm_b32 v6, v7, v6, vcc_lo
	v_lshlrev_b32_e32 v7, 16, v162
	v_and_b32_e32 v7, 0xff0000, v7
	v_lshlrev_b32_e32 v9, 24, v164
	v_or3_b32 v6, v6, v7, v9
	v_lshlrev_b32_e32 v9, 8, v176
	v_and_b32_e32 v7, 0xff, v166
	v_and_b32_e32 v9, 0xff00, v9
	v_or3_b32 v7, 0, v7, v9
	v_lshlrev_b32_e32 v9, 16, v178
	v_or3_b32 v6, v6, 0, 0
	v_and_b32_e32 v9, 0xff0000, v9
	v_lshlrev_b32_e32 v53, 24, v180
	v_or3_b32 v161, v7, v9, v53
	v_or3_b32 v160, v6, 0, 0
.LBB30_140:
	s_or_b64 exec, exec, s[46:47]
	v_mov_b32_e32 v6, 2
	v_cmp_eq_u16_sdwa vcc, v8, v6 src0_sel:BYTE_0 src1_sel:DWORD
	v_lshlrev_b64 v[150:151], v182, -1
	v_and_b32_e32 v53, 63, v182
	v_and_b32_e32 v6, vcc_hi, v151
	v_and_b32_e32 v7, vcc_lo, v150
	v_cmp_ne_u32_e32 vcc, 63, v53
	v_or_b32_e32 v6, 0x80000000, v6
	v_ffbl_b32_e32 v6, v6
	v_addc_co_u32_e32 v9, vcc, 0, v182, vcc
	v_lshlrev_b32_e32 v71, 2, v9
	ds_bpermute_b32 v162, v71, v160
	ds_bpermute_b32 v163, v71, v161
	v_add_u32_e32 v6, 32, v6
	v_ffbl_b32_e32 v7, v7
	v_min_u32_e32 v9, v7, v6
	v_cmp_lt_u32_e32 vcc, v53, v9
	v_mov_b64_e32 v[6:7], v[160:161]
	s_and_saveexec_b64 s[42:43], vcc
	s_cbranch_execz .LBB30_144
; %bb.141:
	s_waitcnt lgkmcnt(0)
	v_max_f64 v[6:7], v[162:163], v[162:163]
	v_max_f64 v[166:167], v[160:161], v[160:161]
	v_min_f64 v[164:165], v[6:7], v[166:167]
	v_cmp_u_f64_e32 vcc, v[162:163], v[162:163]
	v_max_f64 v[6:7], v[6:7], v[166:167]
	v_cmp_u_f64_e64 s[40:41], v[160:161], v[160:161]
	v_cndmask_b32_e32 v147, v164, v162, vcc
	v_cndmask_b32_e32 v149, v165, v163, vcc
	;; [unrolled: 1-line block ×4, first 2 shown]
	v_cndmask_b32_e64 v165, v149, v161, s[40:41]
	v_cndmask_b32_e64 v164, v147, v160, s[40:41]
	;; [unrolled: 1-line block ×4, first 2 shown]
	s_movk_i32 s40, 0x1f8
	v_cmp_neq_f64_e32 vcc, v[164:165], v[6:7]
	v_cmp_class_f64_e64 s[40:41], v[164:165], s40
	s_or_b64 vcc, vcc, s[40:41]
	s_and_saveexec_b64 s[46:47], vcc
	s_cbranch_execz .LBB30_143
; %bb.142:
	s_mov_b32 vcc_lo, 0x652b82fe
	v_add_f64 v[160:161], v[164:165], -v[6:7]
	s_mov_b32 vcc_hi, 0x3ff71547
	v_mul_f64 v[162:163], v[160:161], vcc
	v_rndne_f64_e32 v[162:163], v[162:163]
	s_mov_b32 s49, 0xbfe62e42
	s_mov_b32 s48, 0xfefa39ef
	v_fma_f64 v[164:165], s[48:49], v[162:163], v[160:161]
	s_mov_b32 s51, 0xbc7abc9e
	s_mov_b32 s50, 0x3b39803f
	s_mov_b32 vcc_lo, 0x6a5dcb37
	v_fmac_f64_e32 v[164:165], s[50:51], v[162:163]
	v_mov_b32_e32 v166, 0xfca7ab0c
	v_mov_b32_e32 v167, 0x3e928af3
	s_mov_b32 vcc_hi, 0x3e5ade15
	v_fmac_f64_e32 v[166:167], vcc, v[164:165]
	v_mov_b32_e32 v176, 0x623fde64
	v_mov_b32_e32 v177, 0x3ec71dee
	v_fmac_f64_e32 v[176:177], v[164:165], v[166:167]
	v_mov_b32_e32 v166, 0x7c89e6b0
	v_mov_b32_e32 v167, 0x3efa0199
	v_fmac_f64_e32 v[166:167], v[164:165], v[176:177]
	;; [unrolled: 3-line block ×8, first 2 shown]
	v_fma_f64 v[166:167], v[164:165], v[166:167], 1.0
	s_mov_b32 vcc_lo, 0
	s_mov_b32 s40, 0
	v_fma_f64 v[164:165], v[164:165], v[166:167], 1.0
	v_cvt_i32_f64_e32 v147, v[162:163]
	s_mov_b32 vcc_hi, 0x40900000
	s_mov_b32 s41, 0xc090cc00
	v_ldexp_f64 v[162:163], v[164:165], v147
	v_mov_b32_e32 v147, 0x7ff00000
	v_cmp_nlt_f64_e32 vcc, vcc, v[160:161]
	v_cmp_ngt_f64_e64 s[40:41], s[40:41], v[160:161]
	s_mov_b32 s49, 0x3fe62e42
	v_cndmask_b32_e32 v147, v147, v163, vcc
	s_and_b64 vcc, s[40:41], vcc
	v_cndmask_b32_e64 v161, 0, v147, s[40:41]
	v_cndmask_b32_e32 v160, 0, v162, vcc
	v_add_f64 v[162:163], v[160:161], 1.0
	v_add_f64 v[164:165], v[162:163], -1.0
	v_add_f64 v[166:167], v[164:165], -v[162:163]
	v_add_f64 v[166:167], v[166:167], 1.0
	v_add_f64 v[164:165], v[160:161], -v[164:165]
	s_mov_b32 vcc_lo, 0x55555555
	v_add_f64 v[164:165], v[164:165], v[166:167]
	v_frexp_mant_f64_e32 v[166:167], v[162:163]
	s_mov_b32 vcc_hi, 0x3fe55555
	v_frexp_exp_i32_f64_e32 v147, v[162:163]
	v_cmp_gt_f64_e32 vcc, vcc, v[166:167]
	s_mov_b32 s51, 0x3c7abc9e
	s_nop 0
	v_subbrev_co_u32_e32 v147, vcc, 0, v147, vcc
	v_sub_u32_e32 v149, 0, v147
	v_ldexp_f64 v[162:163], v[162:163], v149
	v_add_f64 v[166:167], v[162:163], -1.0
	v_add_f64 v[180:181], v[162:163], 1.0
	v_add_f64 v[176:177], v[166:167], 1.0
	v_add_f64 v[192:193], v[180:181], -1.0
	v_ldexp_f64 v[164:165], v[164:165], v149
	v_add_f64 v[176:177], v[162:163], -v[176:177]
	v_add_f64 v[162:163], v[162:163], -v[192:193]
	v_add_f64 v[162:163], v[164:165], v[162:163]
	v_add_f64 v[176:177], v[164:165], v[176:177]
	;; [unrolled: 1-line block ×3, first 2 shown]
	v_rcp_f64_e32 v[192:193], v[164:165]
	v_add_f64 v[178:179], v[166:167], v[176:177]
	v_add_f64 v[166:167], v[178:179], -v[166:167]
	v_add_f64 v[166:167], v[176:177], -v[166:167]
	;; [unrolled: 1-line block ×4, first 2 shown]
	v_fma_f64 v[176:177], -v[164:165], v[192:193], 1.0
	v_fmac_f64_e32 v[192:193], v[176:177], v[192:193]
	v_fma_f64 v[176:177], -v[164:165], v[192:193], 1.0
	v_fmac_f64_e32 v[192:193], v[176:177], v[192:193]
	v_mul_f64 v[176:177], v[178:179], v[192:193]
	v_mul_f64 v[180:181], v[164:165], v[176:177]
	v_fma_f64 v[194:195], v[176:177], v[164:165], -v[180:181]
	v_fmac_f64_e32 v[194:195], v[176:177], v[162:163]
	v_add_f64 v[196:197], v[180:181], v[194:195]
	v_add_f64 v[198:199], v[178:179], -v[196:197]
	v_add_f64 v[178:179], v[178:179], -v[198:199]
	;; [unrolled: 1-line block ×4, first 2 shown]
	v_add_f64 v[166:167], v[166:167], v[178:179]
	v_add_f64 v[178:179], v[180:181], -v[194:195]
	v_add_f64 v[166:167], v[178:179], v[166:167]
	v_add_f64 v[178:179], v[198:199], v[166:167]
	v_add_f64 v[180:181], v[198:199], -v[178:179]
	v_add_f64 v[166:167], v[166:167], v[180:181]
	v_mul_f64 v[180:181], v[192:193], v[178:179]
	v_mul_f64 v[194:195], v[164:165], v[180:181]
	v_fma_f64 v[164:165], v[180:181], v[164:165], -v[194:195]
	v_fmac_f64_e32 v[164:165], v[180:181], v[162:163]
	v_add_f64 v[162:163], v[194:195], v[164:165]
	v_add_f64 v[196:197], v[178:179], -v[162:163]
	v_add_f64 v[178:179], v[178:179], -v[196:197]
	;; [unrolled: 1-line block ×4, first 2 shown]
	v_add_f64 v[162:163], v[166:167], v[162:163]
	v_add_f64 v[164:165], v[194:195], -v[164:165]
	v_add_f64 v[162:163], v[164:165], v[162:163]
	v_add_f64 v[164:165], v[176:177], v[180:181]
	;; [unrolled: 1-line block ×3, first 2 shown]
	v_add_f64 v[166:167], v[164:165], -v[176:177]
	v_mul_f64 v[162:163], v[192:193], v[162:163]
	v_add_f64 v[166:167], v[180:181], -v[166:167]
	v_add_f64 v[162:163], v[166:167], v[162:163]
	v_add_f64 v[166:167], v[164:165], v[162:163]
	v_add_f64 v[164:165], v[166:167], -v[164:165]
	s_mov_b32 vcc_lo, 0xbf559e2b
	v_add_f64 v[162:163], v[162:163], -v[164:165]
	v_mul_f64 v[164:165], v[166:167], v[166:167]
	v_mov_b32_e32 v176, 0x6b47b09a
	v_mov_b32_e32 v177, 0x3fc38538
	s_mov_b32 vcc_hi, 0x3fc3ab76
	v_fmac_f64_e32 v[176:177], vcc, v[164:165]
	v_mov_b32_e32 v178, 0xd7f4df2e
	v_mov_b32_e32 v179, 0x3fc7474d
	v_fmac_f64_e32 v[178:179], v[164:165], v[176:177]
	v_mov_b32_e32 v176, 0x16291751
	v_mov_b32_e32 v177, 0x3fcc71c0
	v_fmac_f64_e32 v[176:177], v[164:165], v[178:179]
	;; [unrolled: 3-line block ×5, first 2 shown]
	v_cvt_f64_i32_e32 v[176:177], v147
	v_mul_f64 v[180:181], v[176:177], s[48:49]
	v_fma_f64 v[192:193], v[176:177], s[48:49], -v[180:181]
	v_fmac_f64_e32 v[192:193], s[50:51], v[176:177]
	v_add_f64 v[176:177], v[180:181], v[192:193]
	v_add_f64 v[180:181], v[176:177], -v[180:181]
	v_mul_f64 v[164:165], v[166:167], v[164:165]
	v_add_f64 v[180:181], v[192:193], -v[180:181]
	v_ldexp_f64 v[192:193], v[166:167], 1
	v_mul_f64 v[164:165], v[164:165], v[178:179]
	v_add_f64 v[166:167], v[192:193], v[164:165]
	v_add_f64 v[178:179], v[166:167], -v[192:193]
	v_ldexp_f64 v[162:163], v[162:163], 1
	v_add_f64 v[164:165], v[164:165], -v[178:179]
	v_add_f64 v[162:163], v[162:163], v[164:165]
	v_add_f64 v[164:165], v[166:167], v[162:163]
	v_add_f64 v[166:167], v[164:165], -v[166:167]
	v_add_f64 v[162:163], v[162:163], -v[166:167]
	v_add_f64 v[166:167], v[176:177], v[164:165]
	v_add_f64 v[178:179], v[166:167], -v[176:177]
	v_add_f64 v[192:193], v[166:167], -v[178:179]
	;; [unrolled: 1-line block ×4, first 2 shown]
	v_add_f64 v[164:165], v[164:165], v[176:177]
	v_add_f64 v[176:177], v[180:181], v[162:163]
	v_add_f64 v[178:179], v[176:177], -v[180:181]
	v_add_f64 v[164:165], v[176:177], v[164:165]
	v_add_f64 v[192:193], v[176:177], -v[178:179]
	;; [unrolled: 2-line block ×3, first 2 shown]
	v_add_f64 v[162:163], v[162:163], -v[178:179]
	v_add_f64 v[166:167], v[176:177], -v[166:167]
	v_add_f64 v[162:163], v[162:163], v[180:181]
	v_add_f64 v[164:165], v[164:165], -v[166:167]
	s_mov_b32 vcc_lo, 0
	v_add_f64 v[162:163], v[162:163], v[164:165]
	s_mov_b32 vcc_hi, 0x7ff00000
	v_add_f64 v[162:163], v[176:177], v[162:163]
	v_cmp_eq_f64_e32 vcc, vcc, v[160:161]
	s_nop 1
	v_cndmask_b32_e32 v147, v162, v160, vcc
	v_cndmask_b32_e32 v149, v163, v161, vcc
	v_mov_b32_e32 v162, 0x7ff80000
	v_cmp_ngt_f64_e32 vcc, -1.0, v[160:161]
	s_nop 1
	v_cndmask_b32_e32 v149, v162, v149, vcc
	v_cmp_nge_f64_e32 vcc, -1.0, v[160:161]
	s_nop 1
	v_cndmask_b32_e32 v162, 0, v147, vcc
	v_mov_b32_e32 v147, 0xfff00000
	v_cmp_neq_f64_e32 vcc, -1.0, v[160:161]
	s_nop 1
	v_cndmask_b32_e32 v163, v147, v149, vcc
	v_add_f64 v[162:163], v[6:7], v[162:163]
.LBB30_143:
	s_or_b64 exec, exec, s[46:47]
	v_mov_b32_e32 v160, v162
	v_mov_b32_e32 v161, v163
	v_mov_b64_e32 v[6:7], v[162:163]
.LBB30_144:
	s_or_b64 exec, exec, s[42:43]
	v_cmp_gt_u32_e32 vcc, 62, v53
	v_add_u32_e32 v41, 2, v53
	s_nop 0
	v_cndmask_b32_e64 v147, 0, 1, vcc
	v_lshlrev_b32_e32 v147, 1, v147
	v_add_lshl_u32 v147, v147, v182, 2
	s_waitcnt lgkmcnt(1)
	ds_bpermute_b32 v162, v147, v160
	s_waitcnt lgkmcnt(1)
	ds_bpermute_b32 v163, v147, v161
	v_cmp_le_u32_e32 vcc, v41, v9
	s_and_saveexec_b64 s[42:43], vcc
	s_cbranch_execz .LBB30_148
; %bb.145:
	s_waitcnt lgkmcnt(0)
	v_max_f64 v[164:165], v[162:163], v[162:163]
	v_max_f64 v[166:167], v[6:7], v[6:7]
	v_min_f64 v[160:161], v[164:165], v[166:167]
	v_cmp_u_f64_e32 vcc, v[162:163], v[162:163]
	v_cmp_u_f64_e64 s[40:41], v[6:7], v[6:7]
	v_max_f64 v[164:165], v[164:165], v[166:167]
	v_cndmask_b32_e32 v149, v160, v162, vcc
	v_cndmask_b32_e32 v160, v161, v163, vcc
	v_cndmask_b32_e64 v161, v160, v7, s[40:41]
	v_cndmask_b32_e64 v160, v149, v6, s[40:41]
	v_cndmask_b32_e32 v149, v164, v162, vcc
	v_cndmask_b32_e32 v164, v165, v163, vcc
	v_cndmask_b32_e64 v7, v164, v7, s[40:41]
	v_cndmask_b32_e64 v6, v149, v6, s[40:41]
	s_movk_i32 s40, 0x1f8
	v_cmp_neq_f64_e32 vcc, v[160:161], v[6:7]
	v_cmp_class_f64_e64 s[40:41], v[160:161], s40
	s_or_b64 vcc, vcc, s[40:41]
	s_and_saveexec_b64 s[46:47], vcc
	s_cbranch_execz .LBB30_147
; %bb.146:
	s_mov_b32 vcc_lo, 0x652b82fe
	v_add_f64 v[160:161], v[160:161], -v[6:7]
	s_mov_b32 vcc_hi, 0x3ff71547
	v_mul_f64 v[162:163], v[160:161], vcc
	v_rndne_f64_e32 v[162:163], v[162:163]
	s_mov_b32 s49, 0xbfe62e42
	s_mov_b32 s48, 0xfefa39ef
	v_fma_f64 v[164:165], s[48:49], v[162:163], v[160:161]
	s_mov_b32 s51, 0xbc7abc9e
	s_mov_b32 s50, 0x3b39803f
	s_mov_b32 vcc_lo, 0x6a5dcb37
	v_fmac_f64_e32 v[164:165], s[50:51], v[162:163]
	v_mov_b32_e32 v166, 0xfca7ab0c
	v_mov_b32_e32 v167, 0x3e928af3
	s_mov_b32 vcc_hi, 0x3e5ade15
	v_fmac_f64_e32 v[166:167], vcc, v[164:165]
	v_mov_b32_e32 v176, 0x623fde64
	v_mov_b32_e32 v177, 0x3ec71dee
	v_fmac_f64_e32 v[176:177], v[164:165], v[166:167]
	v_mov_b32_e32 v166, 0x7c89e6b0
	v_mov_b32_e32 v167, 0x3efa0199
	v_fmac_f64_e32 v[166:167], v[164:165], v[176:177]
	;; [unrolled: 3-line block ×8, first 2 shown]
	v_fma_f64 v[166:167], v[164:165], v[166:167], 1.0
	s_mov_b32 vcc_lo, 0
	s_mov_b32 s40, 0
	v_fma_f64 v[164:165], v[164:165], v[166:167], 1.0
	v_cvt_i32_f64_e32 v149, v[162:163]
	s_mov_b32 vcc_hi, 0x40900000
	s_mov_b32 s41, 0xc090cc00
	v_ldexp_f64 v[162:163], v[164:165], v149
	v_mov_b32_e32 v149, 0x7ff00000
	v_cmp_nlt_f64_e32 vcc, vcc, v[160:161]
	v_cmp_ngt_f64_e64 s[40:41], s[40:41], v[160:161]
	s_mov_b32 s49, 0x3fe62e42
	v_cndmask_b32_e32 v149, v149, v163, vcc
	s_and_b64 vcc, s[40:41], vcc
	v_cndmask_b32_e64 v161, 0, v149, s[40:41]
	v_cndmask_b32_e32 v160, 0, v162, vcc
	v_add_f64 v[162:163], v[160:161], 1.0
	v_add_f64 v[164:165], v[162:163], -1.0
	v_add_f64 v[166:167], v[164:165], -v[162:163]
	v_add_f64 v[166:167], v[166:167], 1.0
	v_add_f64 v[164:165], v[160:161], -v[164:165]
	s_mov_b32 vcc_lo, 0x55555555
	v_add_f64 v[164:165], v[164:165], v[166:167]
	v_frexp_mant_f64_e32 v[166:167], v[162:163]
	s_mov_b32 vcc_hi, 0x3fe55555
	v_frexp_exp_i32_f64_e32 v149, v[162:163]
	v_cmp_gt_f64_e32 vcc, vcc, v[166:167]
	s_mov_b32 s51, 0x3c7abc9e
	s_nop 0
	v_subbrev_co_u32_e32 v149, vcc, 0, v149, vcc
	v_sub_u32_e32 v166, 0, v149
	v_ldexp_f64 v[162:163], v[162:163], v166
	v_ldexp_f64 v[164:165], v[164:165], v166
	v_add_f64 v[166:167], v[162:163], -1.0
	v_add_f64 v[180:181], v[162:163], 1.0
	v_add_f64 v[176:177], v[166:167], 1.0
	v_add_f64 v[192:193], v[180:181], -1.0
	v_add_f64 v[176:177], v[162:163], -v[176:177]
	v_add_f64 v[162:163], v[162:163], -v[192:193]
	v_add_f64 v[162:163], v[164:165], v[162:163]
	v_add_f64 v[176:177], v[164:165], v[176:177]
	;; [unrolled: 1-line block ×3, first 2 shown]
	v_rcp_f64_e32 v[192:193], v[164:165]
	v_add_f64 v[178:179], v[166:167], v[176:177]
	v_add_f64 v[166:167], v[178:179], -v[166:167]
	v_add_f64 v[166:167], v[176:177], -v[166:167]
	;; [unrolled: 1-line block ×4, first 2 shown]
	v_fma_f64 v[176:177], -v[164:165], v[192:193], 1.0
	v_fmac_f64_e32 v[192:193], v[176:177], v[192:193]
	v_fma_f64 v[176:177], -v[164:165], v[192:193], 1.0
	v_fmac_f64_e32 v[192:193], v[176:177], v[192:193]
	v_mul_f64 v[176:177], v[178:179], v[192:193]
	v_mul_f64 v[180:181], v[164:165], v[176:177]
	v_fma_f64 v[194:195], v[176:177], v[164:165], -v[180:181]
	v_fmac_f64_e32 v[194:195], v[176:177], v[162:163]
	v_add_f64 v[196:197], v[180:181], v[194:195]
	v_add_f64 v[198:199], v[178:179], -v[196:197]
	v_add_f64 v[178:179], v[178:179], -v[198:199]
	;; [unrolled: 1-line block ×4, first 2 shown]
	v_add_f64 v[166:167], v[166:167], v[178:179]
	v_add_f64 v[178:179], v[180:181], -v[194:195]
	v_add_f64 v[166:167], v[178:179], v[166:167]
	v_add_f64 v[178:179], v[198:199], v[166:167]
	v_add_f64 v[180:181], v[198:199], -v[178:179]
	v_add_f64 v[166:167], v[166:167], v[180:181]
	v_mul_f64 v[180:181], v[192:193], v[178:179]
	v_mul_f64 v[194:195], v[164:165], v[180:181]
	v_fma_f64 v[164:165], v[180:181], v[164:165], -v[194:195]
	v_fmac_f64_e32 v[164:165], v[180:181], v[162:163]
	v_add_f64 v[162:163], v[194:195], v[164:165]
	v_add_f64 v[196:197], v[178:179], -v[162:163]
	v_add_f64 v[178:179], v[178:179], -v[196:197]
	;; [unrolled: 1-line block ×4, first 2 shown]
	v_add_f64 v[162:163], v[166:167], v[162:163]
	v_add_f64 v[164:165], v[194:195], -v[164:165]
	v_add_f64 v[162:163], v[164:165], v[162:163]
	v_add_f64 v[164:165], v[176:177], v[180:181]
	;; [unrolled: 1-line block ×3, first 2 shown]
	v_add_f64 v[166:167], v[164:165], -v[176:177]
	v_mul_f64 v[162:163], v[192:193], v[162:163]
	v_add_f64 v[166:167], v[180:181], -v[166:167]
	v_add_f64 v[162:163], v[166:167], v[162:163]
	v_add_f64 v[166:167], v[164:165], v[162:163]
	v_add_f64 v[164:165], v[166:167], -v[164:165]
	s_mov_b32 vcc_lo, 0xbf559e2b
	v_add_f64 v[162:163], v[162:163], -v[164:165]
	v_mul_f64 v[164:165], v[166:167], v[166:167]
	v_mov_b32_e32 v176, 0x6b47b09a
	v_mov_b32_e32 v177, 0x3fc38538
	s_mov_b32 vcc_hi, 0x3fc3ab76
	v_fmac_f64_e32 v[176:177], vcc, v[164:165]
	v_mov_b32_e32 v178, 0xd7f4df2e
	v_mov_b32_e32 v179, 0x3fc7474d
	v_fmac_f64_e32 v[178:179], v[164:165], v[176:177]
	v_mov_b32_e32 v176, 0x16291751
	v_mov_b32_e32 v177, 0x3fcc71c0
	v_fmac_f64_e32 v[176:177], v[164:165], v[178:179]
	;; [unrolled: 3-line block ×5, first 2 shown]
	v_cvt_f64_i32_e32 v[176:177], v149
	v_mul_f64 v[180:181], v[176:177], s[48:49]
	v_fma_f64 v[192:193], v[176:177], s[48:49], -v[180:181]
	v_fmac_f64_e32 v[192:193], s[50:51], v[176:177]
	v_add_f64 v[176:177], v[180:181], v[192:193]
	v_add_f64 v[180:181], v[176:177], -v[180:181]
	v_mul_f64 v[164:165], v[166:167], v[164:165]
	v_add_f64 v[180:181], v[192:193], -v[180:181]
	v_ldexp_f64 v[192:193], v[166:167], 1
	v_mul_f64 v[164:165], v[164:165], v[178:179]
	v_add_f64 v[166:167], v[192:193], v[164:165]
	v_add_f64 v[178:179], v[166:167], -v[192:193]
	v_ldexp_f64 v[162:163], v[162:163], 1
	v_add_f64 v[164:165], v[164:165], -v[178:179]
	v_add_f64 v[162:163], v[162:163], v[164:165]
	v_add_f64 v[164:165], v[166:167], v[162:163]
	v_add_f64 v[166:167], v[164:165], -v[166:167]
	v_add_f64 v[162:163], v[162:163], -v[166:167]
	v_add_f64 v[166:167], v[176:177], v[164:165]
	v_add_f64 v[178:179], v[166:167], -v[176:177]
	v_add_f64 v[192:193], v[166:167], -v[178:179]
	;; [unrolled: 1-line block ×4, first 2 shown]
	v_add_f64 v[164:165], v[164:165], v[176:177]
	v_add_f64 v[176:177], v[180:181], v[162:163]
	v_add_f64 v[178:179], v[176:177], -v[180:181]
	v_add_f64 v[164:165], v[176:177], v[164:165]
	v_add_f64 v[192:193], v[176:177], -v[178:179]
	;; [unrolled: 2-line block ×3, first 2 shown]
	v_add_f64 v[162:163], v[162:163], -v[178:179]
	v_add_f64 v[166:167], v[176:177], -v[166:167]
	v_add_f64 v[162:163], v[162:163], v[180:181]
	v_add_f64 v[164:165], v[164:165], -v[166:167]
	s_mov_b32 vcc_lo, 0
	v_add_f64 v[162:163], v[162:163], v[164:165]
	s_mov_b32 vcc_hi, 0x7ff00000
	v_add_f64 v[162:163], v[176:177], v[162:163]
	v_cmp_eq_f64_e32 vcc, vcc, v[160:161]
	s_nop 1
	v_cndmask_b32_e32 v149, v162, v160, vcc
	v_cndmask_b32_e32 v162, v163, v161, vcc
	v_mov_b32_e32 v163, 0x7ff80000
	v_cmp_ngt_f64_e32 vcc, -1.0, v[160:161]
	s_nop 1
	v_cndmask_b32_e32 v163, v163, v162, vcc
	v_cmp_nge_f64_e32 vcc, -1.0, v[160:161]
	s_nop 1
	v_cndmask_b32_e32 v162, 0, v149, vcc
	v_mov_b32_e32 v149, 0xfff00000
	v_cmp_neq_f64_e32 vcc, -1.0, v[160:161]
	s_nop 1
	v_cndmask_b32_e32 v163, v149, v163, vcc
	v_add_f64 v[162:163], v[6:7], v[162:163]
.LBB30_147:
	s_or_b64 exec, exec, s[46:47]
	v_mov_b32_e32 v160, v162
	v_mov_b32_e32 v161, v163
	v_mov_b64_e32 v[6:7], v[162:163]
.LBB30_148:
	s_or_b64 exec, exec, s[42:43]
	v_cmp_gt_u32_e32 vcc, 60, v53
	v_add_u32_e32 v43, 4, v53
	s_nop 0
	v_cndmask_b32_e64 v149, 0, 1, vcc
	v_lshlrev_b32_e32 v149, 2, v149
	v_add_lshl_u32 v42, v149, v182, 2
	s_waitcnt lgkmcnt(1)
	ds_bpermute_b32 v162, v42, v160
	s_waitcnt lgkmcnt(1)
	ds_bpermute_b32 v163, v42, v161
	v_cmp_le_u32_e32 vcc, v43, v9
	s_and_saveexec_b64 s[42:43], vcc
	s_cbranch_execz .LBB30_152
; %bb.149:
	s_waitcnt lgkmcnt(0)
	v_max_f64 v[164:165], v[162:163], v[162:163]
	v_max_f64 v[166:167], v[6:7], v[6:7]
	v_min_f64 v[160:161], v[164:165], v[166:167]
	v_cmp_u_f64_e32 vcc, v[162:163], v[162:163]
	v_cmp_u_f64_e64 s[40:41], v[6:7], v[6:7]
	v_max_f64 v[164:165], v[164:165], v[166:167]
	v_cndmask_b32_e32 v149, v160, v162, vcc
	v_cndmask_b32_e32 v160, v161, v163, vcc
	v_cndmask_b32_e64 v161, v160, v7, s[40:41]
	v_cndmask_b32_e64 v160, v149, v6, s[40:41]
	v_cndmask_b32_e32 v149, v164, v162, vcc
	v_cndmask_b32_e32 v164, v165, v163, vcc
	v_cndmask_b32_e64 v7, v164, v7, s[40:41]
	v_cndmask_b32_e64 v6, v149, v6, s[40:41]
	s_movk_i32 s40, 0x1f8
	v_cmp_neq_f64_e32 vcc, v[160:161], v[6:7]
	v_cmp_class_f64_e64 s[40:41], v[160:161], s40
	s_or_b64 vcc, vcc, s[40:41]
	s_and_saveexec_b64 s[46:47], vcc
	s_cbranch_execz .LBB30_151
; %bb.150:
	s_mov_b32 vcc_lo, 0x652b82fe
	v_add_f64 v[160:161], v[160:161], -v[6:7]
	s_mov_b32 vcc_hi, 0x3ff71547
	v_mul_f64 v[162:163], v[160:161], vcc
	v_rndne_f64_e32 v[162:163], v[162:163]
	s_mov_b32 s49, 0xbfe62e42
	s_mov_b32 s48, 0xfefa39ef
	v_fma_f64 v[164:165], s[48:49], v[162:163], v[160:161]
	s_mov_b32 s51, 0xbc7abc9e
	s_mov_b32 s50, 0x3b39803f
	s_mov_b32 vcc_lo, 0x6a5dcb37
	v_fmac_f64_e32 v[164:165], s[50:51], v[162:163]
	v_mov_b32_e32 v166, 0xfca7ab0c
	v_mov_b32_e32 v167, 0x3e928af3
	s_mov_b32 vcc_hi, 0x3e5ade15
	v_fmac_f64_e32 v[166:167], vcc, v[164:165]
	v_mov_b32_e32 v176, 0x623fde64
	v_mov_b32_e32 v177, 0x3ec71dee
	v_fmac_f64_e32 v[176:177], v[164:165], v[166:167]
	v_mov_b32_e32 v166, 0x7c89e6b0
	v_mov_b32_e32 v167, 0x3efa0199
	v_fmac_f64_e32 v[166:167], v[164:165], v[176:177]
	;; [unrolled: 3-line block ×8, first 2 shown]
	v_fma_f64 v[166:167], v[164:165], v[166:167], 1.0
	s_mov_b32 vcc_lo, 0
	s_mov_b32 s40, 0
	v_fma_f64 v[164:165], v[164:165], v[166:167], 1.0
	v_cvt_i32_f64_e32 v149, v[162:163]
	s_mov_b32 vcc_hi, 0x40900000
	s_mov_b32 s41, 0xc090cc00
	v_ldexp_f64 v[162:163], v[164:165], v149
	v_mov_b32_e32 v149, 0x7ff00000
	v_cmp_nlt_f64_e32 vcc, vcc, v[160:161]
	v_cmp_ngt_f64_e64 s[40:41], s[40:41], v[160:161]
	s_mov_b32 s49, 0x3fe62e42
	v_cndmask_b32_e32 v149, v149, v163, vcc
	s_and_b64 vcc, s[40:41], vcc
	v_cndmask_b32_e64 v161, 0, v149, s[40:41]
	v_cndmask_b32_e32 v160, 0, v162, vcc
	v_add_f64 v[162:163], v[160:161], 1.0
	v_add_f64 v[164:165], v[162:163], -1.0
	v_add_f64 v[166:167], v[164:165], -v[162:163]
	v_add_f64 v[166:167], v[166:167], 1.0
	v_add_f64 v[164:165], v[160:161], -v[164:165]
	s_mov_b32 vcc_lo, 0x55555555
	v_add_f64 v[164:165], v[164:165], v[166:167]
	v_frexp_mant_f64_e32 v[166:167], v[162:163]
	s_mov_b32 vcc_hi, 0x3fe55555
	v_frexp_exp_i32_f64_e32 v149, v[162:163]
	v_cmp_gt_f64_e32 vcc, vcc, v[166:167]
	s_mov_b32 s51, 0x3c7abc9e
	s_nop 0
	v_subbrev_co_u32_e32 v149, vcc, 0, v149, vcc
	v_sub_u32_e32 v166, 0, v149
	v_ldexp_f64 v[162:163], v[162:163], v166
	v_ldexp_f64 v[164:165], v[164:165], v166
	v_add_f64 v[166:167], v[162:163], -1.0
	v_add_f64 v[180:181], v[162:163], 1.0
	v_add_f64 v[176:177], v[166:167], 1.0
	v_add_f64 v[192:193], v[180:181], -1.0
	v_add_f64 v[176:177], v[162:163], -v[176:177]
	v_add_f64 v[162:163], v[162:163], -v[192:193]
	v_add_f64 v[162:163], v[164:165], v[162:163]
	v_add_f64 v[176:177], v[164:165], v[176:177]
	;; [unrolled: 1-line block ×3, first 2 shown]
	v_rcp_f64_e32 v[192:193], v[164:165]
	v_add_f64 v[178:179], v[166:167], v[176:177]
	v_add_f64 v[166:167], v[178:179], -v[166:167]
	v_add_f64 v[166:167], v[176:177], -v[166:167]
	;; [unrolled: 1-line block ×4, first 2 shown]
	v_fma_f64 v[176:177], -v[164:165], v[192:193], 1.0
	v_fmac_f64_e32 v[192:193], v[176:177], v[192:193]
	v_fma_f64 v[176:177], -v[164:165], v[192:193], 1.0
	v_fmac_f64_e32 v[192:193], v[176:177], v[192:193]
	v_mul_f64 v[176:177], v[178:179], v[192:193]
	v_mul_f64 v[180:181], v[164:165], v[176:177]
	v_fma_f64 v[194:195], v[176:177], v[164:165], -v[180:181]
	v_fmac_f64_e32 v[194:195], v[176:177], v[162:163]
	v_add_f64 v[196:197], v[180:181], v[194:195]
	v_add_f64 v[198:199], v[178:179], -v[196:197]
	v_add_f64 v[178:179], v[178:179], -v[198:199]
	;; [unrolled: 1-line block ×4, first 2 shown]
	v_add_f64 v[166:167], v[166:167], v[178:179]
	v_add_f64 v[178:179], v[180:181], -v[194:195]
	v_add_f64 v[166:167], v[178:179], v[166:167]
	v_add_f64 v[178:179], v[198:199], v[166:167]
	v_add_f64 v[180:181], v[198:199], -v[178:179]
	v_add_f64 v[166:167], v[166:167], v[180:181]
	v_mul_f64 v[180:181], v[192:193], v[178:179]
	v_mul_f64 v[194:195], v[164:165], v[180:181]
	v_fma_f64 v[164:165], v[180:181], v[164:165], -v[194:195]
	v_fmac_f64_e32 v[164:165], v[180:181], v[162:163]
	v_add_f64 v[162:163], v[194:195], v[164:165]
	v_add_f64 v[196:197], v[178:179], -v[162:163]
	v_add_f64 v[178:179], v[178:179], -v[196:197]
	;; [unrolled: 1-line block ×4, first 2 shown]
	v_add_f64 v[162:163], v[166:167], v[162:163]
	v_add_f64 v[164:165], v[194:195], -v[164:165]
	v_add_f64 v[162:163], v[164:165], v[162:163]
	v_add_f64 v[164:165], v[176:177], v[180:181]
	;; [unrolled: 1-line block ×3, first 2 shown]
	v_add_f64 v[166:167], v[164:165], -v[176:177]
	v_mul_f64 v[162:163], v[192:193], v[162:163]
	v_add_f64 v[166:167], v[180:181], -v[166:167]
	v_add_f64 v[162:163], v[166:167], v[162:163]
	v_add_f64 v[166:167], v[164:165], v[162:163]
	v_add_f64 v[164:165], v[166:167], -v[164:165]
	s_mov_b32 vcc_lo, 0xbf559e2b
	v_add_f64 v[162:163], v[162:163], -v[164:165]
	v_mul_f64 v[164:165], v[166:167], v[166:167]
	v_mov_b32_e32 v176, 0x6b47b09a
	v_mov_b32_e32 v177, 0x3fc38538
	s_mov_b32 vcc_hi, 0x3fc3ab76
	v_fmac_f64_e32 v[176:177], vcc, v[164:165]
	v_mov_b32_e32 v178, 0xd7f4df2e
	v_mov_b32_e32 v179, 0x3fc7474d
	v_fmac_f64_e32 v[178:179], v[164:165], v[176:177]
	v_mov_b32_e32 v176, 0x16291751
	v_mov_b32_e32 v177, 0x3fcc71c0
	v_fmac_f64_e32 v[176:177], v[164:165], v[178:179]
	;; [unrolled: 3-line block ×5, first 2 shown]
	v_cvt_f64_i32_e32 v[176:177], v149
	v_mul_f64 v[180:181], v[176:177], s[48:49]
	v_fma_f64 v[192:193], v[176:177], s[48:49], -v[180:181]
	v_fmac_f64_e32 v[192:193], s[50:51], v[176:177]
	v_add_f64 v[176:177], v[180:181], v[192:193]
	v_add_f64 v[180:181], v[176:177], -v[180:181]
	v_mul_f64 v[164:165], v[166:167], v[164:165]
	v_add_f64 v[180:181], v[192:193], -v[180:181]
	v_ldexp_f64 v[192:193], v[166:167], 1
	v_mul_f64 v[164:165], v[164:165], v[178:179]
	v_add_f64 v[166:167], v[192:193], v[164:165]
	v_add_f64 v[178:179], v[166:167], -v[192:193]
	v_ldexp_f64 v[162:163], v[162:163], 1
	v_add_f64 v[164:165], v[164:165], -v[178:179]
	v_add_f64 v[162:163], v[162:163], v[164:165]
	v_add_f64 v[164:165], v[166:167], v[162:163]
	v_add_f64 v[166:167], v[164:165], -v[166:167]
	v_add_f64 v[162:163], v[162:163], -v[166:167]
	v_add_f64 v[166:167], v[176:177], v[164:165]
	v_add_f64 v[178:179], v[166:167], -v[176:177]
	v_add_f64 v[192:193], v[166:167], -v[178:179]
	v_add_f64 v[176:177], v[176:177], -v[192:193]
	v_add_f64 v[164:165], v[164:165], -v[178:179]
	v_add_f64 v[164:165], v[164:165], v[176:177]
	v_add_f64 v[176:177], v[180:181], v[162:163]
	v_add_f64 v[178:179], v[176:177], -v[180:181]
	v_add_f64 v[164:165], v[176:177], v[164:165]
	v_add_f64 v[192:193], v[176:177], -v[178:179]
	;; [unrolled: 2-line block ×3, first 2 shown]
	v_add_f64 v[162:163], v[162:163], -v[178:179]
	v_add_f64 v[166:167], v[176:177], -v[166:167]
	v_add_f64 v[162:163], v[162:163], v[180:181]
	v_add_f64 v[164:165], v[164:165], -v[166:167]
	s_mov_b32 vcc_lo, 0
	v_add_f64 v[162:163], v[162:163], v[164:165]
	s_mov_b32 vcc_hi, 0x7ff00000
	v_add_f64 v[162:163], v[176:177], v[162:163]
	v_cmp_eq_f64_e32 vcc, vcc, v[160:161]
	s_nop 1
	v_cndmask_b32_e32 v149, v162, v160, vcc
	v_cndmask_b32_e32 v162, v163, v161, vcc
	v_mov_b32_e32 v163, 0x7ff80000
	v_cmp_ngt_f64_e32 vcc, -1.0, v[160:161]
	s_nop 1
	v_cndmask_b32_e32 v163, v163, v162, vcc
	v_cmp_nge_f64_e32 vcc, -1.0, v[160:161]
	s_nop 1
	v_cndmask_b32_e32 v162, 0, v149, vcc
	v_mov_b32_e32 v149, 0xfff00000
	v_cmp_neq_f64_e32 vcc, -1.0, v[160:161]
	s_nop 1
	v_cndmask_b32_e32 v163, v149, v163, vcc
	v_add_f64 v[162:163], v[6:7], v[162:163]
.LBB30_151:
	s_or_b64 exec, exec, s[46:47]
	v_mov_b32_e32 v160, v162
	v_mov_b32_e32 v161, v163
	v_mov_b64_e32 v[6:7], v[162:163]
.LBB30_152:
	s_or_b64 exec, exec, s[42:43]
	v_cmp_gt_u32_e32 vcc, 56, v53
	v_add_u32_e32 v45, 8, v53
	s_nop 0
	v_cndmask_b32_e64 v149, 0, 1, vcc
	v_lshlrev_b32_e32 v149, 3, v149
	v_add_lshl_u32 v44, v149, v182, 2
	s_waitcnt lgkmcnt(1)
	ds_bpermute_b32 v162, v44, v160
	s_waitcnt lgkmcnt(1)
	ds_bpermute_b32 v163, v44, v161
	v_cmp_le_u32_e32 vcc, v45, v9
	s_and_saveexec_b64 s[42:43], vcc
	s_cbranch_execz .LBB30_156
; %bb.153:
	s_waitcnt lgkmcnt(0)
	v_max_f64 v[164:165], v[162:163], v[162:163]
	v_max_f64 v[166:167], v[6:7], v[6:7]
	v_min_f64 v[160:161], v[164:165], v[166:167]
	v_cmp_u_f64_e32 vcc, v[162:163], v[162:163]
	v_cmp_u_f64_e64 s[40:41], v[6:7], v[6:7]
	v_max_f64 v[164:165], v[164:165], v[166:167]
	v_cndmask_b32_e32 v149, v160, v162, vcc
	v_cndmask_b32_e32 v160, v161, v163, vcc
	v_cndmask_b32_e64 v161, v160, v7, s[40:41]
	v_cndmask_b32_e64 v160, v149, v6, s[40:41]
	v_cndmask_b32_e32 v149, v164, v162, vcc
	v_cndmask_b32_e32 v164, v165, v163, vcc
	v_cndmask_b32_e64 v7, v164, v7, s[40:41]
	v_cndmask_b32_e64 v6, v149, v6, s[40:41]
	s_movk_i32 s40, 0x1f8
	v_cmp_neq_f64_e32 vcc, v[160:161], v[6:7]
	v_cmp_class_f64_e64 s[40:41], v[160:161], s40
	s_or_b64 vcc, vcc, s[40:41]
	s_and_saveexec_b64 s[46:47], vcc
	s_cbranch_execz .LBB30_155
; %bb.154:
	s_mov_b32 vcc_lo, 0x652b82fe
	v_add_f64 v[160:161], v[160:161], -v[6:7]
	s_mov_b32 vcc_hi, 0x3ff71547
	v_mul_f64 v[162:163], v[160:161], vcc
	v_rndne_f64_e32 v[162:163], v[162:163]
	s_mov_b32 s49, 0xbfe62e42
	s_mov_b32 s48, 0xfefa39ef
	v_fma_f64 v[164:165], s[48:49], v[162:163], v[160:161]
	s_mov_b32 s51, 0xbc7abc9e
	s_mov_b32 s50, 0x3b39803f
	s_mov_b32 vcc_lo, 0x6a5dcb37
	v_fmac_f64_e32 v[164:165], s[50:51], v[162:163]
	v_mov_b32_e32 v166, 0xfca7ab0c
	v_mov_b32_e32 v167, 0x3e928af3
	s_mov_b32 vcc_hi, 0x3e5ade15
	v_fmac_f64_e32 v[166:167], vcc, v[164:165]
	v_mov_b32_e32 v176, 0x623fde64
	v_mov_b32_e32 v177, 0x3ec71dee
	v_fmac_f64_e32 v[176:177], v[164:165], v[166:167]
	v_mov_b32_e32 v166, 0x7c89e6b0
	v_mov_b32_e32 v167, 0x3efa0199
	v_fmac_f64_e32 v[166:167], v[164:165], v[176:177]
	;; [unrolled: 3-line block ×8, first 2 shown]
	v_fma_f64 v[166:167], v[164:165], v[166:167], 1.0
	s_mov_b32 vcc_lo, 0
	s_mov_b32 s40, 0
	v_fma_f64 v[164:165], v[164:165], v[166:167], 1.0
	v_cvt_i32_f64_e32 v149, v[162:163]
	s_mov_b32 vcc_hi, 0x40900000
	s_mov_b32 s41, 0xc090cc00
	v_ldexp_f64 v[162:163], v[164:165], v149
	v_mov_b32_e32 v149, 0x7ff00000
	v_cmp_nlt_f64_e32 vcc, vcc, v[160:161]
	v_cmp_ngt_f64_e64 s[40:41], s[40:41], v[160:161]
	s_mov_b32 s49, 0x3fe62e42
	v_cndmask_b32_e32 v149, v149, v163, vcc
	s_and_b64 vcc, s[40:41], vcc
	v_cndmask_b32_e64 v161, 0, v149, s[40:41]
	v_cndmask_b32_e32 v160, 0, v162, vcc
	v_add_f64 v[162:163], v[160:161], 1.0
	v_add_f64 v[164:165], v[162:163], -1.0
	v_add_f64 v[166:167], v[164:165], -v[162:163]
	v_add_f64 v[166:167], v[166:167], 1.0
	v_add_f64 v[164:165], v[160:161], -v[164:165]
	s_mov_b32 vcc_lo, 0x55555555
	v_add_f64 v[164:165], v[164:165], v[166:167]
	v_frexp_mant_f64_e32 v[166:167], v[162:163]
	s_mov_b32 vcc_hi, 0x3fe55555
	v_frexp_exp_i32_f64_e32 v149, v[162:163]
	v_cmp_gt_f64_e32 vcc, vcc, v[166:167]
	s_mov_b32 s51, 0x3c7abc9e
	s_nop 0
	v_subbrev_co_u32_e32 v149, vcc, 0, v149, vcc
	v_sub_u32_e32 v166, 0, v149
	v_ldexp_f64 v[162:163], v[162:163], v166
	v_ldexp_f64 v[164:165], v[164:165], v166
	v_add_f64 v[166:167], v[162:163], -1.0
	v_add_f64 v[180:181], v[162:163], 1.0
	v_add_f64 v[176:177], v[166:167], 1.0
	v_add_f64 v[192:193], v[180:181], -1.0
	v_add_f64 v[176:177], v[162:163], -v[176:177]
	v_add_f64 v[162:163], v[162:163], -v[192:193]
	v_add_f64 v[162:163], v[164:165], v[162:163]
	v_add_f64 v[176:177], v[164:165], v[176:177]
	;; [unrolled: 1-line block ×3, first 2 shown]
	v_rcp_f64_e32 v[192:193], v[164:165]
	v_add_f64 v[178:179], v[166:167], v[176:177]
	v_add_f64 v[166:167], v[178:179], -v[166:167]
	v_add_f64 v[166:167], v[176:177], -v[166:167]
	;; [unrolled: 1-line block ×4, first 2 shown]
	v_fma_f64 v[176:177], -v[164:165], v[192:193], 1.0
	v_fmac_f64_e32 v[192:193], v[176:177], v[192:193]
	v_fma_f64 v[176:177], -v[164:165], v[192:193], 1.0
	v_fmac_f64_e32 v[192:193], v[176:177], v[192:193]
	v_mul_f64 v[176:177], v[178:179], v[192:193]
	v_mul_f64 v[180:181], v[164:165], v[176:177]
	v_fma_f64 v[194:195], v[176:177], v[164:165], -v[180:181]
	v_fmac_f64_e32 v[194:195], v[176:177], v[162:163]
	v_add_f64 v[196:197], v[180:181], v[194:195]
	v_add_f64 v[198:199], v[178:179], -v[196:197]
	v_add_f64 v[178:179], v[178:179], -v[198:199]
	;; [unrolled: 1-line block ×4, first 2 shown]
	v_add_f64 v[166:167], v[166:167], v[178:179]
	v_add_f64 v[178:179], v[180:181], -v[194:195]
	v_add_f64 v[166:167], v[178:179], v[166:167]
	v_add_f64 v[178:179], v[198:199], v[166:167]
	v_add_f64 v[180:181], v[198:199], -v[178:179]
	v_add_f64 v[166:167], v[166:167], v[180:181]
	v_mul_f64 v[180:181], v[192:193], v[178:179]
	v_mul_f64 v[194:195], v[164:165], v[180:181]
	v_fma_f64 v[164:165], v[180:181], v[164:165], -v[194:195]
	v_fmac_f64_e32 v[164:165], v[180:181], v[162:163]
	v_add_f64 v[162:163], v[194:195], v[164:165]
	v_add_f64 v[196:197], v[178:179], -v[162:163]
	v_add_f64 v[178:179], v[178:179], -v[196:197]
	;; [unrolled: 1-line block ×4, first 2 shown]
	v_add_f64 v[162:163], v[166:167], v[162:163]
	v_add_f64 v[164:165], v[194:195], -v[164:165]
	v_add_f64 v[162:163], v[164:165], v[162:163]
	v_add_f64 v[164:165], v[176:177], v[180:181]
	;; [unrolled: 1-line block ×3, first 2 shown]
	v_add_f64 v[166:167], v[164:165], -v[176:177]
	v_mul_f64 v[162:163], v[192:193], v[162:163]
	v_add_f64 v[166:167], v[180:181], -v[166:167]
	v_add_f64 v[162:163], v[166:167], v[162:163]
	v_add_f64 v[166:167], v[164:165], v[162:163]
	v_add_f64 v[164:165], v[166:167], -v[164:165]
	s_mov_b32 vcc_lo, 0xbf559e2b
	v_add_f64 v[162:163], v[162:163], -v[164:165]
	v_mul_f64 v[164:165], v[166:167], v[166:167]
	v_mov_b32_e32 v176, 0x6b47b09a
	v_mov_b32_e32 v177, 0x3fc38538
	s_mov_b32 vcc_hi, 0x3fc3ab76
	v_fmac_f64_e32 v[176:177], vcc, v[164:165]
	v_mov_b32_e32 v178, 0xd7f4df2e
	v_mov_b32_e32 v179, 0x3fc7474d
	v_fmac_f64_e32 v[178:179], v[164:165], v[176:177]
	v_mov_b32_e32 v176, 0x16291751
	v_mov_b32_e32 v177, 0x3fcc71c0
	v_fmac_f64_e32 v[176:177], v[164:165], v[178:179]
	v_mov_b32_e32 v178, 0x9b27acf1
	v_mov_b32_e32 v179, 0x3fd24924
	v_fmac_f64_e32 v[178:179], v[164:165], v[176:177]
	v_mov_b32_e32 v176, 0x998ef7b6
	v_mov_b32_e32 v177, 0x3fd99999
	v_fmac_f64_e32 v[176:177], v[164:165], v[178:179]
	v_mov_b32_e32 v178, 0x55555780
	v_mov_b32_e32 v179, 0x3fe55555
	v_fmac_f64_e32 v[178:179], v[164:165], v[176:177]
	v_cvt_f64_i32_e32 v[176:177], v149
	v_mul_f64 v[180:181], v[176:177], s[48:49]
	v_fma_f64 v[192:193], v[176:177], s[48:49], -v[180:181]
	v_fmac_f64_e32 v[192:193], s[50:51], v[176:177]
	v_add_f64 v[176:177], v[180:181], v[192:193]
	v_add_f64 v[180:181], v[176:177], -v[180:181]
	v_mul_f64 v[164:165], v[166:167], v[164:165]
	v_add_f64 v[180:181], v[192:193], -v[180:181]
	v_ldexp_f64 v[192:193], v[166:167], 1
	v_mul_f64 v[164:165], v[164:165], v[178:179]
	v_add_f64 v[166:167], v[192:193], v[164:165]
	v_add_f64 v[178:179], v[166:167], -v[192:193]
	v_ldexp_f64 v[162:163], v[162:163], 1
	v_add_f64 v[164:165], v[164:165], -v[178:179]
	v_add_f64 v[162:163], v[162:163], v[164:165]
	v_add_f64 v[164:165], v[166:167], v[162:163]
	v_add_f64 v[166:167], v[164:165], -v[166:167]
	v_add_f64 v[162:163], v[162:163], -v[166:167]
	v_add_f64 v[166:167], v[176:177], v[164:165]
	v_add_f64 v[178:179], v[166:167], -v[176:177]
	v_add_f64 v[192:193], v[166:167], -v[178:179]
	;; [unrolled: 1-line block ×4, first 2 shown]
	v_add_f64 v[164:165], v[164:165], v[176:177]
	v_add_f64 v[176:177], v[180:181], v[162:163]
	v_add_f64 v[178:179], v[176:177], -v[180:181]
	v_add_f64 v[164:165], v[176:177], v[164:165]
	v_add_f64 v[192:193], v[176:177], -v[178:179]
	;; [unrolled: 2-line block ×3, first 2 shown]
	v_add_f64 v[162:163], v[162:163], -v[178:179]
	v_add_f64 v[166:167], v[176:177], -v[166:167]
	v_add_f64 v[162:163], v[162:163], v[180:181]
	v_add_f64 v[164:165], v[164:165], -v[166:167]
	s_mov_b32 vcc_lo, 0
	v_add_f64 v[162:163], v[162:163], v[164:165]
	s_mov_b32 vcc_hi, 0x7ff00000
	v_add_f64 v[162:163], v[176:177], v[162:163]
	v_cmp_eq_f64_e32 vcc, vcc, v[160:161]
	s_nop 1
	v_cndmask_b32_e32 v149, v162, v160, vcc
	v_cndmask_b32_e32 v162, v163, v161, vcc
	v_mov_b32_e32 v163, 0x7ff80000
	v_cmp_ngt_f64_e32 vcc, -1.0, v[160:161]
	s_nop 1
	v_cndmask_b32_e32 v163, v163, v162, vcc
	v_cmp_nge_f64_e32 vcc, -1.0, v[160:161]
	s_nop 1
	v_cndmask_b32_e32 v162, 0, v149, vcc
	v_mov_b32_e32 v149, 0xfff00000
	v_cmp_neq_f64_e32 vcc, -1.0, v[160:161]
	s_nop 1
	v_cndmask_b32_e32 v163, v149, v163, vcc
	v_add_f64 v[162:163], v[6:7], v[162:163]
.LBB30_155:
	s_or_b64 exec, exec, s[46:47]
	v_mov_b32_e32 v160, v162
	v_mov_b32_e32 v161, v163
	v_mov_b64_e32 v[6:7], v[162:163]
.LBB30_156:
	s_or_b64 exec, exec, s[42:43]
	v_cmp_gt_u32_e32 vcc, 48, v53
	v_add_u32_e32 v47, 16, v53
	s_nop 0
	v_cndmask_b32_e64 v149, 0, 1, vcc
	v_lshlrev_b32_e32 v149, 4, v149
	v_add_lshl_u32 v46, v149, v182, 2
	s_waitcnt lgkmcnt(1)
	ds_bpermute_b32 v162, v46, v160
	s_waitcnt lgkmcnt(1)
	ds_bpermute_b32 v163, v46, v161
	v_cmp_le_u32_e32 vcc, v47, v9
	s_and_saveexec_b64 s[42:43], vcc
	s_cbranch_execz .LBB30_160
; %bb.157:
	s_waitcnt lgkmcnt(0)
	v_max_f64 v[164:165], v[162:163], v[162:163]
	v_max_f64 v[166:167], v[6:7], v[6:7]
	v_min_f64 v[160:161], v[164:165], v[166:167]
	v_cmp_u_f64_e32 vcc, v[162:163], v[162:163]
	v_cmp_u_f64_e64 s[40:41], v[6:7], v[6:7]
	v_max_f64 v[164:165], v[164:165], v[166:167]
	v_cndmask_b32_e32 v149, v160, v162, vcc
	v_cndmask_b32_e32 v160, v161, v163, vcc
	v_cndmask_b32_e64 v161, v160, v7, s[40:41]
	v_cndmask_b32_e64 v160, v149, v6, s[40:41]
	v_cndmask_b32_e32 v149, v164, v162, vcc
	v_cndmask_b32_e32 v164, v165, v163, vcc
	v_cndmask_b32_e64 v7, v164, v7, s[40:41]
	v_cndmask_b32_e64 v6, v149, v6, s[40:41]
	s_movk_i32 s40, 0x1f8
	v_cmp_neq_f64_e32 vcc, v[160:161], v[6:7]
	v_cmp_class_f64_e64 s[40:41], v[160:161], s40
	s_or_b64 vcc, vcc, s[40:41]
	s_and_saveexec_b64 s[46:47], vcc
	s_cbranch_execz .LBB30_159
; %bb.158:
	s_mov_b32 vcc_lo, 0x652b82fe
	v_add_f64 v[160:161], v[160:161], -v[6:7]
	s_mov_b32 vcc_hi, 0x3ff71547
	v_mul_f64 v[162:163], v[160:161], vcc
	v_rndne_f64_e32 v[162:163], v[162:163]
	s_mov_b32 s49, 0xbfe62e42
	s_mov_b32 s48, 0xfefa39ef
	v_fma_f64 v[164:165], s[48:49], v[162:163], v[160:161]
	s_mov_b32 s51, 0xbc7abc9e
	s_mov_b32 s50, 0x3b39803f
	s_mov_b32 vcc_lo, 0x6a5dcb37
	v_fmac_f64_e32 v[164:165], s[50:51], v[162:163]
	v_mov_b32_e32 v166, 0xfca7ab0c
	v_mov_b32_e32 v167, 0x3e928af3
	s_mov_b32 vcc_hi, 0x3e5ade15
	v_fmac_f64_e32 v[166:167], vcc, v[164:165]
	v_mov_b32_e32 v176, 0x623fde64
	v_mov_b32_e32 v177, 0x3ec71dee
	v_fmac_f64_e32 v[176:177], v[164:165], v[166:167]
	v_mov_b32_e32 v166, 0x7c89e6b0
	v_mov_b32_e32 v167, 0x3efa0199
	v_fmac_f64_e32 v[166:167], v[164:165], v[176:177]
	v_mov_b32_e32 v176, 0x14761f6e
	v_mov_b32_e32 v177, 0x3f2a01a0
	v_fmac_f64_e32 v[176:177], v[164:165], v[166:167]
	v_mov_b32_e32 v166, 0x1852b7b0
	v_mov_b32_e32 v167, 0x3f56c16c
	v_fmac_f64_e32 v[166:167], v[164:165], v[176:177]
	v_mov_b32_e32 v176, 0x11122322
	v_mov_b32_e32 v177, 0x3f811111
	v_fmac_f64_e32 v[176:177], v[164:165], v[166:167]
	v_mov_b32_e32 v166, 0x555502a1
	v_mov_b32_e32 v167, 0x3fa55555
	v_fmac_f64_e32 v[166:167], v[164:165], v[176:177]
	v_mov_b32_e32 v176, 0x55555511
	v_mov_b32_e32 v177, 0x3fc55555
	v_fmac_f64_e32 v[176:177], v[164:165], v[166:167]
	v_mov_b32_e32 v166, 11
	v_mov_b32_e32 v167, 0x3fe00000
	v_fmac_f64_e32 v[166:167], v[164:165], v[176:177]
	v_fma_f64 v[166:167], v[164:165], v[166:167], 1.0
	s_mov_b32 vcc_lo, 0
	s_mov_b32 s40, 0
	v_fma_f64 v[164:165], v[164:165], v[166:167], 1.0
	v_cvt_i32_f64_e32 v149, v[162:163]
	s_mov_b32 vcc_hi, 0x40900000
	s_mov_b32 s41, 0xc090cc00
	v_ldexp_f64 v[162:163], v[164:165], v149
	v_mov_b32_e32 v149, 0x7ff00000
	v_cmp_nlt_f64_e32 vcc, vcc, v[160:161]
	v_cmp_ngt_f64_e64 s[40:41], s[40:41], v[160:161]
	s_mov_b32 s49, 0x3fe62e42
	v_cndmask_b32_e32 v149, v149, v163, vcc
	s_and_b64 vcc, s[40:41], vcc
	v_cndmask_b32_e64 v161, 0, v149, s[40:41]
	v_cndmask_b32_e32 v160, 0, v162, vcc
	v_add_f64 v[162:163], v[160:161], 1.0
	v_add_f64 v[164:165], v[162:163], -1.0
	v_add_f64 v[166:167], v[164:165], -v[162:163]
	v_add_f64 v[166:167], v[166:167], 1.0
	v_add_f64 v[164:165], v[160:161], -v[164:165]
	s_mov_b32 vcc_lo, 0x55555555
	v_add_f64 v[164:165], v[164:165], v[166:167]
	v_frexp_mant_f64_e32 v[166:167], v[162:163]
	s_mov_b32 vcc_hi, 0x3fe55555
	v_frexp_exp_i32_f64_e32 v149, v[162:163]
	v_cmp_gt_f64_e32 vcc, vcc, v[166:167]
	s_mov_b32 s51, 0x3c7abc9e
	s_nop 0
	v_subbrev_co_u32_e32 v149, vcc, 0, v149, vcc
	v_sub_u32_e32 v166, 0, v149
	v_ldexp_f64 v[162:163], v[162:163], v166
	v_ldexp_f64 v[164:165], v[164:165], v166
	v_add_f64 v[166:167], v[162:163], -1.0
	v_add_f64 v[180:181], v[162:163], 1.0
	v_add_f64 v[176:177], v[166:167], 1.0
	v_add_f64 v[192:193], v[180:181], -1.0
	v_add_f64 v[176:177], v[162:163], -v[176:177]
	v_add_f64 v[162:163], v[162:163], -v[192:193]
	v_add_f64 v[162:163], v[164:165], v[162:163]
	v_add_f64 v[176:177], v[164:165], v[176:177]
	;; [unrolled: 1-line block ×3, first 2 shown]
	v_rcp_f64_e32 v[192:193], v[164:165]
	v_add_f64 v[178:179], v[166:167], v[176:177]
	v_add_f64 v[166:167], v[178:179], -v[166:167]
	v_add_f64 v[166:167], v[176:177], -v[166:167]
	;; [unrolled: 1-line block ×4, first 2 shown]
	v_fma_f64 v[176:177], -v[164:165], v[192:193], 1.0
	v_fmac_f64_e32 v[192:193], v[176:177], v[192:193]
	v_fma_f64 v[176:177], -v[164:165], v[192:193], 1.0
	v_fmac_f64_e32 v[192:193], v[176:177], v[192:193]
	v_mul_f64 v[176:177], v[178:179], v[192:193]
	v_mul_f64 v[180:181], v[164:165], v[176:177]
	v_fma_f64 v[194:195], v[176:177], v[164:165], -v[180:181]
	v_fmac_f64_e32 v[194:195], v[176:177], v[162:163]
	v_add_f64 v[196:197], v[180:181], v[194:195]
	v_add_f64 v[198:199], v[178:179], -v[196:197]
	v_add_f64 v[178:179], v[178:179], -v[198:199]
	;; [unrolled: 1-line block ×4, first 2 shown]
	v_add_f64 v[166:167], v[166:167], v[178:179]
	v_add_f64 v[178:179], v[180:181], -v[194:195]
	v_add_f64 v[166:167], v[178:179], v[166:167]
	v_add_f64 v[178:179], v[198:199], v[166:167]
	v_add_f64 v[180:181], v[198:199], -v[178:179]
	v_add_f64 v[166:167], v[166:167], v[180:181]
	v_mul_f64 v[180:181], v[192:193], v[178:179]
	v_mul_f64 v[194:195], v[164:165], v[180:181]
	v_fma_f64 v[164:165], v[180:181], v[164:165], -v[194:195]
	v_fmac_f64_e32 v[164:165], v[180:181], v[162:163]
	v_add_f64 v[162:163], v[194:195], v[164:165]
	v_add_f64 v[196:197], v[178:179], -v[162:163]
	v_add_f64 v[178:179], v[178:179], -v[196:197]
	;; [unrolled: 1-line block ×4, first 2 shown]
	v_add_f64 v[162:163], v[166:167], v[162:163]
	v_add_f64 v[164:165], v[194:195], -v[164:165]
	v_add_f64 v[162:163], v[164:165], v[162:163]
	v_add_f64 v[164:165], v[176:177], v[180:181]
	;; [unrolled: 1-line block ×3, first 2 shown]
	v_add_f64 v[166:167], v[164:165], -v[176:177]
	v_mul_f64 v[162:163], v[192:193], v[162:163]
	v_add_f64 v[166:167], v[180:181], -v[166:167]
	v_add_f64 v[162:163], v[166:167], v[162:163]
	v_add_f64 v[166:167], v[164:165], v[162:163]
	v_add_f64 v[164:165], v[166:167], -v[164:165]
	s_mov_b32 vcc_lo, 0xbf559e2b
	v_add_f64 v[162:163], v[162:163], -v[164:165]
	v_mul_f64 v[164:165], v[166:167], v[166:167]
	v_mov_b32_e32 v176, 0x6b47b09a
	v_mov_b32_e32 v177, 0x3fc38538
	s_mov_b32 vcc_hi, 0x3fc3ab76
	v_fmac_f64_e32 v[176:177], vcc, v[164:165]
	v_mov_b32_e32 v178, 0xd7f4df2e
	v_mov_b32_e32 v179, 0x3fc7474d
	v_fmac_f64_e32 v[178:179], v[164:165], v[176:177]
	v_mov_b32_e32 v176, 0x16291751
	v_mov_b32_e32 v177, 0x3fcc71c0
	v_fmac_f64_e32 v[176:177], v[164:165], v[178:179]
	;; [unrolled: 3-line block ×5, first 2 shown]
	v_cvt_f64_i32_e32 v[176:177], v149
	v_mul_f64 v[180:181], v[176:177], s[48:49]
	v_fma_f64 v[192:193], v[176:177], s[48:49], -v[180:181]
	v_fmac_f64_e32 v[192:193], s[50:51], v[176:177]
	v_add_f64 v[176:177], v[180:181], v[192:193]
	v_add_f64 v[180:181], v[176:177], -v[180:181]
	v_mul_f64 v[164:165], v[166:167], v[164:165]
	v_add_f64 v[180:181], v[192:193], -v[180:181]
	v_ldexp_f64 v[192:193], v[166:167], 1
	v_mul_f64 v[164:165], v[164:165], v[178:179]
	v_add_f64 v[166:167], v[192:193], v[164:165]
	v_add_f64 v[178:179], v[166:167], -v[192:193]
	v_ldexp_f64 v[162:163], v[162:163], 1
	v_add_f64 v[164:165], v[164:165], -v[178:179]
	v_add_f64 v[162:163], v[162:163], v[164:165]
	v_add_f64 v[164:165], v[166:167], v[162:163]
	v_add_f64 v[166:167], v[164:165], -v[166:167]
	v_add_f64 v[162:163], v[162:163], -v[166:167]
	v_add_f64 v[166:167], v[176:177], v[164:165]
	v_add_f64 v[178:179], v[166:167], -v[176:177]
	v_add_f64 v[192:193], v[166:167], -v[178:179]
	;; [unrolled: 1-line block ×4, first 2 shown]
	v_add_f64 v[164:165], v[164:165], v[176:177]
	v_add_f64 v[176:177], v[180:181], v[162:163]
	v_add_f64 v[178:179], v[176:177], -v[180:181]
	v_add_f64 v[164:165], v[176:177], v[164:165]
	v_add_f64 v[192:193], v[176:177], -v[178:179]
	;; [unrolled: 2-line block ×3, first 2 shown]
	v_add_f64 v[162:163], v[162:163], -v[178:179]
	v_add_f64 v[166:167], v[176:177], -v[166:167]
	v_add_f64 v[162:163], v[162:163], v[180:181]
	v_add_f64 v[164:165], v[164:165], -v[166:167]
	s_mov_b32 vcc_lo, 0
	v_add_f64 v[162:163], v[162:163], v[164:165]
	s_mov_b32 vcc_hi, 0x7ff00000
	v_add_f64 v[162:163], v[176:177], v[162:163]
	v_cmp_eq_f64_e32 vcc, vcc, v[160:161]
	s_nop 1
	v_cndmask_b32_e32 v149, v162, v160, vcc
	v_cndmask_b32_e32 v162, v163, v161, vcc
	v_mov_b32_e32 v163, 0x7ff80000
	v_cmp_ngt_f64_e32 vcc, -1.0, v[160:161]
	s_nop 1
	v_cndmask_b32_e32 v163, v163, v162, vcc
	v_cmp_nge_f64_e32 vcc, -1.0, v[160:161]
	s_nop 1
	v_cndmask_b32_e32 v162, 0, v149, vcc
	v_mov_b32_e32 v149, 0xfff00000
	v_cmp_neq_f64_e32 vcc, -1.0, v[160:161]
	s_nop 1
	v_cndmask_b32_e32 v163, v149, v163, vcc
	v_add_f64 v[162:163], v[6:7], v[162:163]
.LBB30_159:
	s_or_b64 exec, exec, s[46:47]
	v_mov_b32_e32 v160, v162
	v_mov_b32_e32 v161, v163
	v_mov_b64_e32 v[6:7], v[162:163]
.LBB30_160:
	s_or_b64 exec, exec, s[42:43]
	v_cmp_gt_u32_e32 vcc, 32, v53
	v_add_u32_e32 v57, 32, v53
	s_nop 0
	v_cndmask_b32_e64 v149, 0, 1, vcc
	v_lshlrev_b32_e32 v149, 5, v149
	v_add_lshl_u32 v56, v149, v182, 2
	ds_bpermute_b32 v160, v56, v160
	ds_bpermute_b32 v161, v56, v161
	v_cmp_le_u32_e32 vcc, v57, v9
	s_and_saveexec_b64 s[42:43], vcc
	s_cbranch_execz .LBB30_164
; %bb.161:
	s_waitcnt lgkmcnt(0)
	v_max_f64 v[164:165], v[160:161], v[160:161]
	v_max_f64 v[166:167], v[6:7], v[6:7]
	v_min_f64 v[162:163], v[164:165], v[166:167]
	v_cmp_u_f64_e32 vcc, v[160:161], v[160:161]
	v_cmp_u_f64_e64 s[40:41], v[6:7], v[6:7]
	v_max_f64 v[164:165], v[164:165], v[166:167]
	v_cndmask_b32_e32 v9, v162, v160, vcc
	v_cndmask_b32_e32 v149, v163, v161, vcc
	v_cndmask_b32_e64 v163, v149, v7, s[40:41]
	v_cndmask_b32_e64 v162, v9, v6, s[40:41]
	v_cndmask_b32_e32 v9, v164, v160, vcc
	v_cndmask_b32_e32 v149, v165, v161, vcc
	v_cndmask_b32_e64 v7, v149, v7, s[40:41]
	v_cndmask_b32_e64 v6, v9, v6, s[40:41]
	s_movk_i32 s40, 0x1f8
	v_cmp_neq_f64_e32 vcc, v[162:163], v[6:7]
	v_cmp_class_f64_e64 s[40:41], v[162:163], s40
	s_or_b64 vcc, vcc, s[40:41]
	s_and_saveexec_b64 s[46:47], vcc
	s_cbranch_execz .LBB30_163
; %bb.162:
	s_mov_b32 vcc_lo, 0x652b82fe
	v_add_f64 v[160:161], v[162:163], -v[6:7]
	s_mov_b32 vcc_hi, 0x3ff71547
	v_mul_f64 v[162:163], v[160:161], vcc
	v_rndne_f64_e32 v[162:163], v[162:163]
	s_mov_b32 s49, 0xbfe62e42
	s_mov_b32 s48, 0xfefa39ef
	v_fma_f64 v[164:165], s[48:49], v[162:163], v[160:161]
	s_mov_b32 s51, 0xbc7abc9e
	s_mov_b32 s50, 0x3b39803f
	s_mov_b32 vcc_lo, 0x6a5dcb37
	v_fmac_f64_e32 v[164:165], s[50:51], v[162:163]
	v_mov_b32_e32 v166, 0xfca7ab0c
	v_mov_b32_e32 v167, 0x3e928af3
	s_mov_b32 vcc_hi, 0x3e5ade15
	v_fmac_f64_e32 v[166:167], vcc, v[164:165]
	v_mov_b32_e32 v176, 0x623fde64
	v_mov_b32_e32 v177, 0x3ec71dee
	v_fmac_f64_e32 v[176:177], v[164:165], v[166:167]
	v_mov_b32_e32 v166, 0x7c89e6b0
	v_mov_b32_e32 v167, 0x3efa0199
	v_fmac_f64_e32 v[166:167], v[164:165], v[176:177]
	;; [unrolled: 3-line block ×8, first 2 shown]
	v_fma_f64 v[166:167], v[164:165], v[166:167], 1.0
	s_mov_b32 vcc_lo, 0
	s_mov_b32 s40, 0
	v_fma_f64 v[164:165], v[164:165], v[166:167], 1.0
	v_cvt_i32_f64_e32 v9, v[162:163]
	s_mov_b32 vcc_hi, 0x40900000
	s_mov_b32 s41, 0xc090cc00
	v_ldexp_f64 v[162:163], v[164:165], v9
	v_mov_b32_e32 v9, 0x7ff00000
	v_cmp_nlt_f64_e32 vcc, vcc, v[160:161]
	v_cmp_ngt_f64_e64 s[40:41], s[40:41], v[160:161]
	s_mov_b32 s49, 0x3fe62e42
	v_cndmask_b32_e32 v9, v9, v163, vcc
	s_and_b64 vcc, s[40:41], vcc
	v_cndmask_b32_e64 v161, 0, v9, s[40:41]
	v_cndmask_b32_e32 v160, 0, v162, vcc
	v_add_f64 v[162:163], v[160:161], 1.0
	v_add_f64 v[164:165], v[162:163], -1.0
	v_add_f64 v[166:167], v[164:165], -v[162:163]
	v_add_f64 v[166:167], v[166:167], 1.0
	v_add_f64 v[164:165], v[160:161], -v[164:165]
	s_mov_b32 vcc_lo, 0x55555555
	v_add_f64 v[164:165], v[164:165], v[166:167]
	v_frexp_mant_f64_e32 v[166:167], v[162:163]
	s_mov_b32 vcc_hi, 0x3fe55555
	v_frexp_exp_i32_f64_e32 v9, v[162:163]
	v_cmp_gt_f64_e32 vcc, vcc, v[166:167]
	s_mov_b32 s51, 0x3c7abc9e
	s_nop 0
	v_subbrev_co_u32_e32 v9, vcc, 0, v9, vcc
	v_sub_u32_e32 v149, 0, v9
	v_ldexp_f64 v[162:163], v[162:163], v149
	v_add_f64 v[166:167], v[162:163], -1.0
	v_add_f64 v[180:181], v[162:163], 1.0
	v_add_f64 v[176:177], v[166:167], 1.0
	v_add_f64 v[182:183], v[180:181], -1.0
	v_ldexp_f64 v[164:165], v[164:165], v149
	v_add_f64 v[176:177], v[162:163], -v[176:177]
	v_add_f64 v[162:163], v[162:163], -v[182:183]
	v_add_f64 v[162:163], v[164:165], v[162:163]
	v_add_f64 v[176:177], v[164:165], v[176:177]
	;; [unrolled: 1-line block ×3, first 2 shown]
	v_rcp_f64_e32 v[182:183], v[164:165]
	v_add_f64 v[178:179], v[166:167], v[176:177]
	v_add_f64 v[166:167], v[178:179], -v[166:167]
	v_add_f64 v[166:167], v[176:177], -v[166:167]
	;; [unrolled: 1-line block ×4, first 2 shown]
	v_fma_f64 v[176:177], -v[164:165], v[182:183], 1.0
	v_fmac_f64_e32 v[182:183], v[176:177], v[182:183]
	v_fma_f64 v[176:177], -v[164:165], v[182:183], 1.0
	v_fmac_f64_e32 v[182:183], v[176:177], v[182:183]
	v_mul_f64 v[176:177], v[178:179], v[182:183]
	v_mul_f64 v[180:181], v[164:165], v[176:177]
	v_fma_f64 v[192:193], v[176:177], v[164:165], -v[180:181]
	v_fmac_f64_e32 v[192:193], v[176:177], v[162:163]
	v_add_f64 v[194:195], v[180:181], v[192:193]
	v_add_f64 v[196:197], v[178:179], -v[194:195]
	v_add_f64 v[178:179], v[178:179], -v[196:197]
	;; [unrolled: 1-line block ×4, first 2 shown]
	v_add_f64 v[166:167], v[166:167], v[178:179]
	v_add_f64 v[178:179], v[180:181], -v[192:193]
	v_add_f64 v[166:167], v[178:179], v[166:167]
	v_add_f64 v[178:179], v[196:197], v[166:167]
	v_add_f64 v[180:181], v[196:197], -v[178:179]
	v_add_f64 v[166:167], v[166:167], v[180:181]
	v_mul_f64 v[180:181], v[182:183], v[178:179]
	v_mul_f64 v[192:193], v[164:165], v[180:181]
	v_fma_f64 v[164:165], v[180:181], v[164:165], -v[192:193]
	v_fmac_f64_e32 v[164:165], v[180:181], v[162:163]
	v_add_f64 v[162:163], v[192:193], v[164:165]
	v_add_f64 v[194:195], v[178:179], -v[162:163]
	v_add_f64 v[178:179], v[178:179], -v[194:195]
	;; [unrolled: 1-line block ×4, first 2 shown]
	v_add_f64 v[162:163], v[166:167], v[162:163]
	v_add_f64 v[164:165], v[192:193], -v[164:165]
	v_add_f64 v[162:163], v[164:165], v[162:163]
	v_add_f64 v[164:165], v[176:177], v[180:181]
	;; [unrolled: 1-line block ×3, first 2 shown]
	v_add_f64 v[166:167], v[164:165], -v[176:177]
	v_mul_f64 v[162:163], v[182:183], v[162:163]
	v_add_f64 v[166:167], v[180:181], -v[166:167]
	v_add_f64 v[162:163], v[166:167], v[162:163]
	v_add_f64 v[166:167], v[164:165], v[162:163]
	v_add_f64 v[164:165], v[166:167], -v[164:165]
	s_mov_b32 vcc_lo, 0xbf559e2b
	v_add_f64 v[162:163], v[162:163], -v[164:165]
	v_mul_f64 v[164:165], v[166:167], v[166:167]
	v_mov_b32_e32 v176, 0x6b47b09a
	v_mov_b32_e32 v177, 0x3fc38538
	s_mov_b32 vcc_hi, 0x3fc3ab76
	v_fmac_f64_e32 v[176:177], vcc, v[164:165]
	v_mov_b32_e32 v178, 0xd7f4df2e
	v_mov_b32_e32 v179, 0x3fc7474d
	v_fmac_f64_e32 v[178:179], v[164:165], v[176:177]
	v_mov_b32_e32 v176, 0x16291751
	v_mov_b32_e32 v177, 0x3fcc71c0
	v_fmac_f64_e32 v[176:177], v[164:165], v[178:179]
	;; [unrolled: 3-line block ×5, first 2 shown]
	v_cvt_f64_i32_e32 v[176:177], v9
	v_mul_f64 v[180:181], v[176:177], s[48:49]
	v_fma_f64 v[182:183], v[176:177], s[48:49], -v[180:181]
	v_fmac_f64_e32 v[182:183], s[50:51], v[176:177]
	v_add_f64 v[176:177], v[180:181], v[182:183]
	v_add_f64 v[180:181], v[176:177], -v[180:181]
	v_mul_f64 v[164:165], v[166:167], v[164:165]
	v_add_f64 v[180:181], v[182:183], -v[180:181]
	v_ldexp_f64 v[182:183], v[166:167], 1
	v_mul_f64 v[164:165], v[164:165], v[178:179]
	v_add_f64 v[166:167], v[182:183], v[164:165]
	v_add_f64 v[178:179], v[166:167], -v[182:183]
	v_ldexp_f64 v[162:163], v[162:163], 1
	v_add_f64 v[164:165], v[164:165], -v[178:179]
	v_add_f64 v[162:163], v[162:163], v[164:165]
	v_add_f64 v[164:165], v[166:167], v[162:163]
	v_add_f64 v[166:167], v[164:165], -v[166:167]
	v_add_f64 v[162:163], v[162:163], -v[166:167]
	v_add_f64 v[166:167], v[176:177], v[164:165]
	v_add_f64 v[178:179], v[166:167], -v[176:177]
	v_add_f64 v[182:183], v[166:167], -v[178:179]
	;; [unrolled: 1-line block ×4, first 2 shown]
	v_add_f64 v[164:165], v[164:165], v[176:177]
	v_add_f64 v[176:177], v[180:181], v[162:163]
	v_add_f64 v[178:179], v[176:177], -v[180:181]
	v_add_f64 v[164:165], v[176:177], v[164:165]
	v_add_f64 v[182:183], v[176:177], -v[178:179]
	;; [unrolled: 2-line block ×3, first 2 shown]
	v_add_f64 v[162:163], v[162:163], -v[178:179]
	v_add_f64 v[166:167], v[176:177], -v[166:167]
	v_add_f64 v[162:163], v[162:163], v[180:181]
	v_add_f64 v[164:165], v[164:165], -v[166:167]
	s_mov_b32 vcc_lo, 0
	v_add_f64 v[162:163], v[162:163], v[164:165]
	s_mov_b32 vcc_hi, 0x7ff00000
	v_add_f64 v[162:163], v[176:177], v[162:163]
	v_cmp_eq_f64_e32 vcc, vcc, v[160:161]
	s_nop 1
	v_cndmask_b32_e32 v9, v162, v160, vcc
	v_cndmask_b32_e32 v149, v163, v161, vcc
	v_mov_b32_e32 v162, 0x7ff80000
	v_cmp_ngt_f64_e32 vcc, -1.0, v[160:161]
	s_nop 1
	v_cndmask_b32_e32 v149, v162, v149, vcc
	v_cmp_nge_f64_e32 vcc, -1.0, v[160:161]
	s_nop 1
	v_cndmask_b32_e32 v162, 0, v9, vcc
	v_mov_b32_e32 v9, 0xfff00000
	v_cmp_neq_f64_e32 vcc, -1.0, v[160:161]
	s_nop 1
	v_cndmask_b32_e32 v163, v9, v149, vcc
	v_add_f64 v[160:161], v[6:7], v[162:163]
.LBB30_163:
	s_or_b64 exec, exec, s[46:47]
	v_mov_b64_e32 v[6:7], v[160:161]
.LBB30_164:
	s_or_b64 exec, exec, s[42:43]
	s_mov_b64 s[46:47], src_shared_base
	s_mov_b64 s[48:49], src_private_base
	s_mov_b32 s50, 0x652b82fe
	s_mov_b32 s52, 0xfefa39ef
	;; [unrolled: 1-line block ×9, first 2 shown]
	v_mov_b32_e32 v149, 0
	s_mov_b32 s46, 0xc0c0500
	s_movk_i32 s48, 0x1f8
	s_mov_b32 s51, 0x3ff71547
	s_mov_b32 s53, 0xbfe62e42
	;; [unrolled: 1-line block ×11, first 2 shown]
	v_mov_b32_e32 v58, 2
	s_waitcnt lgkmcnt(3)
	v_mov_b32_e32 v162, 0xfca7ab0c
	s_waitcnt lgkmcnt(2)
	v_mov_b32_e32 v163, 0x3e928af3
	v_mov_b32_e32 v164, 0x623fde64
	;; [unrolled: 1-line block ×32, first 2 shown]
	s_branch .LBB30_166
.LBB30_165:                             ;   in Loop: Header=BB30_166 Depth=1
	s_or_b64 exec, exec, s[42:43]
	v_subrev_u32_e32 v148, 64, v148
.LBB30_166:                             ; =>This Loop Header: Depth=1
                                        ;     Child Loop BB30_178 Depth 2
                                        ;       Child Loop BB30_179 Depth 3
	v_cmp_ne_u16_sdwa vcc, v8, v58 src0_sel:BYTE_0 src1_sel:DWORD
	s_waitcnt lgkmcnt(0)
	v_mov_b64_e32 v[160:161], v[6:7]
	v_cndmask_b32_e64 v8, 0, 1, vcc
	;;#ASMSTART
	;;#ASMEND
	s_nop 0
	v_cmp_ne_u32_e32 vcc, 0, v8
	s_cmp_lg_u64 vcc, exec
	s_cbranch_scc1 .LBB30_188
; %bb.167:                              ;   in Loop: Header=BB30_166 Depth=1
	v_lshl_add_u64 v[224:225], v[148:149], 4, v[116:117]
	v_cmp_ne_u32_e32 vcc, s47, v225
                                        ; implicit-def: $vgpr8
                                        ; implicit-def: $vgpr246_vgpr247
                                        ; implicit-def: $vgpr244_vgpr245
                                        ; implicit-def: $vgpr242_vgpr243
                                        ; implicit-def: $vgpr240_vgpr241
                                        ; implicit-def: $vgpr230_vgpr231
                                        ; implicit-def: $vgpr228_vgpr229
                                        ; implicit-def: $vgpr226_vgpr227
	s_and_saveexec_b64 s[40:41], vcc
	s_xor_b64 s[42:43], exec, s[40:41]
	s_cbranch_execz .LBB30_173
; %bb.168:                              ;   in Loop: Header=BB30_166 Depth=1
	v_cmp_ne_u32_e64 s[40:41], s49, v225
                                        ; implicit-def: $vgpr8
                                        ; implicit-def: $vgpr246_vgpr247
                                        ; implicit-def: $vgpr244_vgpr245
                                        ; implicit-def: $vgpr242_vgpr243
                                        ; implicit-def: $vgpr240_vgpr241
                                        ; implicit-def: $vgpr230_vgpr231
                                        ; implicit-def: $vgpr228_vgpr229
                                        ; implicit-def: $vgpr226_vgpr227
	s_and_saveexec_b64 s[72:73], s[40:41]
	s_xor_b64 s[40:41], exec, s[72:73]
	s_cbranch_execz .LBB30_170
; %bb.169:                              ;   in Loop: Header=BB30_166 Depth=1
	;;#ASMSTART
	global_load_dwordx4 v[6:9], v[224:225] off sc1	
s_waitcnt vmcnt(0)
	;;#ASMEND
	s_nop 0
	v_lshrrev_b64 v[226:227], 8, v[6:7]
	v_lshlrev_b64 v[242:243], 24, v[8:9]
	v_lshrrev_b32_e32 v227, 8, v7
	v_lshlrev_b64 v[244:245], 16, v[8:9]
	v_lshlrev_b64 v[246:247], 8, v[8:9]
	v_lshrrev_b64 v[228:229], 16, v[6:7]
	v_lshrrev_b64 v[230:231], 24, v[6:7]
	v_mov_b32_e32 v240, v7
	v_or_b32_e32 v242, v227, v242
	v_or_b32_sdwa v244, v7, v244 dst_sel:DWORD dst_unused:UNUSED_PAD src0_sel:WORD_1 src1_sel:DWORD
	v_or_b32_sdwa v246, v7, v246 dst_sel:DWORD dst_unused:UNUSED_PAD src0_sel:BYTE_3 src1_sel:DWORD
.LBB30_170:                             ;   in Loop: Header=BB30_166 Depth=1
	s_andn2_saveexec_b64 s[40:41], s[40:41]
	s_cbranch_execz .LBB30_172
; %bb.171:                              ;   in Loop: Header=BB30_166 Depth=1
	;;#ASMSTART
	flat_load_dwordx4 v[6:9], v[224:225] sc1	
s_waitcnt vmcnt(0)
	;;#ASMEND
	s_nop 0
	v_lshrrev_b64 v[226:227], 8, v[6:7]
	v_lshlrev_b64 v[242:243], 24, v[8:9]
	v_lshrrev_b32_e32 v227, 8, v7
	v_lshlrev_b64 v[244:245], 16, v[8:9]
	v_lshlrev_b64 v[246:247], 8, v[8:9]
	v_lshrrev_b64 v[228:229], 16, v[6:7]
	v_lshrrev_b64 v[230:231], 24, v[6:7]
	v_mov_b32_e32 v240, v7
	v_or_b32_e32 v242, v227, v242
	v_or_b32_sdwa v244, v7, v244 dst_sel:DWORD dst_unused:UNUSED_PAD src0_sel:WORD_1 src1_sel:DWORD
	v_or_b32_sdwa v246, v7, v246 dst_sel:DWORD dst_unused:UNUSED_PAD src0_sel:BYTE_3 src1_sel:DWORD
.LBB30_172:                             ;   in Loop: Header=BB30_166 Depth=1
	s_or_b64 exec, exec, s[40:41]
.LBB30_173:                             ;   in Loop: Header=BB30_166 Depth=1
	s_andn2_saveexec_b64 s[42:43], s[42:43]
	s_cbranch_execz .LBB30_175
; %bb.174:                              ;   in Loop: Header=BB30_166 Depth=1
	v_cmp_ne_u64_e64 s[40:41], 0, v[224:225]
	s_nop 1
	v_cndmask_b32_e64 v6, -1, v224, s[40:41]
	;;#ASMSTART
	ds_read_b128 v[6:9], v6 	
s_waitcnt lgkmcnt(0)
	;;#ASMEND
	s_nop 0
	v_lshrrev_b64 v[226:227], 8, v[6:7]
	v_lshlrev_b64 v[242:243], 24, v[8:9]
	v_lshrrev_b32_e32 v227, 8, v7
	v_lshlrev_b64 v[244:245], 16, v[8:9]
	v_lshlrev_b64 v[246:247], 8, v[8:9]
	v_lshrrev_b64 v[228:229], 16, v[6:7]
	v_lshrrev_b64 v[230:231], 24, v[6:7]
	v_mov_b32_e32 v240, v7
	v_or_b32_e32 v242, v227, v242
	v_or_b32_sdwa v244, v7, v244 dst_sel:DWORD dst_unused:UNUSED_PAD src0_sel:WORD_1 src1_sel:DWORD
	v_or_b32_sdwa v246, v7, v246 dst_sel:DWORD dst_unused:UNUSED_PAD src0_sel:BYTE_3 src1_sel:DWORD
.LBB30_175:                             ;   in Loop: Header=BB30_166 Depth=1
	s_or_b64 exec, exec, s[42:43]
	v_lshlrev_b32_e32 v7, 8, v226
	v_perm_b32 v6, v7, v6, s46
	v_lshlrev_b32_e32 v7, 16, v228
	v_and_b32_e32 v7, 0xff0000, v7
	v_lshlrev_b32_e32 v9, 24, v230
	v_or3_b32 v6, v6, v7, v9
	v_lshlrev_b32_e32 v9, 8, v242
	v_and_b32_e32 v7, 0xff, v240
	v_and_b32_e32 v9, 0xff00, v9
	v_lshlrev_b32_e32 v226, 16, v244
	v_or3_b32 v7, 0, v7, v9
	v_or3_b32 v6, v6, 0, 0
	v_lshlrev_b32_e32 v9, 24, v246
	v_and_b32_e32 v226, 0xff0000, v226
	v_or3_b32 v227, v7, v226, v9
	v_or3_b32 v226, v6, 0, 0
	v_cmp_eq_u16_sdwa s[40:41], v8, v149 src0_sel:BYTE_0 src1_sel:DWORD
	s_and_saveexec_b64 s[72:73], s[40:41]
	s_cbranch_execz .LBB30_190
; %bb.176:                              ;   in Loop: Header=BB30_166 Depth=1
	v_cmp_ne_u64_e64 s[42:43], 0, v[224:225]
	v_cmp_ne_u32_e64 s[40:41], s49, v225
	s_mov_b64 s[74:75], 0
	v_cndmask_b32_e64 v62, -1, v224, s[42:43]
	s_mov_b32 s66, 1
	s_branch .LBB30_178
.LBB30_177:                             ;   in Loop: Header=BB30_178 Depth=2
	s_or_b64 exec, exec, s[42:43]
	s_cmp_lt_u32 s66, 32
	s_cselect_b64 s[42:43], -1, 0
	s_cmp_lg_u64 s[42:43], 0
	s_addc_u32 s66, s66, 0
	v_cmp_ne_u16_sdwa s[42:43], v8, v149 src0_sel:BYTE_0 src1_sel:DWORD
	s_or_b64 s[74:75], s[42:43], s[74:75]
	s_andn2_b64 exec, exec, s[74:75]
	s_cbranch_execz .LBB30_189
.LBB30_178:                             ;   Parent Loop BB30_166 Depth=1
                                        ; =>  This Loop Header: Depth=2
                                        ;       Child Loop BB30_179 Depth 3
	s_max_u32 s42, s66, 1
.LBB30_179:                             ;   Parent Loop BB30_166 Depth=1
                                        ;     Parent Loop BB30_178 Depth=2
                                        ; =>    This Inner Loop Header: Depth=3
	s_add_i32 s42, s42, -1
	s_cmp_eq_u32 s42, 0
	s_sleep 1
	s_cbranch_scc0 .LBB30_179
; %bb.180:                              ;   in Loop: Header=BB30_178 Depth=2
                                        ; implicit-def: $vgpr8
                                        ; implicit-def: $vgpr246_vgpr247
                                        ; implicit-def: $vgpr244_vgpr245
                                        ; implicit-def: $vgpr242_vgpr243
                                        ; implicit-def: $vgpr240_vgpr241
                                        ; implicit-def: $vgpr230_vgpr231
                                        ; implicit-def: $vgpr228_vgpr229
                                        ; implicit-def: $vgpr226_vgpr227
	s_and_saveexec_b64 s[42:43], vcc
	s_xor_b64 s[42:43], exec, s[42:43]
	s_cbranch_execz .LBB30_186
; %bb.181:                              ;   in Loop: Header=BB30_178 Depth=2
                                        ; implicit-def: $vgpr8
                                        ; implicit-def: $vgpr246_vgpr247
                                        ; implicit-def: $vgpr244_vgpr245
                                        ; implicit-def: $vgpr242_vgpr243
                                        ; implicit-def: $vgpr240_vgpr241
                                        ; implicit-def: $vgpr230_vgpr231
                                        ; implicit-def: $vgpr228_vgpr229
                                        ; implicit-def: $vgpr226_vgpr227
	s_and_saveexec_b64 s[76:77], s[40:41]
	s_xor_b64 s[76:77], exec, s[76:77]
	s_cbranch_execz .LBB30_183
; %bb.182:                              ;   in Loop: Header=BB30_178 Depth=2
	;;#ASMSTART
	global_load_dwordx4 v[6:9], v[224:225] off sc1	
s_waitcnt vmcnt(0)
	;;#ASMEND
	s_nop 0
	v_lshrrev_b64 v[226:227], 8, v[6:7]
	v_lshlrev_b64 v[242:243], 24, v[8:9]
	v_lshrrev_b32_e32 v227, 8, v7
	v_lshlrev_b64 v[244:245], 16, v[8:9]
	v_lshlrev_b64 v[246:247], 8, v[8:9]
	v_lshrrev_b64 v[228:229], 16, v[6:7]
	v_lshrrev_b64 v[230:231], 24, v[6:7]
	v_mov_b32_e32 v240, v7
	v_or_b32_e32 v242, v227, v242
	v_or_b32_sdwa v244, v7, v244 dst_sel:DWORD dst_unused:UNUSED_PAD src0_sel:WORD_1 src1_sel:DWORD
	v_or_b32_sdwa v246, v7, v246 dst_sel:DWORD dst_unused:UNUSED_PAD src0_sel:BYTE_3 src1_sel:DWORD
.LBB30_183:                             ;   in Loop: Header=BB30_178 Depth=2
	s_andn2_saveexec_b64 s[76:77], s[76:77]
	s_cbranch_execz .LBB30_185
; %bb.184:                              ;   in Loop: Header=BB30_178 Depth=2
	;;#ASMSTART
	flat_load_dwordx4 v[6:9], v[224:225] sc1	
s_waitcnt vmcnt(0)
	;;#ASMEND
	s_nop 0
	v_lshrrev_b64 v[226:227], 8, v[6:7]
	v_lshlrev_b64 v[242:243], 24, v[8:9]
	v_lshrrev_b32_e32 v227, 8, v7
	v_lshlrev_b64 v[244:245], 16, v[8:9]
	v_lshlrev_b64 v[246:247], 8, v[8:9]
	v_lshrrev_b64 v[228:229], 16, v[6:7]
	v_lshrrev_b64 v[230:231], 24, v[6:7]
	v_mov_b32_e32 v240, v7
	v_or_b32_e32 v242, v227, v242
	v_or_b32_sdwa v244, v7, v244 dst_sel:DWORD dst_unused:UNUSED_PAD src0_sel:WORD_1 src1_sel:DWORD
	v_or_b32_sdwa v246, v7, v246 dst_sel:DWORD dst_unused:UNUSED_PAD src0_sel:BYTE_3 src1_sel:DWORD
.LBB30_185:                             ;   in Loop: Header=BB30_178 Depth=2
	s_or_b64 exec, exec, s[76:77]
.LBB30_186:                             ;   in Loop: Header=BB30_178 Depth=2
	s_andn2_saveexec_b64 s[42:43], s[42:43]
	s_cbranch_execz .LBB30_177
; %bb.187:                              ;   in Loop: Header=BB30_178 Depth=2
	;;#ASMSTART
	ds_read_b128 v[6:9], v62 	
s_waitcnt lgkmcnt(0)
	;;#ASMEND
	s_nop 0
	v_lshrrev_b64 v[226:227], 8, v[6:7]
	v_lshlrev_b64 v[242:243], 24, v[8:9]
	v_lshrrev_b32_e32 v227, 8, v7
	v_lshlrev_b64 v[244:245], 16, v[8:9]
	v_lshlrev_b64 v[246:247], 8, v[8:9]
	v_lshrrev_b64 v[228:229], 16, v[6:7]
	v_lshrrev_b64 v[230:231], 24, v[6:7]
	v_mov_b32_e32 v240, v7
	v_or_b32_e32 v242, v227, v242
	v_or_b32_sdwa v244, v7, v244 dst_sel:DWORD dst_unused:UNUSED_PAD src0_sel:WORD_1 src1_sel:DWORD
	v_or_b32_sdwa v246, v7, v246 dst_sel:DWORD dst_unused:UNUSED_PAD src0_sel:BYTE_3 src1_sel:DWORD
	s_branch .LBB30_177
.LBB30_188:                             ;   in Loop: Header=BB30_166 Depth=1
                                        ; implicit-def: $vgpr6_vgpr7
                                        ; implicit-def: $vgpr8
	s_cbranch_execz .LBB30_166
	s_branch .LBB30_216
.LBB30_189:                             ;   in Loop: Header=BB30_166 Depth=1
	s_or_b64 exec, exec, s[74:75]
	v_lshlrev_b32_e32 v7, 8, v226
	v_perm_b32 v6, v7, v6, s46
	v_lshlrev_b32_e32 v7, 16, v228
	v_and_b32_e32 v7, 0xff0000, v7
	v_lshlrev_b32_e32 v9, 24, v230
	v_or3_b32 v6, v6, v7, v9
	v_lshlrev_b32_e32 v9, 8, v242
	v_and_b32_e32 v7, 0xff, v240
	v_and_b32_e32 v9, 0xff00, v9
	v_or3_b32 v7, 0, v7, v9
	v_lshlrev_b32_e32 v9, 16, v244
	v_or3_b32 v6, v6, 0, 0
	v_and_b32_e32 v9, 0xff0000, v9
	v_lshlrev_b32_e32 v224, 24, v246
	v_or3_b32 v227, v7, v9, v224
	v_or3_b32 v226, v6, 0, 0
.LBB30_190:                             ;   in Loop: Header=BB30_166 Depth=1
	s_or_b64 exec, exec, s[72:73]
	v_cmp_eq_u16_sdwa vcc, v8, v58 src0_sel:BYTE_0 src1_sel:DWORD
	ds_bpermute_b32 v224, v71, v226
	ds_bpermute_b32 v225, v71, v227
	v_and_b32_e32 v6, vcc_hi, v151
	v_or_b32_e32 v6, 0x80000000, v6
	v_and_b32_e32 v7, vcc_lo, v150
	v_ffbl_b32_e32 v6, v6
	v_add_u32_e32 v6, 32, v6
	v_ffbl_b32_e32 v7, v7
	v_min_u32_e32 v9, v7, v6
	v_cmp_lt_u32_e32 vcc, v53, v9
	v_mov_b64_e32 v[6:7], v[226:227]
	s_and_saveexec_b64 s[42:43], vcc
	s_cbranch_execz .LBB30_194
; %bb.191:                              ;   in Loop: Header=BB30_166 Depth=1
	s_waitcnt lgkmcnt(0)
	v_max_f64 v[6:7], v[224:225], v[224:225]
	v_max_f64 v[230:231], v[226:227], v[226:227]
	v_min_f64 v[228:229], v[6:7], v[230:231]
	v_cmp_u_f64_e32 vcc, v[224:225], v[224:225]
	v_max_f64 v[6:7], v[6:7], v[230:231]
	v_cmp_u_f64_e64 s[40:41], v[226:227], v[226:227]
	v_cndmask_b32_e32 v228, v228, v224, vcc
	v_cndmask_b32_e32 v229, v229, v225, vcc
	;; [unrolled: 1-line block ×4, first 2 shown]
	v_cndmask_b32_e64 v229, v229, v227, s[40:41]
	v_cndmask_b32_e64 v228, v228, v226, s[40:41]
	;; [unrolled: 1-line block ×4, first 2 shown]
	v_cmp_neq_f64_e32 vcc, v[228:229], v[6:7]
	v_cmp_class_f64_e64 s[40:41], v[228:229], s48
	s_or_b64 vcc, vcc, s[40:41]
	s_and_saveexec_b64 s[72:73], vcc
	s_cbranch_execz .LBB30_193
; %bb.192:                              ;   in Loop: Header=BB30_166 Depth=1
	v_add_f64 v[224:225], v[228:229], -v[6:7]
	v_mul_f64 v[226:227], v[224:225], s[50:51]
	v_rndne_f64_e32 v[226:227], v[226:227]
	v_fma_f64 v[228:229], s[52:53], v[226:227], v[224:225]
	v_fmac_f64_e32 v[228:229], s[54:55], v[226:227]
	v_mov_b64_e32 v[230:231], v[162:163]
	v_fmac_f64_e32 v[230:231], s[56:57], v[228:229]
	v_mov_b64_e32 v[240:241], v[164:165]
	;; [unrolled: 2-line block ×9, first 2 shown]
	v_fmac_f64_e32 v[230:231], v[228:229], v[240:241]
	v_fma_f64 v[230:231], v[228:229], v[230:231], 1.0
	v_fma_f64 v[228:229], v[228:229], v[230:231], 1.0
	v_cvt_i32_f64_e32 v226, v[226:227]
	v_ldexp_f64 v[226:227], v[228:229], v226
	v_cmp_nlt_f64_e32 vcc, s[58:59], v[224:225]
	v_cmp_ngt_f64_e64 s[40:41], s[60:61], v[224:225]
	s_mov_b32 s66, s52
	v_cndmask_b32_e32 v227, v59, v227, vcc
	s_and_b64 vcc, s[40:41], vcc
	v_cndmask_b32_e64 v225, 0, v227, s[40:41]
	v_cndmask_b32_e32 v224, 0, v226, vcc
	v_add_f64 v[226:227], v[224:225], 1.0
	v_add_f64 v[228:229], v[226:227], -1.0
	v_add_f64 v[230:231], v[228:229], -v[226:227]
	v_add_f64 v[230:231], v[230:231], 1.0
	v_add_f64 v[228:229], v[224:225], -v[228:229]
	v_add_f64 v[228:229], v[228:229], v[230:231]
	v_frexp_mant_f64_e32 v[230:231], v[226:227]
	v_frexp_exp_i32_f64_e32 v240, v[226:227]
	v_cmp_gt_f64_e32 vcc, s[62:63], v[230:231]
	s_mov_b32 s68, s54
	s_nop 0
	v_subbrev_co_u32_e32 v76, vcc, 0, v240, vcc
	v_sub_u32_e32 v230, 0, v76
	v_ldexp_f64 v[226:227], v[226:227], v230
	v_ldexp_f64 v[228:229], v[228:229], v230
	v_add_f64 v[230:231], v[226:227], -1.0
	v_add_f64 v[244:245], v[226:227], 1.0
	v_add_f64 v[240:241], v[230:231], 1.0
	v_add_f64 v[246:247], v[244:245], -1.0
	v_add_f64 v[240:241], v[226:227], -v[240:241]
	v_add_f64 v[226:227], v[226:227], -v[246:247]
	v_add_f64 v[226:227], v[228:229], v[226:227]
	v_add_f64 v[240:241], v[228:229], v[240:241]
	;; [unrolled: 1-line block ×3, first 2 shown]
	v_rcp_f64_e32 v[246:247], v[228:229]
	v_add_f64 v[242:243], v[230:231], v[240:241]
	v_add_f64 v[230:231], v[242:243], -v[230:231]
	v_add_f64 v[230:231], v[240:241], -v[230:231]
	;; [unrolled: 1-line block ×4, first 2 shown]
	v_fma_f64 v[240:241], -v[228:229], v[246:247], 1.0
	v_fmac_f64_e32 v[246:247], v[240:241], v[246:247]
	v_fma_f64 v[240:241], -v[228:229], v[246:247], 1.0
	v_fmac_f64_e32 v[246:247], v[240:241], v[246:247]
	v_mul_f64 v[240:241], v[242:243], v[246:247]
	v_mul_f64 v[244:245], v[228:229], v[240:241]
	v_fma_f64 v[62:63], v[240:241], v[228:229], -v[244:245]
	v_fmac_f64_e32 v[62:63], v[240:241], v[226:227]
	v_add_f64 v[72:73], v[244:245], v[62:63]
	v_add_f64 v[74:75], v[242:243], -v[72:73]
	v_add_f64 v[242:243], v[242:243], -v[74:75]
	;; [unrolled: 1-line block ×4, first 2 shown]
	v_add_f64 v[230:231], v[230:231], v[242:243]
	v_add_f64 v[242:243], v[244:245], -v[62:63]
	v_add_f64 v[230:231], v[242:243], v[230:231]
	v_add_f64 v[242:243], v[74:75], v[230:231]
	v_add_f64 v[244:245], v[74:75], -v[242:243]
	v_add_f64 v[230:231], v[230:231], v[244:245]
	v_mul_f64 v[244:245], v[246:247], v[242:243]
	v_mul_f64 v[62:63], v[228:229], v[244:245]
	v_fma_f64 v[228:229], v[244:245], v[228:229], -v[62:63]
	v_fmac_f64_e32 v[228:229], v[244:245], v[226:227]
	v_add_f64 v[226:227], v[62:63], v[228:229]
	v_add_f64 v[72:73], v[242:243], -v[226:227]
	v_add_f64 v[242:243], v[242:243], -v[72:73]
	;; [unrolled: 1-line block ×4, first 2 shown]
	v_add_f64 v[226:227], v[230:231], v[226:227]
	v_add_f64 v[228:229], v[62:63], -v[228:229]
	v_add_f64 v[226:227], v[228:229], v[226:227]
	v_add_f64 v[228:229], v[240:241], v[244:245]
	v_add_f64 v[226:227], v[72:73], v[226:227]
	v_add_f64 v[230:231], v[228:229], -v[240:241]
	v_mul_f64 v[226:227], v[246:247], v[226:227]
	v_add_f64 v[230:231], v[244:245], -v[230:231]
	v_add_f64 v[226:227], v[230:231], v[226:227]
	v_add_f64 v[230:231], v[228:229], v[226:227]
	v_add_f64 v[228:229], v[230:231], -v[228:229]
	v_add_f64 v[226:227], v[226:227], -v[228:229]
	v_mul_f64 v[228:229], v[230:231], v[230:231]
	v_mov_b64_e32 v[240:241], v[196:197]
	v_fmac_f64_e32 v[240:241], s[64:65], v[228:229]
	v_mov_b64_e32 v[242:243], v[198:199]
	v_fmac_f64_e32 v[242:243], v[228:229], v[240:241]
	;; [unrolled: 2-line block ×6, first 2 shown]
	v_cvt_f64_i32_e32 v[240:241], v76
	v_mul_f64 v[244:245], v[240:241], s[66:67]
	v_fma_f64 v[246:247], v[240:241], s[66:67], -v[244:245]
	v_fmac_f64_e32 v[246:247], s[68:69], v[240:241]
	v_add_f64 v[240:241], v[244:245], v[246:247]
	v_add_f64 v[244:245], v[240:241], -v[244:245]
	v_mul_f64 v[228:229], v[230:231], v[228:229]
	v_add_f64 v[244:245], v[246:247], -v[244:245]
	v_ldexp_f64 v[246:247], v[230:231], 1
	v_mul_f64 v[228:229], v[228:229], v[242:243]
	v_add_f64 v[230:231], v[246:247], v[228:229]
	v_add_f64 v[242:243], v[230:231], -v[246:247]
	v_ldexp_f64 v[226:227], v[226:227], 1
	v_add_f64 v[228:229], v[228:229], -v[242:243]
	v_add_f64 v[226:227], v[226:227], v[228:229]
	v_add_f64 v[228:229], v[230:231], v[226:227]
	v_add_f64 v[230:231], v[228:229], -v[230:231]
	v_add_f64 v[226:227], v[226:227], -v[230:231]
	v_add_f64 v[230:231], v[240:241], v[228:229]
	v_add_f64 v[242:243], v[230:231], -v[240:241]
	v_add_f64 v[246:247], v[230:231], -v[242:243]
	;; [unrolled: 1-line block ×4, first 2 shown]
	v_add_f64 v[228:229], v[228:229], v[240:241]
	v_add_f64 v[240:241], v[244:245], v[226:227]
	v_add_f64 v[242:243], v[240:241], -v[244:245]
	v_add_f64 v[228:229], v[240:241], v[228:229]
	v_add_f64 v[246:247], v[240:241], -v[242:243]
	;; [unrolled: 2-line block ×3, first 2 shown]
	v_add_f64 v[226:227], v[226:227], -v[242:243]
	v_add_f64 v[230:231], v[240:241], -v[230:231]
	v_add_f64 v[226:227], v[226:227], v[244:245]
	v_add_f64 v[228:229], v[228:229], -v[230:231]
	v_add_f64 v[226:227], v[226:227], v[228:229]
	v_add_f64 v[226:227], v[240:241], v[226:227]
	v_cmp_eq_f64_e32 vcc, s[70:71], v[224:225]
	s_nop 1
	v_cndmask_b32_e32 v226, v226, v224, vcc
	v_cndmask_b32_e32 v227, v227, v225, vcc
	v_cmp_ngt_f64_e32 vcc, -1.0, v[224:225]
	s_nop 1
	v_cndmask_b32_e32 v227, v60, v227, vcc
	v_cmp_nge_f64_e32 vcc, -1.0, v[224:225]
	s_nop 1
	v_cndmask_b32_e32 v226, 0, v226, vcc
	v_cmp_neq_f64_e32 vcc, -1.0, v[224:225]
	s_nop 1
	v_cndmask_b32_e32 v227, v61, v227, vcc
	v_add_f64 v[224:225], v[6:7], v[226:227]
.LBB30_193:                             ;   in Loop: Header=BB30_166 Depth=1
	s_or_b64 exec, exec, s[72:73]
	v_mov_b32_e32 v226, v224
	v_mov_b32_e32 v227, v225
	v_mov_b64_e32 v[6:7], v[224:225]
.LBB30_194:                             ;   in Loop: Header=BB30_166 Depth=1
	s_or_b64 exec, exec, s[42:43]
	s_waitcnt lgkmcnt(1)
	ds_bpermute_b32 v224, v147, v226
	s_waitcnt lgkmcnt(1)
	ds_bpermute_b32 v225, v147, v227
	v_cmp_le_u32_e32 vcc, v41, v9
	s_and_saveexec_b64 s[42:43], vcc
	s_cbranch_execz .LBB30_198
; %bb.195:                              ;   in Loop: Header=BB30_166 Depth=1
	s_waitcnt lgkmcnt(0)
	v_max_f64 v[228:229], v[224:225], v[224:225]
	v_max_f64 v[230:231], v[6:7], v[6:7]
	v_min_f64 v[226:227], v[228:229], v[230:231]
	v_cmp_u_f64_e32 vcc, v[224:225], v[224:225]
	v_max_f64 v[228:229], v[228:229], v[230:231]
	v_cmp_u_f64_e64 s[40:41], v[6:7], v[6:7]
	v_cndmask_b32_e32 v226, v226, v224, vcc
	v_cndmask_b32_e32 v227, v227, v225, vcc
	;; [unrolled: 1-line block ×4, first 2 shown]
	v_cndmask_b32_e64 v227, v227, v7, s[40:41]
	v_cndmask_b32_e64 v226, v226, v6, s[40:41]
	;; [unrolled: 1-line block ×4, first 2 shown]
	v_cmp_neq_f64_e32 vcc, v[226:227], v[6:7]
	v_cmp_class_f64_e64 s[40:41], v[226:227], s48
	s_or_b64 vcc, vcc, s[40:41]
	s_and_saveexec_b64 s[72:73], vcc
	s_cbranch_execz .LBB30_197
; %bb.196:                              ;   in Loop: Header=BB30_166 Depth=1
	v_add_f64 v[224:225], v[226:227], -v[6:7]
	v_mul_f64 v[226:227], v[224:225], s[50:51]
	v_rndne_f64_e32 v[226:227], v[226:227]
	v_fma_f64 v[228:229], s[52:53], v[226:227], v[224:225]
	v_fmac_f64_e32 v[228:229], s[54:55], v[226:227]
	v_mov_b64_e32 v[230:231], v[162:163]
	v_fmac_f64_e32 v[230:231], s[56:57], v[228:229]
	v_mov_b64_e32 v[240:241], v[164:165]
	;; [unrolled: 2-line block ×9, first 2 shown]
	v_fmac_f64_e32 v[230:231], v[228:229], v[240:241]
	v_fma_f64 v[230:231], v[228:229], v[230:231], 1.0
	v_fma_f64 v[228:229], v[228:229], v[230:231], 1.0
	v_cvt_i32_f64_e32 v226, v[226:227]
	v_ldexp_f64 v[226:227], v[228:229], v226
	v_cmp_nlt_f64_e32 vcc, s[58:59], v[224:225]
	v_cmp_ngt_f64_e64 s[40:41], s[60:61], v[224:225]
	s_mov_b32 s66, s52
	v_cndmask_b32_e32 v227, v59, v227, vcc
	s_and_b64 vcc, s[40:41], vcc
	v_cndmask_b32_e64 v225, 0, v227, s[40:41]
	v_cndmask_b32_e32 v224, 0, v226, vcc
	v_add_f64 v[226:227], v[224:225], 1.0
	v_add_f64 v[228:229], v[226:227], -1.0
	v_add_f64 v[230:231], v[228:229], -v[226:227]
	v_add_f64 v[230:231], v[230:231], 1.0
	v_add_f64 v[228:229], v[224:225], -v[228:229]
	v_add_f64 v[228:229], v[228:229], v[230:231]
	v_frexp_mant_f64_e32 v[230:231], v[226:227]
	v_frexp_exp_i32_f64_e32 v240, v[226:227]
	v_cmp_gt_f64_e32 vcc, s[62:63], v[230:231]
	s_mov_b32 s68, s54
	s_nop 0
	v_subbrev_co_u32_e32 v76, vcc, 0, v240, vcc
	v_sub_u32_e32 v230, 0, v76
	v_ldexp_f64 v[226:227], v[226:227], v230
	v_ldexp_f64 v[228:229], v[228:229], v230
	v_add_f64 v[230:231], v[226:227], -1.0
	v_add_f64 v[244:245], v[226:227], 1.0
	v_add_f64 v[240:241], v[230:231], 1.0
	v_add_f64 v[246:247], v[244:245], -1.0
	v_add_f64 v[240:241], v[226:227], -v[240:241]
	v_add_f64 v[226:227], v[226:227], -v[246:247]
	v_add_f64 v[226:227], v[228:229], v[226:227]
	v_add_f64 v[240:241], v[228:229], v[240:241]
	;; [unrolled: 1-line block ×3, first 2 shown]
	v_rcp_f64_e32 v[246:247], v[228:229]
	v_add_f64 v[242:243], v[230:231], v[240:241]
	v_add_f64 v[230:231], v[242:243], -v[230:231]
	v_add_f64 v[230:231], v[240:241], -v[230:231]
	;; [unrolled: 1-line block ×4, first 2 shown]
	v_fma_f64 v[240:241], -v[228:229], v[246:247], 1.0
	v_fmac_f64_e32 v[246:247], v[240:241], v[246:247]
	v_fma_f64 v[240:241], -v[228:229], v[246:247], 1.0
	v_fmac_f64_e32 v[246:247], v[240:241], v[246:247]
	v_mul_f64 v[240:241], v[242:243], v[246:247]
	v_mul_f64 v[244:245], v[228:229], v[240:241]
	v_fma_f64 v[62:63], v[240:241], v[228:229], -v[244:245]
	v_fmac_f64_e32 v[62:63], v[240:241], v[226:227]
	v_add_f64 v[72:73], v[244:245], v[62:63]
	v_add_f64 v[74:75], v[242:243], -v[72:73]
	v_add_f64 v[242:243], v[242:243], -v[74:75]
	v_add_f64 v[244:245], v[72:73], -v[244:245]
	v_add_f64 v[242:243], v[242:243], -v[72:73]
	v_add_f64 v[230:231], v[230:231], v[242:243]
	v_add_f64 v[242:243], v[244:245], -v[62:63]
	v_add_f64 v[230:231], v[242:243], v[230:231]
	v_add_f64 v[242:243], v[74:75], v[230:231]
	v_add_f64 v[244:245], v[74:75], -v[242:243]
	v_add_f64 v[230:231], v[230:231], v[244:245]
	v_mul_f64 v[244:245], v[246:247], v[242:243]
	v_mul_f64 v[62:63], v[228:229], v[244:245]
	v_fma_f64 v[228:229], v[244:245], v[228:229], -v[62:63]
	v_fmac_f64_e32 v[228:229], v[244:245], v[226:227]
	v_add_f64 v[226:227], v[62:63], v[228:229]
	v_add_f64 v[72:73], v[242:243], -v[226:227]
	v_add_f64 v[242:243], v[242:243], -v[72:73]
	v_add_f64 v[62:63], v[226:227], -v[62:63]
	v_add_f64 v[226:227], v[242:243], -v[226:227]
	v_add_f64 v[226:227], v[230:231], v[226:227]
	v_add_f64 v[228:229], v[62:63], -v[228:229]
	v_add_f64 v[226:227], v[228:229], v[226:227]
	v_add_f64 v[228:229], v[240:241], v[244:245]
	v_add_f64 v[226:227], v[72:73], v[226:227]
	v_add_f64 v[230:231], v[228:229], -v[240:241]
	v_mul_f64 v[226:227], v[246:247], v[226:227]
	v_add_f64 v[230:231], v[244:245], -v[230:231]
	v_add_f64 v[226:227], v[230:231], v[226:227]
	v_add_f64 v[230:231], v[228:229], v[226:227]
	v_add_f64 v[228:229], v[230:231], -v[228:229]
	v_add_f64 v[226:227], v[226:227], -v[228:229]
	v_mul_f64 v[228:229], v[230:231], v[230:231]
	v_mov_b64_e32 v[240:241], v[196:197]
	v_fmac_f64_e32 v[240:241], s[64:65], v[228:229]
	v_mov_b64_e32 v[242:243], v[198:199]
	v_fmac_f64_e32 v[242:243], v[228:229], v[240:241]
	;; [unrolled: 2-line block ×6, first 2 shown]
	v_cvt_f64_i32_e32 v[240:241], v76
	v_mul_f64 v[244:245], v[240:241], s[66:67]
	v_fma_f64 v[246:247], v[240:241], s[66:67], -v[244:245]
	v_fmac_f64_e32 v[246:247], s[68:69], v[240:241]
	v_add_f64 v[240:241], v[244:245], v[246:247]
	v_add_f64 v[244:245], v[240:241], -v[244:245]
	v_mul_f64 v[228:229], v[230:231], v[228:229]
	v_add_f64 v[244:245], v[246:247], -v[244:245]
	v_ldexp_f64 v[246:247], v[230:231], 1
	v_mul_f64 v[228:229], v[228:229], v[242:243]
	v_add_f64 v[230:231], v[246:247], v[228:229]
	v_add_f64 v[242:243], v[230:231], -v[246:247]
	v_ldexp_f64 v[226:227], v[226:227], 1
	v_add_f64 v[228:229], v[228:229], -v[242:243]
	v_add_f64 v[226:227], v[226:227], v[228:229]
	v_add_f64 v[228:229], v[230:231], v[226:227]
	v_add_f64 v[230:231], v[228:229], -v[230:231]
	v_add_f64 v[226:227], v[226:227], -v[230:231]
	v_add_f64 v[230:231], v[240:241], v[228:229]
	v_add_f64 v[242:243], v[230:231], -v[240:241]
	v_add_f64 v[246:247], v[230:231], -v[242:243]
	;; [unrolled: 1-line block ×4, first 2 shown]
	v_add_f64 v[228:229], v[228:229], v[240:241]
	v_add_f64 v[240:241], v[244:245], v[226:227]
	v_add_f64 v[242:243], v[240:241], -v[244:245]
	v_add_f64 v[228:229], v[240:241], v[228:229]
	v_add_f64 v[246:247], v[240:241], -v[242:243]
	v_add_f64 v[240:241], v[230:231], v[228:229]
	v_add_f64 v[244:245], v[244:245], -v[246:247]
	v_add_f64 v[226:227], v[226:227], -v[242:243]
	v_add_f64 v[230:231], v[240:241], -v[230:231]
	v_add_f64 v[226:227], v[226:227], v[244:245]
	v_add_f64 v[228:229], v[228:229], -v[230:231]
	v_add_f64 v[226:227], v[226:227], v[228:229]
	v_add_f64 v[226:227], v[240:241], v[226:227]
	v_cmp_eq_f64_e32 vcc, s[70:71], v[224:225]
	s_nop 1
	v_cndmask_b32_e32 v226, v226, v224, vcc
	v_cndmask_b32_e32 v227, v227, v225, vcc
	v_cmp_ngt_f64_e32 vcc, -1.0, v[224:225]
	s_nop 1
	v_cndmask_b32_e32 v227, v60, v227, vcc
	v_cmp_nge_f64_e32 vcc, -1.0, v[224:225]
	s_nop 1
	v_cndmask_b32_e32 v226, 0, v226, vcc
	v_cmp_neq_f64_e32 vcc, -1.0, v[224:225]
	s_nop 1
	v_cndmask_b32_e32 v227, v61, v227, vcc
	v_add_f64 v[224:225], v[6:7], v[226:227]
.LBB30_197:                             ;   in Loop: Header=BB30_166 Depth=1
	s_or_b64 exec, exec, s[72:73]
	v_mov_b32_e32 v226, v224
	v_mov_b32_e32 v227, v225
	v_mov_b64_e32 v[6:7], v[224:225]
.LBB30_198:                             ;   in Loop: Header=BB30_166 Depth=1
	s_or_b64 exec, exec, s[42:43]
	s_waitcnt lgkmcnt(1)
	ds_bpermute_b32 v224, v42, v226
	s_waitcnt lgkmcnt(1)
	ds_bpermute_b32 v225, v42, v227
	v_cmp_le_u32_e32 vcc, v43, v9
	s_and_saveexec_b64 s[42:43], vcc
	s_cbranch_execz .LBB30_202
; %bb.199:                              ;   in Loop: Header=BB30_166 Depth=1
	s_waitcnt lgkmcnt(0)
	v_max_f64 v[228:229], v[224:225], v[224:225]
	v_max_f64 v[230:231], v[6:7], v[6:7]
	v_min_f64 v[226:227], v[228:229], v[230:231]
	v_cmp_u_f64_e32 vcc, v[224:225], v[224:225]
	v_max_f64 v[228:229], v[228:229], v[230:231]
	v_cmp_u_f64_e64 s[40:41], v[6:7], v[6:7]
	v_cndmask_b32_e32 v226, v226, v224, vcc
	v_cndmask_b32_e32 v227, v227, v225, vcc
	;; [unrolled: 1-line block ×4, first 2 shown]
	v_cndmask_b32_e64 v227, v227, v7, s[40:41]
	v_cndmask_b32_e64 v226, v226, v6, s[40:41]
	;; [unrolled: 1-line block ×4, first 2 shown]
	v_cmp_neq_f64_e32 vcc, v[226:227], v[6:7]
	v_cmp_class_f64_e64 s[40:41], v[226:227], s48
	s_or_b64 vcc, vcc, s[40:41]
	s_and_saveexec_b64 s[72:73], vcc
	s_cbranch_execz .LBB30_201
; %bb.200:                              ;   in Loop: Header=BB30_166 Depth=1
	v_add_f64 v[224:225], v[226:227], -v[6:7]
	v_mul_f64 v[226:227], v[224:225], s[50:51]
	v_rndne_f64_e32 v[226:227], v[226:227]
	v_fma_f64 v[228:229], s[52:53], v[226:227], v[224:225]
	v_fmac_f64_e32 v[228:229], s[54:55], v[226:227]
	v_mov_b64_e32 v[230:231], v[162:163]
	v_fmac_f64_e32 v[230:231], s[56:57], v[228:229]
	v_mov_b64_e32 v[240:241], v[164:165]
	;; [unrolled: 2-line block ×9, first 2 shown]
	v_fmac_f64_e32 v[230:231], v[228:229], v[240:241]
	v_fma_f64 v[230:231], v[228:229], v[230:231], 1.0
	v_fma_f64 v[228:229], v[228:229], v[230:231], 1.0
	v_cvt_i32_f64_e32 v226, v[226:227]
	v_ldexp_f64 v[226:227], v[228:229], v226
	v_cmp_nlt_f64_e32 vcc, s[58:59], v[224:225]
	v_cmp_ngt_f64_e64 s[40:41], s[60:61], v[224:225]
	s_mov_b32 s66, s52
	v_cndmask_b32_e32 v227, v59, v227, vcc
	s_and_b64 vcc, s[40:41], vcc
	v_cndmask_b32_e64 v225, 0, v227, s[40:41]
	v_cndmask_b32_e32 v224, 0, v226, vcc
	v_add_f64 v[226:227], v[224:225], 1.0
	v_add_f64 v[228:229], v[226:227], -1.0
	v_add_f64 v[230:231], v[228:229], -v[226:227]
	v_add_f64 v[230:231], v[230:231], 1.0
	v_add_f64 v[228:229], v[224:225], -v[228:229]
	v_add_f64 v[228:229], v[228:229], v[230:231]
	v_frexp_mant_f64_e32 v[230:231], v[226:227]
	v_frexp_exp_i32_f64_e32 v240, v[226:227]
	v_cmp_gt_f64_e32 vcc, s[62:63], v[230:231]
	s_mov_b32 s68, s54
	s_nop 0
	v_subbrev_co_u32_e32 v76, vcc, 0, v240, vcc
	v_sub_u32_e32 v230, 0, v76
	v_ldexp_f64 v[226:227], v[226:227], v230
	v_ldexp_f64 v[228:229], v[228:229], v230
	v_add_f64 v[230:231], v[226:227], -1.0
	v_add_f64 v[244:245], v[226:227], 1.0
	v_add_f64 v[240:241], v[230:231], 1.0
	v_add_f64 v[246:247], v[244:245], -1.0
	v_add_f64 v[240:241], v[226:227], -v[240:241]
	v_add_f64 v[226:227], v[226:227], -v[246:247]
	v_add_f64 v[226:227], v[228:229], v[226:227]
	v_add_f64 v[240:241], v[228:229], v[240:241]
	;; [unrolled: 1-line block ×3, first 2 shown]
	v_rcp_f64_e32 v[246:247], v[228:229]
	v_add_f64 v[242:243], v[230:231], v[240:241]
	v_add_f64 v[230:231], v[242:243], -v[230:231]
	v_add_f64 v[230:231], v[240:241], -v[230:231]
	;; [unrolled: 1-line block ×4, first 2 shown]
	v_fma_f64 v[240:241], -v[228:229], v[246:247], 1.0
	v_fmac_f64_e32 v[246:247], v[240:241], v[246:247]
	v_fma_f64 v[240:241], -v[228:229], v[246:247], 1.0
	v_fmac_f64_e32 v[246:247], v[240:241], v[246:247]
	v_mul_f64 v[240:241], v[242:243], v[246:247]
	v_mul_f64 v[244:245], v[228:229], v[240:241]
	v_fma_f64 v[62:63], v[240:241], v[228:229], -v[244:245]
	v_fmac_f64_e32 v[62:63], v[240:241], v[226:227]
	v_add_f64 v[72:73], v[244:245], v[62:63]
	v_add_f64 v[74:75], v[242:243], -v[72:73]
	v_add_f64 v[242:243], v[242:243], -v[74:75]
	;; [unrolled: 1-line block ×4, first 2 shown]
	v_add_f64 v[230:231], v[230:231], v[242:243]
	v_add_f64 v[242:243], v[244:245], -v[62:63]
	v_add_f64 v[230:231], v[242:243], v[230:231]
	v_add_f64 v[242:243], v[74:75], v[230:231]
	v_add_f64 v[244:245], v[74:75], -v[242:243]
	v_add_f64 v[230:231], v[230:231], v[244:245]
	v_mul_f64 v[244:245], v[246:247], v[242:243]
	v_mul_f64 v[62:63], v[228:229], v[244:245]
	v_fma_f64 v[228:229], v[244:245], v[228:229], -v[62:63]
	v_fmac_f64_e32 v[228:229], v[244:245], v[226:227]
	v_add_f64 v[226:227], v[62:63], v[228:229]
	v_add_f64 v[72:73], v[242:243], -v[226:227]
	v_add_f64 v[242:243], v[242:243], -v[72:73]
	;; [unrolled: 1-line block ×4, first 2 shown]
	v_add_f64 v[226:227], v[230:231], v[226:227]
	v_add_f64 v[228:229], v[62:63], -v[228:229]
	v_add_f64 v[226:227], v[228:229], v[226:227]
	v_add_f64 v[228:229], v[240:241], v[244:245]
	;; [unrolled: 1-line block ×3, first 2 shown]
	v_add_f64 v[230:231], v[228:229], -v[240:241]
	v_mul_f64 v[226:227], v[246:247], v[226:227]
	v_add_f64 v[230:231], v[244:245], -v[230:231]
	v_add_f64 v[226:227], v[230:231], v[226:227]
	v_add_f64 v[230:231], v[228:229], v[226:227]
	v_add_f64 v[228:229], v[230:231], -v[228:229]
	v_add_f64 v[226:227], v[226:227], -v[228:229]
	v_mul_f64 v[228:229], v[230:231], v[230:231]
	v_mov_b64_e32 v[240:241], v[196:197]
	v_fmac_f64_e32 v[240:241], s[64:65], v[228:229]
	v_mov_b64_e32 v[242:243], v[198:199]
	v_fmac_f64_e32 v[242:243], v[228:229], v[240:241]
	;; [unrolled: 2-line block ×6, first 2 shown]
	v_cvt_f64_i32_e32 v[240:241], v76
	v_mul_f64 v[244:245], v[240:241], s[66:67]
	v_fma_f64 v[246:247], v[240:241], s[66:67], -v[244:245]
	v_fmac_f64_e32 v[246:247], s[68:69], v[240:241]
	v_add_f64 v[240:241], v[244:245], v[246:247]
	v_add_f64 v[244:245], v[240:241], -v[244:245]
	v_mul_f64 v[228:229], v[230:231], v[228:229]
	v_add_f64 v[244:245], v[246:247], -v[244:245]
	v_ldexp_f64 v[246:247], v[230:231], 1
	v_mul_f64 v[228:229], v[228:229], v[242:243]
	v_add_f64 v[230:231], v[246:247], v[228:229]
	v_add_f64 v[242:243], v[230:231], -v[246:247]
	v_ldexp_f64 v[226:227], v[226:227], 1
	v_add_f64 v[228:229], v[228:229], -v[242:243]
	v_add_f64 v[226:227], v[226:227], v[228:229]
	v_add_f64 v[228:229], v[230:231], v[226:227]
	v_add_f64 v[230:231], v[228:229], -v[230:231]
	v_add_f64 v[226:227], v[226:227], -v[230:231]
	v_add_f64 v[230:231], v[240:241], v[228:229]
	v_add_f64 v[242:243], v[230:231], -v[240:241]
	v_add_f64 v[246:247], v[230:231], -v[242:243]
	;; [unrolled: 1-line block ×4, first 2 shown]
	v_add_f64 v[228:229], v[228:229], v[240:241]
	v_add_f64 v[240:241], v[244:245], v[226:227]
	v_add_f64 v[242:243], v[240:241], -v[244:245]
	v_add_f64 v[228:229], v[240:241], v[228:229]
	v_add_f64 v[246:247], v[240:241], -v[242:243]
	;; [unrolled: 2-line block ×3, first 2 shown]
	v_add_f64 v[226:227], v[226:227], -v[242:243]
	v_add_f64 v[230:231], v[240:241], -v[230:231]
	v_add_f64 v[226:227], v[226:227], v[244:245]
	v_add_f64 v[228:229], v[228:229], -v[230:231]
	v_add_f64 v[226:227], v[226:227], v[228:229]
	v_add_f64 v[226:227], v[240:241], v[226:227]
	v_cmp_eq_f64_e32 vcc, s[70:71], v[224:225]
	s_nop 1
	v_cndmask_b32_e32 v226, v226, v224, vcc
	v_cndmask_b32_e32 v227, v227, v225, vcc
	v_cmp_ngt_f64_e32 vcc, -1.0, v[224:225]
	s_nop 1
	v_cndmask_b32_e32 v227, v60, v227, vcc
	v_cmp_nge_f64_e32 vcc, -1.0, v[224:225]
	s_nop 1
	v_cndmask_b32_e32 v226, 0, v226, vcc
	v_cmp_neq_f64_e32 vcc, -1.0, v[224:225]
	s_nop 1
	v_cndmask_b32_e32 v227, v61, v227, vcc
	v_add_f64 v[224:225], v[6:7], v[226:227]
.LBB30_201:                             ;   in Loop: Header=BB30_166 Depth=1
	s_or_b64 exec, exec, s[72:73]
	v_mov_b32_e32 v226, v224
	v_mov_b32_e32 v227, v225
	v_mov_b64_e32 v[6:7], v[224:225]
.LBB30_202:                             ;   in Loop: Header=BB30_166 Depth=1
	s_or_b64 exec, exec, s[42:43]
	s_waitcnt lgkmcnt(1)
	ds_bpermute_b32 v224, v44, v226
	s_waitcnt lgkmcnt(1)
	ds_bpermute_b32 v225, v44, v227
	v_cmp_le_u32_e32 vcc, v45, v9
	s_and_saveexec_b64 s[42:43], vcc
	s_cbranch_execz .LBB30_206
; %bb.203:                              ;   in Loop: Header=BB30_166 Depth=1
	s_waitcnt lgkmcnt(0)
	v_max_f64 v[228:229], v[224:225], v[224:225]
	v_max_f64 v[230:231], v[6:7], v[6:7]
	v_min_f64 v[226:227], v[228:229], v[230:231]
	v_cmp_u_f64_e32 vcc, v[224:225], v[224:225]
	v_max_f64 v[228:229], v[228:229], v[230:231]
	v_cmp_u_f64_e64 s[40:41], v[6:7], v[6:7]
	v_cndmask_b32_e32 v226, v226, v224, vcc
	v_cndmask_b32_e32 v227, v227, v225, vcc
	;; [unrolled: 1-line block ×4, first 2 shown]
	v_cndmask_b32_e64 v227, v227, v7, s[40:41]
	v_cndmask_b32_e64 v226, v226, v6, s[40:41]
	;; [unrolled: 1-line block ×4, first 2 shown]
	v_cmp_neq_f64_e32 vcc, v[226:227], v[6:7]
	v_cmp_class_f64_e64 s[40:41], v[226:227], s48
	s_or_b64 vcc, vcc, s[40:41]
	s_and_saveexec_b64 s[72:73], vcc
	s_cbranch_execz .LBB30_205
; %bb.204:                              ;   in Loop: Header=BB30_166 Depth=1
	v_add_f64 v[224:225], v[226:227], -v[6:7]
	v_mul_f64 v[226:227], v[224:225], s[50:51]
	v_rndne_f64_e32 v[226:227], v[226:227]
	v_fma_f64 v[228:229], s[52:53], v[226:227], v[224:225]
	v_fmac_f64_e32 v[228:229], s[54:55], v[226:227]
	v_mov_b64_e32 v[230:231], v[162:163]
	v_fmac_f64_e32 v[230:231], s[56:57], v[228:229]
	v_mov_b64_e32 v[240:241], v[164:165]
	;; [unrolled: 2-line block ×9, first 2 shown]
	v_fmac_f64_e32 v[230:231], v[228:229], v[240:241]
	v_fma_f64 v[230:231], v[228:229], v[230:231], 1.0
	v_fma_f64 v[228:229], v[228:229], v[230:231], 1.0
	v_cvt_i32_f64_e32 v226, v[226:227]
	v_ldexp_f64 v[226:227], v[228:229], v226
	v_cmp_nlt_f64_e32 vcc, s[58:59], v[224:225]
	v_cmp_ngt_f64_e64 s[40:41], s[60:61], v[224:225]
	s_mov_b32 s66, s52
	v_cndmask_b32_e32 v227, v59, v227, vcc
	s_and_b64 vcc, s[40:41], vcc
	v_cndmask_b32_e64 v225, 0, v227, s[40:41]
	v_cndmask_b32_e32 v224, 0, v226, vcc
	v_add_f64 v[226:227], v[224:225], 1.0
	v_add_f64 v[228:229], v[226:227], -1.0
	v_add_f64 v[230:231], v[228:229], -v[226:227]
	v_add_f64 v[230:231], v[230:231], 1.0
	v_add_f64 v[228:229], v[224:225], -v[228:229]
	v_add_f64 v[228:229], v[228:229], v[230:231]
	v_frexp_mant_f64_e32 v[230:231], v[226:227]
	v_frexp_exp_i32_f64_e32 v240, v[226:227]
	v_cmp_gt_f64_e32 vcc, s[62:63], v[230:231]
	s_mov_b32 s68, s54
	s_nop 0
	v_subbrev_co_u32_e32 v76, vcc, 0, v240, vcc
	v_sub_u32_e32 v230, 0, v76
	v_ldexp_f64 v[226:227], v[226:227], v230
	v_ldexp_f64 v[228:229], v[228:229], v230
	v_add_f64 v[230:231], v[226:227], -1.0
	v_add_f64 v[244:245], v[226:227], 1.0
	v_add_f64 v[240:241], v[230:231], 1.0
	v_add_f64 v[246:247], v[244:245], -1.0
	v_add_f64 v[240:241], v[226:227], -v[240:241]
	v_add_f64 v[226:227], v[226:227], -v[246:247]
	v_add_f64 v[226:227], v[228:229], v[226:227]
	v_add_f64 v[240:241], v[228:229], v[240:241]
	;; [unrolled: 1-line block ×3, first 2 shown]
	v_rcp_f64_e32 v[246:247], v[228:229]
	v_add_f64 v[242:243], v[230:231], v[240:241]
	v_add_f64 v[230:231], v[242:243], -v[230:231]
	v_add_f64 v[230:231], v[240:241], -v[230:231]
	;; [unrolled: 1-line block ×4, first 2 shown]
	v_fma_f64 v[240:241], -v[228:229], v[246:247], 1.0
	v_fmac_f64_e32 v[246:247], v[240:241], v[246:247]
	v_fma_f64 v[240:241], -v[228:229], v[246:247], 1.0
	v_fmac_f64_e32 v[246:247], v[240:241], v[246:247]
	v_mul_f64 v[240:241], v[242:243], v[246:247]
	v_mul_f64 v[244:245], v[228:229], v[240:241]
	v_fma_f64 v[62:63], v[240:241], v[228:229], -v[244:245]
	v_fmac_f64_e32 v[62:63], v[240:241], v[226:227]
	v_add_f64 v[72:73], v[244:245], v[62:63]
	v_add_f64 v[74:75], v[242:243], -v[72:73]
	v_add_f64 v[242:243], v[242:243], -v[74:75]
	;; [unrolled: 1-line block ×4, first 2 shown]
	v_add_f64 v[230:231], v[230:231], v[242:243]
	v_add_f64 v[242:243], v[244:245], -v[62:63]
	v_add_f64 v[230:231], v[242:243], v[230:231]
	v_add_f64 v[242:243], v[74:75], v[230:231]
	v_add_f64 v[244:245], v[74:75], -v[242:243]
	v_add_f64 v[230:231], v[230:231], v[244:245]
	v_mul_f64 v[244:245], v[246:247], v[242:243]
	v_mul_f64 v[62:63], v[228:229], v[244:245]
	v_fma_f64 v[228:229], v[244:245], v[228:229], -v[62:63]
	v_fmac_f64_e32 v[228:229], v[244:245], v[226:227]
	v_add_f64 v[226:227], v[62:63], v[228:229]
	v_add_f64 v[72:73], v[242:243], -v[226:227]
	v_add_f64 v[242:243], v[242:243], -v[72:73]
	;; [unrolled: 1-line block ×4, first 2 shown]
	v_add_f64 v[226:227], v[230:231], v[226:227]
	v_add_f64 v[228:229], v[62:63], -v[228:229]
	v_add_f64 v[226:227], v[228:229], v[226:227]
	v_add_f64 v[228:229], v[240:241], v[244:245]
	;; [unrolled: 1-line block ×3, first 2 shown]
	v_add_f64 v[230:231], v[228:229], -v[240:241]
	v_mul_f64 v[226:227], v[246:247], v[226:227]
	v_add_f64 v[230:231], v[244:245], -v[230:231]
	v_add_f64 v[226:227], v[230:231], v[226:227]
	v_add_f64 v[230:231], v[228:229], v[226:227]
	v_add_f64 v[228:229], v[230:231], -v[228:229]
	v_add_f64 v[226:227], v[226:227], -v[228:229]
	v_mul_f64 v[228:229], v[230:231], v[230:231]
	v_mov_b64_e32 v[240:241], v[196:197]
	v_fmac_f64_e32 v[240:241], s[64:65], v[228:229]
	v_mov_b64_e32 v[242:243], v[198:199]
	v_fmac_f64_e32 v[242:243], v[228:229], v[240:241]
	;; [unrolled: 2-line block ×6, first 2 shown]
	v_cvt_f64_i32_e32 v[240:241], v76
	v_mul_f64 v[244:245], v[240:241], s[66:67]
	v_fma_f64 v[246:247], v[240:241], s[66:67], -v[244:245]
	v_fmac_f64_e32 v[246:247], s[68:69], v[240:241]
	v_add_f64 v[240:241], v[244:245], v[246:247]
	v_add_f64 v[244:245], v[240:241], -v[244:245]
	v_mul_f64 v[228:229], v[230:231], v[228:229]
	v_add_f64 v[244:245], v[246:247], -v[244:245]
	v_ldexp_f64 v[246:247], v[230:231], 1
	v_mul_f64 v[228:229], v[228:229], v[242:243]
	v_add_f64 v[230:231], v[246:247], v[228:229]
	v_add_f64 v[242:243], v[230:231], -v[246:247]
	v_ldexp_f64 v[226:227], v[226:227], 1
	v_add_f64 v[228:229], v[228:229], -v[242:243]
	v_add_f64 v[226:227], v[226:227], v[228:229]
	v_add_f64 v[228:229], v[230:231], v[226:227]
	v_add_f64 v[230:231], v[228:229], -v[230:231]
	v_add_f64 v[226:227], v[226:227], -v[230:231]
	v_add_f64 v[230:231], v[240:241], v[228:229]
	v_add_f64 v[242:243], v[230:231], -v[240:241]
	v_add_f64 v[246:247], v[230:231], -v[242:243]
	;; [unrolled: 1-line block ×4, first 2 shown]
	v_add_f64 v[228:229], v[228:229], v[240:241]
	v_add_f64 v[240:241], v[244:245], v[226:227]
	v_add_f64 v[242:243], v[240:241], -v[244:245]
	v_add_f64 v[228:229], v[240:241], v[228:229]
	v_add_f64 v[246:247], v[240:241], -v[242:243]
	;; [unrolled: 2-line block ×3, first 2 shown]
	v_add_f64 v[226:227], v[226:227], -v[242:243]
	v_add_f64 v[230:231], v[240:241], -v[230:231]
	v_add_f64 v[226:227], v[226:227], v[244:245]
	v_add_f64 v[228:229], v[228:229], -v[230:231]
	v_add_f64 v[226:227], v[226:227], v[228:229]
	v_add_f64 v[226:227], v[240:241], v[226:227]
	v_cmp_eq_f64_e32 vcc, s[70:71], v[224:225]
	s_nop 1
	v_cndmask_b32_e32 v226, v226, v224, vcc
	v_cndmask_b32_e32 v227, v227, v225, vcc
	v_cmp_ngt_f64_e32 vcc, -1.0, v[224:225]
	s_nop 1
	v_cndmask_b32_e32 v227, v60, v227, vcc
	v_cmp_nge_f64_e32 vcc, -1.0, v[224:225]
	s_nop 1
	v_cndmask_b32_e32 v226, 0, v226, vcc
	v_cmp_neq_f64_e32 vcc, -1.0, v[224:225]
	s_nop 1
	v_cndmask_b32_e32 v227, v61, v227, vcc
	v_add_f64 v[224:225], v[6:7], v[226:227]
.LBB30_205:                             ;   in Loop: Header=BB30_166 Depth=1
	s_or_b64 exec, exec, s[72:73]
	v_mov_b32_e32 v226, v224
	v_mov_b32_e32 v227, v225
	v_mov_b64_e32 v[6:7], v[224:225]
.LBB30_206:                             ;   in Loop: Header=BB30_166 Depth=1
	s_or_b64 exec, exec, s[42:43]
	s_waitcnt lgkmcnt(1)
	ds_bpermute_b32 v224, v46, v226
	s_waitcnt lgkmcnt(1)
	ds_bpermute_b32 v225, v46, v227
	v_cmp_le_u32_e32 vcc, v47, v9
	s_and_saveexec_b64 s[42:43], vcc
	s_cbranch_execz .LBB30_210
; %bb.207:                              ;   in Loop: Header=BB30_166 Depth=1
	s_waitcnt lgkmcnt(0)
	v_max_f64 v[228:229], v[224:225], v[224:225]
	v_max_f64 v[230:231], v[6:7], v[6:7]
	v_min_f64 v[226:227], v[228:229], v[230:231]
	v_cmp_u_f64_e32 vcc, v[224:225], v[224:225]
	v_max_f64 v[228:229], v[228:229], v[230:231]
	v_cmp_u_f64_e64 s[40:41], v[6:7], v[6:7]
	v_cndmask_b32_e32 v226, v226, v224, vcc
	v_cndmask_b32_e32 v227, v227, v225, vcc
	;; [unrolled: 1-line block ×4, first 2 shown]
	v_cndmask_b32_e64 v227, v227, v7, s[40:41]
	v_cndmask_b32_e64 v226, v226, v6, s[40:41]
	;; [unrolled: 1-line block ×4, first 2 shown]
	v_cmp_neq_f64_e32 vcc, v[226:227], v[6:7]
	v_cmp_class_f64_e64 s[40:41], v[226:227], s48
	s_or_b64 vcc, vcc, s[40:41]
	s_and_saveexec_b64 s[72:73], vcc
	s_cbranch_execz .LBB30_209
; %bb.208:                              ;   in Loop: Header=BB30_166 Depth=1
	v_add_f64 v[224:225], v[226:227], -v[6:7]
	v_mul_f64 v[226:227], v[224:225], s[50:51]
	v_rndne_f64_e32 v[226:227], v[226:227]
	v_fma_f64 v[228:229], s[52:53], v[226:227], v[224:225]
	v_fmac_f64_e32 v[228:229], s[54:55], v[226:227]
	v_mov_b64_e32 v[230:231], v[162:163]
	v_fmac_f64_e32 v[230:231], s[56:57], v[228:229]
	v_mov_b64_e32 v[240:241], v[164:165]
	;; [unrolled: 2-line block ×9, first 2 shown]
	v_fmac_f64_e32 v[230:231], v[228:229], v[240:241]
	v_fma_f64 v[230:231], v[228:229], v[230:231], 1.0
	v_fma_f64 v[228:229], v[228:229], v[230:231], 1.0
	v_cvt_i32_f64_e32 v226, v[226:227]
	v_ldexp_f64 v[226:227], v[228:229], v226
	v_cmp_nlt_f64_e32 vcc, s[58:59], v[224:225]
	v_cmp_ngt_f64_e64 s[40:41], s[60:61], v[224:225]
	s_mov_b32 s66, s52
	v_cndmask_b32_e32 v227, v59, v227, vcc
	s_and_b64 vcc, s[40:41], vcc
	v_cndmask_b32_e64 v225, 0, v227, s[40:41]
	v_cndmask_b32_e32 v224, 0, v226, vcc
	v_add_f64 v[226:227], v[224:225], 1.0
	v_add_f64 v[228:229], v[226:227], -1.0
	v_add_f64 v[230:231], v[228:229], -v[226:227]
	v_add_f64 v[230:231], v[230:231], 1.0
	v_add_f64 v[228:229], v[224:225], -v[228:229]
	v_add_f64 v[228:229], v[228:229], v[230:231]
	v_frexp_mant_f64_e32 v[230:231], v[226:227]
	v_frexp_exp_i32_f64_e32 v240, v[226:227]
	v_cmp_gt_f64_e32 vcc, s[62:63], v[230:231]
	s_mov_b32 s68, s54
	s_nop 0
	v_subbrev_co_u32_e32 v76, vcc, 0, v240, vcc
	v_sub_u32_e32 v230, 0, v76
	v_ldexp_f64 v[226:227], v[226:227], v230
	v_ldexp_f64 v[228:229], v[228:229], v230
	v_add_f64 v[230:231], v[226:227], -1.0
	v_add_f64 v[244:245], v[226:227], 1.0
	v_add_f64 v[240:241], v[230:231], 1.0
	v_add_f64 v[246:247], v[244:245], -1.0
	v_add_f64 v[240:241], v[226:227], -v[240:241]
	v_add_f64 v[226:227], v[226:227], -v[246:247]
	v_add_f64 v[226:227], v[228:229], v[226:227]
	v_add_f64 v[240:241], v[228:229], v[240:241]
	;; [unrolled: 1-line block ×3, first 2 shown]
	v_rcp_f64_e32 v[246:247], v[228:229]
	v_add_f64 v[242:243], v[230:231], v[240:241]
	v_add_f64 v[230:231], v[242:243], -v[230:231]
	v_add_f64 v[230:231], v[240:241], -v[230:231]
	;; [unrolled: 1-line block ×4, first 2 shown]
	v_fma_f64 v[240:241], -v[228:229], v[246:247], 1.0
	v_fmac_f64_e32 v[246:247], v[240:241], v[246:247]
	v_fma_f64 v[240:241], -v[228:229], v[246:247], 1.0
	v_fmac_f64_e32 v[246:247], v[240:241], v[246:247]
	v_mul_f64 v[240:241], v[242:243], v[246:247]
	v_mul_f64 v[244:245], v[228:229], v[240:241]
	v_fma_f64 v[62:63], v[240:241], v[228:229], -v[244:245]
	v_fmac_f64_e32 v[62:63], v[240:241], v[226:227]
	v_add_f64 v[72:73], v[244:245], v[62:63]
	v_add_f64 v[74:75], v[242:243], -v[72:73]
	v_add_f64 v[242:243], v[242:243], -v[74:75]
	;; [unrolled: 1-line block ×4, first 2 shown]
	v_add_f64 v[230:231], v[230:231], v[242:243]
	v_add_f64 v[242:243], v[244:245], -v[62:63]
	v_add_f64 v[230:231], v[242:243], v[230:231]
	v_add_f64 v[242:243], v[74:75], v[230:231]
	v_add_f64 v[244:245], v[74:75], -v[242:243]
	v_add_f64 v[230:231], v[230:231], v[244:245]
	v_mul_f64 v[244:245], v[246:247], v[242:243]
	v_mul_f64 v[62:63], v[228:229], v[244:245]
	v_fma_f64 v[228:229], v[244:245], v[228:229], -v[62:63]
	v_fmac_f64_e32 v[228:229], v[244:245], v[226:227]
	v_add_f64 v[226:227], v[62:63], v[228:229]
	v_add_f64 v[72:73], v[242:243], -v[226:227]
	v_add_f64 v[242:243], v[242:243], -v[72:73]
	;; [unrolled: 1-line block ×4, first 2 shown]
	v_add_f64 v[226:227], v[230:231], v[226:227]
	v_add_f64 v[228:229], v[62:63], -v[228:229]
	v_add_f64 v[226:227], v[228:229], v[226:227]
	v_add_f64 v[228:229], v[240:241], v[244:245]
	;; [unrolled: 1-line block ×3, first 2 shown]
	v_add_f64 v[230:231], v[228:229], -v[240:241]
	v_mul_f64 v[226:227], v[246:247], v[226:227]
	v_add_f64 v[230:231], v[244:245], -v[230:231]
	v_add_f64 v[226:227], v[230:231], v[226:227]
	v_add_f64 v[230:231], v[228:229], v[226:227]
	v_add_f64 v[228:229], v[230:231], -v[228:229]
	v_add_f64 v[226:227], v[226:227], -v[228:229]
	v_mul_f64 v[228:229], v[230:231], v[230:231]
	v_mov_b64_e32 v[240:241], v[196:197]
	v_fmac_f64_e32 v[240:241], s[64:65], v[228:229]
	v_mov_b64_e32 v[242:243], v[198:199]
	v_fmac_f64_e32 v[242:243], v[228:229], v[240:241]
	;; [unrolled: 2-line block ×6, first 2 shown]
	v_cvt_f64_i32_e32 v[240:241], v76
	v_mul_f64 v[244:245], v[240:241], s[66:67]
	v_fma_f64 v[246:247], v[240:241], s[66:67], -v[244:245]
	v_fmac_f64_e32 v[246:247], s[68:69], v[240:241]
	v_add_f64 v[240:241], v[244:245], v[246:247]
	v_add_f64 v[244:245], v[240:241], -v[244:245]
	v_mul_f64 v[228:229], v[230:231], v[228:229]
	v_add_f64 v[244:245], v[246:247], -v[244:245]
	v_ldexp_f64 v[246:247], v[230:231], 1
	v_mul_f64 v[228:229], v[228:229], v[242:243]
	v_add_f64 v[230:231], v[246:247], v[228:229]
	v_add_f64 v[242:243], v[230:231], -v[246:247]
	v_ldexp_f64 v[226:227], v[226:227], 1
	v_add_f64 v[228:229], v[228:229], -v[242:243]
	v_add_f64 v[226:227], v[226:227], v[228:229]
	v_add_f64 v[228:229], v[230:231], v[226:227]
	v_add_f64 v[230:231], v[228:229], -v[230:231]
	v_add_f64 v[226:227], v[226:227], -v[230:231]
	v_add_f64 v[230:231], v[240:241], v[228:229]
	v_add_f64 v[242:243], v[230:231], -v[240:241]
	v_add_f64 v[246:247], v[230:231], -v[242:243]
	;; [unrolled: 1-line block ×4, first 2 shown]
	v_add_f64 v[228:229], v[228:229], v[240:241]
	v_add_f64 v[240:241], v[244:245], v[226:227]
	v_add_f64 v[242:243], v[240:241], -v[244:245]
	v_add_f64 v[228:229], v[240:241], v[228:229]
	v_add_f64 v[246:247], v[240:241], -v[242:243]
	;; [unrolled: 2-line block ×3, first 2 shown]
	v_add_f64 v[226:227], v[226:227], -v[242:243]
	v_add_f64 v[230:231], v[240:241], -v[230:231]
	v_add_f64 v[226:227], v[226:227], v[244:245]
	v_add_f64 v[228:229], v[228:229], -v[230:231]
	v_add_f64 v[226:227], v[226:227], v[228:229]
	v_add_f64 v[226:227], v[240:241], v[226:227]
	v_cmp_eq_f64_e32 vcc, s[70:71], v[224:225]
	s_nop 1
	v_cndmask_b32_e32 v226, v226, v224, vcc
	v_cndmask_b32_e32 v227, v227, v225, vcc
	v_cmp_ngt_f64_e32 vcc, -1.0, v[224:225]
	s_nop 1
	v_cndmask_b32_e32 v227, v60, v227, vcc
	v_cmp_nge_f64_e32 vcc, -1.0, v[224:225]
	s_nop 1
	v_cndmask_b32_e32 v226, 0, v226, vcc
	v_cmp_neq_f64_e32 vcc, -1.0, v[224:225]
	s_nop 1
	v_cndmask_b32_e32 v227, v61, v227, vcc
	v_add_f64 v[224:225], v[6:7], v[226:227]
.LBB30_209:                             ;   in Loop: Header=BB30_166 Depth=1
	s_or_b64 exec, exec, s[72:73]
	v_mov_b32_e32 v226, v224
	v_mov_b32_e32 v227, v225
	v_mov_b64_e32 v[6:7], v[224:225]
.LBB30_210:                             ;   in Loop: Header=BB30_166 Depth=1
	s_or_b64 exec, exec, s[42:43]
	s_waitcnt lgkmcnt(1)
	ds_bpermute_b32 v224, v56, v226
	s_waitcnt lgkmcnt(1)
	ds_bpermute_b32 v225, v56, v227
	v_cmp_le_u32_e32 vcc, v57, v9
	s_and_saveexec_b64 s[42:43], vcc
	s_cbranch_execz .LBB30_214
; %bb.211:                              ;   in Loop: Header=BB30_166 Depth=1
	s_waitcnt lgkmcnt(0)
	v_max_f64 v[228:229], v[224:225], v[224:225]
	v_max_f64 v[230:231], v[6:7], v[6:7]
	v_min_f64 v[226:227], v[228:229], v[230:231]
	v_cmp_u_f64_e32 vcc, v[224:225], v[224:225]
	v_cmp_u_f64_e64 s[40:41], v[6:7], v[6:7]
	v_max_f64 v[228:229], v[228:229], v[230:231]
	v_cndmask_b32_e32 v9, v226, v224, vcc
	v_cndmask_b32_e32 v226, v227, v225, vcc
	v_cndmask_b32_e64 v227, v226, v7, s[40:41]
	v_cndmask_b32_e64 v226, v9, v6, s[40:41]
	v_cndmask_b32_e32 v9, v228, v224, vcc
	v_cndmask_b32_e32 v228, v229, v225, vcc
	v_cndmask_b32_e64 v7, v228, v7, s[40:41]
	v_cndmask_b32_e64 v6, v9, v6, s[40:41]
	v_cmp_neq_f64_e32 vcc, v[226:227], v[6:7]
	v_cmp_class_f64_e64 s[40:41], v[226:227], s48
	s_or_b64 vcc, vcc, s[40:41]
	s_and_saveexec_b64 s[72:73], vcc
	s_cbranch_execz .LBB30_213
; %bb.212:                              ;   in Loop: Header=BB30_166 Depth=1
	v_add_f64 v[224:225], v[226:227], -v[6:7]
	v_mul_f64 v[226:227], v[224:225], s[50:51]
	v_rndne_f64_e32 v[226:227], v[226:227]
	v_fma_f64 v[228:229], s[52:53], v[226:227], v[224:225]
	v_fmac_f64_e32 v[228:229], s[54:55], v[226:227]
	v_mov_b64_e32 v[230:231], v[162:163]
	v_fmac_f64_e32 v[230:231], s[56:57], v[228:229]
	v_mov_b64_e32 v[240:241], v[164:165]
	;; [unrolled: 2-line block ×9, first 2 shown]
	v_fmac_f64_e32 v[230:231], v[228:229], v[240:241]
	v_fma_f64 v[230:231], v[228:229], v[230:231], 1.0
	v_fma_f64 v[228:229], v[228:229], v[230:231], 1.0
	v_cvt_i32_f64_e32 v9, v[226:227]
	v_ldexp_f64 v[226:227], v[228:229], v9
	v_cmp_nlt_f64_e32 vcc, s[58:59], v[224:225]
	v_cmp_ngt_f64_e64 s[40:41], s[60:61], v[224:225]
	s_mov_b32 s66, s52
	v_cndmask_b32_e32 v9, v59, v227, vcc
	s_and_b64 vcc, s[40:41], vcc
	v_cndmask_b32_e64 v225, 0, v9, s[40:41]
	v_cndmask_b32_e32 v224, 0, v226, vcc
	v_add_f64 v[226:227], v[224:225], 1.0
	v_add_f64 v[228:229], v[226:227], -1.0
	v_add_f64 v[230:231], v[228:229], -v[226:227]
	v_add_f64 v[230:231], v[230:231], 1.0
	v_add_f64 v[228:229], v[224:225], -v[228:229]
	v_add_f64 v[228:229], v[228:229], v[230:231]
	v_frexp_mant_f64_e32 v[230:231], v[226:227]
	v_frexp_exp_i32_f64_e32 v9, v[226:227]
	v_cmp_gt_f64_e32 vcc, s[62:63], v[230:231]
	s_mov_b32 s68, s54
	s_nop 0
	v_subbrev_co_u32_e32 v9, vcc, 0, v9, vcc
	v_sub_u32_e32 v230, 0, v9
	v_ldexp_f64 v[226:227], v[226:227], v230
	v_ldexp_f64 v[228:229], v[228:229], v230
	v_add_f64 v[230:231], v[226:227], -1.0
	v_add_f64 v[244:245], v[226:227], 1.0
	v_add_f64 v[240:241], v[230:231], 1.0
	v_add_f64 v[246:247], v[244:245], -1.0
	v_add_f64 v[240:241], v[226:227], -v[240:241]
	v_add_f64 v[226:227], v[226:227], -v[246:247]
	v_add_f64 v[226:227], v[228:229], v[226:227]
	v_add_f64 v[240:241], v[228:229], v[240:241]
	;; [unrolled: 1-line block ×3, first 2 shown]
	v_rcp_f64_e32 v[246:247], v[228:229]
	v_add_f64 v[242:243], v[230:231], v[240:241]
	v_add_f64 v[230:231], v[242:243], -v[230:231]
	v_add_f64 v[230:231], v[240:241], -v[230:231]
	;; [unrolled: 1-line block ×4, first 2 shown]
	v_fma_f64 v[240:241], -v[228:229], v[246:247], 1.0
	v_fmac_f64_e32 v[246:247], v[240:241], v[246:247]
	v_fma_f64 v[240:241], -v[228:229], v[246:247], 1.0
	v_fmac_f64_e32 v[246:247], v[240:241], v[246:247]
	v_mul_f64 v[240:241], v[242:243], v[246:247]
	v_mul_f64 v[244:245], v[228:229], v[240:241]
	v_fma_f64 v[62:63], v[240:241], v[228:229], -v[244:245]
	v_fmac_f64_e32 v[62:63], v[240:241], v[226:227]
	v_add_f64 v[72:73], v[244:245], v[62:63]
	v_add_f64 v[74:75], v[242:243], -v[72:73]
	v_add_f64 v[242:243], v[242:243], -v[74:75]
	;; [unrolled: 1-line block ×4, first 2 shown]
	v_add_f64 v[230:231], v[230:231], v[242:243]
	v_add_f64 v[242:243], v[244:245], -v[62:63]
	v_add_f64 v[230:231], v[242:243], v[230:231]
	v_add_f64 v[242:243], v[74:75], v[230:231]
	v_add_f64 v[244:245], v[74:75], -v[242:243]
	v_add_f64 v[230:231], v[230:231], v[244:245]
	v_mul_f64 v[244:245], v[246:247], v[242:243]
	v_mul_f64 v[62:63], v[228:229], v[244:245]
	v_fma_f64 v[228:229], v[244:245], v[228:229], -v[62:63]
	v_fmac_f64_e32 v[228:229], v[244:245], v[226:227]
	v_add_f64 v[226:227], v[62:63], v[228:229]
	v_add_f64 v[72:73], v[242:243], -v[226:227]
	v_add_f64 v[242:243], v[242:243], -v[72:73]
	;; [unrolled: 1-line block ×4, first 2 shown]
	v_add_f64 v[226:227], v[230:231], v[226:227]
	v_add_f64 v[228:229], v[62:63], -v[228:229]
	v_add_f64 v[226:227], v[228:229], v[226:227]
	v_add_f64 v[228:229], v[240:241], v[244:245]
	;; [unrolled: 1-line block ×3, first 2 shown]
	v_add_f64 v[230:231], v[228:229], -v[240:241]
	v_mul_f64 v[226:227], v[246:247], v[226:227]
	v_add_f64 v[230:231], v[244:245], -v[230:231]
	v_add_f64 v[226:227], v[230:231], v[226:227]
	v_add_f64 v[230:231], v[228:229], v[226:227]
	v_add_f64 v[228:229], v[230:231], -v[228:229]
	v_add_f64 v[226:227], v[226:227], -v[228:229]
	v_mul_f64 v[228:229], v[230:231], v[230:231]
	v_mov_b64_e32 v[240:241], v[196:197]
	v_fmac_f64_e32 v[240:241], s[64:65], v[228:229]
	v_mov_b64_e32 v[242:243], v[198:199]
	v_fmac_f64_e32 v[242:243], v[228:229], v[240:241]
	;; [unrolled: 2-line block ×6, first 2 shown]
	v_cvt_f64_i32_e32 v[240:241], v9
	v_mul_f64 v[244:245], v[240:241], s[66:67]
	v_fma_f64 v[246:247], v[240:241], s[66:67], -v[244:245]
	v_fmac_f64_e32 v[246:247], s[68:69], v[240:241]
	v_add_f64 v[240:241], v[244:245], v[246:247]
	v_add_f64 v[244:245], v[240:241], -v[244:245]
	v_mul_f64 v[228:229], v[230:231], v[228:229]
	v_add_f64 v[244:245], v[246:247], -v[244:245]
	v_ldexp_f64 v[246:247], v[230:231], 1
	v_mul_f64 v[228:229], v[228:229], v[242:243]
	v_add_f64 v[230:231], v[246:247], v[228:229]
	v_add_f64 v[242:243], v[230:231], -v[246:247]
	v_ldexp_f64 v[226:227], v[226:227], 1
	v_add_f64 v[228:229], v[228:229], -v[242:243]
	v_add_f64 v[226:227], v[226:227], v[228:229]
	v_add_f64 v[228:229], v[230:231], v[226:227]
	v_add_f64 v[230:231], v[228:229], -v[230:231]
	v_add_f64 v[226:227], v[226:227], -v[230:231]
	v_add_f64 v[230:231], v[240:241], v[228:229]
	v_add_f64 v[242:243], v[230:231], -v[240:241]
	v_add_f64 v[246:247], v[230:231], -v[242:243]
	;; [unrolled: 1-line block ×4, first 2 shown]
	v_add_f64 v[228:229], v[228:229], v[240:241]
	v_add_f64 v[240:241], v[244:245], v[226:227]
	v_add_f64 v[242:243], v[240:241], -v[244:245]
	v_add_f64 v[228:229], v[240:241], v[228:229]
	v_add_f64 v[246:247], v[240:241], -v[242:243]
	;; [unrolled: 2-line block ×3, first 2 shown]
	v_add_f64 v[226:227], v[226:227], -v[242:243]
	v_add_f64 v[230:231], v[240:241], -v[230:231]
	v_add_f64 v[226:227], v[226:227], v[244:245]
	v_add_f64 v[228:229], v[228:229], -v[230:231]
	v_add_f64 v[226:227], v[226:227], v[228:229]
	v_add_f64 v[226:227], v[240:241], v[226:227]
	v_cmp_eq_f64_e32 vcc, s[70:71], v[224:225]
	s_nop 1
	v_cndmask_b32_e32 v9, v226, v224, vcc
	v_cndmask_b32_e32 v226, v227, v225, vcc
	v_cmp_ngt_f64_e32 vcc, -1.0, v[224:225]
	s_nop 1
	v_cndmask_b32_e32 v227, v60, v226, vcc
	v_cmp_nge_f64_e32 vcc, -1.0, v[224:225]
	s_nop 1
	v_cndmask_b32_e32 v226, 0, v9, vcc
	v_cmp_neq_f64_e32 vcc, -1.0, v[224:225]
	s_nop 1
	v_cndmask_b32_e32 v227, v61, v227, vcc
	v_add_f64 v[224:225], v[6:7], v[226:227]
.LBB30_213:                             ;   in Loop: Header=BB30_166 Depth=1
	s_or_b64 exec, exec, s[72:73]
	v_mov_b64_e32 v[6:7], v[224:225]
.LBB30_214:                             ;   in Loop: Header=BB30_166 Depth=1
	s_or_b64 exec, exec, s[42:43]
	s_waitcnt lgkmcnt(0)
	v_max_f64 v[224:225], v[160:161], v[160:161]
	v_max_f64 v[228:229], v[6:7], v[6:7]
	v_min_f64 v[226:227], v[228:229], v[224:225]
	v_cmp_u_f64_e32 vcc, v[6:7], v[6:7]
	v_cmp_u_f64_e64 s[40:41], v[160:161], v[160:161]
	v_max_f64 v[224:225], v[228:229], v[224:225]
	v_cndmask_b32_e32 v9, v226, v6, vcc
	v_cndmask_b32_e32 v226, v227, v7, vcc
	v_cndmask_b32_e64 v227, v226, v161, s[40:41]
	v_cndmask_b32_e64 v226, v9, v160, s[40:41]
	v_cndmask_b32_e32 v9, v224, v6, vcc
	v_cndmask_b32_e32 v224, v225, v7, vcc
	v_cndmask_b32_e64 v225, v224, v161, s[40:41]
	v_cndmask_b32_e64 v224, v9, v160, s[40:41]
	v_cmp_neq_f64_e32 vcc, v[226:227], v[224:225]
	v_cmp_class_f64_e64 s[40:41], v[226:227], s48
	s_or_b64 vcc, vcc, s[40:41]
	s_and_saveexec_b64 s[40:41], vcc
	s_xor_b64 s[42:43], exec, s[40:41]
	s_cbranch_execz .LBB30_165
; %bb.215:                              ;   in Loop: Header=BB30_166 Depth=1
	v_add_f64 v[6:7], v[226:227], -v[224:225]
	v_mul_f64 v[226:227], v[6:7], s[50:51]
	v_rndne_f64_e32 v[226:227], v[226:227]
	v_fma_f64 v[228:229], s[52:53], v[226:227], v[6:7]
	v_fmac_f64_e32 v[228:229], s[54:55], v[226:227]
	v_mov_b64_e32 v[230:231], v[162:163]
	v_fmac_f64_e32 v[230:231], s[56:57], v[228:229]
	v_mov_b64_e32 v[240:241], v[164:165]
	;; [unrolled: 2-line block ×9, first 2 shown]
	v_fmac_f64_e32 v[230:231], v[228:229], v[240:241]
	v_fma_f64 v[230:231], v[228:229], v[230:231], 1.0
	v_fma_f64 v[228:229], v[228:229], v[230:231], 1.0
	v_cvt_i32_f64_e32 v9, v[226:227]
	v_ldexp_f64 v[226:227], v[228:229], v9
	v_cmp_nlt_f64_e32 vcc, s[58:59], v[6:7]
	v_cmp_ngt_f64_e64 s[40:41], s[60:61], v[6:7]
	s_mov_b32 s66, s52
	v_cndmask_b32_e32 v9, v59, v227, vcc
	s_and_b64 vcc, s[40:41], vcc
	v_cndmask_b32_e64 v7, 0, v9, s[40:41]
	v_cndmask_b32_e32 v6, 0, v226, vcc
	v_add_f64 v[226:227], v[6:7], 1.0
	v_add_f64 v[228:229], v[226:227], -1.0
	v_add_f64 v[230:231], v[228:229], -v[226:227]
	v_add_f64 v[230:231], v[230:231], 1.0
	v_add_f64 v[228:229], v[6:7], -v[228:229]
	v_add_f64 v[228:229], v[228:229], v[230:231]
	v_frexp_mant_f64_e32 v[230:231], v[226:227]
	v_frexp_exp_i32_f64_e32 v9, v[226:227]
	v_cmp_gt_f64_e32 vcc, s[62:63], v[230:231]
	s_mov_b32 s68, s54
	s_nop 0
	v_subbrev_co_u32_e32 v9, vcc, 0, v9, vcc
	v_sub_u32_e32 v230, 0, v9
	v_ldexp_f64 v[226:227], v[226:227], v230
	v_ldexp_f64 v[228:229], v[228:229], v230
	v_add_f64 v[230:231], v[226:227], -1.0
	v_add_f64 v[244:245], v[226:227], 1.0
	v_add_f64 v[240:241], v[230:231], 1.0
	v_add_f64 v[246:247], v[244:245], -1.0
	v_add_f64 v[240:241], v[226:227], -v[240:241]
	v_add_f64 v[226:227], v[226:227], -v[246:247]
	v_add_f64 v[226:227], v[228:229], v[226:227]
	v_add_f64 v[240:241], v[228:229], v[240:241]
	;; [unrolled: 1-line block ×3, first 2 shown]
	v_rcp_f64_e32 v[246:247], v[228:229]
	v_add_f64 v[242:243], v[230:231], v[240:241]
	v_add_f64 v[230:231], v[242:243], -v[230:231]
	v_add_f64 v[230:231], v[240:241], -v[230:231]
	;; [unrolled: 1-line block ×4, first 2 shown]
	v_fma_f64 v[240:241], -v[228:229], v[246:247], 1.0
	v_fmac_f64_e32 v[246:247], v[240:241], v[246:247]
	v_fma_f64 v[240:241], -v[228:229], v[246:247], 1.0
	v_fmac_f64_e32 v[246:247], v[240:241], v[246:247]
	v_mul_f64 v[240:241], v[242:243], v[246:247]
	v_mul_f64 v[244:245], v[228:229], v[240:241]
	v_fma_f64 v[62:63], v[240:241], v[228:229], -v[244:245]
	v_fmac_f64_e32 v[62:63], v[240:241], v[226:227]
	v_add_f64 v[72:73], v[244:245], v[62:63]
	v_add_f64 v[74:75], v[242:243], -v[72:73]
	v_add_f64 v[242:243], v[242:243], -v[74:75]
	;; [unrolled: 1-line block ×4, first 2 shown]
	v_add_f64 v[230:231], v[230:231], v[242:243]
	v_add_f64 v[242:243], v[244:245], -v[62:63]
	v_add_f64 v[230:231], v[242:243], v[230:231]
	v_add_f64 v[242:243], v[74:75], v[230:231]
	v_add_f64 v[244:245], v[74:75], -v[242:243]
	v_add_f64 v[230:231], v[230:231], v[244:245]
	v_mul_f64 v[244:245], v[246:247], v[242:243]
	v_mul_f64 v[62:63], v[228:229], v[244:245]
	v_fma_f64 v[228:229], v[244:245], v[228:229], -v[62:63]
	v_fmac_f64_e32 v[228:229], v[244:245], v[226:227]
	v_add_f64 v[226:227], v[62:63], v[228:229]
	v_add_f64 v[72:73], v[242:243], -v[226:227]
	v_add_f64 v[242:243], v[242:243], -v[72:73]
	;; [unrolled: 1-line block ×4, first 2 shown]
	v_add_f64 v[226:227], v[230:231], v[226:227]
	v_add_f64 v[228:229], v[62:63], -v[228:229]
	v_add_f64 v[226:227], v[228:229], v[226:227]
	v_add_f64 v[228:229], v[240:241], v[244:245]
	v_add_f64 v[226:227], v[72:73], v[226:227]
	v_add_f64 v[230:231], v[228:229], -v[240:241]
	v_mul_f64 v[226:227], v[246:247], v[226:227]
	v_add_f64 v[230:231], v[244:245], -v[230:231]
	v_add_f64 v[226:227], v[230:231], v[226:227]
	v_add_f64 v[230:231], v[228:229], v[226:227]
	v_add_f64 v[228:229], v[230:231], -v[228:229]
	v_add_f64 v[226:227], v[226:227], -v[228:229]
	v_mul_f64 v[228:229], v[230:231], v[230:231]
	v_mov_b64_e32 v[240:241], v[196:197]
	v_fmac_f64_e32 v[240:241], s[64:65], v[228:229]
	v_mov_b64_e32 v[242:243], v[198:199]
	v_fmac_f64_e32 v[242:243], v[228:229], v[240:241]
	;; [unrolled: 2-line block ×6, first 2 shown]
	v_cvt_f64_i32_e32 v[240:241], v9
	v_mul_f64 v[244:245], v[240:241], s[66:67]
	v_fma_f64 v[246:247], v[240:241], s[66:67], -v[244:245]
	v_fmac_f64_e32 v[246:247], s[68:69], v[240:241]
	v_add_f64 v[240:241], v[244:245], v[246:247]
	v_add_f64 v[244:245], v[240:241], -v[244:245]
	v_mul_f64 v[228:229], v[230:231], v[228:229]
	v_add_f64 v[244:245], v[246:247], -v[244:245]
	v_ldexp_f64 v[246:247], v[230:231], 1
	v_mul_f64 v[228:229], v[228:229], v[242:243]
	v_add_f64 v[230:231], v[246:247], v[228:229]
	v_add_f64 v[242:243], v[230:231], -v[246:247]
	v_ldexp_f64 v[226:227], v[226:227], 1
	v_add_f64 v[228:229], v[228:229], -v[242:243]
	v_add_f64 v[226:227], v[226:227], v[228:229]
	v_add_f64 v[228:229], v[230:231], v[226:227]
	v_add_f64 v[230:231], v[228:229], -v[230:231]
	v_add_f64 v[226:227], v[226:227], -v[230:231]
	v_add_f64 v[230:231], v[240:241], v[228:229]
	v_add_f64 v[242:243], v[230:231], -v[240:241]
	v_add_f64 v[246:247], v[230:231], -v[242:243]
	;; [unrolled: 1-line block ×4, first 2 shown]
	v_add_f64 v[228:229], v[228:229], v[240:241]
	v_add_f64 v[240:241], v[244:245], v[226:227]
	v_add_f64 v[242:243], v[240:241], -v[244:245]
	v_add_f64 v[228:229], v[240:241], v[228:229]
	v_add_f64 v[246:247], v[240:241], -v[242:243]
	;; [unrolled: 2-line block ×3, first 2 shown]
	v_add_f64 v[226:227], v[226:227], -v[242:243]
	v_add_f64 v[230:231], v[240:241], -v[230:231]
	v_add_f64 v[226:227], v[226:227], v[244:245]
	v_add_f64 v[228:229], v[228:229], -v[230:231]
	v_add_f64 v[226:227], v[226:227], v[228:229]
	v_add_f64 v[226:227], v[240:241], v[226:227]
	v_cmp_eq_f64_e32 vcc, s[70:71], v[6:7]
	s_nop 1
	v_cndmask_b32_e32 v9, v226, v6, vcc
	v_cndmask_b32_e32 v226, v227, v7, vcc
	v_cmp_ngt_f64_e32 vcc, -1.0, v[6:7]
	s_nop 1
	v_cndmask_b32_e32 v227, v60, v226, vcc
	v_cmp_nge_f64_e32 vcc, -1.0, v[6:7]
	s_nop 1
	v_cndmask_b32_e32 v226, 0, v9, vcc
	v_cmp_neq_f64_e32 vcc, -1.0, v[6:7]
	s_nop 1
	v_cndmask_b32_e32 v227, v61, v227, vcc
	v_add_f64 v[6:7], v[224:225], v[226:227]
	s_branch .LBB30_165
.LBB30_216:
	s_and_saveexec_b64 s[40:41], s[38:39]
	s_cbranch_execz .LBB30_227
; %bb.217:
	v_max_f64 v[6:7], v[4:5], v[4:5]
	v_max_f64 v[148:149], v[160:161], v[160:161]
	v_min_f64 v[8:9], v[148:149], v[6:7]
	v_cmp_u_f64_e32 vcc, v[160:161], v[160:161]
	v_max_f64 v[6:7], v[148:149], v[6:7]
	v_cmp_u_f64_e64 s[38:39], v[4:5], v[4:5]
	v_cndmask_b32_e32 v8, v8, v160, vcc
	v_cndmask_b32_e32 v9, v9, v161, vcc
	v_cndmask_b32_e32 v6, v6, v160, vcc
	v_cndmask_b32_e32 v7, v7, v161, vcc
	v_cndmask_b32_e64 v9, v9, v5, s[38:39]
	v_cndmask_b32_e64 v8, v8, v4, s[38:39]
	;; [unrolled: 1-line block ×4, first 2 shown]
	s_movk_i32 s38, 0x1f8
	v_cmp_neq_f64_e32 vcc, v[8:9], v[6:7]
	v_cmp_class_f64_e64 s[38:39], v[8:9], s38
	s_or_b64 vcc, vcc, s[38:39]
	v_mov_b64_e32 v[4:5], v[160:161]
	s_and_saveexec_b64 s[42:43], vcc
	s_cbranch_execz .LBB30_219
; %bb.218:
	s_mov_b32 vcc_lo, 0x652b82fe
	v_add_f64 v[4:5], v[8:9], -v[6:7]
	s_mov_b32 vcc_hi, 0x3ff71547
	v_mul_f64 v[8:9], v[4:5], vcc
	v_rndne_f64_e32 v[8:9], v[8:9]
	s_mov_b32 s47, 0xbfe62e42
	s_mov_b32 s46, 0xfefa39ef
	v_fma_f64 v[148:149], s[46:47], v[8:9], v[4:5]
	s_mov_b32 s49, 0xbc7abc9e
	s_mov_b32 s48, 0x3b39803f
	s_mov_b32 vcc_lo, 0x6a5dcb37
	v_fmac_f64_e32 v[148:149], s[48:49], v[8:9]
	v_mov_b32_e32 v150, 0xfca7ab0c
	v_mov_b32_e32 v151, 0x3e928af3
	s_mov_b32 vcc_hi, 0x3e5ade15
	v_fmac_f64_e32 v[150:151], vcc, v[148:149]
	v_mov_b32_e32 v162, 0x623fde64
	v_mov_b32_e32 v163, 0x3ec71dee
	v_fmac_f64_e32 v[162:163], v[148:149], v[150:151]
	v_mov_b32_e32 v150, 0x7c89e6b0
	v_mov_b32_e32 v151, 0x3efa0199
	v_fmac_f64_e32 v[150:151], v[148:149], v[162:163]
	;; [unrolled: 3-line block ×8, first 2 shown]
	v_fma_f64 v[150:151], v[148:149], v[150:151], 1.0
	s_mov_b32 vcc_lo, 0
	s_mov_b32 s38, 0
	v_fma_f64 v[148:149], v[148:149], v[150:151], 1.0
	v_cvt_i32_f64_e32 v8, v[8:9]
	s_mov_b32 vcc_hi, 0x40900000
	s_mov_b32 s39, 0xc090cc00
	v_ldexp_f64 v[8:9], v[148:149], v8
	v_mov_b32_e32 v53, 0x7ff00000
	v_cmp_nlt_f64_e32 vcc, vcc, v[4:5]
	v_cmp_ngt_f64_e64 s[38:39], s[38:39], v[4:5]
	s_mov_b32 s47, 0x3fe62e42
	v_cndmask_b32_e32 v9, v53, v9, vcc
	s_and_b64 vcc, s[38:39], vcc
	v_cndmask_b32_e64 v5, 0, v9, s[38:39]
	v_cndmask_b32_e32 v4, 0, v8, vcc
	v_add_f64 v[8:9], v[4:5], 1.0
	v_add_f64 v[148:149], v[8:9], -1.0
	v_add_f64 v[150:151], v[148:149], -v[8:9]
	v_add_f64 v[150:151], v[150:151], 1.0
	v_add_f64 v[148:149], v[4:5], -v[148:149]
	s_mov_b32 vcc_lo, 0x55555555
	v_add_f64 v[148:149], v[148:149], v[150:151]
	v_frexp_mant_f64_e32 v[150:151], v[8:9]
	s_mov_b32 vcc_hi, 0x3fe55555
	v_frexp_exp_i32_f64_e32 v53, v[8:9]
	v_cmp_gt_f64_e32 vcc, vcc, v[150:151]
	s_mov_b32 s49, 0x3c7abc9e
	s_nop 0
	v_subbrev_co_u32_e32 v53, vcc, 0, v53, vcc
	v_sub_u32_e32 v71, 0, v53
	v_ldexp_f64 v[8:9], v[8:9], v71
	v_add_f64 v[150:151], v[8:9], -1.0
	v_add_f64 v[166:167], v[8:9], 1.0
	v_add_f64 v[162:163], v[150:151], 1.0
	v_add_f64 v[176:177], v[166:167], -1.0
	v_ldexp_f64 v[148:149], v[148:149], v71
	v_add_f64 v[162:163], v[8:9], -v[162:163]
	v_add_f64 v[8:9], v[8:9], -v[176:177]
	v_add_f64 v[8:9], v[148:149], v[8:9]
	v_add_f64 v[162:163], v[148:149], v[162:163]
	;; [unrolled: 1-line block ×3, first 2 shown]
	v_rcp_f64_e32 v[176:177], v[148:149]
	v_add_f64 v[164:165], v[150:151], v[162:163]
	v_add_f64 v[150:151], v[164:165], -v[150:151]
	v_add_f64 v[150:151], v[162:163], -v[150:151]
	;; [unrolled: 1-line block ×4, first 2 shown]
	v_fma_f64 v[162:163], -v[148:149], v[176:177], 1.0
	v_fmac_f64_e32 v[176:177], v[162:163], v[176:177]
	v_fma_f64 v[162:163], -v[148:149], v[176:177], 1.0
	v_fmac_f64_e32 v[176:177], v[162:163], v[176:177]
	v_mul_f64 v[162:163], v[164:165], v[176:177]
	v_mul_f64 v[166:167], v[148:149], v[162:163]
	v_fma_f64 v[178:179], v[162:163], v[148:149], -v[166:167]
	v_fmac_f64_e32 v[178:179], v[162:163], v[8:9]
	v_add_f64 v[180:181], v[166:167], v[178:179]
	v_add_f64 v[182:183], v[164:165], -v[180:181]
	v_add_f64 v[164:165], v[164:165], -v[182:183]
	v_add_f64 v[166:167], v[180:181], -v[166:167]
	v_add_f64 v[164:165], v[164:165], -v[180:181]
	v_add_f64 v[150:151], v[150:151], v[164:165]
	v_add_f64 v[164:165], v[166:167], -v[178:179]
	v_add_f64 v[150:151], v[164:165], v[150:151]
	v_add_f64 v[164:165], v[182:183], v[150:151]
	v_add_f64 v[166:167], v[182:183], -v[164:165]
	v_add_f64 v[150:151], v[150:151], v[166:167]
	v_mul_f64 v[166:167], v[176:177], v[164:165]
	v_mul_f64 v[178:179], v[148:149], v[166:167]
	v_fma_f64 v[148:149], v[166:167], v[148:149], -v[178:179]
	v_fmac_f64_e32 v[148:149], v[166:167], v[8:9]
	v_add_f64 v[8:9], v[178:179], v[148:149]
	v_add_f64 v[180:181], v[164:165], -v[8:9]
	v_add_f64 v[164:165], v[164:165], -v[180:181]
	;; [unrolled: 1-line block ×4, first 2 shown]
	v_add_f64 v[8:9], v[150:151], v[8:9]
	v_add_f64 v[148:149], v[178:179], -v[148:149]
	v_add_f64 v[8:9], v[148:149], v[8:9]
	v_add_f64 v[148:149], v[162:163], v[166:167]
	;; [unrolled: 1-line block ×3, first 2 shown]
	v_add_f64 v[150:151], v[148:149], -v[162:163]
	v_mul_f64 v[8:9], v[176:177], v[8:9]
	v_add_f64 v[150:151], v[166:167], -v[150:151]
	v_add_f64 v[8:9], v[150:151], v[8:9]
	v_add_f64 v[150:151], v[148:149], v[8:9]
	v_add_f64 v[148:149], v[150:151], -v[148:149]
	s_mov_b32 vcc_lo, 0xbf559e2b
	v_add_f64 v[8:9], v[8:9], -v[148:149]
	v_mul_f64 v[148:149], v[150:151], v[150:151]
	v_mov_b32_e32 v162, 0x6b47b09a
	v_mov_b32_e32 v163, 0x3fc38538
	s_mov_b32 vcc_hi, 0x3fc3ab76
	v_fmac_f64_e32 v[162:163], vcc, v[148:149]
	v_mov_b32_e32 v164, 0xd7f4df2e
	v_mov_b32_e32 v165, 0x3fc7474d
	v_fmac_f64_e32 v[164:165], v[148:149], v[162:163]
	v_mov_b32_e32 v162, 0x16291751
	v_mov_b32_e32 v163, 0x3fcc71c0
	v_fmac_f64_e32 v[162:163], v[148:149], v[164:165]
	;; [unrolled: 3-line block ×5, first 2 shown]
	v_cvt_f64_i32_e32 v[162:163], v53
	v_mul_f64 v[166:167], v[162:163], s[46:47]
	v_fma_f64 v[176:177], v[162:163], s[46:47], -v[166:167]
	v_fmac_f64_e32 v[176:177], s[48:49], v[162:163]
	v_add_f64 v[162:163], v[166:167], v[176:177]
	v_add_f64 v[166:167], v[162:163], -v[166:167]
	v_mul_f64 v[148:149], v[150:151], v[148:149]
	v_add_f64 v[166:167], v[176:177], -v[166:167]
	v_ldexp_f64 v[176:177], v[150:151], 1
	v_mul_f64 v[148:149], v[148:149], v[164:165]
	v_add_f64 v[150:151], v[176:177], v[148:149]
	v_add_f64 v[164:165], v[150:151], -v[176:177]
	v_ldexp_f64 v[8:9], v[8:9], 1
	v_add_f64 v[148:149], v[148:149], -v[164:165]
	v_add_f64 v[8:9], v[8:9], v[148:149]
	v_add_f64 v[148:149], v[150:151], v[8:9]
	v_add_f64 v[150:151], v[148:149], -v[150:151]
	v_add_f64 v[8:9], v[8:9], -v[150:151]
	v_add_f64 v[150:151], v[162:163], v[148:149]
	v_add_f64 v[164:165], v[150:151], -v[162:163]
	v_add_f64 v[176:177], v[150:151], -v[164:165]
	;; [unrolled: 1-line block ×4, first 2 shown]
	v_add_f64 v[148:149], v[148:149], v[162:163]
	v_add_f64 v[162:163], v[166:167], v[8:9]
	v_add_f64 v[164:165], v[162:163], -v[166:167]
	v_add_f64 v[148:149], v[162:163], v[148:149]
	v_add_f64 v[176:177], v[162:163], -v[164:165]
	;; [unrolled: 2-line block ×3, first 2 shown]
	v_add_f64 v[8:9], v[8:9], -v[164:165]
	v_add_f64 v[150:151], v[162:163], -v[150:151]
	v_add_f64 v[8:9], v[8:9], v[166:167]
	v_add_f64 v[148:149], v[148:149], -v[150:151]
	s_mov_b32 vcc_lo, 0
	v_add_f64 v[8:9], v[8:9], v[148:149]
	s_mov_b32 vcc_hi, 0x7ff00000
	v_add_f64 v[8:9], v[162:163], v[8:9]
	v_cmp_eq_f64_e32 vcc, vcc, v[4:5]
	v_mov_b32_e32 v53, 0x7ff80000
	s_nop 0
	v_cndmask_b32_e32 v8, v8, v4, vcc
	v_cndmask_b32_e32 v9, v9, v5, vcc
	v_cmp_ngt_f64_e32 vcc, -1.0, v[4:5]
	s_nop 1
	v_cndmask_b32_e32 v9, v53, v9, vcc
	v_cmp_nge_f64_e32 vcc, -1.0, v[4:5]
	v_mov_b32_e32 v53, 0xfff00000
	s_nop 0
	v_cndmask_b32_e32 v8, 0, v8, vcc
	v_cmp_neq_f64_e32 vcc, -1.0, v[4:5]
	s_nop 1
	v_cndmask_b32_e32 v9, v53, v9, vcc
	v_add_f64 v[4:5], v[6:7], v[8:9]
.LBB30_219:
	s_or_b64 exec, exec, s[42:43]
	v_mov_b32_e32 v147, 0
	v_lshl_add_u64 v[8:9], v[146:147], 4, v[116:117]
	s_mov_b64 vcc, src_shared_base
	v_cmp_ne_u32_e32 vcc, vcc_hi, v9
	s_and_saveexec_b64 s[38:39], vcc
	s_xor_b64 s[38:39], exec, s[38:39]
	s_cbranch_execz .LBB30_225
; %bb.220:
	s_mov_b64 vcc, src_private_base
	v_cmp_ne_u32_e32 vcc, vcc_hi, v9
	s_and_saveexec_b64 s[42:43], vcc
	s_xor_b64 vcc, exec, s[42:43]
	s_cbranch_execz .LBB30_222
; %bb.221:
	v_mov_b32_e32 v7, 0
	v_mov_b32_e32 v6, 2
	;;#ASMSTART
	global_store_dwordx4 v[8:9], v[4:7] off sc1	
s_waitcnt vmcnt(0)
	;;#ASMEND
                                        ; implicit-def: $vgpr4_vgpr5
                                        ; implicit-def: $vgpr8_vgpr9
.LBB30_222:
	s_andn2_saveexec_b64 vcc, vcc
	s_cbranch_execz .LBB30_224
; %bb.223:
	v_mov_b32_e32 v7, 0
	v_mov_b32_e32 v6, 2
	;;#ASMSTART
	flat_store_dwordx4 v[8:9], v[4:7] sc1	
s_waitcnt vmcnt(0)
	;;#ASMEND
.LBB30_224:
	s_or_b64 exec, exec, vcc
                                        ; implicit-def: $vgpr8_vgpr9
                                        ; implicit-def: $vgpr4_vgpr5
.LBB30_225:
	s_andn2_saveexec_b64 vcc, s[38:39]
	s_cbranch_execz .LBB30_227
; %bb.226:
	v_cmp_ne_u64_e32 vcc, 0, v[8:9]
	v_mov_b32_e32 v7, 0
	v_mov_b32_e32 v6, 2
	v_cndmask_b32_e32 v8, -1, v8, vcc
	;;#ASMSTART
	ds_write_b128 v8, v[4:7] 	
s_waitcnt lgkmcnt(0)
	;;#ASMEND
.LBB30_227:
	s_or_b64 exec, exec, s[40:41]
	s_and_b64 exec, exec, s[4:5]
	s_cbranch_execz .LBB30_229
; %bb.228:
	v_mov_b32_e32 v4, 0
	ds_write_b64 v4, v[160:161]
.LBB30_229:
	s_or_b64 exec, exec, s[44:45]
	v_mov_b32_e32 v4, 0
	s_waitcnt lgkmcnt(0)
	s_barrier
	ds_read_b64 v[4:5], v4
	v_mov_b64_e32 v[6:7], v[0:1]
	s_and_saveexec_b64 s[38:39], s[2:3]
	s_cbranch_execz .LBB30_233
; %bb.230:
	v_max_f64 v[6:7], v[144:145], v[144:145]
	v_min_f64 v[8:9], v[6:7], v[134:135]
	v_cmp_u_f64_e32 vcc, v[144:145], v[144:145]
	v_max_f64 v[6:7], v[6:7], v[134:135]
	s_nop 0
	v_cndmask_b32_e32 v8, v8, v144, vcc
	v_cndmask_b32_e32 v9, v9, v145, vcc
	;; [unrolled: 1-line block ×4, first 2 shown]
	v_cndmask_b32_e64 v9, v9, v1, s[36:37]
	v_cndmask_b32_e64 v8, v8, v0, s[36:37]
	;; [unrolled: 1-line block ×4, first 2 shown]
	s_movk_i32 s36, 0x1f8
	v_cmp_neq_f64_e32 vcc, v[8:9], v[6:7]
	v_cmp_class_f64_e64 s[36:37], v[8:9], s36
	s_or_b64 vcc, vcc, s[36:37]
	s_and_saveexec_b64 s[40:41], vcc
	s_cbranch_execz .LBB30_232
; %bb.231:
	s_mov_b32 vcc_lo, 0x652b82fe
	v_add_f64 v[8:9], v[8:9], -v[6:7]
	s_mov_b32 vcc_hi, 0x3ff71547
	v_mul_f64 v[134:135], v[8:9], vcc
	v_rndne_f64_e32 v[134:135], v[134:135]
	s_mov_b32 s43, 0xbfe62e42
	s_mov_b32 s42, 0xfefa39ef
	v_fma_f64 v[144:145], s[42:43], v[134:135], v[8:9]
	s_mov_b32 s45, 0xbc7abc9e
	s_mov_b32 s44, 0x3b39803f
	s_mov_b32 vcc_lo, 0x6a5dcb37
	v_fmac_f64_e32 v[144:145], s[44:45], v[134:135]
	v_mov_b32_e32 v146, 0xfca7ab0c
	v_mov_b32_e32 v147, 0x3e928af3
	s_mov_b32 vcc_hi, 0x3e5ade15
	v_fmac_f64_e32 v[146:147], vcc, v[144:145]
	v_mov_b32_e32 v148, 0x623fde64
	v_mov_b32_e32 v149, 0x3ec71dee
	v_fmac_f64_e32 v[148:149], v[144:145], v[146:147]
	v_mov_b32_e32 v146, 0x7c89e6b0
	v_mov_b32_e32 v147, 0x3efa0199
	v_fmac_f64_e32 v[146:147], v[144:145], v[148:149]
	;; [unrolled: 3-line block ×8, first 2 shown]
	v_fma_f64 v[146:147], v[144:145], v[146:147], 1.0
	s_mov_b32 vcc_lo, 0
	s_mov_b32 s36, 0
	v_fma_f64 v[144:145], v[144:145], v[146:147], 1.0
	v_cvt_i32_f64_e32 v53, v[134:135]
	s_mov_b32 vcc_hi, 0x40900000
	s_mov_b32 s37, 0xc090cc00
	v_ldexp_f64 v[134:135], v[144:145], v53
	v_mov_b32_e32 v53, 0x7ff00000
	v_cmp_nlt_f64_e32 vcc, vcc, v[8:9]
	v_cmp_ngt_f64_e64 s[36:37], s[36:37], v[8:9]
	s_mov_b32 s43, 0x3fe62e42
	v_cndmask_b32_e32 v53, v53, v135, vcc
	s_and_b64 vcc, s[36:37], vcc
	v_cndmask_b32_e64 v9, 0, v53, s[36:37]
	v_cndmask_b32_e32 v8, 0, v134, vcc
	v_add_f64 v[134:135], v[8:9], 1.0
	v_add_f64 v[144:145], v[134:135], -1.0
	v_add_f64 v[146:147], v[144:145], -v[134:135]
	v_add_f64 v[146:147], v[146:147], 1.0
	v_add_f64 v[144:145], v[8:9], -v[144:145]
	s_mov_b32 vcc_lo, 0x55555555
	v_add_f64 v[144:145], v[144:145], v[146:147]
	v_frexp_mant_f64_e32 v[146:147], v[134:135]
	s_mov_b32 vcc_hi, 0x3fe55555
	v_frexp_exp_i32_f64_e32 v53, v[134:135]
	v_cmp_gt_f64_e32 vcc, vcc, v[146:147]
	s_mov_b32 s45, 0x3c7abc9e
	s_nop 0
	v_subbrev_co_u32_e32 v53, vcc, 0, v53, vcc
	v_sub_u32_e32 v71, 0, v53
	v_ldexp_f64 v[134:135], v[134:135], v71
	v_add_f64 v[146:147], v[134:135], -1.0
	v_add_f64 v[160:161], v[134:135], 1.0
	v_add_f64 v[148:149], v[146:147], 1.0
	v_add_f64 v[162:163], v[160:161], -1.0
	v_ldexp_f64 v[144:145], v[144:145], v71
	v_add_f64 v[148:149], v[134:135], -v[148:149]
	v_add_f64 v[134:135], v[134:135], -v[162:163]
	v_add_f64 v[134:135], v[144:145], v[134:135]
	v_add_f64 v[148:149], v[144:145], v[148:149]
	;; [unrolled: 1-line block ×3, first 2 shown]
	v_rcp_f64_e32 v[162:163], v[144:145]
	v_add_f64 v[150:151], v[146:147], v[148:149]
	v_add_f64 v[146:147], v[150:151], -v[146:147]
	v_add_f64 v[146:147], v[148:149], -v[146:147]
	;; [unrolled: 1-line block ×4, first 2 shown]
	v_fma_f64 v[148:149], -v[144:145], v[162:163], 1.0
	v_fmac_f64_e32 v[162:163], v[148:149], v[162:163]
	v_fma_f64 v[148:149], -v[144:145], v[162:163], 1.0
	v_fmac_f64_e32 v[162:163], v[148:149], v[162:163]
	v_mul_f64 v[148:149], v[150:151], v[162:163]
	v_mul_f64 v[160:161], v[144:145], v[148:149]
	v_fma_f64 v[164:165], v[148:149], v[144:145], -v[160:161]
	v_fmac_f64_e32 v[164:165], v[148:149], v[134:135]
	v_add_f64 v[166:167], v[160:161], v[164:165]
	v_add_f64 v[176:177], v[150:151], -v[166:167]
	v_add_f64 v[150:151], v[150:151], -v[176:177]
	;; [unrolled: 1-line block ×4, first 2 shown]
	v_add_f64 v[146:147], v[146:147], v[150:151]
	v_add_f64 v[150:151], v[160:161], -v[164:165]
	v_add_f64 v[146:147], v[150:151], v[146:147]
	v_add_f64 v[150:151], v[176:177], v[146:147]
	v_add_f64 v[160:161], v[176:177], -v[150:151]
	v_add_f64 v[146:147], v[146:147], v[160:161]
	v_mul_f64 v[160:161], v[162:163], v[150:151]
	v_mul_f64 v[164:165], v[144:145], v[160:161]
	v_fma_f64 v[144:145], v[160:161], v[144:145], -v[164:165]
	v_fmac_f64_e32 v[144:145], v[160:161], v[134:135]
	v_add_f64 v[134:135], v[164:165], v[144:145]
	v_add_f64 v[166:167], v[150:151], -v[134:135]
	v_add_f64 v[150:151], v[150:151], -v[166:167]
	;; [unrolled: 1-line block ×4, first 2 shown]
	v_add_f64 v[134:135], v[146:147], v[134:135]
	v_add_f64 v[144:145], v[164:165], -v[144:145]
	v_add_f64 v[134:135], v[144:145], v[134:135]
	v_add_f64 v[144:145], v[148:149], v[160:161]
	;; [unrolled: 1-line block ×3, first 2 shown]
	v_add_f64 v[146:147], v[144:145], -v[148:149]
	v_mul_f64 v[134:135], v[162:163], v[134:135]
	v_add_f64 v[146:147], v[160:161], -v[146:147]
	v_add_f64 v[134:135], v[146:147], v[134:135]
	v_add_f64 v[146:147], v[144:145], v[134:135]
	v_add_f64 v[144:145], v[146:147], -v[144:145]
	s_mov_b32 vcc_lo, 0xbf559e2b
	v_add_f64 v[134:135], v[134:135], -v[144:145]
	v_mul_f64 v[144:145], v[146:147], v[146:147]
	v_mov_b32_e32 v148, 0x6b47b09a
	v_mov_b32_e32 v149, 0x3fc38538
	s_mov_b32 vcc_hi, 0x3fc3ab76
	v_fmac_f64_e32 v[148:149], vcc, v[144:145]
	v_mov_b32_e32 v150, 0xd7f4df2e
	v_mov_b32_e32 v151, 0x3fc7474d
	v_fmac_f64_e32 v[150:151], v[144:145], v[148:149]
	v_mov_b32_e32 v148, 0x16291751
	v_mov_b32_e32 v149, 0x3fcc71c0
	v_fmac_f64_e32 v[148:149], v[144:145], v[150:151]
	;; [unrolled: 3-line block ×5, first 2 shown]
	v_cvt_f64_i32_e32 v[148:149], v53
	v_mul_f64 v[160:161], v[148:149], s[42:43]
	v_fma_f64 v[162:163], v[148:149], s[42:43], -v[160:161]
	v_fmac_f64_e32 v[162:163], s[44:45], v[148:149]
	v_add_f64 v[148:149], v[160:161], v[162:163]
	v_add_f64 v[160:161], v[148:149], -v[160:161]
	v_mul_f64 v[144:145], v[146:147], v[144:145]
	v_add_f64 v[160:161], v[162:163], -v[160:161]
	v_ldexp_f64 v[162:163], v[146:147], 1
	v_mul_f64 v[144:145], v[144:145], v[150:151]
	v_add_f64 v[146:147], v[162:163], v[144:145]
	v_add_f64 v[150:151], v[146:147], -v[162:163]
	v_ldexp_f64 v[134:135], v[134:135], 1
	v_add_f64 v[144:145], v[144:145], -v[150:151]
	v_add_f64 v[134:135], v[134:135], v[144:145]
	v_add_f64 v[144:145], v[146:147], v[134:135]
	v_add_f64 v[146:147], v[144:145], -v[146:147]
	v_add_f64 v[134:135], v[134:135], -v[146:147]
	v_add_f64 v[146:147], v[148:149], v[144:145]
	v_add_f64 v[150:151], v[146:147], -v[148:149]
	v_add_f64 v[162:163], v[146:147], -v[150:151]
	;; [unrolled: 1-line block ×4, first 2 shown]
	v_add_f64 v[144:145], v[144:145], v[148:149]
	v_add_f64 v[148:149], v[160:161], v[134:135]
	v_add_f64 v[150:151], v[148:149], -v[160:161]
	v_add_f64 v[144:145], v[148:149], v[144:145]
	v_add_f64 v[162:163], v[148:149], -v[150:151]
	;; [unrolled: 2-line block ×3, first 2 shown]
	v_add_f64 v[134:135], v[134:135], -v[150:151]
	v_add_f64 v[146:147], v[148:149], -v[146:147]
	v_add_f64 v[134:135], v[134:135], v[160:161]
	v_add_f64 v[144:145], v[144:145], -v[146:147]
	s_mov_b32 vcc_lo, 0
	v_add_f64 v[134:135], v[134:135], v[144:145]
	s_mov_b32 vcc_hi, 0x7ff00000
	v_add_f64 v[134:135], v[148:149], v[134:135]
	v_cmp_eq_f64_e32 vcc, vcc, v[8:9]
	s_nop 1
	v_cndmask_b32_e32 v53, v134, v8, vcc
	v_cndmask_b32_e32 v71, v135, v9, vcc
	v_mov_b32_e32 v134, 0x7ff80000
	v_cmp_ngt_f64_e32 vcc, -1.0, v[8:9]
	s_nop 1
	v_cndmask_b32_e32 v71, v134, v71, vcc
	v_cmp_nge_f64_e32 vcc, -1.0, v[8:9]
	s_nop 1
	v_cndmask_b32_e32 v134, 0, v53, vcc
	v_mov_b32_e32 v53, 0xfff00000
	v_cmp_neq_f64_e32 vcc, -1.0, v[8:9]
	s_nop 1
	v_cndmask_b32_e32 v135, v53, v71, vcc
	v_add_f64 v[144:145], v[6:7], v[134:135]
.LBB30_232:
	s_or_b64 exec, exec, s[40:41]
	v_mov_b64_e32 v[6:7], v[144:145]
.LBB30_233:
	s_or_b64 exec, exec, s[38:39]
	v_max_f64 v[134:135], v[6:7], v[6:7]
	s_waitcnt lgkmcnt(0)
	v_max_f64 v[144:145], v[4:5], v[4:5]
	v_min_f64 v[8:9], v[144:145], v[134:135]
	v_cmp_u_f64_e32 vcc, v[4:5], v[4:5]
	v_max_f64 v[134:135], v[144:145], v[134:135]
	v_cmp_u_f64_e64 s[36:37], v[6:7], v[6:7]
	v_cndmask_b32_e32 v8, v8, v4, vcc
	v_cndmask_b32_e32 v9, v9, v5, vcc
	;; [unrolled: 1-line block ×4, first 2 shown]
	v_cndmask_b32_e64 v9, v9, v7, s[36:37]
	v_cndmask_b32_e64 v8, v8, v6, s[36:37]
	;; [unrolled: 1-line block ×4, first 2 shown]
	s_movk_i32 s44, 0x1f8
	v_cmp_neq_f64_e32 vcc, v[8:9], v[6:7]
	v_cmp_class_f64_e64 s[36:37], v[8:9], s44
	s_or_b64 vcc, vcc, s[36:37]
	s_and_saveexec_b64 s[38:39], vcc
	s_cbranch_execz .LBB30_235
; %bb.234:
	s_mov_b32 vcc_lo, 0x652b82fe
	v_add_f64 v[4:5], v[8:9], -v[6:7]
	s_mov_b32 vcc_hi, 0x3ff71547
	v_mul_f64 v[8:9], v[4:5], vcc
	v_rndne_f64_e32 v[8:9], v[8:9]
	s_mov_b32 s41, 0xbfe62e42
	s_mov_b32 s40, 0xfefa39ef
	v_fma_f64 v[134:135], s[40:41], v[8:9], v[4:5]
	s_mov_b32 s43, 0xbc7abc9e
	s_mov_b32 s42, 0x3b39803f
	s_mov_b32 vcc_lo, 0x6a5dcb37
	v_fmac_f64_e32 v[134:135], s[42:43], v[8:9]
	v_mov_b32_e32 v144, 0xfca7ab0c
	v_mov_b32_e32 v145, 0x3e928af3
	s_mov_b32 vcc_hi, 0x3e5ade15
	v_fmac_f64_e32 v[144:145], vcc, v[134:135]
	v_mov_b32_e32 v146, 0x623fde64
	v_mov_b32_e32 v147, 0x3ec71dee
	v_fmac_f64_e32 v[146:147], v[134:135], v[144:145]
	v_mov_b32_e32 v144, 0x7c89e6b0
	v_mov_b32_e32 v145, 0x3efa0199
	v_fmac_f64_e32 v[144:145], v[134:135], v[146:147]
	;; [unrolled: 3-line block ×8, first 2 shown]
	v_fma_f64 v[144:145], v[134:135], v[144:145], 1.0
	s_mov_b32 vcc_lo, 0
	s_mov_b32 s36, 0
	v_fma_f64 v[134:135], v[134:135], v[144:145], 1.0
	v_cvt_i32_f64_e32 v8, v[8:9]
	s_mov_b32 vcc_hi, 0x40900000
	s_mov_b32 s37, 0xc090cc00
	v_ldexp_f64 v[8:9], v[134:135], v8
	v_mov_b32_e32 v53, 0x7ff00000
	v_cmp_nlt_f64_e32 vcc, vcc, v[4:5]
	v_cmp_ngt_f64_e64 s[36:37], s[36:37], v[4:5]
	s_mov_b32 s41, 0x3fe62e42
	v_cndmask_b32_e32 v9, v53, v9, vcc
	s_and_b64 vcc, s[36:37], vcc
	v_cndmask_b32_e64 v5, 0, v9, s[36:37]
	v_cndmask_b32_e32 v4, 0, v8, vcc
	v_add_f64 v[8:9], v[4:5], 1.0
	v_add_f64 v[134:135], v[8:9], -1.0
	v_add_f64 v[144:145], v[134:135], -v[8:9]
	v_add_f64 v[144:145], v[144:145], 1.0
	v_add_f64 v[134:135], v[4:5], -v[134:135]
	s_mov_b32 vcc_lo, 0x55555555
	v_add_f64 v[134:135], v[134:135], v[144:145]
	v_frexp_mant_f64_e32 v[144:145], v[8:9]
	s_mov_b32 vcc_hi, 0x3fe55555
	v_frexp_exp_i32_f64_e32 v53, v[8:9]
	v_cmp_gt_f64_e32 vcc, vcc, v[144:145]
	s_mov_b32 s43, 0x3c7abc9e
	s_nop 0
	v_subbrev_co_u32_e32 v53, vcc, 0, v53, vcc
	v_sub_u32_e32 v71, 0, v53
	v_ldexp_f64 v[8:9], v[8:9], v71
	v_add_f64 v[144:145], v[8:9], -1.0
	v_add_f64 v[150:151], v[8:9], 1.0
	v_add_f64 v[146:147], v[144:145], 1.0
	v_add_f64 v[160:161], v[150:151], -1.0
	v_ldexp_f64 v[134:135], v[134:135], v71
	v_add_f64 v[146:147], v[8:9], -v[146:147]
	v_add_f64 v[8:9], v[8:9], -v[160:161]
	v_add_f64 v[8:9], v[134:135], v[8:9]
	v_add_f64 v[146:147], v[134:135], v[146:147]
	;; [unrolled: 1-line block ×3, first 2 shown]
	v_rcp_f64_e32 v[160:161], v[134:135]
	v_add_f64 v[148:149], v[144:145], v[146:147]
	v_add_f64 v[144:145], v[148:149], -v[144:145]
	v_add_f64 v[144:145], v[146:147], -v[144:145]
	;; [unrolled: 1-line block ×4, first 2 shown]
	v_fma_f64 v[146:147], -v[134:135], v[160:161], 1.0
	v_fmac_f64_e32 v[160:161], v[146:147], v[160:161]
	v_fma_f64 v[146:147], -v[134:135], v[160:161], 1.0
	v_fmac_f64_e32 v[160:161], v[146:147], v[160:161]
	v_mul_f64 v[146:147], v[148:149], v[160:161]
	v_mul_f64 v[150:151], v[134:135], v[146:147]
	v_fma_f64 v[162:163], v[146:147], v[134:135], -v[150:151]
	v_fmac_f64_e32 v[162:163], v[146:147], v[8:9]
	v_add_f64 v[164:165], v[150:151], v[162:163]
	v_add_f64 v[166:167], v[148:149], -v[164:165]
	v_add_f64 v[148:149], v[148:149], -v[166:167]
	v_add_f64 v[150:151], v[164:165], -v[150:151]
	v_add_f64 v[148:149], v[148:149], -v[164:165]
	v_add_f64 v[144:145], v[144:145], v[148:149]
	v_add_f64 v[148:149], v[150:151], -v[162:163]
	v_add_f64 v[144:145], v[148:149], v[144:145]
	v_add_f64 v[148:149], v[166:167], v[144:145]
	v_add_f64 v[150:151], v[166:167], -v[148:149]
	v_add_f64 v[144:145], v[144:145], v[150:151]
	v_mul_f64 v[150:151], v[160:161], v[148:149]
	v_mul_f64 v[162:163], v[134:135], v[150:151]
	v_fma_f64 v[134:135], v[150:151], v[134:135], -v[162:163]
	v_fmac_f64_e32 v[134:135], v[150:151], v[8:9]
	v_add_f64 v[8:9], v[162:163], v[134:135]
	v_add_f64 v[164:165], v[148:149], -v[8:9]
	v_add_f64 v[148:149], v[148:149], -v[164:165]
	;; [unrolled: 1-line block ×4, first 2 shown]
	v_add_f64 v[8:9], v[144:145], v[8:9]
	v_add_f64 v[134:135], v[162:163], -v[134:135]
	v_add_f64 v[8:9], v[134:135], v[8:9]
	v_add_f64 v[134:135], v[146:147], v[150:151]
	;; [unrolled: 1-line block ×3, first 2 shown]
	v_add_f64 v[144:145], v[134:135], -v[146:147]
	v_mul_f64 v[8:9], v[160:161], v[8:9]
	v_add_f64 v[144:145], v[150:151], -v[144:145]
	v_add_f64 v[8:9], v[144:145], v[8:9]
	v_add_f64 v[144:145], v[134:135], v[8:9]
	v_add_f64 v[134:135], v[144:145], -v[134:135]
	s_mov_b32 vcc_lo, 0xbf559e2b
	v_add_f64 v[8:9], v[8:9], -v[134:135]
	v_mul_f64 v[134:135], v[144:145], v[144:145]
	v_mov_b32_e32 v146, 0x6b47b09a
	v_mov_b32_e32 v147, 0x3fc38538
	s_mov_b32 vcc_hi, 0x3fc3ab76
	v_fmac_f64_e32 v[146:147], vcc, v[134:135]
	v_mov_b32_e32 v148, 0xd7f4df2e
	v_mov_b32_e32 v149, 0x3fc7474d
	v_fmac_f64_e32 v[148:149], v[134:135], v[146:147]
	v_mov_b32_e32 v146, 0x16291751
	v_mov_b32_e32 v147, 0x3fcc71c0
	v_fmac_f64_e32 v[146:147], v[134:135], v[148:149]
	;; [unrolled: 3-line block ×5, first 2 shown]
	v_cvt_f64_i32_e32 v[146:147], v53
	v_mul_f64 v[150:151], v[146:147], s[40:41]
	v_fma_f64 v[160:161], v[146:147], s[40:41], -v[150:151]
	v_fmac_f64_e32 v[160:161], s[42:43], v[146:147]
	v_add_f64 v[146:147], v[150:151], v[160:161]
	v_add_f64 v[150:151], v[146:147], -v[150:151]
	v_mul_f64 v[134:135], v[144:145], v[134:135]
	v_add_f64 v[150:151], v[160:161], -v[150:151]
	v_ldexp_f64 v[160:161], v[144:145], 1
	v_mul_f64 v[134:135], v[134:135], v[148:149]
	v_add_f64 v[144:145], v[160:161], v[134:135]
	v_add_f64 v[148:149], v[144:145], -v[160:161]
	v_ldexp_f64 v[8:9], v[8:9], 1
	v_add_f64 v[134:135], v[134:135], -v[148:149]
	v_add_f64 v[8:9], v[8:9], v[134:135]
	v_add_f64 v[134:135], v[144:145], v[8:9]
	v_add_f64 v[144:145], v[134:135], -v[144:145]
	v_add_f64 v[8:9], v[8:9], -v[144:145]
	v_add_f64 v[144:145], v[146:147], v[134:135]
	v_add_f64 v[148:149], v[144:145], -v[146:147]
	v_add_f64 v[160:161], v[144:145], -v[148:149]
	;; [unrolled: 1-line block ×4, first 2 shown]
	v_add_f64 v[134:135], v[134:135], v[146:147]
	v_add_f64 v[146:147], v[150:151], v[8:9]
	v_add_f64 v[148:149], v[146:147], -v[150:151]
	v_add_f64 v[134:135], v[146:147], v[134:135]
	v_add_f64 v[160:161], v[146:147], -v[148:149]
	;; [unrolled: 2-line block ×3, first 2 shown]
	v_add_f64 v[8:9], v[8:9], -v[148:149]
	v_add_f64 v[144:145], v[146:147], -v[144:145]
	v_add_f64 v[8:9], v[8:9], v[150:151]
	v_add_f64 v[134:135], v[134:135], -v[144:145]
	s_mov_b32 vcc_lo, 0
	v_add_f64 v[8:9], v[8:9], v[134:135]
	s_mov_b32 vcc_hi, 0x7ff00000
	v_add_f64 v[8:9], v[146:147], v[8:9]
	v_cmp_eq_f64_e32 vcc, vcc, v[4:5]
	v_mov_b32_e32 v53, 0x7ff80000
	s_nop 0
	v_cndmask_b32_e32 v8, v8, v4, vcc
	v_cndmask_b32_e32 v9, v9, v5, vcc
	v_cmp_ngt_f64_e32 vcc, -1.0, v[4:5]
	s_nop 1
	v_cndmask_b32_e32 v9, v53, v9, vcc
	v_cmp_nge_f64_e32 vcc, -1.0, v[4:5]
	v_mov_b32_e32 v53, 0xfff00000
	s_nop 0
	v_cndmask_b32_e32 v8, 0, v8, vcc
	v_cmp_neq_f64_e32 vcc, -1.0, v[4:5]
	s_nop 1
	v_cndmask_b32_e32 v9, v53, v9, vcc
	v_add_f64 v[4:5], v[6:7], v[8:9]
.LBB30_235:
	s_or_b64 exec, exec, s[38:39]
	v_max_f64 v[6:7], v[4:5], v[4:5]
	v_min_f64 v[8:9], v[6:7], v[132:133]
	v_cmp_u_f64_e32 vcc, v[4:5], v[4:5]
	v_max_f64 v[6:7], v[6:7], v[132:133]
	s_nop 0
	v_cndmask_b32_e32 v8, v8, v4, vcc
	v_cndmask_b32_e32 v9, v9, v5, vcc
	;; [unrolled: 1-line block ×4, first 2 shown]
	v_cndmask_b32_e64 v135, v9, v3, s[6:7]
	v_cndmask_b32_e64 v134, v8, v2, s[6:7]
	;; [unrolled: 1-line block ×4, first 2 shown]
	v_cmp_neq_f64_e32 vcc, v[134:135], v[8:9]
	v_cmp_class_f64_e64 s[6:7], v[134:135], s44
	s_or_b64 s[6:7], vcc, s[6:7]
	v_mov_b64_e32 v[6:7], v[4:5]
	s_and_saveexec_b64 s[36:37], s[6:7]
	s_cbranch_execz .LBB30_237
; %bb.236:
	s_mov_b32 s6, 0x652b82fe
	v_add_f64 v[6:7], v[134:135], -v[8:9]
	s_mov_b32 s7, 0x3ff71547
	v_mul_f64 v[134:135], v[6:7], s[6:7]
	v_rndne_f64_e32 v[134:135], v[134:135]
	s_mov_b32 s39, 0xbfe62e42
	s_mov_b32 s38, 0xfefa39ef
	v_fma_f64 v[144:145], s[38:39], v[134:135], v[6:7]
	s_mov_b32 s41, 0xbc7abc9e
	s_mov_b32 s40, 0x3b39803f
	;; [unrolled: 1-line block ×3, first 2 shown]
	v_fmac_f64_e32 v[144:145], s[40:41], v[134:135]
	v_mov_b32_e32 v146, 0xfca7ab0c
	v_mov_b32_e32 v147, 0x3e928af3
	s_mov_b32 s7, 0x3e5ade15
	v_fmac_f64_e32 v[146:147], s[6:7], v[144:145]
	v_mov_b32_e32 v148, 0x623fde64
	v_mov_b32_e32 v149, 0x3ec71dee
	v_fmac_f64_e32 v[148:149], v[144:145], v[146:147]
	v_mov_b32_e32 v146, 0x7c89e6b0
	v_mov_b32_e32 v147, 0x3efa0199
	;; [unrolled: 3-line block ×8, first 2 shown]
	s_mov_b32 s6, 0
	v_fmac_f64_e32 v[146:147], v[144:145], v[148:149]
	s_mov_b32 s7, 0x40900000
	v_fma_f64 v[146:147], v[144:145], v[146:147], 1.0
	v_cmp_nlt_f64_e32 vcc, s[6:7], v[6:7]
	s_mov_b32 s6, 0
	v_fma_f64 v[144:145], v[144:145], v[146:147], 1.0
	v_cvt_i32_f64_e32 v53, v[134:135]
	s_mov_b32 s7, 0xc090cc00
	v_ldexp_f64 v[134:135], v[144:145], v53
	v_mov_b32_e32 v53, 0x7ff00000
	v_cmp_ngt_f64_e64 s[6:7], s[6:7], v[6:7]
	v_cndmask_b32_e32 v53, v53, v135, vcc
	s_and_b64 vcc, s[6:7], vcc
	v_cndmask_b32_e64 v7, 0, v53, s[6:7]
	v_cndmask_b32_e32 v6, 0, v134, vcc
	v_add_f64 v[134:135], v[6:7], 1.0
	v_add_f64 v[144:145], v[134:135], -1.0
	v_add_f64 v[146:147], v[144:145], -v[134:135]
	v_add_f64 v[146:147], v[146:147], 1.0
	v_add_f64 v[144:145], v[6:7], -v[144:145]
	s_mov_b32 s6, 0x55555555
	v_add_f64 v[144:145], v[144:145], v[146:147]
	v_frexp_mant_f64_e32 v[146:147], v[134:135]
	s_mov_b32 s7, 0x3fe55555
	v_frexp_exp_i32_f64_e32 v53, v[134:135]
	v_cmp_gt_f64_e32 vcc, s[6:7], v[146:147]
	s_mov_b32 s6, 0xbf559e2b
	s_mov_b32 s7, 0x3fc3ab76
	v_subbrev_co_u32_e32 v53, vcc, 0, v53, vcc
	v_sub_u32_e32 v71, 0, v53
	v_ldexp_f64 v[134:135], v[134:135], v71
	v_add_f64 v[146:147], v[134:135], -1.0
	v_add_f64 v[160:161], v[134:135], 1.0
	v_add_f64 v[148:149], v[146:147], 1.0
	v_add_f64 v[162:163], v[160:161], -1.0
	v_ldexp_f64 v[144:145], v[144:145], v71
	v_add_f64 v[148:149], v[134:135], -v[148:149]
	v_add_f64 v[134:135], v[134:135], -v[162:163]
	v_add_f64 v[134:135], v[144:145], v[134:135]
	v_add_f64 v[148:149], v[144:145], v[148:149]
	;; [unrolled: 1-line block ×3, first 2 shown]
	v_rcp_f64_e32 v[162:163], v[144:145]
	v_add_f64 v[150:151], v[146:147], v[148:149]
	v_add_f64 v[146:147], v[150:151], -v[146:147]
	v_add_f64 v[146:147], v[148:149], -v[146:147]
	v_add_f64 v[148:149], v[144:145], -v[160:161]
	v_add_f64 v[134:135], v[134:135], -v[148:149]
	v_fma_f64 v[148:149], -v[144:145], v[162:163], 1.0
	v_fmac_f64_e32 v[162:163], v[148:149], v[162:163]
	v_fma_f64 v[148:149], -v[144:145], v[162:163], 1.0
	v_fmac_f64_e32 v[162:163], v[148:149], v[162:163]
	v_mul_f64 v[148:149], v[150:151], v[162:163]
	v_mul_f64 v[160:161], v[144:145], v[148:149]
	v_fma_f64 v[164:165], v[148:149], v[144:145], -v[160:161]
	v_fmac_f64_e32 v[164:165], v[148:149], v[134:135]
	v_add_f64 v[166:167], v[160:161], v[164:165]
	v_add_f64 v[176:177], v[150:151], -v[166:167]
	v_add_f64 v[150:151], v[150:151], -v[176:177]
	v_add_f64 v[160:161], v[166:167], -v[160:161]
	v_add_f64 v[150:151], v[150:151], -v[166:167]
	v_add_f64 v[146:147], v[146:147], v[150:151]
	v_add_f64 v[150:151], v[160:161], -v[164:165]
	v_add_f64 v[146:147], v[150:151], v[146:147]
	v_add_f64 v[150:151], v[176:177], v[146:147]
	v_add_f64 v[160:161], v[176:177], -v[150:151]
	v_add_f64 v[146:147], v[146:147], v[160:161]
	v_mul_f64 v[160:161], v[162:163], v[150:151]
	v_mul_f64 v[164:165], v[144:145], v[160:161]
	v_fma_f64 v[144:145], v[160:161], v[144:145], -v[164:165]
	v_fmac_f64_e32 v[144:145], v[160:161], v[134:135]
	v_add_f64 v[134:135], v[164:165], v[144:145]
	v_add_f64 v[166:167], v[150:151], -v[134:135]
	v_add_f64 v[150:151], v[150:151], -v[166:167]
	;; [unrolled: 1-line block ×4, first 2 shown]
	v_add_f64 v[134:135], v[146:147], v[134:135]
	v_add_f64 v[144:145], v[164:165], -v[144:145]
	v_add_f64 v[134:135], v[144:145], v[134:135]
	v_add_f64 v[144:145], v[148:149], v[160:161]
	;; [unrolled: 1-line block ×3, first 2 shown]
	v_add_f64 v[146:147], v[144:145], -v[148:149]
	v_mul_f64 v[134:135], v[162:163], v[134:135]
	v_add_f64 v[146:147], v[160:161], -v[146:147]
	v_add_f64 v[134:135], v[146:147], v[134:135]
	v_add_f64 v[146:147], v[144:145], v[134:135]
	v_add_f64 v[144:145], v[146:147], -v[144:145]
	v_add_f64 v[134:135], v[134:135], -v[144:145]
	v_mul_f64 v[144:145], v[146:147], v[146:147]
	v_mov_b32_e32 v148, 0x6b47b09a
	v_mov_b32_e32 v149, 0x3fc38538
	v_fmac_f64_e32 v[148:149], s[6:7], v[144:145]
	v_mov_b32_e32 v150, 0xd7f4df2e
	v_mov_b32_e32 v151, 0x3fc7474d
	v_fmac_f64_e32 v[150:151], v[144:145], v[148:149]
	;; [unrolled: 3-line block ×6, first 2 shown]
	v_cvt_f64_i32_e32 v[148:149], v53
	s_mov_b32 s39, 0x3fe62e42
	v_mul_f64 v[160:161], v[148:149], s[38:39]
	v_fma_f64 v[162:163], v[148:149], s[38:39], -v[160:161]
	s_mov_b32 s41, 0x3c7abc9e
	v_fmac_f64_e32 v[162:163], s[40:41], v[148:149]
	v_add_f64 v[148:149], v[160:161], v[162:163]
	v_add_f64 v[160:161], v[148:149], -v[160:161]
	v_mul_f64 v[144:145], v[146:147], v[144:145]
	v_add_f64 v[160:161], v[162:163], -v[160:161]
	v_ldexp_f64 v[162:163], v[146:147], 1
	v_mul_f64 v[144:145], v[144:145], v[150:151]
	v_add_f64 v[146:147], v[162:163], v[144:145]
	v_add_f64 v[150:151], v[146:147], -v[162:163]
	v_ldexp_f64 v[134:135], v[134:135], 1
	v_add_f64 v[144:145], v[144:145], -v[150:151]
	v_add_f64 v[134:135], v[134:135], v[144:145]
	v_add_f64 v[144:145], v[146:147], v[134:135]
	v_add_f64 v[146:147], v[144:145], -v[146:147]
	v_add_f64 v[134:135], v[134:135], -v[146:147]
	v_add_f64 v[146:147], v[148:149], v[144:145]
	v_add_f64 v[150:151], v[146:147], -v[148:149]
	v_add_f64 v[162:163], v[146:147], -v[150:151]
	;; [unrolled: 1-line block ×4, first 2 shown]
	v_add_f64 v[144:145], v[144:145], v[148:149]
	v_add_f64 v[148:149], v[160:161], v[134:135]
	v_add_f64 v[150:151], v[148:149], -v[160:161]
	v_add_f64 v[144:145], v[148:149], v[144:145]
	v_add_f64 v[162:163], v[148:149], -v[150:151]
	;; [unrolled: 2-line block ×3, first 2 shown]
	v_add_f64 v[134:135], v[134:135], -v[150:151]
	v_add_f64 v[146:147], v[148:149], -v[146:147]
	v_add_f64 v[134:135], v[134:135], v[160:161]
	v_add_f64 v[144:145], v[144:145], -v[146:147]
	s_mov_b32 s6, 0
	v_add_f64 v[134:135], v[134:135], v[144:145]
	s_mov_b32 s7, 0x7ff00000
	v_add_f64 v[134:135], v[148:149], v[134:135]
	v_cmp_eq_f64_e32 vcc, s[6:7], v[6:7]
	s_nop 1
	v_cndmask_b32_e32 v53, v134, v6, vcc
	v_cndmask_b32_e32 v71, v135, v7, vcc
	v_mov_b32_e32 v134, 0x7ff80000
	v_cmp_ngt_f64_e32 vcc, -1.0, v[6:7]
	s_nop 1
	v_cndmask_b32_e32 v71, v134, v71, vcc
	v_cmp_nge_f64_e32 vcc, -1.0, v[6:7]
	s_nop 1
	v_cndmask_b32_e32 v134, 0, v53, vcc
	v_mov_b32_e32 v53, 0xfff00000
	v_cmp_neq_f64_e32 vcc, -1.0, v[6:7]
	s_nop 1
	v_cndmask_b32_e32 v135, v53, v71, vcc
	v_add_f64 v[6:7], v[8:9], v[134:135]
.LBB30_237:
	s_or_b64 exec, exec, s[36:37]
	v_max_f64 v[8:9], v[6:7], v[6:7]
	v_min_f64 v[134:135], v[8:9], v[10:11]
	v_cmp_u_f64_e32 vcc, v[6:7], v[6:7]
	v_max_f64 v[8:9], v[8:9], v[10:11]
	s_movk_i32 s40, 0x1f8
	v_cndmask_b32_e32 v53, v134, v6, vcc
	v_cndmask_b32_e32 v71, v135, v7, vcc
	;; [unrolled: 1-line block ×4, first 2 shown]
	v_cndmask_b32_e64 v135, v71, v113, s[8:9]
	v_cndmask_b32_e64 v134, v53, v112, s[8:9]
	;; [unrolled: 1-line block ×4, first 2 shown]
	v_cmp_neq_f64_e32 vcc, v[134:135], v[10:11]
	v_cmp_class_f64_e64 s[6:7], v[134:135], s40
	s_or_b64 s[6:7], vcc, s[6:7]
	v_mov_b64_e32 v[8:9], v[6:7]
	s_and_saveexec_b64 s[8:9], s[6:7]
	s_cbranch_execz .LBB30_239
; %bb.238:
	s_mov_b32 s6, 0x652b82fe
	v_add_f64 v[8:9], v[134:135], -v[10:11]
	s_mov_b32 s7, 0x3ff71547
	v_mul_f64 v[134:135], v[8:9], s[6:7]
	v_rndne_f64_e32 v[134:135], v[134:135]
	s_mov_b32 s37, 0xbfe62e42
	s_mov_b32 s36, 0xfefa39ef
	v_fma_f64 v[144:145], s[36:37], v[134:135], v[8:9]
	s_mov_b32 s39, 0xbc7abc9e
	s_mov_b32 s38, 0x3b39803f
	;; [unrolled: 1-line block ×3, first 2 shown]
	v_fmac_f64_e32 v[144:145], s[38:39], v[134:135]
	v_mov_b32_e32 v146, 0xfca7ab0c
	v_mov_b32_e32 v147, 0x3e928af3
	s_mov_b32 s7, 0x3e5ade15
	v_fmac_f64_e32 v[146:147], s[6:7], v[144:145]
	v_mov_b32_e32 v148, 0x623fde64
	v_mov_b32_e32 v149, 0x3ec71dee
	v_fmac_f64_e32 v[148:149], v[144:145], v[146:147]
	v_mov_b32_e32 v146, 0x7c89e6b0
	v_mov_b32_e32 v147, 0x3efa0199
	;; [unrolled: 3-line block ×8, first 2 shown]
	s_mov_b32 s6, 0
	v_fmac_f64_e32 v[146:147], v[144:145], v[148:149]
	s_mov_b32 s7, 0x40900000
	v_fma_f64 v[146:147], v[144:145], v[146:147], 1.0
	v_cmp_nlt_f64_e32 vcc, s[6:7], v[8:9]
	s_mov_b32 s6, 0
	v_fma_f64 v[144:145], v[144:145], v[146:147], 1.0
	v_cvt_i32_f64_e32 v53, v[134:135]
	s_mov_b32 s7, 0xc090cc00
	v_ldexp_f64 v[134:135], v[144:145], v53
	v_mov_b32_e32 v53, 0x7ff00000
	v_cmp_ngt_f64_e64 s[6:7], s[6:7], v[8:9]
	v_cndmask_b32_e32 v53, v53, v135, vcc
	s_and_b64 vcc, s[6:7], vcc
	v_cndmask_b32_e64 v9, 0, v53, s[6:7]
	v_cndmask_b32_e32 v8, 0, v134, vcc
	v_add_f64 v[134:135], v[8:9], 1.0
	v_add_f64 v[144:145], v[134:135], -1.0
	v_add_f64 v[146:147], v[144:145], -v[134:135]
	v_add_f64 v[146:147], v[146:147], 1.0
	v_add_f64 v[144:145], v[8:9], -v[144:145]
	s_mov_b32 s6, 0x55555555
	v_add_f64 v[144:145], v[144:145], v[146:147]
	v_frexp_mant_f64_e32 v[146:147], v[134:135]
	s_mov_b32 s7, 0x3fe55555
	v_frexp_exp_i32_f64_e32 v53, v[134:135]
	v_cmp_gt_f64_e32 vcc, s[6:7], v[146:147]
	s_mov_b32 s6, 0xbf559e2b
	s_mov_b32 s7, 0x3fc3ab76
	v_subbrev_co_u32_e32 v53, vcc, 0, v53, vcc
	v_sub_u32_e32 v71, 0, v53
	v_ldexp_f64 v[134:135], v[134:135], v71
	v_add_f64 v[146:147], v[134:135], -1.0
	v_add_f64 v[160:161], v[134:135], 1.0
	v_add_f64 v[148:149], v[146:147], 1.0
	v_add_f64 v[162:163], v[160:161], -1.0
	v_ldexp_f64 v[144:145], v[144:145], v71
	v_add_f64 v[148:149], v[134:135], -v[148:149]
	v_add_f64 v[134:135], v[134:135], -v[162:163]
	v_add_f64 v[134:135], v[144:145], v[134:135]
	v_add_f64 v[148:149], v[144:145], v[148:149]
	v_add_f64 v[144:145], v[160:161], v[134:135]
	v_rcp_f64_e32 v[162:163], v[144:145]
	v_add_f64 v[150:151], v[146:147], v[148:149]
	v_add_f64 v[146:147], v[150:151], -v[146:147]
	v_add_f64 v[146:147], v[148:149], -v[146:147]
	;; [unrolled: 1-line block ×4, first 2 shown]
	v_fma_f64 v[148:149], -v[144:145], v[162:163], 1.0
	v_fmac_f64_e32 v[162:163], v[148:149], v[162:163]
	v_fma_f64 v[148:149], -v[144:145], v[162:163], 1.0
	v_fmac_f64_e32 v[162:163], v[148:149], v[162:163]
	v_mul_f64 v[148:149], v[150:151], v[162:163]
	v_mul_f64 v[160:161], v[144:145], v[148:149]
	v_fma_f64 v[164:165], v[148:149], v[144:145], -v[160:161]
	v_fmac_f64_e32 v[164:165], v[148:149], v[134:135]
	v_add_f64 v[166:167], v[160:161], v[164:165]
	v_add_f64 v[176:177], v[150:151], -v[166:167]
	v_add_f64 v[150:151], v[150:151], -v[176:177]
	v_add_f64 v[160:161], v[166:167], -v[160:161]
	v_add_f64 v[150:151], v[150:151], -v[166:167]
	v_add_f64 v[146:147], v[146:147], v[150:151]
	v_add_f64 v[150:151], v[160:161], -v[164:165]
	v_add_f64 v[146:147], v[150:151], v[146:147]
	v_add_f64 v[150:151], v[176:177], v[146:147]
	v_add_f64 v[160:161], v[176:177], -v[150:151]
	v_add_f64 v[146:147], v[146:147], v[160:161]
	v_mul_f64 v[160:161], v[162:163], v[150:151]
	v_mul_f64 v[164:165], v[144:145], v[160:161]
	v_fma_f64 v[144:145], v[160:161], v[144:145], -v[164:165]
	v_fmac_f64_e32 v[144:145], v[160:161], v[134:135]
	v_add_f64 v[134:135], v[164:165], v[144:145]
	v_add_f64 v[166:167], v[150:151], -v[134:135]
	v_add_f64 v[150:151], v[150:151], -v[166:167]
	;; [unrolled: 1-line block ×4, first 2 shown]
	v_add_f64 v[134:135], v[146:147], v[134:135]
	v_add_f64 v[144:145], v[164:165], -v[144:145]
	v_add_f64 v[134:135], v[144:145], v[134:135]
	v_add_f64 v[144:145], v[148:149], v[160:161]
	;; [unrolled: 1-line block ×3, first 2 shown]
	v_add_f64 v[146:147], v[144:145], -v[148:149]
	v_mul_f64 v[134:135], v[162:163], v[134:135]
	v_add_f64 v[146:147], v[160:161], -v[146:147]
	v_add_f64 v[134:135], v[146:147], v[134:135]
	v_add_f64 v[146:147], v[144:145], v[134:135]
	v_add_f64 v[144:145], v[146:147], -v[144:145]
	v_add_f64 v[134:135], v[134:135], -v[144:145]
	v_mul_f64 v[144:145], v[146:147], v[146:147]
	v_mov_b32_e32 v148, 0x6b47b09a
	v_mov_b32_e32 v149, 0x3fc38538
	v_fmac_f64_e32 v[148:149], s[6:7], v[144:145]
	v_mov_b32_e32 v150, 0xd7f4df2e
	v_mov_b32_e32 v151, 0x3fc7474d
	v_fmac_f64_e32 v[150:151], v[144:145], v[148:149]
	;; [unrolled: 3-line block ×6, first 2 shown]
	v_cvt_f64_i32_e32 v[148:149], v53
	s_mov_b32 s37, 0x3fe62e42
	v_mul_f64 v[160:161], v[148:149], s[36:37]
	v_fma_f64 v[162:163], v[148:149], s[36:37], -v[160:161]
	s_mov_b32 s39, 0x3c7abc9e
	v_fmac_f64_e32 v[162:163], s[38:39], v[148:149]
	v_add_f64 v[148:149], v[160:161], v[162:163]
	v_add_f64 v[160:161], v[148:149], -v[160:161]
	v_mul_f64 v[144:145], v[146:147], v[144:145]
	v_add_f64 v[160:161], v[162:163], -v[160:161]
	v_ldexp_f64 v[162:163], v[146:147], 1
	v_mul_f64 v[144:145], v[144:145], v[150:151]
	v_add_f64 v[146:147], v[162:163], v[144:145]
	v_add_f64 v[150:151], v[146:147], -v[162:163]
	v_ldexp_f64 v[134:135], v[134:135], 1
	v_add_f64 v[144:145], v[144:145], -v[150:151]
	v_add_f64 v[134:135], v[134:135], v[144:145]
	v_add_f64 v[144:145], v[146:147], v[134:135]
	v_add_f64 v[146:147], v[144:145], -v[146:147]
	v_add_f64 v[134:135], v[134:135], -v[146:147]
	v_add_f64 v[146:147], v[148:149], v[144:145]
	v_add_f64 v[150:151], v[146:147], -v[148:149]
	v_add_f64 v[162:163], v[146:147], -v[150:151]
	;; [unrolled: 1-line block ×4, first 2 shown]
	v_add_f64 v[144:145], v[144:145], v[148:149]
	v_add_f64 v[148:149], v[160:161], v[134:135]
	v_add_f64 v[150:151], v[148:149], -v[160:161]
	v_add_f64 v[144:145], v[148:149], v[144:145]
	v_add_f64 v[162:163], v[148:149], -v[150:151]
	v_add_f64 v[148:149], v[146:147], v[144:145]
	v_add_f64 v[160:161], v[160:161], -v[162:163]
	v_add_f64 v[134:135], v[134:135], -v[150:151]
	v_add_f64 v[146:147], v[148:149], -v[146:147]
	v_add_f64 v[134:135], v[134:135], v[160:161]
	v_add_f64 v[144:145], v[144:145], -v[146:147]
	s_mov_b32 s6, 0
	v_add_f64 v[134:135], v[134:135], v[144:145]
	s_mov_b32 s7, 0x7ff00000
	v_add_f64 v[134:135], v[148:149], v[134:135]
	v_cmp_eq_f64_e32 vcc, s[6:7], v[8:9]
	s_nop 1
	v_cndmask_b32_e32 v53, v134, v8, vcc
	v_cndmask_b32_e32 v71, v135, v9, vcc
	v_mov_b32_e32 v134, 0x7ff80000
	v_cmp_ngt_f64_e32 vcc, -1.0, v[8:9]
	s_nop 1
	v_cndmask_b32_e32 v71, v134, v71, vcc
	v_cmp_nge_f64_e32 vcc, -1.0, v[8:9]
	s_nop 1
	v_cndmask_b32_e32 v134, 0, v53, vcc
	v_mov_b32_e32 v53, 0xfff00000
	v_cmp_neq_f64_e32 vcc, -1.0, v[8:9]
	s_nop 1
	v_cndmask_b32_e32 v135, v53, v71, vcc
	v_add_f64 v[8:9], v[10:11], v[134:135]
.LBB30_239:
	s_or_b64 exec, exec, s[8:9]
	v_max_f64 v[10:11], v[8:9], v[8:9]
	v_min_f64 v[134:135], v[10:11], v[12:13]
	v_cmp_u_f64_e32 vcc, v[8:9], v[8:9]
	v_max_f64 v[10:11], v[10:11], v[12:13]
	s_nop 0
	v_cndmask_b32_e32 v53, v134, v8, vcc
	v_cndmask_b32_e32 v71, v135, v9, vcc
	;; [unrolled: 1-line block ×4, first 2 shown]
	v_cndmask_b32_e64 v135, v71, v115, s[10:11]
	v_cndmask_b32_e64 v134, v53, v114, s[10:11]
	;; [unrolled: 1-line block ×4, first 2 shown]
	v_cmp_neq_f64_e32 vcc, v[134:135], v[12:13]
	v_cmp_class_f64_e64 s[6:7], v[134:135], s40
	s_or_b64 s[6:7], vcc, s[6:7]
	v_mov_b64_e32 v[10:11], v[8:9]
	s_and_saveexec_b64 s[8:9], s[6:7]
	s_cbranch_execz .LBB30_241
; %bb.240:
	s_mov_b32 s6, 0x652b82fe
	v_add_f64 v[10:11], v[134:135], -v[12:13]
	s_mov_b32 s7, 0x3ff71547
	v_mul_f64 v[134:135], v[10:11], s[6:7]
	v_rndne_f64_e32 v[134:135], v[134:135]
	s_mov_b32 s11, 0xbfe62e42
	s_mov_b32 s10, 0xfefa39ef
	v_fma_f64 v[144:145], s[10:11], v[134:135], v[10:11]
	s_mov_b32 s37, 0xbc7abc9e
	s_mov_b32 s36, 0x3b39803f
	;; [unrolled: 1-line block ×3, first 2 shown]
	v_fmac_f64_e32 v[144:145], s[36:37], v[134:135]
	v_mov_b32_e32 v146, 0xfca7ab0c
	v_mov_b32_e32 v147, 0x3e928af3
	s_mov_b32 s7, 0x3e5ade15
	v_fmac_f64_e32 v[146:147], s[6:7], v[144:145]
	v_mov_b32_e32 v148, 0x623fde64
	v_mov_b32_e32 v149, 0x3ec71dee
	v_fmac_f64_e32 v[148:149], v[144:145], v[146:147]
	v_mov_b32_e32 v146, 0x7c89e6b0
	v_mov_b32_e32 v147, 0x3efa0199
	;; [unrolled: 3-line block ×8, first 2 shown]
	s_mov_b32 s6, 0
	v_fmac_f64_e32 v[146:147], v[144:145], v[148:149]
	s_mov_b32 s7, 0x40900000
	v_fma_f64 v[146:147], v[144:145], v[146:147], 1.0
	v_cmp_nlt_f64_e32 vcc, s[6:7], v[10:11]
	s_mov_b32 s6, 0
	v_fma_f64 v[144:145], v[144:145], v[146:147], 1.0
	v_cvt_i32_f64_e32 v53, v[134:135]
	s_mov_b32 s7, 0xc090cc00
	v_ldexp_f64 v[134:135], v[144:145], v53
	v_mov_b32_e32 v53, 0x7ff00000
	v_cmp_ngt_f64_e64 s[6:7], s[6:7], v[10:11]
	v_cndmask_b32_e32 v53, v53, v135, vcc
	s_and_b64 vcc, s[6:7], vcc
	v_cndmask_b32_e64 v11, 0, v53, s[6:7]
	v_cndmask_b32_e32 v10, 0, v134, vcc
	v_add_f64 v[134:135], v[10:11], 1.0
	v_add_f64 v[144:145], v[134:135], -1.0
	v_add_f64 v[146:147], v[144:145], -v[134:135]
	v_add_f64 v[146:147], v[146:147], 1.0
	v_add_f64 v[144:145], v[10:11], -v[144:145]
	s_mov_b32 s6, 0x55555555
	v_add_f64 v[144:145], v[144:145], v[146:147]
	v_frexp_mant_f64_e32 v[146:147], v[134:135]
	s_mov_b32 s7, 0x3fe55555
	v_frexp_exp_i32_f64_e32 v53, v[134:135]
	v_cmp_gt_f64_e32 vcc, s[6:7], v[146:147]
	s_mov_b32 s6, 0xbf559e2b
	s_mov_b32 s7, 0x3fc3ab76
	v_subbrev_co_u32_e32 v53, vcc, 0, v53, vcc
	v_sub_u32_e32 v71, 0, v53
	v_ldexp_f64 v[134:135], v[134:135], v71
	v_add_f64 v[146:147], v[134:135], -1.0
	v_add_f64 v[160:161], v[134:135], 1.0
	v_add_f64 v[148:149], v[146:147], 1.0
	v_add_f64 v[162:163], v[160:161], -1.0
	v_ldexp_f64 v[144:145], v[144:145], v71
	v_add_f64 v[148:149], v[134:135], -v[148:149]
	v_add_f64 v[134:135], v[134:135], -v[162:163]
	v_add_f64 v[134:135], v[144:145], v[134:135]
	v_add_f64 v[148:149], v[144:145], v[148:149]
	;; [unrolled: 1-line block ×3, first 2 shown]
	v_rcp_f64_e32 v[162:163], v[144:145]
	v_add_f64 v[150:151], v[146:147], v[148:149]
	v_add_f64 v[146:147], v[150:151], -v[146:147]
	v_add_f64 v[146:147], v[148:149], -v[146:147]
	;; [unrolled: 1-line block ×4, first 2 shown]
	v_fma_f64 v[148:149], -v[144:145], v[162:163], 1.0
	v_fmac_f64_e32 v[162:163], v[148:149], v[162:163]
	v_fma_f64 v[148:149], -v[144:145], v[162:163], 1.0
	v_fmac_f64_e32 v[162:163], v[148:149], v[162:163]
	v_mul_f64 v[148:149], v[150:151], v[162:163]
	v_mul_f64 v[160:161], v[144:145], v[148:149]
	v_fma_f64 v[164:165], v[148:149], v[144:145], -v[160:161]
	v_fmac_f64_e32 v[164:165], v[148:149], v[134:135]
	v_add_f64 v[166:167], v[160:161], v[164:165]
	v_add_f64 v[176:177], v[150:151], -v[166:167]
	v_add_f64 v[150:151], v[150:151], -v[176:177]
	;; [unrolled: 1-line block ×4, first 2 shown]
	v_add_f64 v[146:147], v[146:147], v[150:151]
	v_add_f64 v[150:151], v[160:161], -v[164:165]
	v_add_f64 v[146:147], v[150:151], v[146:147]
	v_add_f64 v[150:151], v[176:177], v[146:147]
	v_add_f64 v[160:161], v[176:177], -v[150:151]
	v_add_f64 v[146:147], v[146:147], v[160:161]
	v_mul_f64 v[160:161], v[162:163], v[150:151]
	v_mul_f64 v[164:165], v[144:145], v[160:161]
	v_fma_f64 v[144:145], v[160:161], v[144:145], -v[164:165]
	v_fmac_f64_e32 v[144:145], v[160:161], v[134:135]
	v_add_f64 v[134:135], v[164:165], v[144:145]
	v_add_f64 v[166:167], v[150:151], -v[134:135]
	v_add_f64 v[150:151], v[150:151], -v[166:167]
	;; [unrolled: 1-line block ×4, first 2 shown]
	v_add_f64 v[134:135], v[146:147], v[134:135]
	v_add_f64 v[144:145], v[164:165], -v[144:145]
	v_add_f64 v[134:135], v[144:145], v[134:135]
	v_add_f64 v[144:145], v[148:149], v[160:161]
	;; [unrolled: 1-line block ×3, first 2 shown]
	v_add_f64 v[146:147], v[144:145], -v[148:149]
	v_mul_f64 v[134:135], v[162:163], v[134:135]
	v_add_f64 v[146:147], v[160:161], -v[146:147]
	v_add_f64 v[134:135], v[146:147], v[134:135]
	v_add_f64 v[146:147], v[144:145], v[134:135]
	v_add_f64 v[144:145], v[146:147], -v[144:145]
	v_add_f64 v[134:135], v[134:135], -v[144:145]
	v_mul_f64 v[144:145], v[146:147], v[146:147]
	v_mov_b32_e32 v148, 0x6b47b09a
	v_mov_b32_e32 v149, 0x3fc38538
	v_fmac_f64_e32 v[148:149], s[6:7], v[144:145]
	v_mov_b32_e32 v150, 0xd7f4df2e
	v_mov_b32_e32 v151, 0x3fc7474d
	v_fmac_f64_e32 v[150:151], v[144:145], v[148:149]
	;; [unrolled: 3-line block ×6, first 2 shown]
	v_cvt_f64_i32_e32 v[148:149], v53
	s_mov_b32 s11, 0x3fe62e42
	v_mul_f64 v[160:161], v[148:149], s[10:11]
	v_fma_f64 v[162:163], v[148:149], s[10:11], -v[160:161]
	s_mov_b32 s37, 0x3c7abc9e
	v_fmac_f64_e32 v[162:163], s[36:37], v[148:149]
	v_add_f64 v[148:149], v[160:161], v[162:163]
	v_add_f64 v[160:161], v[148:149], -v[160:161]
	v_mul_f64 v[144:145], v[146:147], v[144:145]
	v_add_f64 v[160:161], v[162:163], -v[160:161]
	v_ldexp_f64 v[162:163], v[146:147], 1
	v_mul_f64 v[144:145], v[144:145], v[150:151]
	v_add_f64 v[146:147], v[162:163], v[144:145]
	v_add_f64 v[150:151], v[146:147], -v[162:163]
	v_ldexp_f64 v[134:135], v[134:135], 1
	v_add_f64 v[144:145], v[144:145], -v[150:151]
	v_add_f64 v[134:135], v[134:135], v[144:145]
	v_add_f64 v[144:145], v[146:147], v[134:135]
	v_add_f64 v[146:147], v[144:145], -v[146:147]
	v_add_f64 v[134:135], v[134:135], -v[146:147]
	v_add_f64 v[146:147], v[148:149], v[144:145]
	v_add_f64 v[150:151], v[146:147], -v[148:149]
	v_add_f64 v[162:163], v[146:147], -v[150:151]
	;; [unrolled: 1-line block ×4, first 2 shown]
	v_add_f64 v[144:145], v[144:145], v[148:149]
	v_add_f64 v[148:149], v[160:161], v[134:135]
	v_add_f64 v[150:151], v[148:149], -v[160:161]
	v_add_f64 v[144:145], v[148:149], v[144:145]
	v_add_f64 v[162:163], v[148:149], -v[150:151]
	;; [unrolled: 2-line block ×3, first 2 shown]
	v_add_f64 v[134:135], v[134:135], -v[150:151]
	v_add_f64 v[146:147], v[148:149], -v[146:147]
	v_add_f64 v[134:135], v[134:135], v[160:161]
	v_add_f64 v[144:145], v[144:145], -v[146:147]
	s_mov_b32 s6, 0
	v_add_f64 v[134:135], v[134:135], v[144:145]
	s_mov_b32 s7, 0x7ff00000
	v_add_f64 v[134:135], v[148:149], v[134:135]
	v_cmp_eq_f64_e32 vcc, s[6:7], v[10:11]
	s_nop 1
	v_cndmask_b32_e32 v53, v134, v10, vcc
	v_cndmask_b32_e32 v71, v135, v11, vcc
	v_mov_b32_e32 v134, 0x7ff80000
	v_cmp_ngt_f64_e32 vcc, -1.0, v[10:11]
	s_nop 1
	v_cndmask_b32_e32 v71, v134, v71, vcc
	v_cmp_nge_f64_e32 vcc, -1.0, v[10:11]
	s_nop 1
	v_cndmask_b32_e32 v134, 0, v53, vcc
	v_mov_b32_e32 v53, 0xfff00000
	v_cmp_neq_f64_e32 vcc, -1.0, v[10:11]
	s_nop 1
	v_cndmask_b32_e32 v135, v53, v71, vcc
	v_add_f64 v[10:11], v[12:13], v[134:135]
.LBB30_241:
	s_or_b64 exec, exec, s[8:9]
	v_max_f64 v[12:13], v[10:11], v[10:11]
	v_min_f64 v[134:135], v[12:13], v[14:15]
	v_cmp_u_f64_e32 vcc, v[10:11], v[10:11]
	v_max_f64 v[12:13], v[12:13], v[14:15]
	s_movk_i32 s36, 0x1f8
	v_cndmask_b32_e32 v53, v134, v10, vcc
	v_cndmask_b32_e32 v71, v135, v11, vcc
	;; [unrolled: 1-line block ×4, first 2 shown]
	v_cndmask_b32_e64 v135, v71, v101, s[12:13]
	v_cndmask_b32_e64 v134, v53, v100, s[12:13]
	;; [unrolled: 1-line block ×4, first 2 shown]
	v_cmp_neq_f64_e32 vcc, v[134:135], v[14:15]
	v_cmp_class_f64_e64 s[6:7], v[134:135], s36
	s_or_b64 s[6:7], vcc, s[6:7]
	v_mov_b64_e32 v[12:13], v[10:11]
	s_and_saveexec_b64 s[8:9], s[6:7]
	s_cbranch_execz .LBB30_243
; %bb.242:
	s_mov_b32 s6, 0x652b82fe
	v_add_f64 v[12:13], v[134:135], -v[14:15]
	s_mov_b32 s7, 0x3ff71547
	v_mul_f64 v[134:135], v[12:13], s[6:7]
	v_rndne_f64_e32 v[134:135], v[134:135]
	s_mov_b32 s11, 0xbfe62e42
	s_mov_b32 s10, 0xfefa39ef
	v_fma_f64 v[144:145], s[10:11], v[134:135], v[12:13]
	s_mov_b32 s13, 0xbc7abc9e
	s_mov_b32 s12, 0x3b39803f
	;; [unrolled: 1-line block ×3, first 2 shown]
	v_fmac_f64_e32 v[144:145], s[12:13], v[134:135]
	v_mov_b32_e32 v146, 0xfca7ab0c
	v_mov_b32_e32 v147, 0x3e928af3
	s_mov_b32 s7, 0x3e5ade15
	v_fmac_f64_e32 v[146:147], s[6:7], v[144:145]
	v_mov_b32_e32 v148, 0x623fde64
	v_mov_b32_e32 v149, 0x3ec71dee
	v_fmac_f64_e32 v[148:149], v[144:145], v[146:147]
	v_mov_b32_e32 v146, 0x7c89e6b0
	v_mov_b32_e32 v147, 0x3efa0199
	v_fmac_f64_e32 v[146:147], v[144:145], v[148:149]
	v_mov_b32_e32 v148, 0x14761f6e
	v_mov_b32_e32 v149, 0x3f2a01a0
	v_fmac_f64_e32 v[148:149], v[144:145], v[146:147]
	v_mov_b32_e32 v146, 0x1852b7b0
	v_mov_b32_e32 v147, 0x3f56c16c
	v_fmac_f64_e32 v[146:147], v[144:145], v[148:149]
	v_mov_b32_e32 v148, 0x11122322
	v_mov_b32_e32 v149, 0x3f811111
	v_fmac_f64_e32 v[148:149], v[144:145], v[146:147]
	v_mov_b32_e32 v146, 0x555502a1
	v_mov_b32_e32 v147, 0x3fa55555
	v_fmac_f64_e32 v[146:147], v[144:145], v[148:149]
	v_mov_b32_e32 v148, 0x55555511
	v_mov_b32_e32 v149, 0x3fc55555
	v_fmac_f64_e32 v[148:149], v[144:145], v[146:147]
	v_mov_b32_e32 v146, 11
	v_mov_b32_e32 v147, 0x3fe00000
	s_mov_b32 s6, 0
	v_fmac_f64_e32 v[146:147], v[144:145], v[148:149]
	s_mov_b32 s7, 0x40900000
	v_fma_f64 v[146:147], v[144:145], v[146:147], 1.0
	v_cmp_nlt_f64_e32 vcc, s[6:7], v[12:13]
	s_mov_b32 s6, 0
	v_fma_f64 v[144:145], v[144:145], v[146:147], 1.0
	v_cvt_i32_f64_e32 v53, v[134:135]
	s_mov_b32 s7, 0xc090cc00
	v_ldexp_f64 v[134:135], v[144:145], v53
	v_mov_b32_e32 v53, 0x7ff00000
	v_cmp_ngt_f64_e64 s[6:7], s[6:7], v[12:13]
	v_cndmask_b32_e32 v53, v53, v135, vcc
	s_and_b64 vcc, s[6:7], vcc
	v_cndmask_b32_e64 v13, 0, v53, s[6:7]
	v_cndmask_b32_e32 v12, 0, v134, vcc
	v_add_f64 v[134:135], v[12:13], 1.0
	v_add_f64 v[144:145], v[134:135], -1.0
	v_add_f64 v[146:147], v[144:145], -v[134:135]
	v_add_f64 v[146:147], v[146:147], 1.0
	v_add_f64 v[144:145], v[12:13], -v[144:145]
	s_mov_b32 s6, 0x55555555
	v_add_f64 v[144:145], v[144:145], v[146:147]
	v_frexp_mant_f64_e32 v[146:147], v[134:135]
	s_mov_b32 s7, 0x3fe55555
	v_frexp_exp_i32_f64_e32 v53, v[134:135]
	v_cmp_gt_f64_e32 vcc, s[6:7], v[146:147]
	s_mov_b32 s6, 0xbf559e2b
	s_mov_b32 s7, 0x3fc3ab76
	v_subbrev_co_u32_e32 v53, vcc, 0, v53, vcc
	v_sub_u32_e32 v71, 0, v53
	v_ldexp_f64 v[134:135], v[134:135], v71
	v_add_f64 v[146:147], v[134:135], -1.0
	v_add_f64 v[160:161], v[134:135], 1.0
	v_add_f64 v[148:149], v[146:147], 1.0
	v_add_f64 v[162:163], v[160:161], -1.0
	v_ldexp_f64 v[144:145], v[144:145], v71
	v_add_f64 v[148:149], v[134:135], -v[148:149]
	v_add_f64 v[134:135], v[134:135], -v[162:163]
	v_add_f64 v[134:135], v[144:145], v[134:135]
	v_add_f64 v[148:149], v[144:145], v[148:149]
	;; [unrolled: 1-line block ×3, first 2 shown]
	v_rcp_f64_e32 v[162:163], v[144:145]
	v_add_f64 v[150:151], v[146:147], v[148:149]
	v_add_f64 v[146:147], v[150:151], -v[146:147]
	v_add_f64 v[146:147], v[148:149], -v[146:147]
	;; [unrolled: 1-line block ×4, first 2 shown]
	v_fma_f64 v[148:149], -v[144:145], v[162:163], 1.0
	v_fmac_f64_e32 v[162:163], v[148:149], v[162:163]
	v_fma_f64 v[148:149], -v[144:145], v[162:163], 1.0
	v_fmac_f64_e32 v[162:163], v[148:149], v[162:163]
	v_mul_f64 v[148:149], v[150:151], v[162:163]
	v_mul_f64 v[160:161], v[144:145], v[148:149]
	v_fma_f64 v[164:165], v[148:149], v[144:145], -v[160:161]
	v_fmac_f64_e32 v[164:165], v[148:149], v[134:135]
	v_add_f64 v[166:167], v[160:161], v[164:165]
	v_add_f64 v[176:177], v[150:151], -v[166:167]
	v_add_f64 v[150:151], v[150:151], -v[176:177]
	;; [unrolled: 1-line block ×4, first 2 shown]
	v_add_f64 v[146:147], v[146:147], v[150:151]
	v_add_f64 v[150:151], v[160:161], -v[164:165]
	v_add_f64 v[146:147], v[150:151], v[146:147]
	v_add_f64 v[150:151], v[176:177], v[146:147]
	v_add_f64 v[160:161], v[176:177], -v[150:151]
	v_add_f64 v[146:147], v[146:147], v[160:161]
	v_mul_f64 v[160:161], v[162:163], v[150:151]
	v_mul_f64 v[164:165], v[144:145], v[160:161]
	v_fma_f64 v[144:145], v[160:161], v[144:145], -v[164:165]
	v_fmac_f64_e32 v[144:145], v[160:161], v[134:135]
	v_add_f64 v[134:135], v[164:165], v[144:145]
	v_add_f64 v[166:167], v[150:151], -v[134:135]
	v_add_f64 v[150:151], v[150:151], -v[166:167]
	;; [unrolled: 1-line block ×4, first 2 shown]
	v_add_f64 v[134:135], v[146:147], v[134:135]
	v_add_f64 v[144:145], v[164:165], -v[144:145]
	v_add_f64 v[134:135], v[144:145], v[134:135]
	v_add_f64 v[144:145], v[148:149], v[160:161]
	;; [unrolled: 1-line block ×3, first 2 shown]
	v_add_f64 v[146:147], v[144:145], -v[148:149]
	v_mul_f64 v[134:135], v[162:163], v[134:135]
	v_add_f64 v[146:147], v[160:161], -v[146:147]
	v_add_f64 v[134:135], v[146:147], v[134:135]
	v_add_f64 v[146:147], v[144:145], v[134:135]
	v_add_f64 v[144:145], v[146:147], -v[144:145]
	v_add_f64 v[134:135], v[134:135], -v[144:145]
	v_mul_f64 v[144:145], v[146:147], v[146:147]
	v_mov_b32_e32 v148, 0x6b47b09a
	v_mov_b32_e32 v149, 0x3fc38538
	v_fmac_f64_e32 v[148:149], s[6:7], v[144:145]
	v_mov_b32_e32 v150, 0xd7f4df2e
	v_mov_b32_e32 v151, 0x3fc7474d
	v_fmac_f64_e32 v[150:151], v[144:145], v[148:149]
	;; [unrolled: 3-line block ×6, first 2 shown]
	v_cvt_f64_i32_e32 v[148:149], v53
	s_mov_b32 s11, 0x3fe62e42
	v_mul_f64 v[160:161], v[148:149], s[10:11]
	v_fma_f64 v[162:163], v[148:149], s[10:11], -v[160:161]
	s_mov_b32 s13, 0x3c7abc9e
	v_fmac_f64_e32 v[162:163], s[12:13], v[148:149]
	v_add_f64 v[148:149], v[160:161], v[162:163]
	v_add_f64 v[160:161], v[148:149], -v[160:161]
	v_mul_f64 v[144:145], v[146:147], v[144:145]
	v_add_f64 v[160:161], v[162:163], -v[160:161]
	v_ldexp_f64 v[162:163], v[146:147], 1
	v_mul_f64 v[144:145], v[144:145], v[150:151]
	v_add_f64 v[146:147], v[162:163], v[144:145]
	v_add_f64 v[150:151], v[146:147], -v[162:163]
	v_ldexp_f64 v[134:135], v[134:135], 1
	v_add_f64 v[144:145], v[144:145], -v[150:151]
	v_add_f64 v[134:135], v[134:135], v[144:145]
	v_add_f64 v[144:145], v[146:147], v[134:135]
	v_add_f64 v[146:147], v[144:145], -v[146:147]
	v_add_f64 v[134:135], v[134:135], -v[146:147]
	v_add_f64 v[146:147], v[148:149], v[144:145]
	v_add_f64 v[150:151], v[146:147], -v[148:149]
	v_add_f64 v[162:163], v[146:147], -v[150:151]
	;; [unrolled: 1-line block ×4, first 2 shown]
	v_add_f64 v[144:145], v[144:145], v[148:149]
	v_add_f64 v[148:149], v[160:161], v[134:135]
	v_add_f64 v[150:151], v[148:149], -v[160:161]
	v_add_f64 v[144:145], v[148:149], v[144:145]
	v_add_f64 v[162:163], v[148:149], -v[150:151]
	;; [unrolled: 2-line block ×3, first 2 shown]
	v_add_f64 v[134:135], v[134:135], -v[150:151]
	v_add_f64 v[146:147], v[148:149], -v[146:147]
	v_add_f64 v[134:135], v[134:135], v[160:161]
	v_add_f64 v[144:145], v[144:145], -v[146:147]
	s_mov_b32 s6, 0
	v_add_f64 v[134:135], v[134:135], v[144:145]
	s_mov_b32 s7, 0x7ff00000
	v_add_f64 v[134:135], v[148:149], v[134:135]
	v_cmp_eq_f64_e32 vcc, s[6:7], v[12:13]
	s_nop 1
	v_cndmask_b32_e32 v53, v134, v12, vcc
	v_cndmask_b32_e32 v71, v135, v13, vcc
	v_mov_b32_e32 v134, 0x7ff80000
	v_cmp_ngt_f64_e32 vcc, -1.0, v[12:13]
	s_nop 1
	v_cndmask_b32_e32 v71, v134, v71, vcc
	v_cmp_nge_f64_e32 vcc, -1.0, v[12:13]
	s_nop 1
	v_cndmask_b32_e32 v134, 0, v53, vcc
	v_mov_b32_e32 v53, 0xfff00000
	v_cmp_neq_f64_e32 vcc, -1.0, v[12:13]
	s_nop 1
	v_cndmask_b32_e32 v135, v53, v71, vcc
	v_add_f64 v[12:13], v[14:15], v[134:135]
.LBB30_243:
	s_or_b64 exec, exec, s[8:9]
	v_max_f64 v[14:15], v[12:13], v[12:13]
	v_min_f64 v[134:135], v[14:15], v[16:17]
	v_cmp_u_f64_e32 vcc, v[12:13], v[12:13]
	v_max_f64 v[14:15], v[14:15], v[16:17]
	s_nop 0
	v_cndmask_b32_e32 v53, v134, v12, vcc
	v_cndmask_b32_e32 v71, v135, v13, vcc
	;; [unrolled: 1-line block ×4, first 2 shown]
	v_cndmask_b32_e64 v135, v71, v103, s[14:15]
	v_cndmask_b32_e64 v134, v53, v102, s[14:15]
	;; [unrolled: 1-line block ×4, first 2 shown]
	v_cmp_neq_f64_e32 vcc, v[134:135], v[16:17]
	v_cmp_class_f64_e64 s[6:7], v[134:135], s36
	s_or_b64 s[6:7], vcc, s[6:7]
	v_mov_b64_e32 v[14:15], v[12:13]
	s_and_saveexec_b64 s[8:9], s[6:7]
	s_cbranch_execz .LBB30_245
; %bb.244:
	s_mov_b32 s6, 0x652b82fe
	v_add_f64 v[14:15], v[134:135], -v[16:17]
	s_mov_b32 s7, 0x3ff71547
	v_mul_f64 v[134:135], v[14:15], s[6:7]
	v_rndne_f64_e32 v[134:135], v[134:135]
	s_mov_b32 s11, 0xbfe62e42
	s_mov_b32 s10, 0xfefa39ef
	v_fma_f64 v[144:145], s[10:11], v[134:135], v[14:15]
	s_mov_b32 s13, 0xbc7abc9e
	s_mov_b32 s12, 0x3b39803f
	;; [unrolled: 1-line block ×3, first 2 shown]
	v_fmac_f64_e32 v[144:145], s[12:13], v[134:135]
	v_mov_b32_e32 v146, 0xfca7ab0c
	v_mov_b32_e32 v147, 0x3e928af3
	s_mov_b32 s7, 0x3e5ade15
	v_fmac_f64_e32 v[146:147], s[6:7], v[144:145]
	v_mov_b32_e32 v148, 0x623fde64
	v_mov_b32_e32 v149, 0x3ec71dee
	v_fmac_f64_e32 v[148:149], v[144:145], v[146:147]
	v_mov_b32_e32 v146, 0x7c89e6b0
	v_mov_b32_e32 v147, 0x3efa0199
	v_fmac_f64_e32 v[146:147], v[144:145], v[148:149]
	v_mov_b32_e32 v148, 0x14761f6e
	v_mov_b32_e32 v149, 0x3f2a01a0
	v_fmac_f64_e32 v[148:149], v[144:145], v[146:147]
	v_mov_b32_e32 v146, 0x1852b7b0
	v_mov_b32_e32 v147, 0x3f56c16c
	v_fmac_f64_e32 v[146:147], v[144:145], v[148:149]
	v_mov_b32_e32 v148, 0x11122322
	v_mov_b32_e32 v149, 0x3f811111
	v_fmac_f64_e32 v[148:149], v[144:145], v[146:147]
	v_mov_b32_e32 v146, 0x555502a1
	v_mov_b32_e32 v147, 0x3fa55555
	v_fmac_f64_e32 v[146:147], v[144:145], v[148:149]
	v_mov_b32_e32 v148, 0x55555511
	v_mov_b32_e32 v149, 0x3fc55555
	v_fmac_f64_e32 v[148:149], v[144:145], v[146:147]
	v_mov_b32_e32 v146, 11
	v_mov_b32_e32 v147, 0x3fe00000
	s_mov_b32 s6, 0
	v_fmac_f64_e32 v[146:147], v[144:145], v[148:149]
	s_mov_b32 s7, 0x40900000
	v_fma_f64 v[146:147], v[144:145], v[146:147], 1.0
	v_cmp_nlt_f64_e32 vcc, s[6:7], v[14:15]
	s_mov_b32 s6, 0
	v_fma_f64 v[144:145], v[144:145], v[146:147], 1.0
	v_cvt_i32_f64_e32 v53, v[134:135]
	s_mov_b32 s7, 0xc090cc00
	v_ldexp_f64 v[134:135], v[144:145], v53
	v_mov_b32_e32 v53, 0x7ff00000
	v_cmp_ngt_f64_e64 s[6:7], s[6:7], v[14:15]
	v_cndmask_b32_e32 v53, v53, v135, vcc
	s_and_b64 vcc, s[6:7], vcc
	v_cndmask_b32_e64 v15, 0, v53, s[6:7]
	v_cndmask_b32_e32 v14, 0, v134, vcc
	v_add_f64 v[134:135], v[14:15], 1.0
	v_add_f64 v[144:145], v[134:135], -1.0
	v_add_f64 v[146:147], v[144:145], -v[134:135]
	v_add_f64 v[146:147], v[146:147], 1.0
	v_add_f64 v[144:145], v[14:15], -v[144:145]
	s_mov_b32 s6, 0x55555555
	v_add_f64 v[144:145], v[144:145], v[146:147]
	v_frexp_mant_f64_e32 v[146:147], v[134:135]
	s_mov_b32 s7, 0x3fe55555
	v_frexp_exp_i32_f64_e32 v53, v[134:135]
	v_cmp_gt_f64_e32 vcc, s[6:7], v[146:147]
	s_mov_b32 s6, 0xbf559e2b
	s_mov_b32 s7, 0x3fc3ab76
	v_subbrev_co_u32_e32 v53, vcc, 0, v53, vcc
	v_sub_u32_e32 v71, 0, v53
	v_ldexp_f64 v[134:135], v[134:135], v71
	v_add_f64 v[146:147], v[134:135], -1.0
	v_add_f64 v[160:161], v[134:135], 1.0
	v_add_f64 v[148:149], v[146:147], 1.0
	v_add_f64 v[162:163], v[160:161], -1.0
	v_ldexp_f64 v[144:145], v[144:145], v71
	v_add_f64 v[148:149], v[134:135], -v[148:149]
	v_add_f64 v[134:135], v[134:135], -v[162:163]
	v_add_f64 v[134:135], v[144:145], v[134:135]
	v_add_f64 v[148:149], v[144:145], v[148:149]
	;; [unrolled: 1-line block ×3, first 2 shown]
	v_rcp_f64_e32 v[162:163], v[144:145]
	v_add_f64 v[150:151], v[146:147], v[148:149]
	v_add_f64 v[146:147], v[150:151], -v[146:147]
	v_add_f64 v[146:147], v[148:149], -v[146:147]
	;; [unrolled: 1-line block ×4, first 2 shown]
	v_fma_f64 v[148:149], -v[144:145], v[162:163], 1.0
	v_fmac_f64_e32 v[162:163], v[148:149], v[162:163]
	v_fma_f64 v[148:149], -v[144:145], v[162:163], 1.0
	v_fmac_f64_e32 v[162:163], v[148:149], v[162:163]
	v_mul_f64 v[148:149], v[150:151], v[162:163]
	v_mul_f64 v[160:161], v[144:145], v[148:149]
	v_fma_f64 v[164:165], v[148:149], v[144:145], -v[160:161]
	v_fmac_f64_e32 v[164:165], v[148:149], v[134:135]
	v_add_f64 v[166:167], v[160:161], v[164:165]
	v_add_f64 v[176:177], v[150:151], -v[166:167]
	v_add_f64 v[150:151], v[150:151], -v[176:177]
	;; [unrolled: 1-line block ×4, first 2 shown]
	v_add_f64 v[146:147], v[146:147], v[150:151]
	v_add_f64 v[150:151], v[160:161], -v[164:165]
	v_add_f64 v[146:147], v[150:151], v[146:147]
	v_add_f64 v[150:151], v[176:177], v[146:147]
	v_add_f64 v[160:161], v[176:177], -v[150:151]
	v_add_f64 v[146:147], v[146:147], v[160:161]
	v_mul_f64 v[160:161], v[162:163], v[150:151]
	v_mul_f64 v[164:165], v[144:145], v[160:161]
	v_fma_f64 v[144:145], v[160:161], v[144:145], -v[164:165]
	v_fmac_f64_e32 v[144:145], v[160:161], v[134:135]
	v_add_f64 v[134:135], v[164:165], v[144:145]
	v_add_f64 v[166:167], v[150:151], -v[134:135]
	v_add_f64 v[150:151], v[150:151], -v[166:167]
	;; [unrolled: 1-line block ×4, first 2 shown]
	v_add_f64 v[134:135], v[146:147], v[134:135]
	v_add_f64 v[144:145], v[164:165], -v[144:145]
	v_add_f64 v[134:135], v[144:145], v[134:135]
	v_add_f64 v[144:145], v[148:149], v[160:161]
	;; [unrolled: 1-line block ×3, first 2 shown]
	v_add_f64 v[146:147], v[144:145], -v[148:149]
	v_mul_f64 v[134:135], v[162:163], v[134:135]
	v_add_f64 v[146:147], v[160:161], -v[146:147]
	v_add_f64 v[134:135], v[146:147], v[134:135]
	v_add_f64 v[146:147], v[144:145], v[134:135]
	v_add_f64 v[144:145], v[146:147], -v[144:145]
	v_add_f64 v[134:135], v[134:135], -v[144:145]
	v_mul_f64 v[144:145], v[146:147], v[146:147]
	v_mov_b32_e32 v148, 0x6b47b09a
	v_mov_b32_e32 v149, 0x3fc38538
	v_fmac_f64_e32 v[148:149], s[6:7], v[144:145]
	v_mov_b32_e32 v150, 0xd7f4df2e
	v_mov_b32_e32 v151, 0x3fc7474d
	v_fmac_f64_e32 v[150:151], v[144:145], v[148:149]
	;; [unrolled: 3-line block ×6, first 2 shown]
	v_cvt_f64_i32_e32 v[148:149], v53
	s_mov_b32 s11, 0x3fe62e42
	v_mul_f64 v[160:161], v[148:149], s[10:11]
	v_fma_f64 v[162:163], v[148:149], s[10:11], -v[160:161]
	s_mov_b32 s13, 0x3c7abc9e
	v_fmac_f64_e32 v[162:163], s[12:13], v[148:149]
	v_add_f64 v[148:149], v[160:161], v[162:163]
	v_add_f64 v[160:161], v[148:149], -v[160:161]
	v_mul_f64 v[144:145], v[146:147], v[144:145]
	v_add_f64 v[160:161], v[162:163], -v[160:161]
	v_ldexp_f64 v[162:163], v[146:147], 1
	v_mul_f64 v[144:145], v[144:145], v[150:151]
	v_add_f64 v[146:147], v[162:163], v[144:145]
	v_add_f64 v[150:151], v[146:147], -v[162:163]
	v_ldexp_f64 v[134:135], v[134:135], 1
	v_add_f64 v[144:145], v[144:145], -v[150:151]
	v_add_f64 v[134:135], v[134:135], v[144:145]
	v_add_f64 v[144:145], v[146:147], v[134:135]
	v_add_f64 v[146:147], v[144:145], -v[146:147]
	v_add_f64 v[134:135], v[134:135], -v[146:147]
	v_add_f64 v[146:147], v[148:149], v[144:145]
	v_add_f64 v[150:151], v[146:147], -v[148:149]
	v_add_f64 v[162:163], v[146:147], -v[150:151]
	;; [unrolled: 1-line block ×4, first 2 shown]
	v_add_f64 v[144:145], v[144:145], v[148:149]
	v_add_f64 v[148:149], v[160:161], v[134:135]
	v_add_f64 v[150:151], v[148:149], -v[160:161]
	v_add_f64 v[144:145], v[148:149], v[144:145]
	v_add_f64 v[162:163], v[148:149], -v[150:151]
	;; [unrolled: 2-line block ×3, first 2 shown]
	v_add_f64 v[134:135], v[134:135], -v[150:151]
	v_add_f64 v[146:147], v[148:149], -v[146:147]
	v_add_f64 v[134:135], v[134:135], v[160:161]
	v_add_f64 v[144:145], v[144:145], -v[146:147]
	s_mov_b32 s6, 0
	v_add_f64 v[134:135], v[134:135], v[144:145]
	s_mov_b32 s7, 0x7ff00000
	v_add_f64 v[134:135], v[148:149], v[134:135]
	v_cmp_eq_f64_e32 vcc, s[6:7], v[14:15]
	s_nop 1
	v_cndmask_b32_e32 v53, v134, v14, vcc
	v_cndmask_b32_e32 v71, v135, v15, vcc
	v_mov_b32_e32 v134, 0x7ff80000
	v_cmp_ngt_f64_e32 vcc, -1.0, v[14:15]
	s_nop 1
	v_cndmask_b32_e32 v71, v134, v71, vcc
	v_cmp_nge_f64_e32 vcc, -1.0, v[14:15]
	s_nop 1
	v_cndmask_b32_e32 v134, 0, v53, vcc
	v_mov_b32_e32 v53, 0xfff00000
	v_cmp_neq_f64_e32 vcc, -1.0, v[14:15]
	s_nop 1
	v_cndmask_b32_e32 v135, v53, v71, vcc
	v_add_f64 v[14:15], v[16:17], v[134:135]
.LBB30_245:
	s_or_b64 exec, exec, s[8:9]
	v_max_f64 v[16:17], v[14:15], v[14:15]
	v_min_f64 v[134:135], v[16:17], v[18:19]
	v_cmp_u_f64_e32 vcc, v[14:15], v[14:15]
	v_max_f64 v[16:17], v[16:17], v[18:19]
	s_movk_i32 s14, 0x1f8
	v_cndmask_b32_e32 v53, v134, v14, vcc
	v_cndmask_b32_e32 v71, v135, v15, vcc
	v_cndmask_b32_e32 v16, v16, v14, vcc
	v_cndmask_b32_e32 v17, v17, v15, vcc
	v_cndmask_b32_e64 v135, v71, v97, s[16:17]
	v_cndmask_b32_e64 v134, v53, v96, s[16:17]
	;; [unrolled: 1-line block ×4, first 2 shown]
	v_cmp_neq_f64_e32 vcc, v[134:135], v[18:19]
	v_cmp_class_f64_e64 s[6:7], v[134:135], s14
	s_or_b64 s[6:7], vcc, s[6:7]
	v_mov_b64_e32 v[16:17], v[14:15]
	s_and_saveexec_b64 s[8:9], s[6:7]
	s_cbranch_execz .LBB30_247
; %bb.246:
	s_mov_b32 s6, 0x652b82fe
	v_add_f64 v[16:17], v[134:135], -v[18:19]
	s_mov_b32 s7, 0x3ff71547
	v_mul_f64 v[134:135], v[16:17], s[6:7]
	v_rndne_f64_e32 v[134:135], v[134:135]
	s_mov_b32 s11, 0xbfe62e42
	s_mov_b32 s10, 0xfefa39ef
	v_fma_f64 v[144:145], s[10:11], v[134:135], v[16:17]
	s_mov_b32 s13, 0xbc7abc9e
	s_mov_b32 s12, 0x3b39803f
	;; [unrolled: 1-line block ×3, first 2 shown]
	v_fmac_f64_e32 v[144:145], s[12:13], v[134:135]
	v_mov_b32_e32 v146, 0xfca7ab0c
	v_mov_b32_e32 v147, 0x3e928af3
	s_mov_b32 s7, 0x3e5ade15
	v_fmac_f64_e32 v[146:147], s[6:7], v[144:145]
	v_mov_b32_e32 v148, 0x623fde64
	v_mov_b32_e32 v149, 0x3ec71dee
	v_fmac_f64_e32 v[148:149], v[144:145], v[146:147]
	v_mov_b32_e32 v146, 0x7c89e6b0
	v_mov_b32_e32 v147, 0x3efa0199
	;; [unrolled: 3-line block ×8, first 2 shown]
	s_mov_b32 s6, 0
	v_fmac_f64_e32 v[146:147], v[144:145], v[148:149]
	s_mov_b32 s7, 0x40900000
	v_fma_f64 v[146:147], v[144:145], v[146:147], 1.0
	v_cmp_nlt_f64_e32 vcc, s[6:7], v[16:17]
	s_mov_b32 s6, 0
	v_fma_f64 v[144:145], v[144:145], v[146:147], 1.0
	v_cvt_i32_f64_e32 v53, v[134:135]
	s_mov_b32 s7, 0xc090cc00
	v_ldexp_f64 v[134:135], v[144:145], v53
	v_mov_b32_e32 v53, 0x7ff00000
	v_cmp_ngt_f64_e64 s[6:7], s[6:7], v[16:17]
	v_cndmask_b32_e32 v53, v53, v135, vcc
	s_and_b64 vcc, s[6:7], vcc
	v_cndmask_b32_e64 v17, 0, v53, s[6:7]
	v_cndmask_b32_e32 v16, 0, v134, vcc
	v_add_f64 v[134:135], v[16:17], 1.0
	v_add_f64 v[144:145], v[134:135], -1.0
	v_add_f64 v[146:147], v[144:145], -v[134:135]
	v_add_f64 v[146:147], v[146:147], 1.0
	v_add_f64 v[144:145], v[16:17], -v[144:145]
	s_mov_b32 s6, 0x55555555
	v_add_f64 v[144:145], v[144:145], v[146:147]
	v_frexp_mant_f64_e32 v[146:147], v[134:135]
	s_mov_b32 s7, 0x3fe55555
	v_frexp_exp_i32_f64_e32 v53, v[134:135]
	v_cmp_gt_f64_e32 vcc, s[6:7], v[146:147]
	s_mov_b32 s6, 0xbf559e2b
	s_mov_b32 s7, 0x3fc3ab76
	v_subbrev_co_u32_e32 v53, vcc, 0, v53, vcc
	v_sub_u32_e32 v71, 0, v53
	v_ldexp_f64 v[134:135], v[134:135], v71
	v_add_f64 v[146:147], v[134:135], -1.0
	v_add_f64 v[160:161], v[134:135], 1.0
	v_add_f64 v[148:149], v[146:147], 1.0
	v_add_f64 v[162:163], v[160:161], -1.0
	v_ldexp_f64 v[144:145], v[144:145], v71
	v_add_f64 v[148:149], v[134:135], -v[148:149]
	v_add_f64 v[134:135], v[134:135], -v[162:163]
	v_add_f64 v[134:135], v[144:145], v[134:135]
	v_add_f64 v[148:149], v[144:145], v[148:149]
	;; [unrolled: 1-line block ×3, first 2 shown]
	v_rcp_f64_e32 v[162:163], v[144:145]
	v_add_f64 v[150:151], v[146:147], v[148:149]
	v_add_f64 v[146:147], v[150:151], -v[146:147]
	v_add_f64 v[146:147], v[148:149], -v[146:147]
	;; [unrolled: 1-line block ×4, first 2 shown]
	v_fma_f64 v[148:149], -v[144:145], v[162:163], 1.0
	v_fmac_f64_e32 v[162:163], v[148:149], v[162:163]
	v_fma_f64 v[148:149], -v[144:145], v[162:163], 1.0
	v_fmac_f64_e32 v[162:163], v[148:149], v[162:163]
	v_mul_f64 v[148:149], v[150:151], v[162:163]
	v_mul_f64 v[160:161], v[144:145], v[148:149]
	v_fma_f64 v[164:165], v[148:149], v[144:145], -v[160:161]
	v_fmac_f64_e32 v[164:165], v[148:149], v[134:135]
	v_add_f64 v[166:167], v[160:161], v[164:165]
	v_add_f64 v[176:177], v[150:151], -v[166:167]
	v_add_f64 v[150:151], v[150:151], -v[176:177]
	;; [unrolled: 1-line block ×4, first 2 shown]
	v_add_f64 v[146:147], v[146:147], v[150:151]
	v_add_f64 v[150:151], v[160:161], -v[164:165]
	v_add_f64 v[146:147], v[150:151], v[146:147]
	v_add_f64 v[150:151], v[176:177], v[146:147]
	v_add_f64 v[160:161], v[176:177], -v[150:151]
	v_add_f64 v[146:147], v[146:147], v[160:161]
	v_mul_f64 v[160:161], v[162:163], v[150:151]
	v_mul_f64 v[164:165], v[144:145], v[160:161]
	v_fma_f64 v[144:145], v[160:161], v[144:145], -v[164:165]
	v_fmac_f64_e32 v[144:145], v[160:161], v[134:135]
	v_add_f64 v[134:135], v[164:165], v[144:145]
	v_add_f64 v[166:167], v[150:151], -v[134:135]
	v_add_f64 v[150:151], v[150:151], -v[166:167]
	;; [unrolled: 1-line block ×4, first 2 shown]
	v_add_f64 v[134:135], v[146:147], v[134:135]
	v_add_f64 v[144:145], v[164:165], -v[144:145]
	v_add_f64 v[134:135], v[144:145], v[134:135]
	v_add_f64 v[144:145], v[148:149], v[160:161]
	;; [unrolled: 1-line block ×3, first 2 shown]
	v_add_f64 v[146:147], v[144:145], -v[148:149]
	v_mul_f64 v[134:135], v[162:163], v[134:135]
	v_add_f64 v[146:147], v[160:161], -v[146:147]
	v_add_f64 v[134:135], v[146:147], v[134:135]
	v_add_f64 v[146:147], v[144:145], v[134:135]
	v_add_f64 v[144:145], v[146:147], -v[144:145]
	v_add_f64 v[134:135], v[134:135], -v[144:145]
	v_mul_f64 v[144:145], v[146:147], v[146:147]
	v_mov_b32_e32 v148, 0x6b47b09a
	v_mov_b32_e32 v149, 0x3fc38538
	v_fmac_f64_e32 v[148:149], s[6:7], v[144:145]
	v_mov_b32_e32 v150, 0xd7f4df2e
	v_mov_b32_e32 v151, 0x3fc7474d
	v_fmac_f64_e32 v[150:151], v[144:145], v[148:149]
	;; [unrolled: 3-line block ×6, first 2 shown]
	v_cvt_f64_i32_e32 v[148:149], v53
	s_mov_b32 s11, 0x3fe62e42
	v_mul_f64 v[160:161], v[148:149], s[10:11]
	v_fma_f64 v[162:163], v[148:149], s[10:11], -v[160:161]
	s_mov_b32 s13, 0x3c7abc9e
	v_fmac_f64_e32 v[162:163], s[12:13], v[148:149]
	v_add_f64 v[148:149], v[160:161], v[162:163]
	v_add_f64 v[160:161], v[148:149], -v[160:161]
	v_mul_f64 v[144:145], v[146:147], v[144:145]
	v_add_f64 v[160:161], v[162:163], -v[160:161]
	v_ldexp_f64 v[162:163], v[146:147], 1
	v_mul_f64 v[144:145], v[144:145], v[150:151]
	v_add_f64 v[146:147], v[162:163], v[144:145]
	v_add_f64 v[150:151], v[146:147], -v[162:163]
	v_ldexp_f64 v[134:135], v[134:135], 1
	v_add_f64 v[144:145], v[144:145], -v[150:151]
	v_add_f64 v[134:135], v[134:135], v[144:145]
	v_add_f64 v[144:145], v[146:147], v[134:135]
	v_add_f64 v[146:147], v[144:145], -v[146:147]
	v_add_f64 v[134:135], v[134:135], -v[146:147]
	v_add_f64 v[146:147], v[148:149], v[144:145]
	v_add_f64 v[150:151], v[146:147], -v[148:149]
	v_add_f64 v[162:163], v[146:147], -v[150:151]
	;; [unrolled: 1-line block ×4, first 2 shown]
	v_add_f64 v[144:145], v[144:145], v[148:149]
	v_add_f64 v[148:149], v[160:161], v[134:135]
	v_add_f64 v[150:151], v[148:149], -v[160:161]
	v_add_f64 v[144:145], v[148:149], v[144:145]
	v_add_f64 v[162:163], v[148:149], -v[150:151]
	;; [unrolled: 2-line block ×3, first 2 shown]
	v_add_f64 v[134:135], v[134:135], -v[150:151]
	v_add_f64 v[146:147], v[148:149], -v[146:147]
	v_add_f64 v[134:135], v[134:135], v[160:161]
	v_add_f64 v[144:145], v[144:145], -v[146:147]
	s_mov_b32 s6, 0
	v_add_f64 v[134:135], v[134:135], v[144:145]
	s_mov_b32 s7, 0x7ff00000
	v_add_f64 v[134:135], v[148:149], v[134:135]
	v_cmp_eq_f64_e32 vcc, s[6:7], v[16:17]
	s_nop 1
	v_cndmask_b32_e32 v53, v134, v16, vcc
	v_cndmask_b32_e32 v71, v135, v17, vcc
	v_mov_b32_e32 v134, 0x7ff80000
	v_cmp_ngt_f64_e32 vcc, -1.0, v[16:17]
	s_nop 1
	v_cndmask_b32_e32 v71, v134, v71, vcc
	v_cmp_nge_f64_e32 vcc, -1.0, v[16:17]
	s_nop 1
	v_cndmask_b32_e32 v134, 0, v53, vcc
	v_mov_b32_e32 v53, 0xfff00000
	v_cmp_neq_f64_e32 vcc, -1.0, v[16:17]
	s_nop 1
	v_cndmask_b32_e32 v135, v53, v71, vcc
	v_add_f64 v[16:17], v[18:19], v[134:135]
.LBB30_247:
	s_or_b64 exec, exec, s[8:9]
	v_max_f64 v[18:19], v[16:17], v[16:17]
	v_min_f64 v[134:135], v[18:19], v[20:21]
	v_cmp_u_f64_e32 vcc, v[16:17], v[16:17]
	v_max_f64 v[18:19], v[18:19], v[20:21]
	s_nop 0
	v_cndmask_b32_e32 v53, v134, v16, vcc
	v_cndmask_b32_e32 v71, v135, v17, vcc
	v_cndmask_b32_e32 v18, v18, v16, vcc
	v_cndmask_b32_e32 v19, v19, v17, vcc
	v_cndmask_b32_e64 v135, v71, v99, s[18:19]
	v_cndmask_b32_e64 v134, v53, v98, s[18:19]
	;; [unrolled: 1-line block ×4, first 2 shown]
	v_cmp_neq_f64_e32 vcc, v[134:135], v[20:21]
	v_cmp_class_f64_e64 s[6:7], v[134:135], s14
	s_or_b64 s[6:7], vcc, s[6:7]
	v_mov_b64_e32 v[18:19], v[16:17]
	s_and_saveexec_b64 s[8:9], s[6:7]
	s_cbranch_execz .LBB30_249
; %bb.248:
	s_mov_b32 s6, 0x652b82fe
	v_add_f64 v[18:19], v[134:135], -v[20:21]
	s_mov_b32 s7, 0x3ff71547
	v_mul_f64 v[134:135], v[18:19], s[6:7]
	v_rndne_f64_e32 v[134:135], v[134:135]
	s_mov_b32 s11, 0xbfe62e42
	s_mov_b32 s10, 0xfefa39ef
	v_fma_f64 v[144:145], s[10:11], v[134:135], v[18:19]
	s_mov_b32 s13, 0xbc7abc9e
	s_mov_b32 s12, 0x3b39803f
	;; [unrolled: 1-line block ×3, first 2 shown]
	v_fmac_f64_e32 v[144:145], s[12:13], v[134:135]
	v_mov_b32_e32 v146, 0xfca7ab0c
	v_mov_b32_e32 v147, 0x3e928af3
	s_mov_b32 s7, 0x3e5ade15
	v_fmac_f64_e32 v[146:147], s[6:7], v[144:145]
	v_mov_b32_e32 v148, 0x623fde64
	v_mov_b32_e32 v149, 0x3ec71dee
	v_fmac_f64_e32 v[148:149], v[144:145], v[146:147]
	v_mov_b32_e32 v146, 0x7c89e6b0
	v_mov_b32_e32 v147, 0x3efa0199
	v_fmac_f64_e32 v[146:147], v[144:145], v[148:149]
	v_mov_b32_e32 v148, 0x14761f6e
	v_mov_b32_e32 v149, 0x3f2a01a0
	v_fmac_f64_e32 v[148:149], v[144:145], v[146:147]
	v_mov_b32_e32 v146, 0x1852b7b0
	v_mov_b32_e32 v147, 0x3f56c16c
	v_fmac_f64_e32 v[146:147], v[144:145], v[148:149]
	v_mov_b32_e32 v148, 0x11122322
	v_mov_b32_e32 v149, 0x3f811111
	v_fmac_f64_e32 v[148:149], v[144:145], v[146:147]
	v_mov_b32_e32 v146, 0x555502a1
	v_mov_b32_e32 v147, 0x3fa55555
	v_fmac_f64_e32 v[146:147], v[144:145], v[148:149]
	v_mov_b32_e32 v148, 0x55555511
	v_mov_b32_e32 v149, 0x3fc55555
	v_fmac_f64_e32 v[148:149], v[144:145], v[146:147]
	v_mov_b32_e32 v146, 11
	v_mov_b32_e32 v147, 0x3fe00000
	s_mov_b32 s6, 0
	v_fmac_f64_e32 v[146:147], v[144:145], v[148:149]
	s_mov_b32 s7, 0x40900000
	v_fma_f64 v[146:147], v[144:145], v[146:147], 1.0
	v_cmp_nlt_f64_e32 vcc, s[6:7], v[18:19]
	s_mov_b32 s6, 0
	v_fma_f64 v[144:145], v[144:145], v[146:147], 1.0
	v_cvt_i32_f64_e32 v53, v[134:135]
	s_mov_b32 s7, 0xc090cc00
	v_ldexp_f64 v[134:135], v[144:145], v53
	v_mov_b32_e32 v53, 0x7ff00000
	v_cmp_ngt_f64_e64 s[6:7], s[6:7], v[18:19]
	v_cndmask_b32_e32 v53, v53, v135, vcc
	s_and_b64 vcc, s[6:7], vcc
	v_cndmask_b32_e64 v19, 0, v53, s[6:7]
	v_cndmask_b32_e32 v18, 0, v134, vcc
	v_add_f64 v[134:135], v[18:19], 1.0
	v_add_f64 v[144:145], v[134:135], -1.0
	v_add_f64 v[146:147], v[144:145], -v[134:135]
	v_add_f64 v[146:147], v[146:147], 1.0
	v_add_f64 v[144:145], v[18:19], -v[144:145]
	s_mov_b32 s6, 0x55555555
	v_add_f64 v[144:145], v[144:145], v[146:147]
	v_frexp_mant_f64_e32 v[146:147], v[134:135]
	s_mov_b32 s7, 0x3fe55555
	v_frexp_exp_i32_f64_e32 v53, v[134:135]
	v_cmp_gt_f64_e32 vcc, s[6:7], v[146:147]
	s_mov_b32 s6, 0xbf559e2b
	s_mov_b32 s7, 0x3fc3ab76
	v_subbrev_co_u32_e32 v53, vcc, 0, v53, vcc
	v_sub_u32_e32 v71, 0, v53
	v_ldexp_f64 v[134:135], v[134:135], v71
	v_add_f64 v[146:147], v[134:135], -1.0
	v_add_f64 v[160:161], v[134:135], 1.0
	v_add_f64 v[148:149], v[146:147], 1.0
	v_add_f64 v[162:163], v[160:161], -1.0
	v_ldexp_f64 v[144:145], v[144:145], v71
	v_add_f64 v[148:149], v[134:135], -v[148:149]
	v_add_f64 v[134:135], v[134:135], -v[162:163]
	v_add_f64 v[134:135], v[144:145], v[134:135]
	v_add_f64 v[148:149], v[144:145], v[148:149]
	;; [unrolled: 1-line block ×3, first 2 shown]
	v_rcp_f64_e32 v[162:163], v[144:145]
	v_add_f64 v[150:151], v[146:147], v[148:149]
	v_add_f64 v[146:147], v[150:151], -v[146:147]
	v_add_f64 v[146:147], v[148:149], -v[146:147]
	;; [unrolled: 1-line block ×4, first 2 shown]
	v_fma_f64 v[148:149], -v[144:145], v[162:163], 1.0
	v_fmac_f64_e32 v[162:163], v[148:149], v[162:163]
	v_fma_f64 v[148:149], -v[144:145], v[162:163], 1.0
	v_fmac_f64_e32 v[162:163], v[148:149], v[162:163]
	v_mul_f64 v[148:149], v[150:151], v[162:163]
	v_mul_f64 v[160:161], v[144:145], v[148:149]
	v_fma_f64 v[164:165], v[148:149], v[144:145], -v[160:161]
	v_fmac_f64_e32 v[164:165], v[148:149], v[134:135]
	v_add_f64 v[166:167], v[160:161], v[164:165]
	v_add_f64 v[176:177], v[150:151], -v[166:167]
	v_add_f64 v[150:151], v[150:151], -v[176:177]
	;; [unrolled: 1-line block ×4, first 2 shown]
	v_add_f64 v[146:147], v[146:147], v[150:151]
	v_add_f64 v[150:151], v[160:161], -v[164:165]
	v_add_f64 v[146:147], v[150:151], v[146:147]
	v_add_f64 v[150:151], v[176:177], v[146:147]
	v_add_f64 v[160:161], v[176:177], -v[150:151]
	v_add_f64 v[146:147], v[146:147], v[160:161]
	v_mul_f64 v[160:161], v[162:163], v[150:151]
	v_mul_f64 v[164:165], v[144:145], v[160:161]
	v_fma_f64 v[144:145], v[160:161], v[144:145], -v[164:165]
	v_fmac_f64_e32 v[144:145], v[160:161], v[134:135]
	v_add_f64 v[134:135], v[164:165], v[144:145]
	v_add_f64 v[166:167], v[150:151], -v[134:135]
	v_add_f64 v[150:151], v[150:151], -v[166:167]
	;; [unrolled: 1-line block ×4, first 2 shown]
	v_add_f64 v[134:135], v[146:147], v[134:135]
	v_add_f64 v[144:145], v[164:165], -v[144:145]
	v_add_f64 v[134:135], v[144:145], v[134:135]
	v_add_f64 v[144:145], v[148:149], v[160:161]
	;; [unrolled: 1-line block ×3, first 2 shown]
	v_add_f64 v[146:147], v[144:145], -v[148:149]
	v_mul_f64 v[134:135], v[162:163], v[134:135]
	v_add_f64 v[146:147], v[160:161], -v[146:147]
	v_add_f64 v[134:135], v[146:147], v[134:135]
	v_add_f64 v[146:147], v[144:145], v[134:135]
	v_add_f64 v[144:145], v[146:147], -v[144:145]
	v_add_f64 v[134:135], v[134:135], -v[144:145]
	v_mul_f64 v[144:145], v[146:147], v[146:147]
	v_mov_b32_e32 v148, 0x6b47b09a
	v_mov_b32_e32 v149, 0x3fc38538
	v_fmac_f64_e32 v[148:149], s[6:7], v[144:145]
	v_mov_b32_e32 v150, 0xd7f4df2e
	v_mov_b32_e32 v151, 0x3fc7474d
	v_fmac_f64_e32 v[150:151], v[144:145], v[148:149]
	;; [unrolled: 3-line block ×6, first 2 shown]
	v_cvt_f64_i32_e32 v[148:149], v53
	s_mov_b32 s11, 0x3fe62e42
	v_mul_f64 v[160:161], v[148:149], s[10:11]
	v_fma_f64 v[162:163], v[148:149], s[10:11], -v[160:161]
	s_mov_b32 s13, 0x3c7abc9e
	v_fmac_f64_e32 v[162:163], s[12:13], v[148:149]
	v_add_f64 v[148:149], v[160:161], v[162:163]
	v_add_f64 v[160:161], v[148:149], -v[160:161]
	v_mul_f64 v[144:145], v[146:147], v[144:145]
	v_add_f64 v[160:161], v[162:163], -v[160:161]
	v_ldexp_f64 v[162:163], v[146:147], 1
	v_mul_f64 v[144:145], v[144:145], v[150:151]
	v_add_f64 v[146:147], v[162:163], v[144:145]
	v_add_f64 v[150:151], v[146:147], -v[162:163]
	v_ldexp_f64 v[134:135], v[134:135], 1
	v_add_f64 v[144:145], v[144:145], -v[150:151]
	v_add_f64 v[134:135], v[134:135], v[144:145]
	v_add_f64 v[144:145], v[146:147], v[134:135]
	v_add_f64 v[146:147], v[144:145], -v[146:147]
	v_add_f64 v[134:135], v[134:135], -v[146:147]
	v_add_f64 v[146:147], v[148:149], v[144:145]
	v_add_f64 v[150:151], v[146:147], -v[148:149]
	v_add_f64 v[162:163], v[146:147], -v[150:151]
	;; [unrolled: 1-line block ×4, first 2 shown]
	v_add_f64 v[144:145], v[144:145], v[148:149]
	v_add_f64 v[148:149], v[160:161], v[134:135]
	v_add_f64 v[150:151], v[148:149], -v[160:161]
	v_add_f64 v[144:145], v[148:149], v[144:145]
	v_add_f64 v[162:163], v[148:149], -v[150:151]
	;; [unrolled: 2-line block ×3, first 2 shown]
	v_add_f64 v[134:135], v[134:135], -v[150:151]
	v_add_f64 v[146:147], v[148:149], -v[146:147]
	v_add_f64 v[134:135], v[134:135], v[160:161]
	v_add_f64 v[144:145], v[144:145], -v[146:147]
	s_mov_b32 s6, 0
	v_add_f64 v[134:135], v[134:135], v[144:145]
	s_mov_b32 s7, 0x7ff00000
	v_add_f64 v[134:135], v[148:149], v[134:135]
	v_cmp_eq_f64_e32 vcc, s[6:7], v[18:19]
	s_nop 1
	v_cndmask_b32_e32 v53, v134, v18, vcc
	v_cndmask_b32_e32 v71, v135, v19, vcc
	v_mov_b32_e32 v134, 0x7ff80000
	v_cmp_ngt_f64_e32 vcc, -1.0, v[18:19]
	s_nop 1
	v_cndmask_b32_e32 v71, v134, v71, vcc
	v_cmp_nge_f64_e32 vcc, -1.0, v[18:19]
	s_nop 1
	v_cndmask_b32_e32 v134, 0, v53, vcc
	v_mov_b32_e32 v53, 0xfff00000
	v_cmp_neq_f64_e32 vcc, -1.0, v[18:19]
	s_nop 1
	v_cndmask_b32_e32 v135, v53, v71, vcc
	v_add_f64 v[18:19], v[20:21], v[134:135]
.LBB30_249:
	s_or_b64 exec, exec, s[8:9]
	v_max_f64 v[20:21], v[18:19], v[18:19]
	v_min_f64 v[134:135], v[20:21], v[22:23]
	v_cmp_u_f64_e32 vcc, v[18:19], v[18:19]
	v_max_f64 v[20:21], v[20:21], v[22:23]
	s_nop 0
	v_cndmask_b32_e32 v53, v134, v18, vcc
	v_cndmask_b32_e32 v71, v135, v19, vcc
	;; [unrolled: 1-line block ×4, first 2 shown]
	v_cndmask_b32_e64 v135, v71, v85, s[20:21]
	v_cndmask_b32_e64 v134, v53, v84, s[20:21]
	;; [unrolled: 1-line block ×4, first 2 shown]
	v_cmp_neq_f64_e32 vcc, v[134:135], v[22:23]
	v_cmp_class_f64_e64 s[6:7], v[134:135], s14
	s_or_b64 s[6:7], vcc, s[6:7]
	v_mov_b64_e32 v[20:21], v[18:19]
	s_and_saveexec_b64 s[8:9], s[6:7]
	s_cbranch_execz .LBB30_251
; %bb.250:
	s_mov_b32 s6, 0x652b82fe
	v_add_f64 v[20:21], v[134:135], -v[22:23]
	s_mov_b32 s7, 0x3ff71547
	v_mul_f64 v[134:135], v[20:21], s[6:7]
	v_rndne_f64_e32 v[134:135], v[134:135]
	s_mov_b32 s11, 0xbfe62e42
	s_mov_b32 s10, 0xfefa39ef
	v_fma_f64 v[144:145], s[10:11], v[134:135], v[20:21]
	s_mov_b32 s13, 0xbc7abc9e
	s_mov_b32 s12, 0x3b39803f
	;; [unrolled: 1-line block ×3, first 2 shown]
	v_fmac_f64_e32 v[144:145], s[12:13], v[134:135]
	v_mov_b32_e32 v146, 0xfca7ab0c
	v_mov_b32_e32 v147, 0x3e928af3
	s_mov_b32 s7, 0x3e5ade15
	v_fmac_f64_e32 v[146:147], s[6:7], v[144:145]
	v_mov_b32_e32 v148, 0x623fde64
	v_mov_b32_e32 v149, 0x3ec71dee
	v_fmac_f64_e32 v[148:149], v[144:145], v[146:147]
	v_mov_b32_e32 v146, 0x7c89e6b0
	v_mov_b32_e32 v147, 0x3efa0199
	;; [unrolled: 3-line block ×8, first 2 shown]
	s_mov_b32 s6, 0
	v_fmac_f64_e32 v[146:147], v[144:145], v[148:149]
	s_mov_b32 s7, 0x40900000
	v_fma_f64 v[146:147], v[144:145], v[146:147], 1.0
	v_cmp_nlt_f64_e32 vcc, s[6:7], v[20:21]
	s_mov_b32 s6, 0
	v_fma_f64 v[144:145], v[144:145], v[146:147], 1.0
	v_cvt_i32_f64_e32 v53, v[134:135]
	s_mov_b32 s7, 0xc090cc00
	v_ldexp_f64 v[134:135], v[144:145], v53
	v_mov_b32_e32 v53, 0x7ff00000
	v_cmp_ngt_f64_e64 s[6:7], s[6:7], v[20:21]
	v_cndmask_b32_e32 v53, v53, v135, vcc
	s_and_b64 vcc, s[6:7], vcc
	v_cndmask_b32_e64 v21, 0, v53, s[6:7]
	v_cndmask_b32_e32 v20, 0, v134, vcc
	v_add_f64 v[134:135], v[20:21], 1.0
	v_add_f64 v[144:145], v[134:135], -1.0
	v_add_f64 v[146:147], v[144:145], -v[134:135]
	v_add_f64 v[146:147], v[146:147], 1.0
	v_add_f64 v[144:145], v[20:21], -v[144:145]
	s_mov_b32 s6, 0x55555555
	v_add_f64 v[144:145], v[144:145], v[146:147]
	v_frexp_mant_f64_e32 v[146:147], v[134:135]
	s_mov_b32 s7, 0x3fe55555
	v_frexp_exp_i32_f64_e32 v53, v[134:135]
	v_cmp_gt_f64_e32 vcc, s[6:7], v[146:147]
	s_mov_b32 s6, 0xbf559e2b
	s_mov_b32 s7, 0x3fc3ab76
	v_subbrev_co_u32_e32 v53, vcc, 0, v53, vcc
	v_sub_u32_e32 v71, 0, v53
	v_ldexp_f64 v[134:135], v[134:135], v71
	v_add_f64 v[146:147], v[134:135], -1.0
	v_add_f64 v[160:161], v[134:135], 1.0
	v_add_f64 v[148:149], v[146:147], 1.0
	v_add_f64 v[162:163], v[160:161], -1.0
	v_ldexp_f64 v[144:145], v[144:145], v71
	v_add_f64 v[148:149], v[134:135], -v[148:149]
	v_add_f64 v[134:135], v[134:135], -v[162:163]
	v_add_f64 v[134:135], v[144:145], v[134:135]
	v_add_f64 v[148:149], v[144:145], v[148:149]
	;; [unrolled: 1-line block ×3, first 2 shown]
	v_rcp_f64_e32 v[162:163], v[144:145]
	v_add_f64 v[150:151], v[146:147], v[148:149]
	v_add_f64 v[146:147], v[150:151], -v[146:147]
	v_add_f64 v[146:147], v[148:149], -v[146:147]
	;; [unrolled: 1-line block ×4, first 2 shown]
	v_fma_f64 v[148:149], -v[144:145], v[162:163], 1.0
	v_fmac_f64_e32 v[162:163], v[148:149], v[162:163]
	v_fma_f64 v[148:149], -v[144:145], v[162:163], 1.0
	v_fmac_f64_e32 v[162:163], v[148:149], v[162:163]
	v_mul_f64 v[148:149], v[150:151], v[162:163]
	v_mul_f64 v[160:161], v[144:145], v[148:149]
	v_fma_f64 v[164:165], v[148:149], v[144:145], -v[160:161]
	v_fmac_f64_e32 v[164:165], v[148:149], v[134:135]
	v_add_f64 v[166:167], v[160:161], v[164:165]
	v_add_f64 v[176:177], v[150:151], -v[166:167]
	v_add_f64 v[150:151], v[150:151], -v[176:177]
	;; [unrolled: 1-line block ×4, first 2 shown]
	v_add_f64 v[146:147], v[146:147], v[150:151]
	v_add_f64 v[150:151], v[160:161], -v[164:165]
	v_add_f64 v[146:147], v[150:151], v[146:147]
	v_add_f64 v[150:151], v[176:177], v[146:147]
	v_add_f64 v[160:161], v[176:177], -v[150:151]
	v_add_f64 v[146:147], v[146:147], v[160:161]
	v_mul_f64 v[160:161], v[162:163], v[150:151]
	v_mul_f64 v[164:165], v[144:145], v[160:161]
	v_fma_f64 v[144:145], v[160:161], v[144:145], -v[164:165]
	v_fmac_f64_e32 v[144:145], v[160:161], v[134:135]
	v_add_f64 v[134:135], v[164:165], v[144:145]
	v_add_f64 v[166:167], v[150:151], -v[134:135]
	v_add_f64 v[150:151], v[150:151], -v[166:167]
	;; [unrolled: 1-line block ×4, first 2 shown]
	v_add_f64 v[134:135], v[146:147], v[134:135]
	v_add_f64 v[144:145], v[164:165], -v[144:145]
	v_add_f64 v[134:135], v[144:145], v[134:135]
	v_add_f64 v[144:145], v[148:149], v[160:161]
	;; [unrolled: 1-line block ×3, first 2 shown]
	v_add_f64 v[146:147], v[144:145], -v[148:149]
	v_mul_f64 v[134:135], v[162:163], v[134:135]
	v_add_f64 v[146:147], v[160:161], -v[146:147]
	v_add_f64 v[134:135], v[146:147], v[134:135]
	v_add_f64 v[146:147], v[144:145], v[134:135]
	v_add_f64 v[144:145], v[146:147], -v[144:145]
	v_add_f64 v[134:135], v[134:135], -v[144:145]
	v_mul_f64 v[144:145], v[146:147], v[146:147]
	v_mov_b32_e32 v148, 0x6b47b09a
	v_mov_b32_e32 v149, 0x3fc38538
	v_fmac_f64_e32 v[148:149], s[6:7], v[144:145]
	v_mov_b32_e32 v150, 0xd7f4df2e
	v_mov_b32_e32 v151, 0x3fc7474d
	v_fmac_f64_e32 v[150:151], v[144:145], v[148:149]
	;; [unrolled: 3-line block ×6, first 2 shown]
	v_cvt_f64_i32_e32 v[148:149], v53
	s_mov_b32 s11, 0x3fe62e42
	v_mul_f64 v[160:161], v[148:149], s[10:11]
	v_fma_f64 v[162:163], v[148:149], s[10:11], -v[160:161]
	s_mov_b32 s13, 0x3c7abc9e
	v_fmac_f64_e32 v[162:163], s[12:13], v[148:149]
	v_add_f64 v[148:149], v[160:161], v[162:163]
	v_add_f64 v[160:161], v[148:149], -v[160:161]
	v_mul_f64 v[144:145], v[146:147], v[144:145]
	v_add_f64 v[160:161], v[162:163], -v[160:161]
	v_ldexp_f64 v[162:163], v[146:147], 1
	v_mul_f64 v[144:145], v[144:145], v[150:151]
	v_add_f64 v[146:147], v[162:163], v[144:145]
	v_add_f64 v[150:151], v[146:147], -v[162:163]
	v_ldexp_f64 v[134:135], v[134:135], 1
	v_add_f64 v[144:145], v[144:145], -v[150:151]
	v_add_f64 v[134:135], v[134:135], v[144:145]
	v_add_f64 v[144:145], v[146:147], v[134:135]
	v_add_f64 v[146:147], v[144:145], -v[146:147]
	v_add_f64 v[134:135], v[134:135], -v[146:147]
	v_add_f64 v[146:147], v[148:149], v[144:145]
	v_add_f64 v[150:151], v[146:147], -v[148:149]
	v_add_f64 v[162:163], v[146:147], -v[150:151]
	;; [unrolled: 1-line block ×4, first 2 shown]
	v_add_f64 v[144:145], v[144:145], v[148:149]
	v_add_f64 v[148:149], v[160:161], v[134:135]
	v_add_f64 v[150:151], v[148:149], -v[160:161]
	v_add_f64 v[144:145], v[148:149], v[144:145]
	v_add_f64 v[162:163], v[148:149], -v[150:151]
	;; [unrolled: 2-line block ×3, first 2 shown]
	v_add_f64 v[134:135], v[134:135], -v[150:151]
	v_add_f64 v[146:147], v[148:149], -v[146:147]
	v_add_f64 v[134:135], v[134:135], v[160:161]
	v_add_f64 v[144:145], v[144:145], -v[146:147]
	s_mov_b32 s6, 0
	v_add_f64 v[134:135], v[134:135], v[144:145]
	s_mov_b32 s7, 0x7ff00000
	v_add_f64 v[134:135], v[148:149], v[134:135]
	v_cmp_eq_f64_e32 vcc, s[6:7], v[20:21]
	s_nop 1
	v_cndmask_b32_e32 v53, v134, v20, vcc
	v_cndmask_b32_e32 v71, v135, v21, vcc
	v_mov_b32_e32 v134, 0x7ff80000
	v_cmp_ngt_f64_e32 vcc, -1.0, v[20:21]
	s_nop 1
	v_cndmask_b32_e32 v71, v134, v71, vcc
	v_cmp_nge_f64_e32 vcc, -1.0, v[20:21]
	s_nop 1
	v_cndmask_b32_e32 v134, 0, v53, vcc
	v_mov_b32_e32 v53, 0xfff00000
	v_cmp_neq_f64_e32 vcc, -1.0, v[20:21]
	s_nop 1
	v_cndmask_b32_e32 v135, v53, v71, vcc
	v_add_f64 v[20:21], v[22:23], v[134:135]
.LBB30_251:
	s_or_b64 exec, exec, s[8:9]
	v_max_f64 v[22:23], v[20:21], v[20:21]
	v_min_f64 v[134:135], v[22:23], v[24:25]
	v_cmp_u_f64_e32 vcc, v[20:21], v[20:21]
	v_max_f64 v[22:23], v[22:23], v[24:25]
	s_nop 0
	v_cndmask_b32_e32 v53, v134, v20, vcc
	v_cndmask_b32_e32 v71, v135, v21, vcc
	;; [unrolled: 1-line block ×4, first 2 shown]
	v_cndmask_b32_e64 v135, v71, v87, s[22:23]
	v_cndmask_b32_e64 v134, v53, v86, s[22:23]
	;; [unrolled: 1-line block ×4, first 2 shown]
	v_cmp_neq_f64_e32 vcc, v[134:135], v[24:25]
	v_cmp_class_f64_e64 s[6:7], v[134:135], s14
	s_or_b64 s[6:7], vcc, s[6:7]
	v_mov_b64_e32 v[22:23], v[20:21]
	s_and_saveexec_b64 s[8:9], s[6:7]
	s_cbranch_execz .LBB30_253
; %bb.252:
	s_mov_b32 s6, 0x652b82fe
	v_add_f64 v[22:23], v[134:135], -v[24:25]
	s_mov_b32 s7, 0x3ff71547
	v_mul_f64 v[134:135], v[22:23], s[6:7]
	v_rndne_f64_e32 v[134:135], v[134:135]
	s_mov_b32 s11, 0xbfe62e42
	s_mov_b32 s10, 0xfefa39ef
	v_fma_f64 v[144:145], s[10:11], v[134:135], v[22:23]
	s_mov_b32 s13, 0xbc7abc9e
	s_mov_b32 s12, 0x3b39803f
	;; [unrolled: 1-line block ×3, first 2 shown]
	v_fmac_f64_e32 v[144:145], s[12:13], v[134:135]
	v_mov_b32_e32 v146, 0xfca7ab0c
	v_mov_b32_e32 v147, 0x3e928af3
	s_mov_b32 s7, 0x3e5ade15
	v_fmac_f64_e32 v[146:147], s[6:7], v[144:145]
	v_mov_b32_e32 v148, 0x623fde64
	v_mov_b32_e32 v149, 0x3ec71dee
	v_fmac_f64_e32 v[148:149], v[144:145], v[146:147]
	v_mov_b32_e32 v146, 0x7c89e6b0
	v_mov_b32_e32 v147, 0x3efa0199
	;; [unrolled: 3-line block ×8, first 2 shown]
	s_mov_b32 s6, 0
	v_fmac_f64_e32 v[146:147], v[144:145], v[148:149]
	s_mov_b32 s7, 0x40900000
	v_fma_f64 v[146:147], v[144:145], v[146:147], 1.0
	v_cmp_nlt_f64_e32 vcc, s[6:7], v[22:23]
	s_mov_b32 s6, 0
	v_fma_f64 v[144:145], v[144:145], v[146:147], 1.0
	v_cvt_i32_f64_e32 v53, v[134:135]
	s_mov_b32 s7, 0xc090cc00
	v_ldexp_f64 v[134:135], v[144:145], v53
	v_mov_b32_e32 v53, 0x7ff00000
	v_cmp_ngt_f64_e64 s[6:7], s[6:7], v[22:23]
	v_cndmask_b32_e32 v53, v53, v135, vcc
	s_and_b64 vcc, s[6:7], vcc
	v_cndmask_b32_e64 v23, 0, v53, s[6:7]
	v_cndmask_b32_e32 v22, 0, v134, vcc
	v_add_f64 v[134:135], v[22:23], 1.0
	v_add_f64 v[144:145], v[134:135], -1.0
	v_add_f64 v[146:147], v[144:145], -v[134:135]
	v_add_f64 v[146:147], v[146:147], 1.0
	v_add_f64 v[144:145], v[22:23], -v[144:145]
	s_mov_b32 s6, 0x55555555
	v_add_f64 v[144:145], v[144:145], v[146:147]
	v_frexp_mant_f64_e32 v[146:147], v[134:135]
	s_mov_b32 s7, 0x3fe55555
	v_frexp_exp_i32_f64_e32 v53, v[134:135]
	v_cmp_gt_f64_e32 vcc, s[6:7], v[146:147]
	s_mov_b32 s6, 0xbf559e2b
	s_mov_b32 s7, 0x3fc3ab76
	v_subbrev_co_u32_e32 v53, vcc, 0, v53, vcc
	v_sub_u32_e32 v71, 0, v53
	v_ldexp_f64 v[134:135], v[134:135], v71
	v_add_f64 v[146:147], v[134:135], -1.0
	v_add_f64 v[160:161], v[134:135], 1.0
	v_add_f64 v[148:149], v[146:147], 1.0
	v_add_f64 v[162:163], v[160:161], -1.0
	v_ldexp_f64 v[144:145], v[144:145], v71
	v_add_f64 v[148:149], v[134:135], -v[148:149]
	v_add_f64 v[134:135], v[134:135], -v[162:163]
	v_add_f64 v[134:135], v[144:145], v[134:135]
	v_add_f64 v[148:149], v[144:145], v[148:149]
	;; [unrolled: 1-line block ×3, first 2 shown]
	v_rcp_f64_e32 v[162:163], v[144:145]
	v_add_f64 v[150:151], v[146:147], v[148:149]
	v_add_f64 v[146:147], v[150:151], -v[146:147]
	v_add_f64 v[146:147], v[148:149], -v[146:147]
	;; [unrolled: 1-line block ×4, first 2 shown]
	v_fma_f64 v[148:149], -v[144:145], v[162:163], 1.0
	v_fmac_f64_e32 v[162:163], v[148:149], v[162:163]
	v_fma_f64 v[148:149], -v[144:145], v[162:163], 1.0
	v_fmac_f64_e32 v[162:163], v[148:149], v[162:163]
	v_mul_f64 v[148:149], v[150:151], v[162:163]
	v_mul_f64 v[160:161], v[144:145], v[148:149]
	v_fma_f64 v[164:165], v[148:149], v[144:145], -v[160:161]
	v_fmac_f64_e32 v[164:165], v[148:149], v[134:135]
	v_add_f64 v[166:167], v[160:161], v[164:165]
	v_add_f64 v[176:177], v[150:151], -v[166:167]
	v_add_f64 v[150:151], v[150:151], -v[176:177]
	;; [unrolled: 1-line block ×4, first 2 shown]
	v_add_f64 v[146:147], v[146:147], v[150:151]
	v_add_f64 v[150:151], v[160:161], -v[164:165]
	v_add_f64 v[146:147], v[150:151], v[146:147]
	v_add_f64 v[150:151], v[176:177], v[146:147]
	v_add_f64 v[160:161], v[176:177], -v[150:151]
	v_add_f64 v[146:147], v[146:147], v[160:161]
	v_mul_f64 v[160:161], v[162:163], v[150:151]
	v_mul_f64 v[164:165], v[144:145], v[160:161]
	v_fma_f64 v[144:145], v[160:161], v[144:145], -v[164:165]
	v_fmac_f64_e32 v[144:145], v[160:161], v[134:135]
	v_add_f64 v[134:135], v[164:165], v[144:145]
	v_add_f64 v[166:167], v[150:151], -v[134:135]
	v_add_f64 v[150:151], v[150:151], -v[166:167]
	;; [unrolled: 1-line block ×4, first 2 shown]
	v_add_f64 v[134:135], v[146:147], v[134:135]
	v_add_f64 v[144:145], v[164:165], -v[144:145]
	v_add_f64 v[134:135], v[144:145], v[134:135]
	v_add_f64 v[144:145], v[148:149], v[160:161]
	v_add_f64 v[134:135], v[166:167], v[134:135]
	v_add_f64 v[146:147], v[144:145], -v[148:149]
	v_mul_f64 v[134:135], v[162:163], v[134:135]
	v_add_f64 v[146:147], v[160:161], -v[146:147]
	v_add_f64 v[134:135], v[146:147], v[134:135]
	v_add_f64 v[146:147], v[144:145], v[134:135]
	v_add_f64 v[144:145], v[146:147], -v[144:145]
	v_add_f64 v[134:135], v[134:135], -v[144:145]
	v_mul_f64 v[144:145], v[146:147], v[146:147]
	v_mov_b32_e32 v148, 0x6b47b09a
	v_mov_b32_e32 v149, 0x3fc38538
	v_fmac_f64_e32 v[148:149], s[6:7], v[144:145]
	v_mov_b32_e32 v150, 0xd7f4df2e
	v_mov_b32_e32 v151, 0x3fc7474d
	v_fmac_f64_e32 v[150:151], v[144:145], v[148:149]
	;; [unrolled: 3-line block ×6, first 2 shown]
	v_cvt_f64_i32_e32 v[148:149], v53
	s_mov_b32 s11, 0x3fe62e42
	v_mul_f64 v[160:161], v[148:149], s[10:11]
	v_fma_f64 v[162:163], v[148:149], s[10:11], -v[160:161]
	s_mov_b32 s13, 0x3c7abc9e
	v_fmac_f64_e32 v[162:163], s[12:13], v[148:149]
	v_add_f64 v[148:149], v[160:161], v[162:163]
	v_add_f64 v[160:161], v[148:149], -v[160:161]
	v_mul_f64 v[144:145], v[146:147], v[144:145]
	v_add_f64 v[160:161], v[162:163], -v[160:161]
	v_ldexp_f64 v[162:163], v[146:147], 1
	v_mul_f64 v[144:145], v[144:145], v[150:151]
	v_add_f64 v[146:147], v[162:163], v[144:145]
	v_add_f64 v[150:151], v[146:147], -v[162:163]
	v_ldexp_f64 v[134:135], v[134:135], 1
	v_add_f64 v[144:145], v[144:145], -v[150:151]
	v_add_f64 v[134:135], v[134:135], v[144:145]
	v_add_f64 v[144:145], v[146:147], v[134:135]
	v_add_f64 v[146:147], v[144:145], -v[146:147]
	v_add_f64 v[134:135], v[134:135], -v[146:147]
	v_add_f64 v[146:147], v[148:149], v[144:145]
	v_add_f64 v[150:151], v[146:147], -v[148:149]
	v_add_f64 v[162:163], v[146:147], -v[150:151]
	;; [unrolled: 1-line block ×4, first 2 shown]
	v_add_f64 v[144:145], v[144:145], v[148:149]
	v_add_f64 v[148:149], v[160:161], v[134:135]
	v_add_f64 v[150:151], v[148:149], -v[160:161]
	v_add_f64 v[144:145], v[148:149], v[144:145]
	v_add_f64 v[162:163], v[148:149], -v[150:151]
	;; [unrolled: 2-line block ×3, first 2 shown]
	v_add_f64 v[134:135], v[134:135], -v[150:151]
	v_add_f64 v[146:147], v[148:149], -v[146:147]
	v_add_f64 v[134:135], v[134:135], v[160:161]
	v_add_f64 v[144:145], v[144:145], -v[146:147]
	s_mov_b32 s6, 0
	v_add_f64 v[134:135], v[134:135], v[144:145]
	s_mov_b32 s7, 0x7ff00000
	v_add_f64 v[134:135], v[148:149], v[134:135]
	v_cmp_eq_f64_e32 vcc, s[6:7], v[22:23]
	s_nop 1
	v_cndmask_b32_e32 v53, v134, v22, vcc
	v_cndmask_b32_e32 v71, v135, v23, vcc
	v_mov_b32_e32 v134, 0x7ff80000
	v_cmp_ngt_f64_e32 vcc, -1.0, v[22:23]
	s_nop 1
	v_cndmask_b32_e32 v71, v134, v71, vcc
	v_cmp_nge_f64_e32 vcc, -1.0, v[22:23]
	s_nop 1
	v_cndmask_b32_e32 v134, 0, v53, vcc
	v_mov_b32_e32 v53, 0xfff00000
	v_cmp_neq_f64_e32 vcc, -1.0, v[22:23]
	s_nop 1
	v_cndmask_b32_e32 v135, v53, v71, vcc
	v_add_f64 v[22:23], v[24:25], v[134:135]
.LBB30_253:
	s_or_b64 exec, exec, s[8:9]
	v_max_f64 v[24:25], v[22:23], v[22:23]
	v_min_f64 v[134:135], v[24:25], v[26:27]
	v_cmp_u_f64_e32 vcc, v[22:23], v[22:23]
	v_max_f64 v[24:25], v[24:25], v[26:27]
	s_nop 0
	v_cndmask_b32_e32 v53, v134, v22, vcc
	v_cndmask_b32_e32 v71, v135, v23, vcc
	;; [unrolled: 1-line block ×4, first 2 shown]
	v_cndmask_b32_e64 v135, v71, v81, s[24:25]
	v_cndmask_b32_e64 v134, v53, v80, s[24:25]
	;; [unrolled: 1-line block ×4, first 2 shown]
	v_cmp_neq_f64_e32 vcc, v[134:135], v[26:27]
	v_cmp_class_f64_e64 s[6:7], v[134:135], s14
	s_or_b64 s[6:7], vcc, s[6:7]
	v_mov_b64_e32 v[24:25], v[22:23]
	s_and_saveexec_b64 s[8:9], s[6:7]
	s_cbranch_execz .LBB30_255
; %bb.254:
	s_mov_b32 s6, 0x652b82fe
	v_add_f64 v[24:25], v[134:135], -v[26:27]
	s_mov_b32 s7, 0x3ff71547
	v_mul_f64 v[134:135], v[24:25], s[6:7]
	v_rndne_f64_e32 v[134:135], v[134:135]
	s_mov_b32 s11, 0xbfe62e42
	s_mov_b32 s10, 0xfefa39ef
	v_fma_f64 v[144:145], s[10:11], v[134:135], v[24:25]
	s_mov_b32 s13, 0xbc7abc9e
	s_mov_b32 s12, 0x3b39803f
	;; [unrolled: 1-line block ×3, first 2 shown]
	v_fmac_f64_e32 v[144:145], s[12:13], v[134:135]
	v_mov_b32_e32 v146, 0xfca7ab0c
	v_mov_b32_e32 v147, 0x3e928af3
	s_mov_b32 s7, 0x3e5ade15
	v_fmac_f64_e32 v[146:147], s[6:7], v[144:145]
	v_mov_b32_e32 v148, 0x623fde64
	v_mov_b32_e32 v149, 0x3ec71dee
	v_fmac_f64_e32 v[148:149], v[144:145], v[146:147]
	v_mov_b32_e32 v146, 0x7c89e6b0
	v_mov_b32_e32 v147, 0x3efa0199
	v_fmac_f64_e32 v[146:147], v[144:145], v[148:149]
	v_mov_b32_e32 v148, 0x14761f6e
	v_mov_b32_e32 v149, 0x3f2a01a0
	v_fmac_f64_e32 v[148:149], v[144:145], v[146:147]
	v_mov_b32_e32 v146, 0x1852b7b0
	v_mov_b32_e32 v147, 0x3f56c16c
	v_fmac_f64_e32 v[146:147], v[144:145], v[148:149]
	v_mov_b32_e32 v148, 0x11122322
	v_mov_b32_e32 v149, 0x3f811111
	v_fmac_f64_e32 v[148:149], v[144:145], v[146:147]
	v_mov_b32_e32 v146, 0x555502a1
	v_mov_b32_e32 v147, 0x3fa55555
	v_fmac_f64_e32 v[146:147], v[144:145], v[148:149]
	v_mov_b32_e32 v148, 0x55555511
	v_mov_b32_e32 v149, 0x3fc55555
	v_fmac_f64_e32 v[148:149], v[144:145], v[146:147]
	v_mov_b32_e32 v146, 11
	v_mov_b32_e32 v147, 0x3fe00000
	s_mov_b32 s6, 0
	v_fmac_f64_e32 v[146:147], v[144:145], v[148:149]
	s_mov_b32 s7, 0x40900000
	v_fma_f64 v[146:147], v[144:145], v[146:147], 1.0
	v_cmp_nlt_f64_e32 vcc, s[6:7], v[24:25]
	s_mov_b32 s6, 0
	v_fma_f64 v[144:145], v[144:145], v[146:147], 1.0
	v_cvt_i32_f64_e32 v53, v[134:135]
	s_mov_b32 s7, 0xc090cc00
	v_ldexp_f64 v[134:135], v[144:145], v53
	v_mov_b32_e32 v53, 0x7ff00000
	v_cmp_ngt_f64_e64 s[6:7], s[6:7], v[24:25]
	v_cndmask_b32_e32 v53, v53, v135, vcc
	s_and_b64 vcc, s[6:7], vcc
	v_cndmask_b32_e64 v25, 0, v53, s[6:7]
	v_cndmask_b32_e32 v24, 0, v134, vcc
	v_add_f64 v[134:135], v[24:25], 1.0
	v_add_f64 v[144:145], v[134:135], -1.0
	v_add_f64 v[146:147], v[144:145], -v[134:135]
	v_add_f64 v[146:147], v[146:147], 1.0
	v_add_f64 v[144:145], v[24:25], -v[144:145]
	s_mov_b32 s6, 0x55555555
	v_add_f64 v[144:145], v[144:145], v[146:147]
	v_frexp_mant_f64_e32 v[146:147], v[134:135]
	s_mov_b32 s7, 0x3fe55555
	v_frexp_exp_i32_f64_e32 v53, v[134:135]
	v_cmp_gt_f64_e32 vcc, s[6:7], v[146:147]
	s_mov_b32 s6, 0xbf559e2b
	s_mov_b32 s7, 0x3fc3ab76
	v_subbrev_co_u32_e32 v53, vcc, 0, v53, vcc
	v_sub_u32_e32 v71, 0, v53
	v_ldexp_f64 v[134:135], v[134:135], v71
	v_add_f64 v[146:147], v[134:135], -1.0
	v_add_f64 v[160:161], v[134:135], 1.0
	v_add_f64 v[148:149], v[146:147], 1.0
	v_add_f64 v[162:163], v[160:161], -1.0
	v_ldexp_f64 v[144:145], v[144:145], v71
	v_add_f64 v[148:149], v[134:135], -v[148:149]
	v_add_f64 v[134:135], v[134:135], -v[162:163]
	v_add_f64 v[134:135], v[144:145], v[134:135]
	v_add_f64 v[148:149], v[144:145], v[148:149]
	v_add_f64 v[144:145], v[160:161], v[134:135]
	v_rcp_f64_e32 v[162:163], v[144:145]
	v_add_f64 v[150:151], v[146:147], v[148:149]
	v_add_f64 v[146:147], v[150:151], -v[146:147]
	v_add_f64 v[146:147], v[148:149], -v[146:147]
	;; [unrolled: 1-line block ×4, first 2 shown]
	v_fma_f64 v[148:149], -v[144:145], v[162:163], 1.0
	v_fmac_f64_e32 v[162:163], v[148:149], v[162:163]
	v_fma_f64 v[148:149], -v[144:145], v[162:163], 1.0
	v_fmac_f64_e32 v[162:163], v[148:149], v[162:163]
	v_mul_f64 v[148:149], v[150:151], v[162:163]
	v_mul_f64 v[160:161], v[144:145], v[148:149]
	v_fma_f64 v[164:165], v[148:149], v[144:145], -v[160:161]
	v_fmac_f64_e32 v[164:165], v[148:149], v[134:135]
	v_add_f64 v[166:167], v[160:161], v[164:165]
	v_add_f64 v[176:177], v[150:151], -v[166:167]
	v_add_f64 v[150:151], v[150:151], -v[176:177]
	;; [unrolled: 1-line block ×4, first 2 shown]
	v_add_f64 v[146:147], v[146:147], v[150:151]
	v_add_f64 v[150:151], v[160:161], -v[164:165]
	v_add_f64 v[146:147], v[150:151], v[146:147]
	v_add_f64 v[150:151], v[176:177], v[146:147]
	v_add_f64 v[160:161], v[176:177], -v[150:151]
	v_add_f64 v[146:147], v[146:147], v[160:161]
	v_mul_f64 v[160:161], v[162:163], v[150:151]
	v_mul_f64 v[164:165], v[144:145], v[160:161]
	v_fma_f64 v[144:145], v[160:161], v[144:145], -v[164:165]
	v_fmac_f64_e32 v[144:145], v[160:161], v[134:135]
	v_add_f64 v[134:135], v[164:165], v[144:145]
	v_add_f64 v[166:167], v[150:151], -v[134:135]
	v_add_f64 v[150:151], v[150:151], -v[166:167]
	;; [unrolled: 1-line block ×4, first 2 shown]
	v_add_f64 v[134:135], v[146:147], v[134:135]
	v_add_f64 v[144:145], v[164:165], -v[144:145]
	v_add_f64 v[134:135], v[144:145], v[134:135]
	v_add_f64 v[144:145], v[148:149], v[160:161]
	;; [unrolled: 1-line block ×3, first 2 shown]
	v_add_f64 v[146:147], v[144:145], -v[148:149]
	v_mul_f64 v[134:135], v[162:163], v[134:135]
	v_add_f64 v[146:147], v[160:161], -v[146:147]
	v_add_f64 v[134:135], v[146:147], v[134:135]
	v_add_f64 v[146:147], v[144:145], v[134:135]
	v_add_f64 v[144:145], v[146:147], -v[144:145]
	v_add_f64 v[134:135], v[134:135], -v[144:145]
	v_mul_f64 v[144:145], v[146:147], v[146:147]
	v_mov_b32_e32 v148, 0x6b47b09a
	v_mov_b32_e32 v149, 0x3fc38538
	v_fmac_f64_e32 v[148:149], s[6:7], v[144:145]
	v_mov_b32_e32 v150, 0xd7f4df2e
	v_mov_b32_e32 v151, 0x3fc7474d
	v_fmac_f64_e32 v[150:151], v[144:145], v[148:149]
	;; [unrolled: 3-line block ×6, first 2 shown]
	v_cvt_f64_i32_e32 v[148:149], v53
	s_mov_b32 s11, 0x3fe62e42
	v_mul_f64 v[160:161], v[148:149], s[10:11]
	v_fma_f64 v[162:163], v[148:149], s[10:11], -v[160:161]
	s_mov_b32 s13, 0x3c7abc9e
	v_fmac_f64_e32 v[162:163], s[12:13], v[148:149]
	v_add_f64 v[148:149], v[160:161], v[162:163]
	v_add_f64 v[160:161], v[148:149], -v[160:161]
	v_mul_f64 v[144:145], v[146:147], v[144:145]
	v_add_f64 v[160:161], v[162:163], -v[160:161]
	v_ldexp_f64 v[162:163], v[146:147], 1
	v_mul_f64 v[144:145], v[144:145], v[150:151]
	v_add_f64 v[146:147], v[162:163], v[144:145]
	v_add_f64 v[150:151], v[146:147], -v[162:163]
	v_ldexp_f64 v[134:135], v[134:135], 1
	v_add_f64 v[144:145], v[144:145], -v[150:151]
	v_add_f64 v[134:135], v[134:135], v[144:145]
	v_add_f64 v[144:145], v[146:147], v[134:135]
	v_add_f64 v[146:147], v[144:145], -v[146:147]
	v_add_f64 v[134:135], v[134:135], -v[146:147]
	v_add_f64 v[146:147], v[148:149], v[144:145]
	v_add_f64 v[150:151], v[146:147], -v[148:149]
	v_add_f64 v[162:163], v[146:147], -v[150:151]
	;; [unrolled: 1-line block ×4, first 2 shown]
	v_add_f64 v[144:145], v[144:145], v[148:149]
	v_add_f64 v[148:149], v[160:161], v[134:135]
	v_add_f64 v[150:151], v[148:149], -v[160:161]
	v_add_f64 v[144:145], v[148:149], v[144:145]
	v_add_f64 v[162:163], v[148:149], -v[150:151]
	;; [unrolled: 2-line block ×3, first 2 shown]
	v_add_f64 v[134:135], v[134:135], -v[150:151]
	v_add_f64 v[146:147], v[148:149], -v[146:147]
	v_add_f64 v[134:135], v[134:135], v[160:161]
	v_add_f64 v[144:145], v[144:145], -v[146:147]
	s_mov_b32 s6, 0
	v_add_f64 v[134:135], v[134:135], v[144:145]
	s_mov_b32 s7, 0x7ff00000
	v_add_f64 v[134:135], v[148:149], v[134:135]
	v_cmp_eq_f64_e32 vcc, s[6:7], v[24:25]
	s_nop 1
	v_cndmask_b32_e32 v53, v134, v24, vcc
	v_cndmask_b32_e32 v71, v135, v25, vcc
	v_mov_b32_e32 v134, 0x7ff80000
	v_cmp_ngt_f64_e32 vcc, -1.0, v[24:25]
	s_nop 1
	v_cndmask_b32_e32 v71, v134, v71, vcc
	v_cmp_nge_f64_e32 vcc, -1.0, v[24:25]
	s_nop 1
	v_cndmask_b32_e32 v134, 0, v53, vcc
	v_mov_b32_e32 v53, 0xfff00000
	v_cmp_neq_f64_e32 vcc, -1.0, v[24:25]
	s_nop 1
	v_cndmask_b32_e32 v135, v53, v71, vcc
	v_add_f64 v[24:25], v[26:27], v[134:135]
.LBB30_255:
	s_or_b64 exec, exec, s[8:9]
	v_max_f64 v[26:27], v[24:25], v[24:25]
	v_min_f64 v[134:135], v[26:27], v[28:29]
	v_cmp_u_f64_e32 vcc, v[24:25], v[24:25]
	v_max_f64 v[26:27], v[26:27], v[28:29]
	s_nop 0
	v_cndmask_b32_e32 v53, v134, v24, vcc
	v_cndmask_b32_e32 v71, v135, v25, vcc
	;; [unrolled: 1-line block ×4, first 2 shown]
	v_cndmask_b32_e64 v135, v71, v83, s[26:27]
	v_cndmask_b32_e64 v134, v53, v82, s[26:27]
	;; [unrolled: 1-line block ×4, first 2 shown]
	v_cmp_neq_f64_e32 vcc, v[134:135], v[28:29]
	v_cmp_class_f64_e64 s[6:7], v[134:135], s14
	s_or_b64 s[6:7], vcc, s[6:7]
	v_mov_b64_e32 v[26:27], v[24:25]
	s_and_saveexec_b64 s[8:9], s[6:7]
	s_cbranch_execz .LBB30_257
; %bb.256:
	s_mov_b32 s6, 0x652b82fe
	v_add_f64 v[26:27], v[134:135], -v[28:29]
	s_mov_b32 s7, 0x3ff71547
	v_mul_f64 v[134:135], v[26:27], s[6:7]
	v_rndne_f64_e32 v[134:135], v[134:135]
	s_mov_b32 s11, 0xbfe62e42
	s_mov_b32 s10, 0xfefa39ef
	v_fma_f64 v[144:145], s[10:11], v[134:135], v[26:27]
	s_mov_b32 s13, 0xbc7abc9e
	s_mov_b32 s12, 0x3b39803f
	s_mov_b32 s6, 0x6a5dcb37
	v_fmac_f64_e32 v[144:145], s[12:13], v[134:135]
	v_mov_b32_e32 v146, 0xfca7ab0c
	v_mov_b32_e32 v147, 0x3e928af3
	s_mov_b32 s7, 0x3e5ade15
	v_fmac_f64_e32 v[146:147], s[6:7], v[144:145]
	v_mov_b32_e32 v148, 0x623fde64
	v_mov_b32_e32 v149, 0x3ec71dee
	v_fmac_f64_e32 v[148:149], v[144:145], v[146:147]
	v_mov_b32_e32 v146, 0x7c89e6b0
	v_mov_b32_e32 v147, 0x3efa0199
	;; [unrolled: 3-line block ×8, first 2 shown]
	s_mov_b32 s6, 0
	v_fmac_f64_e32 v[146:147], v[144:145], v[148:149]
	s_mov_b32 s7, 0x40900000
	v_fma_f64 v[146:147], v[144:145], v[146:147], 1.0
	v_cmp_nlt_f64_e32 vcc, s[6:7], v[26:27]
	s_mov_b32 s6, 0
	v_fma_f64 v[144:145], v[144:145], v[146:147], 1.0
	v_cvt_i32_f64_e32 v53, v[134:135]
	s_mov_b32 s7, 0xc090cc00
	v_ldexp_f64 v[134:135], v[144:145], v53
	v_mov_b32_e32 v53, 0x7ff00000
	v_cmp_ngt_f64_e64 s[6:7], s[6:7], v[26:27]
	v_cndmask_b32_e32 v53, v53, v135, vcc
	s_and_b64 vcc, s[6:7], vcc
	v_cndmask_b32_e64 v27, 0, v53, s[6:7]
	v_cndmask_b32_e32 v26, 0, v134, vcc
	v_add_f64 v[134:135], v[26:27], 1.0
	v_add_f64 v[144:145], v[134:135], -1.0
	v_add_f64 v[146:147], v[144:145], -v[134:135]
	v_add_f64 v[146:147], v[146:147], 1.0
	v_add_f64 v[144:145], v[26:27], -v[144:145]
	s_mov_b32 s6, 0x55555555
	v_add_f64 v[144:145], v[144:145], v[146:147]
	v_frexp_mant_f64_e32 v[146:147], v[134:135]
	s_mov_b32 s7, 0x3fe55555
	v_frexp_exp_i32_f64_e32 v53, v[134:135]
	v_cmp_gt_f64_e32 vcc, s[6:7], v[146:147]
	s_mov_b32 s6, 0xbf559e2b
	s_mov_b32 s7, 0x3fc3ab76
	v_subbrev_co_u32_e32 v53, vcc, 0, v53, vcc
	v_sub_u32_e32 v71, 0, v53
	v_ldexp_f64 v[134:135], v[134:135], v71
	v_add_f64 v[146:147], v[134:135], -1.0
	v_add_f64 v[160:161], v[134:135], 1.0
	v_add_f64 v[148:149], v[146:147], 1.0
	v_add_f64 v[162:163], v[160:161], -1.0
	v_ldexp_f64 v[144:145], v[144:145], v71
	v_add_f64 v[148:149], v[134:135], -v[148:149]
	v_add_f64 v[134:135], v[134:135], -v[162:163]
	v_add_f64 v[134:135], v[144:145], v[134:135]
	v_add_f64 v[148:149], v[144:145], v[148:149]
	;; [unrolled: 1-line block ×3, first 2 shown]
	v_rcp_f64_e32 v[162:163], v[144:145]
	v_add_f64 v[150:151], v[146:147], v[148:149]
	v_add_f64 v[146:147], v[150:151], -v[146:147]
	v_add_f64 v[146:147], v[148:149], -v[146:147]
	v_add_f64 v[148:149], v[144:145], -v[160:161]
	v_add_f64 v[134:135], v[134:135], -v[148:149]
	v_fma_f64 v[148:149], -v[144:145], v[162:163], 1.0
	v_fmac_f64_e32 v[162:163], v[148:149], v[162:163]
	v_fma_f64 v[148:149], -v[144:145], v[162:163], 1.0
	v_fmac_f64_e32 v[162:163], v[148:149], v[162:163]
	v_mul_f64 v[148:149], v[150:151], v[162:163]
	v_mul_f64 v[160:161], v[144:145], v[148:149]
	v_fma_f64 v[164:165], v[148:149], v[144:145], -v[160:161]
	v_fmac_f64_e32 v[164:165], v[148:149], v[134:135]
	v_add_f64 v[166:167], v[160:161], v[164:165]
	v_add_f64 v[176:177], v[150:151], -v[166:167]
	v_add_f64 v[150:151], v[150:151], -v[176:177]
	;; [unrolled: 1-line block ×4, first 2 shown]
	v_add_f64 v[146:147], v[146:147], v[150:151]
	v_add_f64 v[150:151], v[160:161], -v[164:165]
	v_add_f64 v[146:147], v[150:151], v[146:147]
	v_add_f64 v[150:151], v[176:177], v[146:147]
	v_add_f64 v[160:161], v[176:177], -v[150:151]
	v_add_f64 v[146:147], v[146:147], v[160:161]
	v_mul_f64 v[160:161], v[162:163], v[150:151]
	v_mul_f64 v[164:165], v[144:145], v[160:161]
	v_fma_f64 v[144:145], v[160:161], v[144:145], -v[164:165]
	v_fmac_f64_e32 v[144:145], v[160:161], v[134:135]
	v_add_f64 v[134:135], v[164:165], v[144:145]
	v_add_f64 v[166:167], v[150:151], -v[134:135]
	v_add_f64 v[150:151], v[150:151], -v[166:167]
	v_add_f64 v[164:165], v[134:135], -v[164:165]
	v_add_f64 v[134:135], v[150:151], -v[134:135]
	v_add_f64 v[134:135], v[146:147], v[134:135]
	v_add_f64 v[144:145], v[164:165], -v[144:145]
	v_add_f64 v[134:135], v[144:145], v[134:135]
	v_add_f64 v[144:145], v[148:149], v[160:161]
	;; [unrolled: 1-line block ×3, first 2 shown]
	v_add_f64 v[146:147], v[144:145], -v[148:149]
	v_mul_f64 v[134:135], v[162:163], v[134:135]
	v_add_f64 v[146:147], v[160:161], -v[146:147]
	v_add_f64 v[134:135], v[146:147], v[134:135]
	v_add_f64 v[146:147], v[144:145], v[134:135]
	v_add_f64 v[144:145], v[146:147], -v[144:145]
	v_add_f64 v[134:135], v[134:135], -v[144:145]
	v_mul_f64 v[144:145], v[146:147], v[146:147]
	v_mov_b32_e32 v148, 0x6b47b09a
	v_mov_b32_e32 v149, 0x3fc38538
	v_fmac_f64_e32 v[148:149], s[6:7], v[144:145]
	v_mov_b32_e32 v150, 0xd7f4df2e
	v_mov_b32_e32 v151, 0x3fc7474d
	v_fmac_f64_e32 v[150:151], v[144:145], v[148:149]
	;; [unrolled: 3-line block ×6, first 2 shown]
	v_cvt_f64_i32_e32 v[148:149], v53
	s_mov_b32 s11, 0x3fe62e42
	v_mul_f64 v[160:161], v[148:149], s[10:11]
	v_fma_f64 v[162:163], v[148:149], s[10:11], -v[160:161]
	s_mov_b32 s13, 0x3c7abc9e
	v_fmac_f64_e32 v[162:163], s[12:13], v[148:149]
	v_add_f64 v[148:149], v[160:161], v[162:163]
	v_add_f64 v[160:161], v[148:149], -v[160:161]
	v_mul_f64 v[144:145], v[146:147], v[144:145]
	v_add_f64 v[160:161], v[162:163], -v[160:161]
	v_ldexp_f64 v[162:163], v[146:147], 1
	v_mul_f64 v[144:145], v[144:145], v[150:151]
	v_add_f64 v[146:147], v[162:163], v[144:145]
	v_add_f64 v[150:151], v[146:147], -v[162:163]
	v_ldexp_f64 v[134:135], v[134:135], 1
	v_add_f64 v[144:145], v[144:145], -v[150:151]
	v_add_f64 v[134:135], v[134:135], v[144:145]
	v_add_f64 v[144:145], v[146:147], v[134:135]
	v_add_f64 v[146:147], v[144:145], -v[146:147]
	v_add_f64 v[134:135], v[134:135], -v[146:147]
	v_add_f64 v[146:147], v[148:149], v[144:145]
	v_add_f64 v[150:151], v[146:147], -v[148:149]
	v_add_f64 v[162:163], v[146:147], -v[150:151]
	;; [unrolled: 1-line block ×4, first 2 shown]
	v_add_f64 v[144:145], v[144:145], v[148:149]
	v_add_f64 v[148:149], v[160:161], v[134:135]
	v_add_f64 v[150:151], v[148:149], -v[160:161]
	v_add_f64 v[144:145], v[148:149], v[144:145]
	v_add_f64 v[162:163], v[148:149], -v[150:151]
	;; [unrolled: 2-line block ×3, first 2 shown]
	v_add_f64 v[134:135], v[134:135], -v[150:151]
	v_add_f64 v[146:147], v[148:149], -v[146:147]
	v_add_f64 v[134:135], v[134:135], v[160:161]
	v_add_f64 v[144:145], v[144:145], -v[146:147]
	s_mov_b32 s6, 0
	v_add_f64 v[134:135], v[134:135], v[144:145]
	s_mov_b32 s7, 0x7ff00000
	v_add_f64 v[134:135], v[148:149], v[134:135]
	v_cmp_eq_f64_e32 vcc, s[6:7], v[26:27]
	s_nop 1
	v_cndmask_b32_e32 v53, v134, v26, vcc
	v_cndmask_b32_e32 v71, v135, v27, vcc
	v_mov_b32_e32 v134, 0x7ff80000
	v_cmp_ngt_f64_e32 vcc, -1.0, v[26:27]
	s_nop 1
	v_cndmask_b32_e32 v71, v134, v71, vcc
	v_cmp_nge_f64_e32 vcc, -1.0, v[26:27]
	s_nop 1
	v_cndmask_b32_e32 v134, 0, v53, vcc
	v_mov_b32_e32 v53, 0xfff00000
	v_cmp_neq_f64_e32 vcc, -1.0, v[26:27]
	s_nop 1
	v_cndmask_b32_e32 v135, v53, v71, vcc
	v_add_f64 v[26:27], v[28:29], v[134:135]
.LBB30_257:
	s_or_b64 exec, exec, s[8:9]
	v_max_f64 v[28:29], v[26:27], v[26:27]
	v_min_f64 v[134:135], v[28:29], v[30:31]
	v_cmp_u_f64_e32 vcc, v[26:27], v[26:27]
	v_max_f64 v[28:29], v[28:29], v[30:31]
	s_nop 0
	v_cndmask_b32_e32 v53, v134, v26, vcc
	v_cndmask_b32_e32 v71, v135, v27, vcc
	;; [unrolled: 1-line block ×4, first 2 shown]
	v_cndmask_b32_e64 v135, v71, v67, s[28:29]
	v_cndmask_b32_e64 v134, v53, v66, s[28:29]
	;; [unrolled: 1-line block ×4, first 2 shown]
	v_cmp_neq_f64_e32 vcc, v[134:135], v[30:31]
	v_cmp_class_f64_e64 s[6:7], v[134:135], s14
	s_or_b64 s[6:7], vcc, s[6:7]
	v_mov_b64_e32 v[28:29], v[26:27]
	s_and_saveexec_b64 s[8:9], s[6:7]
	s_cbranch_execz .LBB30_259
; %bb.258:
	s_mov_b32 s6, 0x652b82fe
	v_add_f64 v[28:29], v[134:135], -v[30:31]
	s_mov_b32 s7, 0x3ff71547
	v_mul_f64 v[134:135], v[28:29], s[6:7]
	v_rndne_f64_e32 v[134:135], v[134:135]
	s_mov_b32 s11, 0xbfe62e42
	s_mov_b32 s10, 0xfefa39ef
	v_fma_f64 v[144:145], s[10:11], v[134:135], v[28:29]
	s_mov_b32 s13, 0xbc7abc9e
	s_mov_b32 s12, 0x3b39803f
	;; [unrolled: 1-line block ×3, first 2 shown]
	v_fmac_f64_e32 v[144:145], s[12:13], v[134:135]
	v_mov_b32_e32 v146, 0xfca7ab0c
	v_mov_b32_e32 v147, 0x3e928af3
	s_mov_b32 s7, 0x3e5ade15
	v_fmac_f64_e32 v[146:147], s[6:7], v[144:145]
	v_mov_b32_e32 v148, 0x623fde64
	v_mov_b32_e32 v149, 0x3ec71dee
	v_fmac_f64_e32 v[148:149], v[144:145], v[146:147]
	v_mov_b32_e32 v146, 0x7c89e6b0
	v_mov_b32_e32 v147, 0x3efa0199
	;; [unrolled: 3-line block ×8, first 2 shown]
	s_mov_b32 s6, 0
	v_fmac_f64_e32 v[146:147], v[144:145], v[148:149]
	s_mov_b32 s7, 0x40900000
	v_fma_f64 v[146:147], v[144:145], v[146:147], 1.0
	v_cmp_nlt_f64_e32 vcc, s[6:7], v[28:29]
	s_mov_b32 s6, 0
	v_fma_f64 v[144:145], v[144:145], v[146:147], 1.0
	v_cvt_i32_f64_e32 v53, v[134:135]
	s_mov_b32 s7, 0xc090cc00
	v_ldexp_f64 v[134:135], v[144:145], v53
	v_mov_b32_e32 v53, 0x7ff00000
	v_cmp_ngt_f64_e64 s[6:7], s[6:7], v[28:29]
	v_cndmask_b32_e32 v53, v53, v135, vcc
	s_and_b64 vcc, s[6:7], vcc
	v_cndmask_b32_e64 v29, 0, v53, s[6:7]
	v_cndmask_b32_e32 v28, 0, v134, vcc
	v_add_f64 v[134:135], v[28:29], 1.0
	v_add_f64 v[144:145], v[134:135], -1.0
	v_add_f64 v[146:147], v[144:145], -v[134:135]
	v_add_f64 v[146:147], v[146:147], 1.0
	v_add_f64 v[144:145], v[28:29], -v[144:145]
	s_mov_b32 s6, 0x55555555
	v_add_f64 v[144:145], v[144:145], v[146:147]
	v_frexp_mant_f64_e32 v[146:147], v[134:135]
	s_mov_b32 s7, 0x3fe55555
	v_frexp_exp_i32_f64_e32 v53, v[134:135]
	v_cmp_gt_f64_e32 vcc, s[6:7], v[146:147]
	s_mov_b32 s6, 0xbf559e2b
	s_mov_b32 s7, 0x3fc3ab76
	v_subbrev_co_u32_e32 v53, vcc, 0, v53, vcc
	v_sub_u32_e32 v71, 0, v53
	v_ldexp_f64 v[134:135], v[134:135], v71
	v_add_f64 v[146:147], v[134:135], -1.0
	v_add_f64 v[160:161], v[134:135], 1.0
	v_add_f64 v[148:149], v[146:147], 1.0
	v_add_f64 v[162:163], v[160:161], -1.0
	v_ldexp_f64 v[144:145], v[144:145], v71
	v_add_f64 v[148:149], v[134:135], -v[148:149]
	v_add_f64 v[134:135], v[134:135], -v[162:163]
	v_add_f64 v[134:135], v[144:145], v[134:135]
	v_add_f64 v[148:149], v[144:145], v[148:149]
	;; [unrolled: 1-line block ×3, first 2 shown]
	v_rcp_f64_e32 v[162:163], v[144:145]
	v_add_f64 v[150:151], v[146:147], v[148:149]
	v_add_f64 v[146:147], v[150:151], -v[146:147]
	v_add_f64 v[146:147], v[148:149], -v[146:147]
	v_add_f64 v[148:149], v[144:145], -v[160:161]
	v_add_f64 v[134:135], v[134:135], -v[148:149]
	v_fma_f64 v[148:149], -v[144:145], v[162:163], 1.0
	v_fmac_f64_e32 v[162:163], v[148:149], v[162:163]
	v_fma_f64 v[148:149], -v[144:145], v[162:163], 1.0
	v_fmac_f64_e32 v[162:163], v[148:149], v[162:163]
	v_mul_f64 v[148:149], v[150:151], v[162:163]
	v_mul_f64 v[160:161], v[144:145], v[148:149]
	v_fma_f64 v[164:165], v[148:149], v[144:145], -v[160:161]
	v_fmac_f64_e32 v[164:165], v[148:149], v[134:135]
	v_add_f64 v[166:167], v[160:161], v[164:165]
	v_add_f64 v[176:177], v[150:151], -v[166:167]
	v_add_f64 v[150:151], v[150:151], -v[176:177]
	;; [unrolled: 1-line block ×4, first 2 shown]
	v_add_f64 v[146:147], v[146:147], v[150:151]
	v_add_f64 v[150:151], v[160:161], -v[164:165]
	v_add_f64 v[146:147], v[150:151], v[146:147]
	v_add_f64 v[150:151], v[176:177], v[146:147]
	v_add_f64 v[160:161], v[176:177], -v[150:151]
	v_add_f64 v[146:147], v[146:147], v[160:161]
	v_mul_f64 v[160:161], v[162:163], v[150:151]
	v_mul_f64 v[164:165], v[144:145], v[160:161]
	v_fma_f64 v[144:145], v[160:161], v[144:145], -v[164:165]
	v_fmac_f64_e32 v[144:145], v[160:161], v[134:135]
	v_add_f64 v[134:135], v[164:165], v[144:145]
	v_add_f64 v[166:167], v[150:151], -v[134:135]
	v_add_f64 v[150:151], v[150:151], -v[166:167]
	;; [unrolled: 1-line block ×4, first 2 shown]
	v_add_f64 v[134:135], v[146:147], v[134:135]
	v_add_f64 v[144:145], v[164:165], -v[144:145]
	v_add_f64 v[134:135], v[144:145], v[134:135]
	v_add_f64 v[144:145], v[148:149], v[160:161]
	;; [unrolled: 1-line block ×3, first 2 shown]
	v_add_f64 v[146:147], v[144:145], -v[148:149]
	v_mul_f64 v[134:135], v[162:163], v[134:135]
	v_add_f64 v[146:147], v[160:161], -v[146:147]
	v_add_f64 v[134:135], v[146:147], v[134:135]
	v_add_f64 v[146:147], v[144:145], v[134:135]
	v_add_f64 v[144:145], v[146:147], -v[144:145]
	v_add_f64 v[134:135], v[134:135], -v[144:145]
	v_mul_f64 v[144:145], v[146:147], v[146:147]
	v_mov_b32_e32 v148, 0x6b47b09a
	v_mov_b32_e32 v149, 0x3fc38538
	v_fmac_f64_e32 v[148:149], s[6:7], v[144:145]
	v_mov_b32_e32 v150, 0xd7f4df2e
	v_mov_b32_e32 v151, 0x3fc7474d
	v_fmac_f64_e32 v[150:151], v[144:145], v[148:149]
	;; [unrolled: 3-line block ×6, first 2 shown]
	v_cvt_f64_i32_e32 v[148:149], v53
	s_mov_b32 s11, 0x3fe62e42
	v_mul_f64 v[160:161], v[148:149], s[10:11]
	v_fma_f64 v[162:163], v[148:149], s[10:11], -v[160:161]
	s_mov_b32 s13, 0x3c7abc9e
	v_fmac_f64_e32 v[162:163], s[12:13], v[148:149]
	v_add_f64 v[148:149], v[160:161], v[162:163]
	v_add_f64 v[160:161], v[148:149], -v[160:161]
	v_mul_f64 v[144:145], v[146:147], v[144:145]
	v_add_f64 v[160:161], v[162:163], -v[160:161]
	v_ldexp_f64 v[162:163], v[146:147], 1
	v_mul_f64 v[144:145], v[144:145], v[150:151]
	v_add_f64 v[146:147], v[162:163], v[144:145]
	v_add_f64 v[150:151], v[146:147], -v[162:163]
	v_ldexp_f64 v[134:135], v[134:135], 1
	v_add_f64 v[144:145], v[144:145], -v[150:151]
	v_add_f64 v[134:135], v[134:135], v[144:145]
	v_add_f64 v[144:145], v[146:147], v[134:135]
	v_add_f64 v[146:147], v[144:145], -v[146:147]
	v_add_f64 v[134:135], v[134:135], -v[146:147]
	v_add_f64 v[146:147], v[148:149], v[144:145]
	v_add_f64 v[150:151], v[146:147], -v[148:149]
	v_add_f64 v[162:163], v[146:147], -v[150:151]
	;; [unrolled: 1-line block ×4, first 2 shown]
	v_add_f64 v[144:145], v[144:145], v[148:149]
	v_add_f64 v[148:149], v[160:161], v[134:135]
	v_add_f64 v[150:151], v[148:149], -v[160:161]
	v_add_f64 v[144:145], v[148:149], v[144:145]
	v_add_f64 v[162:163], v[148:149], -v[150:151]
	;; [unrolled: 2-line block ×3, first 2 shown]
	v_add_f64 v[134:135], v[134:135], -v[150:151]
	v_add_f64 v[146:147], v[148:149], -v[146:147]
	v_add_f64 v[134:135], v[134:135], v[160:161]
	v_add_f64 v[144:145], v[144:145], -v[146:147]
	s_mov_b32 s6, 0
	v_add_f64 v[134:135], v[134:135], v[144:145]
	s_mov_b32 s7, 0x7ff00000
	v_add_f64 v[134:135], v[148:149], v[134:135]
	v_cmp_eq_f64_e32 vcc, s[6:7], v[28:29]
	s_nop 1
	v_cndmask_b32_e32 v53, v134, v28, vcc
	v_cndmask_b32_e32 v71, v135, v29, vcc
	v_mov_b32_e32 v134, 0x7ff80000
	v_cmp_ngt_f64_e32 vcc, -1.0, v[28:29]
	s_nop 1
	v_cndmask_b32_e32 v71, v134, v71, vcc
	v_cmp_nge_f64_e32 vcc, -1.0, v[28:29]
	s_nop 1
	v_cndmask_b32_e32 v134, 0, v53, vcc
	v_mov_b32_e32 v53, 0xfff00000
	v_cmp_neq_f64_e32 vcc, -1.0, v[28:29]
	s_nop 1
	v_cndmask_b32_e32 v135, v53, v71, vcc
	v_add_f64 v[28:29], v[30:31], v[134:135]
.LBB30_259:
	s_or_b64 exec, exec, s[8:9]
	v_max_f64 v[30:31], v[28:29], v[28:29]
	v_min_f64 v[134:135], v[30:31], v[32:33]
	v_cmp_u_f64_e32 vcc, v[28:29], v[28:29]
	v_max_f64 v[30:31], v[30:31], v[32:33]
	s_nop 0
	v_cndmask_b32_e32 v53, v134, v28, vcc
	v_cndmask_b32_e32 v71, v135, v29, vcc
	;; [unrolled: 1-line block ×4, first 2 shown]
	v_cndmask_b32_e64 v135, v71, v69, s[30:31]
	v_cndmask_b32_e64 v134, v53, v68, s[30:31]
	;; [unrolled: 1-line block ×4, first 2 shown]
	v_cmp_neq_f64_e32 vcc, v[134:135], v[32:33]
	v_cmp_class_f64_e64 s[6:7], v[134:135], s14
	s_or_b64 s[6:7], vcc, s[6:7]
	v_mov_b64_e32 v[30:31], v[28:29]
	s_and_saveexec_b64 s[8:9], s[6:7]
	s_cbranch_execz .LBB30_261
; %bb.260:
	s_mov_b32 s6, 0x652b82fe
	v_add_f64 v[30:31], v[134:135], -v[32:33]
	s_mov_b32 s7, 0x3ff71547
	v_mul_f64 v[134:135], v[30:31], s[6:7]
	v_rndne_f64_e32 v[134:135], v[134:135]
	s_mov_b32 s11, 0xbfe62e42
	s_mov_b32 s10, 0xfefa39ef
	v_fma_f64 v[144:145], s[10:11], v[134:135], v[30:31]
	s_mov_b32 s13, 0xbc7abc9e
	s_mov_b32 s12, 0x3b39803f
	s_mov_b32 s6, 0x6a5dcb37
	v_fmac_f64_e32 v[144:145], s[12:13], v[134:135]
	v_mov_b32_e32 v146, 0xfca7ab0c
	v_mov_b32_e32 v147, 0x3e928af3
	s_mov_b32 s7, 0x3e5ade15
	v_fmac_f64_e32 v[146:147], s[6:7], v[144:145]
	v_mov_b32_e32 v148, 0x623fde64
	v_mov_b32_e32 v149, 0x3ec71dee
	v_fmac_f64_e32 v[148:149], v[144:145], v[146:147]
	v_mov_b32_e32 v146, 0x7c89e6b0
	v_mov_b32_e32 v147, 0x3efa0199
	;; [unrolled: 3-line block ×8, first 2 shown]
	s_mov_b32 s6, 0
	v_fmac_f64_e32 v[146:147], v[144:145], v[148:149]
	s_mov_b32 s7, 0x40900000
	v_fma_f64 v[146:147], v[144:145], v[146:147], 1.0
	v_cmp_nlt_f64_e32 vcc, s[6:7], v[30:31]
	s_mov_b32 s6, 0
	v_fma_f64 v[144:145], v[144:145], v[146:147], 1.0
	v_cvt_i32_f64_e32 v53, v[134:135]
	s_mov_b32 s7, 0xc090cc00
	v_ldexp_f64 v[134:135], v[144:145], v53
	v_mov_b32_e32 v53, 0x7ff00000
	v_cmp_ngt_f64_e64 s[6:7], s[6:7], v[30:31]
	v_cndmask_b32_e32 v53, v53, v135, vcc
	s_and_b64 vcc, s[6:7], vcc
	v_cndmask_b32_e64 v31, 0, v53, s[6:7]
	v_cndmask_b32_e32 v30, 0, v134, vcc
	v_add_f64 v[134:135], v[30:31], 1.0
	v_add_f64 v[144:145], v[134:135], -1.0
	v_add_f64 v[146:147], v[144:145], -v[134:135]
	v_add_f64 v[146:147], v[146:147], 1.0
	v_add_f64 v[144:145], v[30:31], -v[144:145]
	s_mov_b32 s6, 0x55555555
	v_add_f64 v[144:145], v[144:145], v[146:147]
	v_frexp_mant_f64_e32 v[146:147], v[134:135]
	s_mov_b32 s7, 0x3fe55555
	v_frexp_exp_i32_f64_e32 v53, v[134:135]
	v_cmp_gt_f64_e32 vcc, s[6:7], v[146:147]
	s_mov_b32 s6, 0xbf559e2b
	s_mov_b32 s7, 0x3fc3ab76
	v_subbrev_co_u32_e32 v53, vcc, 0, v53, vcc
	v_sub_u32_e32 v71, 0, v53
	v_ldexp_f64 v[134:135], v[134:135], v71
	v_add_f64 v[146:147], v[134:135], -1.0
	v_add_f64 v[160:161], v[134:135], 1.0
	v_add_f64 v[148:149], v[146:147], 1.0
	v_add_f64 v[162:163], v[160:161], -1.0
	v_ldexp_f64 v[144:145], v[144:145], v71
	v_add_f64 v[148:149], v[134:135], -v[148:149]
	v_add_f64 v[134:135], v[134:135], -v[162:163]
	v_add_f64 v[134:135], v[144:145], v[134:135]
	v_add_f64 v[148:149], v[144:145], v[148:149]
	;; [unrolled: 1-line block ×3, first 2 shown]
	v_rcp_f64_e32 v[162:163], v[144:145]
	v_add_f64 v[150:151], v[146:147], v[148:149]
	v_add_f64 v[146:147], v[150:151], -v[146:147]
	v_add_f64 v[146:147], v[148:149], -v[146:147]
	;; [unrolled: 1-line block ×4, first 2 shown]
	v_fma_f64 v[148:149], -v[144:145], v[162:163], 1.0
	v_fmac_f64_e32 v[162:163], v[148:149], v[162:163]
	v_fma_f64 v[148:149], -v[144:145], v[162:163], 1.0
	v_fmac_f64_e32 v[162:163], v[148:149], v[162:163]
	v_mul_f64 v[148:149], v[150:151], v[162:163]
	v_mul_f64 v[160:161], v[144:145], v[148:149]
	v_fma_f64 v[164:165], v[148:149], v[144:145], -v[160:161]
	v_fmac_f64_e32 v[164:165], v[148:149], v[134:135]
	v_add_f64 v[166:167], v[160:161], v[164:165]
	v_add_f64 v[176:177], v[150:151], -v[166:167]
	v_add_f64 v[150:151], v[150:151], -v[176:177]
	;; [unrolled: 1-line block ×4, first 2 shown]
	v_add_f64 v[146:147], v[146:147], v[150:151]
	v_add_f64 v[150:151], v[160:161], -v[164:165]
	v_add_f64 v[146:147], v[150:151], v[146:147]
	v_add_f64 v[150:151], v[176:177], v[146:147]
	v_add_f64 v[160:161], v[176:177], -v[150:151]
	v_add_f64 v[146:147], v[146:147], v[160:161]
	v_mul_f64 v[160:161], v[162:163], v[150:151]
	v_mul_f64 v[164:165], v[144:145], v[160:161]
	v_fma_f64 v[144:145], v[160:161], v[144:145], -v[164:165]
	v_fmac_f64_e32 v[144:145], v[160:161], v[134:135]
	v_add_f64 v[134:135], v[164:165], v[144:145]
	v_add_f64 v[166:167], v[150:151], -v[134:135]
	v_add_f64 v[150:151], v[150:151], -v[166:167]
	;; [unrolled: 1-line block ×4, first 2 shown]
	v_add_f64 v[134:135], v[146:147], v[134:135]
	v_add_f64 v[144:145], v[164:165], -v[144:145]
	v_add_f64 v[134:135], v[144:145], v[134:135]
	v_add_f64 v[144:145], v[148:149], v[160:161]
	;; [unrolled: 1-line block ×3, first 2 shown]
	v_add_f64 v[146:147], v[144:145], -v[148:149]
	v_mul_f64 v[134:135], v[162:163], v[134:135]
	v_add_f64 v[146:147], v[160:161], -v[146:147]
	v_add_f64 v[134:135], v[146:147], v[134:135]
	v_add_f64 v[146:147], v[144:145], v[134:135]
	v_add_f64 v[144:145], v[146:147], -v[144:145]
	v_add_f64 v[134:135], v[134:135], -v[144:145]
	v_mul_f64 v[144:145], v[146:147], v[146:147]
	v_mov_b32_e32 v148, 0x6b47b09a
	v_mov_b32_e32 v149, 0x3fc38538
	v_fmac_f64_e32 v[148:149], s[6:7], v[144:145]
	v_mov_b32_e32 v150, 0xd7f4df2e
	v_mov_b32_e32 v151, 0x3fc7474d
	v_fmac_f64_e32 v[150:151], v[144:145], v[148:149]
	;; [unrolled: 3-line block ×6, first 2 shown]
	v_cvt_f64_i32_e32 v[148:149], v53
	s_mov_b32 s11, 0x3fe62e42
	v_mul_f64 v[160:161], v[148:149], s[10:11]
	v_fma_f64 v[162:163], v[148:149], s[10:11], -v[160:161]
	s_mov_b32 s13, 0x3c7abc9e
	v_fmac_f64_e32 v[162:163], s[12:13], v[148:149]
	v_add_f64 v[148:149], v[160:161], v[162:163]
	v_add_f64 v[160:161], v[148:149], -v[160:161]
	v_mul_f64 v[144:145], v[146:147], v[144:145]
	v_add_f64 v[160:161], v[162:163], -v[160:161]
	v_ldexp_f64 v[162:163], v[146:147], 1
	v_mul_f64 v[144:145], v[144:145], v[150:151]
	v_add_f64 v[146:147], v[162:163], v[144:145]
	v_add_f64 v[150:151], v[146:147], -v[162:163]
	v_ldexp_f64 v[134:135], v[134:135], 1
	v_add_f64 v[144:145], v[144:145], -v[150:151]
	v_add_f64 v[134:135], v[134:135], v[144:145]
	v_add_f64 v[144:145], v[146:147], v[134:135]
	v_add_f64 v[146:147], v[144:145], -v[146:147]
	v_add_f64 v[134:135], v[134:135], -v[146:147]
	v_add_f64 v[146:147], v[148:149], v[144:145]
	v_add_f64 v[150:151], v[146:147], -v[148:149]
	v_add_f64 v[162:163], v[146:147], -v[150:151]
	;; [unrolled: 1-line block ×4, first 2 shown]
	v_add_f64 v[144:145], v[144:145], v[148:149]
	v_add_f64 v[148:149], v[160:161], v[134:135]
	v_add_f64 v[150:151], v[148:149], -v[160:161]
	v_add_f64 v[144:145], v[148:149], v[144:145]
	v_add_f64 v[162:163], v[148:149], -v[150:151]
	;; [unrolled: 2-line block ×3, first 2 shown]
	v_add_f64 v[134:135], v[134:135], -v[150:151]
	v_add_f64 v[146:147], v[148:149], -v[146:147]
	v_add_f64 v[134:135], v[134:135], v[160:161]
	v_add_f64 v[144:145], v[144:145], -v[146:147]
	s_mov_b32 s6, 0
	v_add_f64 v[134:135], v[134:135], v[144:145]
	s_mov_b32 s7, 0x7ff00000
	v_add_f64 v[134:135], v[148:149], v[134:135]
	v_cmp_eq_f64_e32 vcc, s[6:7], v[30:31]
	s_nop 1
	v_cndmask_b32_e32 v53, v134, v30, vcc
	v_cndmask_b32_e32 v71, v135, v31, vcc
	v_mov_b32_e32 v134, 0x7ff80000
	v_cmp_ngt_f64_e32 vcc, -1.0, v[30:31]
	s_nop 1
	v_cndmask_b32_e32 v71, v134, v71, vcc
	v_cmp_nge_f64_e32 vcc, -1.0, v[30:31]
	s_nop 1
	v_cndmask_b32_e32 v134, 0, v53, vcc
	v_mov_b32_e32 v53, 0xfff00000
	v_cmp_neq_f64_e32 vcc, -1.0, v[30:31]
	s_nop 1
	v_cndmask_b32_e32 v135, v53, v71, vcc
	v_add_f64 v[30:31], v[32:33], v[134:135]
.LBB30_261:
	s_or_b64 exec, exec, s[8:9]
	v_max_f64 v[32:33], v[30:31], v[30:31]
	v_min_f64 v[134:135], v[32:33], v[34:35]
	v_cmp_u_f64_e32 vcc, v[30:31], v[30:31]
	v_max_f64 v[32:33], v[32:33], v[34:35]
	s_movk_i32 s6, 0x1f8
	v_cndmask_b32_e32 v53, v134, v30, vcc
	v_cndmask_b32_e32 v71, v135, v31, vcc
	;; [unrolled: 1-line block ×4, first 2 shown]
	v_cndmask_b32_e64 v135, v71, v131, s[34:35]
	v_cndmask_b32_e64 v134, v53, v130, s[34:35]
	;; [unrolled: 1-line block ×4, first 2 shown]
	v_cmp_neq_f64_e32 vcc, v[134:135], v[34:35]
	v_cmp_class_f64_e64 s[6:7], v[134:135], s6
	s_or_b64 s[6:7], vcc, s[6:7]
	v_mov_b64_e32 v[32:33], v[30:31]
	s_and_saveexec_b64 s[8:9], s[6:7]
	s_cbranch_execz .LBB30_263
; %bb.262:
	s_mov_b32 s6, 0x652b82fe
	v_add_f64 v[32:33], v[134:135], -v[34:35]
	s_mov_b32 s7, 0x3ff71547
	v_mul_f64 v[134:135], v[32:33], s[6:7]
	v_rndne_f64_e32 v[134:135], v[134:135]
	s_mov_b32 s11, 0xbfe62e42
	s_mov_b32 s10, 0xfefa39ef
	v_fma_f64 v[144:145], s[10:11], v[134:135], v[32:33]
	s_mov_b32 s13, 0xbc7abc9e
	s_mov_b32 s12, 0x3b39803f
	;; [unrolled: 1-line block ×3, first 2 shown]
	v_fmac_f64_e32 v[144:145], s[12:13], v[134:135]
	v_mov_b32_e32 v146, 0xfca7ab0c
	v_mov_b32_e32 v147, 0x3e928af3
	s_mov_b32 s7, 0x3e5ade15
	v_fmac_f64_e32 v[146:147], s[6:7], v[144:145]
	v_mov_b32_e32 v148, 0x623fde64
	v_mov_b32_e32 v149, 0x3ec71dee
	v_fmac_f64_e32 v[148:149], v[144:145], v[146:147]
	v_mov_b32_e32 v146, 0x7c89e6b0
	v_mov_b32_e32 v147, 0x3efa0199
	v_fmac_f64_e32 v[146:147], v[144:145], v[148:149]
	v_mov_b32_e32 v148, 0x14761f6e
	v_mov_b32_e32 v149, 0x3f2a01a0
	v_fmac_f64_e32 v[148:149], v[144:145], v[146:147]
	v_mov_b32_e32 v146, 0x1852b7b0
	v_mov_b32_e32 v147, 0x3f56c16c
	v_fmac_f64_e32 v[146:147], v[144:145], v[148:149]
	v_mov_b32_e32 v148, 0x11122322
	v_mov_b32_e32 v149, 0x3f811111
	v_fmac_f64_e32 v[148:149], v[144:145], v[146:147]
	v_mov_b32_e32 v146, 0x555502a1
	v_mov_b32_e32 v147, 0x3fa55555
	v_fmac_f64_e32 v[146:147], v[144:145], v[148:149]
	v_mov_b32_e32 v148, 0x55555511
	v_mov_b32_e32 v149, 0x3fc55555
	v_fmac_f64_e32 v[148:149], v[144:145], v[146:147]
	v_mov_b32_e32 v146, 11
	v_mov_b32_e32 v147, 0x3fe00000
	s_mov_b32 s6, 0
	v_fmac_f64_e32 v[146:147], v[144:145], v[148:149]
	s_mov_b32 s7, 0x40900000
	v_fma_f64 v[146:147], v[144:145], v[146:147], 1.0
	v_cmp_nlt_f64_e32 vcc, s[6:7], v[32:33]
	s_mov_b32 s6, 0
	v_fma_f64 v[144:145], v[144:145], v[146:147], 1.0
	v_cvt_i32_f64_e32 v53, v[134:135]
	s_mov_b32 s7, 0xc090cc00
	v_ldexp_f64 v[134:135], v[144:145], v53
	v_mov_b32_e32 v53, 0x7ff00000
	v_cmp_ngt_f64_e64 s[6:7], s[6:7], v[32:33]
	v_cndmask_b32_e32 v53, v53, v135, vcc
	s_and_b64 vcc, s[6:7], vcc
	v_cndmask_b32_e64 v33, 0, v53, s[6:7]
	v_cndmask_b32_e32 v32, 0, v134, vcc
	v_add_f64 v[134:135], v[32:33], 1.0
	v_add_f64 v[144:145], v[134:135], -1.0
	v_add_f64 v[146:147], v[144:145], -v[134:135]
	v_add_f64 v[146:147], v[146:147], 1.0
	v_add_f64 v[144:145], v[32:33], -v[144:145]
	s_mov_b32 s6, 0x55555555
	v_add_f64 v[144:145], v[144:145], v[146:147]
	v_frexp_mant_f64_e32 v[146:147], v[134:135]
	s_mov_b32 s7, 0x3fe55555
	v_frexp_exp_i32_f64_e32 v53, v[134:135]
	v_cmp_gt_f64_e32 vcc, s[6:7], v[146:147]
	s_mov_b32 s6, 0xbf559e2b
	s_mov_b32 s7, 0x3fc3ab76
	v_subbrev_co_u32_e32 v53, vcc, 0, v53, vcc
	v_sub_u32_e32 v71, 0, v53
	v_ldexp_f64 v[134:135], v[134:135], v71
	v_add_f64 v[146:147], v[134:135], -1.0
	v_add_f64 v[160:161], v[134:135], 1.0
	v_add_f64 v[148:149], v[146:147], 1.0
	v_add_f64 v[162:163], v[160:161], -1.0
	v_ldexp_f64 v[144:145], v[144:145], v71
	v_add_f64 v[148:149], v[134:135], -v[148:149]
	v_add_f64 v[134:135], v[134:135], -v[162:163]
	v_add_f64 v[134:135], v[144:145], v[134:135]
	v_add_f64 v[148:149], v[144:145], v[148:149]
	;; [unrolled: 1-line block ×3, first 2 shown]
	v_rcp_f64_e32 v[162:163], v[144:145]
	v_add_f64 v[150:151], v[146:147], v[148:149]
	v_add_f64 v[146:147], v[150:151], -v[146:147]
	v_add_f64 v[146:147], v[148:149], -v[146:147]
	;; [unrolled: 1-line block ×4, first 2 shown]
	v_fma_f64 v[148:149], -v[144:145], v[162:163], 1.0
	v_fmac_f64_e32 v[162:163], v[148:149], v[162:163]
	v_fma_f64 v[148:149], -v[144:145], v[162:163], 1.0
	v_fmac_f64_e32 v[162:163], v[148:149], v[162:163]
	v_mul_f64 v[148:149], v[150:151], v[162:163]
	v_mul_f64 v[160:161], v[144:145], v[148:149]
	v_fma_f64 v[164:165], v[148:149], v[144:145], -v[160:161]
	v_fmac_f64_e32 v[164:165], v[148:149], v[134:135]
	v_add_f64 v[166:167], v[160:161], v[164:165]
	v_add_f64 v[176:177], v[150:151], -v[166:167]
	v_add_f64 v[150:151], v[150:151], -v[176:177]
	;; [unrolled: 1-line block ×4, first 2 shown]
	v_add_f64 v[146:147], v[146:147], v[150:151]
	v_add_f64 v[150:151], v[160:161], -v[164:165]
	v_add_f64 v[146:147], v[150:151], v[146:147]
	v_add_f64 v[150:151], v[176:177], v[146:147]
	v_add_f64 v[160:161], v[176:177], -v[150:151]
	v_add_f64 v[146:147], v[146:147], v[160:161]
	v_mul_f64 v[160:161], v[162:163], v[150:151]
	v_mul_f64 v[164:165], v[144:145], v[160:161]
	v_fma_f64 v[144:145], v[160:161], v[144:145], -v[164:165]
	v_fmac_f64_e32 v[144:145], v[160:161], v[134:135]
	v_add_f64 v[134:135], v[164:165], v[144:145]
	v_add_f64 v[166:167], v[150:151], -v[134:135]
	v_add_f64 v[150:151], v[150:151], -v[166:167]
	;; [unrolled: 1-line block ×4, first 2 shown]
	v_add_f64 v[134:135], v[146:147], v[134:135]
	v_add_f64 v[144:145], v[164:165], -v[144:145]
	v_add_f64 v[134:135], v[144:145], v[134:135]
	v_add_f64 v[144:145], v[148:149], v[160:161]
	;; [unrolled: 1-line block ×3, first 2 shown]
	v_add_f64 v[146:147], v[144:145], -v[148:149]
	v_mul_f64 v[134:135], v[162:163], v[134:135]
	v_add_f64 v[146:147], v[160:161], -v[146:147]
	v_add_f64 v[134:135], v[146:147], v[134:135]
	v_add_f64 v[146:147], v[144:145], v[134:135]
	v_add_f64 v[144:145], v[146:147], -v[144:145]
	v_add_f64 v[134:135], v[134:135], -v[144:145]
	v_mul_f64 v[144:145], v[146:147], v[146:147]
	v_mov_b32_e32 v148, 0x6b47b09a
	v_mov_b32_e32 v149, 0x3fc38538
	v_fmac_f64_e32 v[148:149], s[6:7], v[144:145]
	v_mov_b32_e32 v150, 0xd7f4df2e
	v_mov_b32_e32 v151, 0x3fc7474d
	v_fmac_f64_e32 v[150:151], v[144:145], v[148:149]
	;; [unrolled: 3-line block ×6, first 2 shown]
	v_cvt_f64_i32_e32 v[148:149], v53
	s_mov_b32 s11, 0x3fe62e42
	v_mul_f64 v[160:161], v[148:149], s[10:11]
	v_fma_f64 v[162:163], v[148:149], s[10:11], -v[160:161]
	s_mov_b32 s13, 0x3c7abc9e
	v_fmac_f64_e32 v[162:163], s[12:13], v[148:149]
	v_add_f64 v[148:149], v[160:161], v[162:163]
	v_add_f64 v[160:161], v[148:149], -v[160:161]
	v_mul_f64 v[144:145], v[146:147], v[144:145]
	v_add_f64 v[160:161], v[162:163], -v[160:161]
	v_ldexp_f64 v[162:163], v[146:147], 1
	v_mul_f64 v[144:145], v[144:145], v[150:151]
	v_add_f64 v[146:147], v[162:163], v[144:145]
	v_add_f64 v[150:151], v[146:147], -v[162:163]
	v_ldexp_f64 v[134:135], v[134:135], 1
	v_add_f64 v[144:145], v[144:145], -v[150:151]
	v_add_f64 v[134:135], v[134:135], v[144:145]
	v_add_f64 v[144:145], v[146:147], v[134:135]
	v_add_f64 v[146:147], v[144:145], -v[146:147]
	v_add_f64 v[134:135], v[134:135], -v[146:147]
	v_add_f64 v[146:147], v[148:149], v[144:145]
	v_add_f64 v[150:151], v[146:147], -v[148:149]
	v_add_f64 v[162:163], v[146:147], -v[150:151]
	;; [unrolled: 1-line block ×4, first 2 shown]
	v_add_f64 v[144:145], v[144:145], v[148:149]
	v_add_f64 v[148:149], v[160:161], v[134:135]
	v_add_f64 v[150:151], v[148:149], -v[160:161]
	v_add_f64 v[144:145], v[148:149], v[144:145]
	v_add_f64 v[162:163], v[148:149], -v[150:151]
	;; [unrolled: 2-line block ×3, first 2 shown]
	v_add_f64 v[134:135], v[134:135], -v[150:151]
	v_add_f64 v[146:147], v[148:149], -v[146:147]
	v_add_f64 v[134:135], v[134:135], v[160:161]
	v_add_f64 v[144:145], v[144:145], -v[146:147]
	s_mov_b32 s6, 0
	v_add_f64 v[134:135], v[134:135], v[144:145]
	s_mov_b32 s7, 0x7ff00000
	v_add_f64 v[134:135], v[148:149], v[134:135]
	v_cmp_eq_f64_e32 vcc, s[6:7], v[32:33]
	s_nop 1
	v_cndmask_b32_e32 v53, v134, v32, vcc
	v_cndmask_b32_e32 v71, v135, v33, vcc
	v_mov_b32_e32 v134, 0x7ff80000
	v_cmp_ngt_f64_e32 vcc, -1.0, v[32:33]
	s_nop 1
	v_cndmask_b32_e32 v71, v134, v71, vcc
	v_cmp_nge_f64_e32 vcc, -1.0, v[32:33]
	s_nop 1
	v_cndmask_b32_e32 v134, 0, v53, vcc
	v_mov_b32_e32 v53, 0xfff00000
	v_cmp_neq_f64_e32 vcc, -1.0, v[32:33]
	s_nop 1
	v_cndmask_b32_e32 v135, v53, v71, vcc
	v_add_f64 v[32:33], v[34:35], v[134:135]
.LBB30_263:
	s_or_b64 exec, exec, s[8:9]
	s_branch .LBB30_381
.LBB30_264:
	v_cmp_ne_u64_e32 vcc, 0, v[48:49]
	s_and_b64 s[6:7], s[4:5], vcc
	s_and_saveexec_b64 s[8:9], s[6:7]
	s_cbranch_execz .LBB30_268
; %bb.265:
	flat_load_dwordx2 v[4:5], v[36:37]
	v_max_f64 v[6:7], v[0:1], v[0:1]
	s_movk_i32 s6, 0x1f8
	s_waitcnt vmcnt(0) lgkmcnt(0)
	v_max_f64 v[8:9], v[4:5], v[4:5]
	v_min_f64 v[10:11], v[8:9], v[6:7]
	v_max_f64 v[6:7], v[8:9], v[6:7]
	v_cmp_u_f64_e32 vcc, v[4:5], v[4:5]
	s_nop 1
	v_cndmask_b32_e32 v8, v10, v4, vcc
	v_cndmask_b32_e32 v9, v11, v5, vcc
	;; [unrolled: 1-line block ×4, first 2 shown]
	v_cmp_u_f64_e32 vcc, v[0:1], v[0:1]
	s_nop 1
	v_cndmask_b32_e32 v7, v9, v1, vcc
	v_cndmask_b32_e32 v6, v8, v0, vcc
	;; [unrolled: 1-line block ×4, first 2 shown]
	v_cmp_neq_f64_e32 vcc, v[6:7], v[0:1]
	v_cmp_class_f64_e64 s[6:7], v[6:7], s6
	s_or_b64 s[6:7], vcc, s[6:7]
	s_and_saveexec_b64 s[10:11], s[6:7]
	s_cbranch_execz .LBB30_267
; %bb.266:
	s_mov_b32 s6, 0x652b82fe
	v_add_f64 v[4:5], v[6:7], -v[0:1]
	s_mov_b32 s7, 0x3ff71547
	v_mul_f64 v[6:7], v[4:5], s[6:7]
	v_rndne_f64_e32 v[6:7], v[6:7]
	s_mov_b32 s13, 0xbfe62e42
	s_mov_b32 s12, 0xfefa39ef
	v_fma_f64 v[8:9], s[12:13], v[6:7], v[4:5]
	s_mov_b32 s15, 0xbc7abc9e
	s_mov_b32 s14, 0x3b39803f
	s_mov_b32 s6, 0x6a5dcb37
	v_fmac_f64_e32 v[8:9], s[14:15], v[6:7]
	v_mov_b32_e32 v10, 0xfca7ab0c
	v_mov_b32_e32 v11, 0x3e928af3
	s_mov_b32 s7, 0x3e5ade15
	v_fmac_f64_e32 v[10:11], s[6:7], v[8:9]
	v_mov_b32_e32 v12, 0x623fde64
	v_mov_b32_e32 v13, 0x3ec71dee
	v_fmac_f64_e32 v[12:13], v[8:9], v[10:11]
	v_mov_b32_e32 v10, 0x7c89e6b0
	v_mov_b32_e32 v11, 0x3efa0199
	;; [unrolled: 3-line block ×8, first 2 shown]
	s_mov_b32 s6, 0
	v_fmac_f64_e32 v[10:11], v[8:9], v[12:13]
	s_mov_b32 s7, 0x40900000
	v_fma_f64 v[10:11], v[8:9], v[10:11], 1.0
	v_cmp_nlt_f64_e32 vcc, s[6:7], v[4:5]
	s_mov_b32 s6, 0
	v_fma_f64 v[8:9], v[8:9], v[10:11], 1.0
	v_cvt_i32_f64_e32 v6, v[6:7]
	s_mov_b32 s7, 0xc090cc00
	v_ldexp_f64 v[6:7], v[8:9], v6
	v_mov_b32_e32 v8, 0x7ff00000
	v_cmp_ngt_f64_e64 s[6:7], s[6:7], v[4:5]
	v_cndmask_b32_e32 v7, v8, v7, vcc
	s_and_b64 vcc, s[6:7], vcc
	v_cndmask_b32_e64 v5, 0, v7, s[6:7]
	v_cndmask_b32_e32 v4, 0, v6, vcc
	v_add_f64 v[6:7], v[4:5], 1.0
	v_add_f64 v[8:9], v[6:7], -1.0
	v_add_f64 v[10:11], v[8:9], -v[6:7]
	v_add_f64 v[10:11], v[10:11], 1.0
	v_add_f64 v[8:9], v[4:5], -v[8:9]
	s_mov_b32 s6, 0x55555555
	v_add_f64 v[8:9], v[8:9], v[10:11]
	v_frexp_mant_f64_e32 v[10:11], v[6:7]
	s_mov_b32 s7, 0x3fe55555
	v_frexp_exp_i32_f64_e32 v12, v[6:7]
	v_cmp_gt_f64_e32 vcc, s[6:7], v[10:11]
	s_mov_b32 s6, 0xbf559e2b
	s_mov_b32 s7, 0x3fc3ab76
	v_subbrev_co_u32_e32 v26, vcc, 0, v12, vcc
	v_sub_u32_e32 v10, 0, v26
	v_ldexp_f64 v[6:7], v[6:7], v10
	v_ldexp_f64 v[8:9], v[8:9], v10
	v_add_f64 v[10:11], v[6:7], -1.0
	v_add_f64 v[16:17], v[6:7], 1.0
	v_add_f64 v[12:13], v[10:11], 1.0
	v_add_f64 v[18:19], v[16:17], -1.0
	v_add_f64 v[12:13], v[6:7], -v[12:13]
	v_add_f64 v[6:7], v[6:7], -v[18:19]
	v_add_f64 v[6:7], v[8:9], v[6:7]
	v_add_f64 v[12:13], v[8:9], v[12:13]
	;; [unrolled: 1-line block ×3, first 2 shown]
	v_rcp_f64_e32 v[18:19], v[8:9]
	v_add_f64 v[14:15], v[10:11], v[12:13]
	v_add_f64 v[10:11], v[14:15], -v[10:11]
	v_add_f64 v[10:11], v[12:13], -v[10:11]
	;; [unrolled: 1-line block ×4, first 2 shown]
	v_fma_f64 v[12:13], -v[8:9], v[18:19], 1.0
	v_fmac_f64_e32 v[18:19], v[12:13], v[18:19]
	v_fma_f64 v[12:13], -v[8:9], v[18:19], 1.0
	v_fmac_f64_e32 v[18:19], v[12:13], v[18:19]
	v_mul_f64 v[12:13], v[14:15], v[18:19]
	v_mul_f64 v[16:17], v[8:9], v[12:13]
	v_fma_f64 v[20:21], v[12:13], v[8:9], -v[16:17]
	v_fmac_f64_e32 v[20:21], v[12:13], v[6:7]
	v_add_f64 v[22:23], v[16:17], v[20:21]
	v_add_f64 v[24:25], v[14:15], -v[22:23]
	v_add_f64 v[14:15], v[14:15], -v[24:25]
	v_add_f64 v[16:17], v[22:23], -v[16:17]
	v_add_f64 v[14:15], v[14:15], -v[22:23]
	v_add_f64 v[10:11], v[10:11], v[14:15]
	v_add_f64 v[14:15], v[16:17], -v[20:21]
	v_add_f64 v[10:11], v[14:15], v[10:11]
	v_add_f64 v[14:15], v[24:25], v[10:11]
	v_add_f64 v[16:17], v[24:25], -v[14:15]
	v_add_f64 v[10:11], v[10:11], v[16:17]
	v_mul_f64 v[16:17], v[18:19], v[14:15]
	v_mul_f64 v[20:21], v[8:9], v[16:17]
	v_fma_f64 v[8:9], v[16:17], v[8:9], -v[20:21]
	v_fmac_f64_e32 v[8:9], v[16:17], v[6:7]
	v_add_f64 v[6:7], v[20:21], v[8:9]
	v_add_f64 v[22:23], v[14:15], -v[6:7]
	v_add_f64 v[14:15], v[14:15], -v[22:23]
	;; [unrolled: 1-line block ×4, first 2 shown]
	v_add_f64 v[6:7], v[10:11], v[6:7]
	v_add_f64 v[8:9], v[20:21], -v[8:9]
	v_add_f64 v[6:7], v[8:9], v[6:7]
	v_add_f64 v[8:9], v[12:13], v[16:17]
	v_add_f64 v[6:7], v[22:23], v[6:7]
	v_add_f64 v[10:11], v[8:9], -v[12:13]
	v_mul_f64 v[6:7], v[18:19], v[6:7]
	v_add_f64 v[10:11], v[16:17], -v[10:11]
	v_add_f64 v[6:7], v[10:11], v[6:7]
	v_add_f64 v[10:11], v[8:9], v[6:7]
	v_add_f64 v[8:9], v[10:11], -v[8:9]
	v_add_f64 v[6:7], v[6:7], -v[8:9]
	v_mul_f64 v[8:9], v[10:11], v[10:11]
	v_mov_b32_e32 v12, 0x6b47b09a
	v_mov_b32_e32 v13, 0x3fc38538
	v_fmac_f64_e32 v[12:13], s[6:7], v[8:9]
	v_mov_b32_e32 v14, 0xd7f4df2e
	v_mov_b32_e32 v15, 0x3fc7474d
	v_fmac_f64_e32 v[14:15], v[8:9], v[12:13]
	;; [unrolled: 3-line block ×6, first 2 shown]
	v_cvt_f64_i32_e32 v[12:13], v26
	s_mov_b32 s13, 0x3fe62e42
	v_mul_f64 v[16:17], v[12:13], s[12:13]
	v_fma_f64 v[18:19], v[12:13], s[12:13], -v[16:17]
	s_mov_b32 s15, 0x3c7abc9e
	v_fmac_f64_e32 v[18:19], s[14:15], v[12:13]
	v_add_f64 v[12:13], v[16:17], v[18:19]
	v_add_f64 v[16:17], v[12:13], -v[16:17]
	v_mul_f64 v[8:9], v[10:11], v[8:9]
	v_add_f64 v[16:17], v[18:19], -v[16:17]
	v_ldexp_f64 v[18:19], v[10:11], 1
	v_mul_f64 v[8:9], v[8:9], v[14:15]
	v_add_f64 v[10:11], v[18:19], v[8:9]
	v_add_f64 v[14:15], v[10:11], -v[18:19]
	v_ldexp_f64 v[6:7], v[6:7], 1
	v_add_f64 v[8:9], v[8:9], -v[14:15]
	v_add_f64 v[6:7], v[6:7], v[8:9]
	v_add_f64 v[8:9], v[10:11], v[6:7]
	v_add_f64 v[10:11], v[8:9], -v[10:11]
	v_add_f64 v[6:7], v[6:7], -v[10:11]
	v_add_f64 v[10:11], v[12:13], v[8:9]
	v_add_f64 v[14:15], v[10:11], -v[12:13]
	v_add_f64 v[18:19], v[10:11], -v[14:15]
	;; [unrolled: 1-line block ×4, first 2 shown]
	v_add_f64 v[8:9], v[8:9], v[12:13]
	v_add_f64 v[12:13], v[16:17], v[6:7]
	v_add_f64 v[14:15], v[12:13], -v[16:17]
	v_add_f64 v[8:9], v[12:13], v[8:9]
	v_add_f64 v[18:19], v[12:13], -v[14:15]
	;; [unrolled: 2-line block ×3, first 2 shown]
	v_add_f64 v[6:7], v[6:7], -v[14:15]
	v_add_f64 v[10:11], v[12:13], -v[10:11]
	v_add_f64 v[6:7], v[6:7], v[16:17]
	v_add_f64 v[8:9], v[8:9], -v[10:11]
	s_mov_b32 s6, 0
	v_add_f64 v[6:7], v[6:7], v[8:9]
	s_mov_b32 s7, 0x7ff00000
	v_add_f64 v[6:7], v[12:13], v[6:7]
	v_cmp_eq_f64_e32 vcc, s[6:7], v[4:5]
	v_mov_b32_e32 v8, 0x7ff80000
	s_nop 0
	v_cndmask_b32_e32 v6, v6, v4, vcc
	v_cndmask_b32_e32 v7, v7, v5, vcc
	v_cmp_ngt_f64_e32 vcc, -1.0, v[4:5]
	s_nop 1
	v_cndmask_b32_e32 v7, v8, v7, vcc
	v_cmp_nge_f64_e32 vcc, -1.0, v[4:5]
	v_mov_b32_e32 v8, 0xfff00000
	s_nop 0
	v_cndmask_b32_e32 v6, 0, v6, vcc
	v_cmp_neq_f64_e32 vcc, -1.0, v[4:5]
	s_nop 1
	v_cndmask_b32_e32 v7, v8, v7, vcc
	v_add_f64 v[4:5], v[0:1], v[6:7]
.LBB30_267:
	s_or_b64 exec, exec, s[10:11]
	v_mov_b64_e32 v[0:1], v[4:5]
.LBB30_268:
	s_or_b64 exec, exec, s[8:9]
	v_max_f64 v[34:35], v[0:1], v[0:1]
	v_min_f64 v[36:37], v[34:35], v[132:133]
	v_cmp_u_f64_e64 s[34:35], v[0:1], v[0:1]
	v_cmp_u_f64_e32 vcc, v[2:3], v[2:3]
	v_max_f64 v[48:49], v[34:35], v[132:133]
	v_cndmask_b32_e64 v4, v36, v0, s[34:35]
	v_cndmask_b32_e64 v5, v37, v1, s[34:35]
	v_cndmask_b32_e32 v7, v5, v3, vcc
	v_cndmask_b32_e32 v6, v4, v2, vcc
	v_cndmask_b32_e64 v4, v48, v0, s[34:35]
	v_cndmask_b32_e64 v5, v49, v1, s[34:35]
	v_cndmask_b32_e32 v5, v5, v3, vcc
	v_cndmask_b32_e32 v4, v4, v2, vcc
	s_movk_i32 s16, 0x1f8
	v_cmp_neq_f64_e64 s[6:7], v[6:7], v[4:5]
	v_cmp_class_f64_e64 s[8:9], v[6:7], s16
	s_or_b64 s[6:7], s[6:7], s[8:9]
	v_mov_b64_e32 v[134:135], v[0:1]
	s_and_saveexec_b64 s[10:11], s[6:7]
	s_cbranch_execz .LBB30_270
; %bb.269:
	s_mov_b32 s6, 0x652b82fe
	v_add_f64 v[6:7], v[6:7], -v[4:5]
	s_mov_b32 s7, 0x3ff71547
	v_mul_f64 v[8:9], v[6:7], s[6:7]
	v_rndne_f64_e32 v[8:9], v[8:9]
	s_mov_b32 s13, 0xbfe62e42
	s_mov_b32 s12, 0xfefa39ef
	v_fma_f64 v[10:11], s[12:13], v[8:9], v[6:7]
	s_mov_b32 s15, 0xbc7abc9e
	s_mov_b32 s14, 0x3b39803f
	;; [unrolled: 1-line block ×3, first 2 shown]
	v_fmac_f64_e32 v[10:11], s[14:15], v[8:9]
	v_mov_b32_e32 v12, 0xfca7ab0c
	v_mov_b32_e32 v13, 0x3e928af3
	s_mov_b32 s7, 0x3e5ade15
	v_fmac_f64_e32 v[12:13], s[6:7], v[10:11]
	v_mov_b32_e32 v14, 0x623fde64
	v_mov_b32_e32 v15, 0x3ec71dee
	v_fmac_f64_e32 v[14:15], v[10:11], v[12:13]
	v_mov_b32_e32 v12, 0x7c89e6b0
	v_mov_b32_e32 v13, 0x3efa0199
	;; [unrolled: 3-line block ×8, first 2 shown]
	v_fmac_f64_e32 v[12:13], v[10:11], v[14:15]
	v_fma_f64 v[12:13], v[10:11], v[12:13], 1.0
	s_mov_b32 s6, 0
	s_mov_b32 s8, 0
	v_fma_f64 v[10:11], v[10:11], v[12:13], 1.0
	v_cvt_i32_f64_e32 v8, v[8:9]
	s_mov_b32 s7, 0x40900000
	s_mov_b32 s9, 0xc090cc00
	v_ldexp_f64 v[8:9], v[10:11], v8
	v_mov_b32_e32 v10, 0x7ff00000
	v_cmp_nlt_f64_e64 s[6:7], s[6:7], v[6:7]
	v_cmp_ngt_f64_e64 s[8:9], s[8:9], v[6:7]
	s_mov_b32 s13, 0x3fe62e42
	v_cndmask_b32_e64 v9, v10, v9, s[6:7]
	s_and_b64 s[6:7], s[8:9], s[6:7]
	v_cndmask_b32_e64 v7, 0, v9, s[8:9]
	v_cndmask_b32_e64 v6, 0, v8, s[6:7]
	v_add_f64 v[8:9], v[6:7], 1.0
	v_add_f64 v[10:11], v[8:9], -1.0
	v_add_f64 v[12:13], v[10:11], -v[8:9]
	v_add_f64 v[12:13], v[12:13], 1.0
	v_add_f64 v[10:11], v[6:7], -v[10:11]
	s_mov_b32 s6, 0x55555555
	v_add_f64 v[10:11], v[10:11], v[12:13]
	v_frexp_mant_f64_e32 v[12:13], v[8:9]
	s_mov_b32 s7, 0x3fe55555
	v_frexp_exp_i32_f64_e32 v14, v[8:9]
	v_cmp_gt_f64_e64 s[6:7], s[6:7], v[12:13]
	s_mov_b32 s15, 0x3c7abc9e
	s_nop 0
	v_subbrev_co_u32_e64 v28, s[6:7], 0, v14, s[6:7]
	v_sub_u32_e32 v12, 0, v28
	v_ldexp_f64 v[8:9], v[8:9], v12
	v_ldexp_f64 v[10:11], v[10:11], v12
	v_add_f64 v[12:13], v[8:9], -1.0
	v_add_f64 v[18:19], v[8:9], 1.0
	v_add_f64 v[14:15], v[12:13], 1.0
	v_add_f64 v[20:21], v[18:19], -1.0
	v_add_f64 v[14:15], v[8:9], -v[14:15]
	v_add_f64 v[8:9], v[8:9], -v[20:21]
	v_add_f64 v[8:9], v[10:11], v[8:9]
	v_add_f64 v[14:15], v[10:11], v[14:15]
	;; [unrolled: 1-line block ×3, first 2 shown]
	v_rcp_f64_e32 v[20:21], v[10:11]
	v_add_f64 v[16:17], v[12:13], v[14:15]
	v_add_f64 v[12:13], v[16:17], -v[12:13]
	v_add_f64 v[12:13], v[14:15], -v[12:13]
	;; [unrolled: 1-line block ×4, first 2 shown]
	v_fma_f64 v[14:15], -v[10:11], v[20:21], 1.0
	v_fmac_f64_e32 v[20:21], v[14:15], v[20:21]
	v_fma_f64 v[14:15], -v[10:11], v[20:21], 1.0
	v_fmac_f64_e32 v[20:21], v[14:15], v[20:21]
	v_mul_f64 v[14:15], v[16:17], v[20:21]
	v_mul_f64 v[18:19], v[10:11], v[14:15]
	v_fma_f64 v[22:23], v[14:15], v[10:11], -v[18:19]
	v_fmac_f64_e32 v[22:23], v[14:15], v[8:9]
	v_add_f64 v[24:25], v[18:19], v[22:23]
	v_add_f64 v[26:27], v[16:17], -v[24:25]
	v_add_f64 v[16:17], v[16:17], -v[26:27]
	v_add_f64 v[18:19], v[24:25], -v[18:19]
	v_add_f64 v[16:17], v[16:17], -v[24:25]
	v_add_f64 v[12:13], v[12:13], v[16:17]
	v_add_f64 v[16:17], v[18:19], -v[22:23]
	v_add_f64 v[12:13], v[16:17], v[12:13]
	v_add_f64 v[16:17], v[26:27], v[12:13]
	v_add_f64 v[18:19], v[26:27], -v[16:17]
	v_add_f64 v[12:13], v[12:13], v[18:19]
	v_mul_f64 v[18:19], v[20:21], v[16:17]
	v_mul_f64 v[22:23], v[10:11], v[18:19]
	v_fma_f64 v[10:11], v[18:19], v[10:11], -v[22:23]
	v_fmac_f64_e32 v[10:11], v[18:19], v[8:9]
	v_add_f64 v[8:9], v[22:23], v[10:11]
	v_add_f64 v[24:25], v[16:17], -v[8:9]
	v_add_f64 v[16:17], v[16:17], -v[24:25]
	v_add_f64 v[22:23], v[8:9], -v[22:23]
	v_add_f64 v[8:9], v[16:17], -v[8:9]
	v_add_f64 v[8:9], v[12:13], v[8:9]
	v_add_f64 v[10:11], v[22:23], -v[10:11]
	v_add_f64 v[8:9], v[10:11], v[8:9]
	v_add_f64 v[10:11], v[14:15], v[18:19]
	;; [unrolled: 1-line block ×3, first 2 shown]
	v_add_f64 v[12:13], v[10:11], -v[14:15]
	v_mul_f64 v[8:9], v[20:21], v[8:9]
	v_add_f64 v[12:13], v[18:19], -v[12:13]
	v_add_f64 v[8:9], v[12:13], v[8:9]
	v_add_f64 v[12:13], v[10:11], v[8:9]
	v_add_f64 v[10:11], v[12:13], -v[10:11]
	s_mov_b32 s6, 0xbf559e2b
	v_add_f64 v[8:9], v[8:9], -v[10:11]
	v_mul_f64 v[10:11], v[12:13], v[12:13]
	v_mov_b32_e32 v14, 0x6b47b09a
	v_mov_b32_e32 v15, 0x3fc38538
	s_mov_b32 s7, 0x3fc3ab76
	v_fmac_f64_e32 v[14:15], s[6:7], v[10:11]
	v_mov_b32_e32 v16, 0xd7f4df2e
	v_mov_b32_e32 v17, 0x3fc7474d
	v_fmac_f64_e32 v[16:17], v[10:11], v[14:15]
	v_mov_b32_e32 v14, 0x16291751
	v_mov_b32_e32 v15, 0x3fcc71c0
	;; [unrolled: 3-line block ×5, first 2 shown]
	v_fmac_f64_e32 v[16:17], v[10:11], v[14:15]
	v_cvt_f64_i32_e32 v[14:15], v28
	v_mul_f64 v[18:19], v[14:15], s[12:13]
	v_fma_f64 v[20:21], v[14:15], s[12:13], -v[18:19]
	v_fmac_f64_e32 v[20:21], s[14:15], v[14:15]
	v_add_f64 v[14:15], v[18:19], v[20:21]
	v_add_f64 v[18:19], v[14:15], -v[18:19]
	v_mul_f64 v[10:11], v[12:13], v[10:11]
	v_add_f64 v[18:19], v[20:21], -v[18:19]
	v_ldexp_f64 v[20:21], v[12:13], 1
	v_mul_f64 v[10:11], v[10:11], v[16:17]
	v_add_f64 v[12:13], v[20:21], v[10:11]
	v_add_f64 v[16:17], v[12:13], -v[20:21]
	v_ldexp_f64 v[8:9], v[8:9], 1
	v_add_f64 v[10:11], v[10:11], -v[16:17]
	v_add_f64 v[8:9], v[8:9], v[10:11]
	v_add_f64 v[10:11], v[12:13], v[8:9]
	v_add_f64 v[12:13], v[10:11], -v[12:13]
	v_add_f64 v[8:9], v[8:9], -v[12:13]
	v_add_f64 v[12:13], v[14:15], v[10:11]
	v_add_f64 v[16:17], v[12:13], -v[14:15]
	v_add_f64 v[20:21], v[12:13], -v[16:17]
	;; [unrolled: 1-line block ×4, first 2 shown]
	v_add_f64 v[10:11], v[10:11], v[14:15]
	v_add_f64 v[14:15], v[18:19], v[8:9]
	v_add_f64 v[16:17], v[14:15], -v[18:19]
	v_add_f64 v[10:11], v[14:15], v[10:11]
	v_add_f64 v[20:21], v[14:15], -v[16:17]
	;; [unrolled: 2-line block ×3, first 2 shown]
	v_add_f64 v[8:9], v[8:9], -v[16:17]
	v_add_f64 v[12:13], v[14:15], -v[12:13]
	v_add_f64 v[8:9], v[8:9], v[18:19]
	v_add_f64 v[10:11], v[10:11], -v[12:13]
	s_mov_b32 s6, 0
	v_add_f64 v[8:9], v[8:9], v[10:11]
	s_mov_b32 s7, 0x7ff00000
	v_add_f64 v[8:9], v[14:15], v[8:9]
	v_cmp_eq_f64_e64 s[6:7], s[6:7], v[6:7]
	v_mov_b32_e32 v10, 0x7ff80000
	s_nop 0
	v_cndmask_b32_e64 v8, v8, v6, s[6:7]
	v_cndmask_b32_e64 v9, v9, v7, s[6:7]
	v_cmp_ngt_f64_e64 s[6:7], -1.0, v[6:7]
	s_nop 1
	v_cndmask_b32_e64 v9, v10, v9, s[6:7]
	v_cmp_nge_f64_e64 s[6:7], -1.0, v[6:7]
	v_mov_b32_e32 v10, 0xfff00000
	s_nop 0
	v_cndmask_b32_e64 v8, 0, v8, s[6:7]
	v_cmp_neq_f64_e64 s[6:7], -1.0, v[6:7]
	s_nop 1
	v_cndmask_b32_e64 v9, v10, v9, s[6:7]
	v_add_f64 v[134:135], v[4:5], v[8:9]
.LBB30_270:
	s_or_b64 exec, exec, s[10:11]
	v_max_f64 v[8:9], v[112:113], v[112:113]
	v_max_f64 v[4:5], v[134:135], v[134:135]
	v_min_f64 v[6:7], v[4:5], v[8:9]
	v_cmp_u_f64_e64 s[8:9], v[134:135], v[134:135]
	v_max_f64 v[4:5], v[4:5], v[8:9]
	v_cmp_u_f64_e64 s[6:7], v[112:113], v[112:113]
	v_cndmask_b32_e64 v6, v6, v134, s[8:9]
	v_cndmask_b32_e64 v7, v7, v135, s[8:9]
	;; [unrolled: 1-line block ×8, first 2 shown]
	v_cmp_neq_f64_e64 s[8:9], v[6:7], v[4:5]
	v_cmp_class_f64_e64 s[10:11], v[6:7], s16
	s_or_b64 s[8:9], s[8:9], s[10:11]
	s_and_saveexec_b64 s[12:13], s[8:9]
	s_cbranch_execz .LBB30_272
; %bb.271:
	s_mov_b32 s8, 0x652b82fe
	v_add_f64 v[6:7], v[6:7], -v[4:5]
	s_mov_b32 s9, 0x3ff71547
	v_mul_f64 v[10:11], v[6:7], s[8:9]
	v_rndne_f64_e32 v[10:11], v[10:11]
	s_mov_b32 s15, 0xbfe62e42
	s_mov_b32 s14, 0xfefa39ef
	v_fma_f64 v[12:13], s[14:15], v[10:11], v[6:7]
	s_mov_b32 s17, 0xbc7abc9e
	s_mov_b32 s16, 0x3b39803f
	;; [unrolled: 1-line block ×3, first 2 shown]
	v_fmac_f64_e32 v[12:13], s[16:17], v[10:11]
	v_mov_b32_e32 v14, 0xfca7ab0c
	v_mov_b32_e32 v15, 0x3e928af3
	s_mov_b32 s9, 0x3e5ade15
	v_fmac_f64_e32 v[14:15], s[8:9], v[12:13]
	v_mov_b32_e32 v16, 0x623fde64
	v_mov_b32_e32 v17, 0x3ec71dee
	v_fmac_f64_e32 v[16:17], v[12:13], v[14:15]
	v_mov_b32_e32 v14, 0x7c89e6b0
	v_mov_b32_e32 v15, 0x3efa0199
	;; [unrolled: 3-line block ×8, first 2 shown]
	v_fmac_f64_e32 v[14:15], v[12:13], v[16:17]
	v_fma_f64 v[14:15], v[12:13], v[14:15], 1.0
	s_mov_b32 s8, 0
	s_mov_b32 s10, 0
	v_fma_f64 v[12:13], v[12:13], v[14:15], 1.0
	v_cvt_i32_f64_e32 v10, v[10:11]
	s_mov_b32 s9, 0x40900000
	s_mov_b32 s11, 0xc090cc00
	v_ldexp_f64 v[10:11], v[12:13], v10
	v_mov_b32_e32 v12, 0x7ff00000
	v_cmp_nlt_f64_e64 s[8:9], s[8:9], v[6:7]
	v_cmp_ngt_f64_e64 s[10:11], s[10:11], v[6:7]
	s_mov_b32 s15, 0x3fe62e42
	v_cndmask_b32_e64 v11, v12, v11, s[8:9]
	s_and_b64 s[8:9], s[10:11], s[8:9]
	v_cndmask_b32_e64 v7, 0, v11, s[10:11]
	v_cndmask_b32_e64 v6, 0, v10, s[8:9]
	v_add_f64 v[10:11], v[6:7], 1.0
	v_add_f64 v[12:13], v[10:11], -1.0
	v_add_f64 v[14:15], v[12:13], -v[10:11]
	v_add_f64 v[14:15], v[14:15], 1.0
	v_add_f64 v[12:13], v[6:7], -v[12:13]
	s_mov_b32 s8, 0x55555555
	v_add_f64 v[12:13], v[12:13], v[14:15]
	v_frexp_mant_f64_e32 v[14:15], v[10:11]
	s_mov_b32 s9, 0x3fe55555
	v_frexp_exp_i32_f64_e32 v16, v[10:11]
	v_cmp_gt_f64_e64 s[8:9], s[8:9], v[14:15]
	s_mov_b32 s17, 0x3c7abc9e
	s_nop 0
	v_subbrev_co_u32_e64 v30, s[8:9], 0, v16, s[8:9]
	v_sub_u32_e32 v14, 0, v30
	v_ldexp_f64 v[10:11], v[10:11], v14
	v_ldexp_f64 v[12:13], v[12:13], v14
	v_add_f64 v[14:15], v[10:11], -1.0
	v_add_f64 v[20:21], v[10:11], 1.0
	v_add_f64 v[16:17], v[14:15], 1.0
	v_add_f64 v[22:23], v[20:21], -1.0
	v_add_f64 v[16:17], v[10:11], -v[16:17]
	v_add_f64 v[10:11], v[10:11], -v[22:23]
	v_add_f64 v[10:11], v[12:13], v[10:11]
	v_add_f64 v[16:17], v[12:13], v[16:17]
	;; [unrolled: 1-line block ×3, first 2 shown]
	v_rcp_f64_e32 v[22:23], v[12:13]
	v_add_f64 v[18:19], v[14:15], v[16:17]
	v_add_f64 v[14:15], v[18:19], -v[14:15]
	v_add_f64 v[14:15], v[16:17], -v[14:15]
	;; [unrolled: 1-line block ×4, first 2 shown]
	v_fma_f64 v[16:17], -v[12:13], v[22:23], 1.0
	v_fmac_f64_e32 v[22:23], v[16:17], v[22:23]
	v_fma_f64 v[16:17], -v[12:13], v[22:23], 1.0
	v_fmac_f64_e32 v[22:23], v[16:17], v[22:23]
	v_mul_f64 v[16:17], v[18:19], v[22:23]
	v_mul_f64 v[20:21], v[12:13], v[16:17]
	v_fma_f64 v[24:25], v[16:17], v[12:13], -v[20:21]
	v_fmac_f64_e32 v[24:25], v[16:17], v[10:11]
	v_add_f64 v[26:27], v[20:21], v[24:25]
	v_add_f64 v[28:29], v[18:19], -v[26:27]
	v_add_f64 v[18:19], v[18:19], -v[28:29]
	;; [unrolled: 1-line block ×4, first 2 shown]
	v_add_f64 v[14:15], v[14:15], v[18:19]
	v_add_f64 v[18:19], v[20:21], -v[24:25]
	v_add_f64 v[14:15], v[18:19], v[14:15]
	v_add_f64 v[18:19], v[28:29], v[14:15]
	v_add_f64 v[20:21], v[28:29], -v[18:19]
	v_add_f64 v[14:15], v[14:15], v[20:21]
	v_mul_f64 v[20:21], v[22:23], v[18:19]
	v_mul_f64 v[24:25], v[12:13], v[20:21]
	v_fma_f64 v[12:13], v[20:21], v[12:13], -v[24:25]
	v_fmac_f64_e32 v[12:13], v[20:21], v[10:11]
	v_add_f64 v[10:11], v[24:25], v[12:13]
	v_add_f64 v[26:27], v[18:19], -v[10:11]
	v_add_f64 v[18:19], v[18:19], -v[26:27]
	;; [unrolled: 1-line block ×4, first 2 shown]
	v_add_f64 v[10:11], v[14:15], v[10:11]
	v_add_f64 v[12:13], v[24:25], -v[12:13]
	v_add_f64 v[10:11], v[12:13], v[10:11]
	v_add_f64 v[12:13], v[16:17], v[20:21]
	v_add_f64 v[10:11], v[26:27], v[10:11]
	v_add_f64 v[14:15], v[12:13], -v[16:17]
	v_mul_f64 v[10:11], v[22:23], v[10:11]
	v_add_f64 v[14:15], v[20:21], -v[14:15]
	v_add_f64 v[10:11], v[14:15], v[10:11]
	v_add_f64 v[14:15], v[12:13], v[10:11]
	v_add_f64 v[12:13], v[14:15], -v[12:13]
	s_mov_b32 s8, 0xbf559e2b
	v_add_f64 v[10:11], v[10:11], -v[12:13]
	v_mul_f64 v[12:13], v[14:15], v[14:15]
	v_mov_b32_e32 v16, 0x6b47b09a
	v_mov_b32_e32 v17, 0x3fc38538
	s_mov_b32 s9, 0x3fc3ab76
	v_fmac_f64_e32 v[16:17], s[8:9], v[12:13]
	v_mov_b32_e32 v18, 0xd7f4df2e
	v_mov_b32_e32 v19, 0x3fc7474d
	v_fmac_f64_e32 v[18:19], v[12:13], v[16:17]
	v_mov_b32_e32 v16, 0x16291751
	v_mov_b32_e32 v17, 0x3fcc71c0
	;; [unrolled: 3-line block ×5, first 2 shown]
	v_fmac_f64_e32 v[18:19], v[12:13], v[16:17]
	v_cvt_f64_i32_e32 v[16:17], v30
	v_mul_f64 v[20:21], v[16:17], s[14:15]
	v_fma_f64 v[22:23], v[16:17], s[14:15], -v[20:21]
	v_fmac_f64_e32 v[22:23], s[16:17], v[16:17]
	v_add_f64 v[16:17], v[20:21], v[22:23]
	v_add_f64 v[20:21], v[16:17], -v[20:21]
	v_mul_f64 v[12:13], v[14:15], v[12:13]
	v_add_f64 v[20:21], v[22:23], -v[20:21]
	v_ldexp_f64 v[22:23], v[14:15], 1
	v_mul_f64 v[12:13], v[12:13], v[18:19]
	v_add_f64 v[14:15], v[22:23], v[12:13]
	v_add_f64 v[18:19], v[14:15], -v[22:23]
	v_ldexp_f64 v[10:11], v[10:11], 1
	v_add_f64 v[12:13], v[12:13], -v[18:19]
	v_add_f64 v[10:11], v[10:11], v[12:13]
	v_add_f64 v[12:13], v[14:15], v[10:11]
	v_add_f64 v[14:15], v[12:13], -v[14:15]
	v_add_f64 v[10:11], v[10:11], -v[14:15]
	v_add_f64 v[14:15], v[16:17], v[12:13]
	v_add_f64 v[18:19], v[14:15], -v[16:17]
	v_add_f64 v[22:23], v[14:15], -v[18:19]
	;; [unrolled: 1-line block ×4, first 2 shown]
	v_add_f64 v[12:13], v[12:13], v[16:17]
	v_add_f64 v[16:17], v[20:21], v[10:11]
	v_add_f64 v[18:19], v[16:17], -v[20:21]
	v_add_f64 v[12:13], v[16:17], v[12:13]
	v_add_f64 v[22:23], v[16:17], -v[18:19]
	;; [unrolled: 2-line block ×3, first 2 shown]
	v_add_f64 v[10:11], v[10:11], -v[18:19]
	v_add_f64 v[14:15], v[16:17], -v[14:15]
	v_add_f64 v[10:11], v[10:11], v[20:21]
	v_add_f64 v[12:13], v[12:13], -v[14:15]
	s_mov_b32 s8, 0
	v_add_f64 v[10:11], v[10:11], v[12:13]
	s_mov_b32 s9, 0x7ff00000
	v_add_f64 v[10:11], v[16:17], v[10:11]
	v_cmp_eq_f64_e64 s[8:9], s[8:9], v[6:7]
	v_mov_b32_e32 v12, 0x7ff80000
	s_nop 0
	v_cndmask_b32_e64 v10, v10, v6, s[8:9]
	v_cndmask_b32_e64 v11, v11, v7, s[8:9]
	v_cmp_ngt_f64_e64 s[8:9], -1.0, v[6:7]
	s_nop 1
	v_cndmask_b32_e64 v11, v12, v11, s[8:9]
	v_cmp_nge_f64_e64 s[8:9], -1.0, v[6:7]
	v_mov_b32_e32 v12, 0xfff00000
	s_nop 0
	v_cndmask_b32_e64 v10, 0, v10, s[8:9]
	v_cmp_neq_f64_e64 s[8:9], -1.0, v[6:7]
	s_nop 1
	v_cndmask_b32_e64 v11, v12, v11, s[8:9]
	v_add_f64 v[134:135], v[4:5], v[10:11]
.LBB30_272:
	s_or_b64 exec, exec, s[12:13]
	v_max_f64 v[10:11], v[114:115], v[114:115]
	v_max_f64 v[4:5], v[134:135], v[134:135]
	v_min_f64 v[6:7], v[4:5], v[10:11]
	v_cmp_u_f64_e64 s[10:11], v[134:135], v[134:135]
	v_max_f64 v[4:5], v[4:5], v[10:11]
	v_cmp_u_f64_e64 s[8:9], v[114:115], v[114:115]
	v_cndmask_b32_e64 v6, v6, v134, s[10:11]
	v_cndmask_b32_e64 v7, v7, v135, s[10:11]
	;; [unrolled: 1-line block ×8, first 2 shown]
	s_movk_i32 s20, 0x1f8
	v_cmp_neq_f64_e64 s[10:11], v[6:7], v[4:5]
	v_cmp_class_f64_e64 s[12:13], v[6:7], s20
	s_or_b64 s[10:11], s[10:11], s[12:13]
	s_and_saveexec_b64 s[14:15], s[10:11]
	s_cbranch_execz .LBB30_274
; %bb.273:
	s_mov_b32 s10, 0x652b82fe
	v_add_f64 v[6:7], v[6:7], -v[4:5]
	s_mov_b32 s11, 0x3ff71547
	v_mul_f64 v[12:13], v[6:7], s[10:11]
	v_rndne_f64_e32 v[12:13], v[12:13]
	s_mov_b32 s17, 0xbfe62e42
	s_mov_b32 s16, 0xfefa39ef
	v_fma_f64 v[14:15], s[16:17], v[12:13], v[6:7]
	s_mov_b32 s19, 0xbc7abc9e
	s_mov_b32 s18, 0x3b39803f
	;; [unrolled: 1-line block ×3, first 2 shown]
	v_fmac_f64_e32 v[14:15], s[18:19], v[12:13]
	v_mov_b32_e32 v16, 0xfca7ab0c
	v_mov_b32_e32 v17, 0x3e928af3
	s_mov_b32 s11, 0x3e5ade15
	v_fmac_f64_e32 v[16:17], s[10:11], v[14:15]
	v_mov_b32_e32 v18, 0x623fde64
	v_mov_b32_e32 v19, 0x3ec71dee
	v_fmac_f64_e32 v[18:19], v[14:15], v[16:17]
	v_mov_b32_e32 v16, 0x7c89e6b0
	v_mov_b32_e32 v17, 0x3efa0199
	;; [unrolled: 3-line block ×8, first 2 shown]
	v_fmac_f64_e32 v[16:17], v[14:15], v[18:19]
	v_fma_f64 v[16:17], v[14:15], v[16:17], 1.0
	s_mov_b32 s10, 0
	s_mov_b32 s12, 0
	v_fma_f64 v[14:15], v[14:15], v[16:17], 1.0
	v_cvt_i32_f64_e32 v12, v[12:13]
	s_mov_b32 s11, 0x40900000
	s_mov_b32 s13, 0xc090cc00
	v_ldexp_f64 v[12:13], v[14:15], v12
	v_mov_b32_e32 v14, 0x7ff00000
	v_cmp_nlt_f64_e64 s[10:11], s[10:11], v[6:7]
	v_cmp_ngt_f64_e64 s[12:13], s[12:13], v[6:7]
	s_mov_b32 s17, 0x3fe62e42
	v_cndmask_b32_e64 v13, v14, v13, s[10:11]
	s_and_b64 s[10:11], s[12:13], s[10:11]
	v_cndmask_b32_e64 v7, 0, v13, s[12:13]
	v_cndmask_b32_e64 v6, 0, v12, s[10:11]
	v_add_f64 v[12:13], v[6:7], 1.0
	v_add_f64 v[14:15], v[12:13], -1.0
	v_add_f64 v[16:17], v[14:15], -v[12:13]
	v_add_f64 v[16:17], v[16:17], 1.0
	v_add_f64 v[14:15], v[6:7], -v[14:15]
	s_mov_b32 s10, 0x55555555
	v_add_f64 v[14:15], v[14:15], v[16:17]
	v_frexp_mant_f64_e32 v[16:17], v[12:13]
	s_mov_b32 s11, 0x3fe55555
	v_frexp_exp_i32_f64_e32 v18, v[12:13]
	v_cmp_gt_f64_e64 s[10:11], s[10:11], v[16:17]
	s_mov_b32 s19, 0x3c7abc9e
	s_nop 0
	v_subbrev_co_u32_e64 v32, s[10:11], 0, v18, s[10:11]
	v_sub_u32_e32 v16, 0, v32
	v_ldexp_f64 v[12:13], v[12:13], v16
	v_ldexp_f64 v[14:15], v[14:15], v16
	v_add_f64 v[16:17], v[12:13], -1.0
	v_add_f64 v[22:23], v[12:13], 1.0
	v_add_f64 v[18:19], v[16:17], 1.0
	v_add_f64 v[24:25], v[22:23], -1.0
	v_add_f64 v[18:19], v[12:13], -v[18:19]
	v_add_f64 v[12:13], v[12:13], -v[24:25]
	v_add_f64 v[12:13], v[14:15], v[12:13]
	v_add_f64 v[18:19], v[14:15], v[18:19]
	;; [unrolled: 1-line block ×3, first 2 shown]
	v_rcp_f64_e32 v[24:25], v[14:15]
	v_add_f64 v[20:21], v[16:17], v[18:19]
	v_add_f64 v[16:17], v[20:21], -v[16:17]
	v_add_f64 v[16:17], v[18:19], -v[16:17]
	;; [unrolled: 1-line block ×4, first 2 shown]
	v_fma_f64 v[18:19], -v[14:15], v[24:25], 1.0
	v_fmac_f64_e32 v[24:25], v[18:19], v[24:25]
	v_fma_f64 v[18:19], -v[14:15], v[24:25], 1.0
	v_fmac_f64_e32 v[24:25], v[18:19], v[24:25]
	v_mul_f64 v[18:19], v[20:21], v[24:25]
	v_mul_f64 v[22:23], v[14:15], v[18:19]
	v_fma_f64 v[26:27], v[18:19], v[14:15], -v[22:23]
	v_fmac_f64_e32 v[26:27], v[18:19], v[12:13]
	v_add_f64 v[28:29], v[22:23], v[26:27]
	v_add_f64 v[30:31], v[20:21], -v[28:29]
	v_add_f64 v[20:21], v[20:21], -v[30:31]
	;; [unrolled: 1-line block ×4, first 2 shown]
	v_add_f64 v[16:17], v[16:17], v[20:21]
	v_add_f64 v[20:21], v[22:23], -v[26:27]
	v_add_f64 v[16:17], v[20:21], v[16:17]
	v_add_f64 v[20:21], v[30:31], v[16:17]
	v_add_f64 v[22:23], v[30:31], -v[20:21]
	v_add_f64 v[16:17], v[16:17], v[22:23]
	v_mul_f64 v[22:23], v[24:25], v[20:21]
	v_mul_f64 v[26:27], v[14:15], v[22:23]
	v_fma_f64 v[14:15], v[22:23], v[14:15], -v[26:27]
	v_fmac_f64_e32 v[14:15], v[22:23], v[12:13]
	v_add_f64 v[12:13], v[26:27], v[14:15]
	v_add_f64 v[28:29], v[20:21], -v[12:13]
	v_add_f64 v[20:21], v[20:21], -v[28:29]
	;; [unrolled: 1-line block ×4, first 2 shown]
	v_add_f64 v[12:13], v[16:17], v[12:13]
	v_add_f64 v[14:15], v[26:27], -v[14:15]
	v_add_f64 v[12:13], v[14:15], v[12:13]
	v_add_f64 v[14:15], v[18:19], v[22:23]
	;; [unrolled: 1-line block ×3, first 2 shown]
	v_add_f64 v[16:17], v[14:15], -v[18:19]
	v_mul_f64 v[12:13], v[24:25], v[12:13]
	v_add_f64 v[16:17], v[22:23], -v[16:17]
	v_add_f64 v[12:13], v[16:17], v[12:13]
	v_add_f64 v[16:17], v[14:15], v[12:13]
	v_add_f64 v[14:15], v[16:17], -v[14:15]
	s_mov_b32 s10, 0xbf559e2b
	v_add_f64 v[12:13], v[12:13], -v[14:15]
	v_mul_f64 v[14:15], v[16:17], v[16:17]
	v_mov_b32_e32 v18, 0x6b47b09a
	v_mov_b32_e32 v19, 0x3fc38538
	s_mov_b32 s11, 0x3fc3ab76
	v_fmac_f64_e32 v[18:19], s[10:11], v[14:15]
	v_mov_b32_e32 v20, 0xd7f4df2e
	v_mov_b32_e32 v21, 0x3fc7474d
	v_fmac_f64_e32 v[20:21], v[14:15], v[18:19]
	v_mov_b32_e32 v18, 0x16291751
	v_mov_b32_e32 v19, 0x3fcc71c0
	;; [unrolled: 3-line block ×5, first 2 shown]
	v_fmac_f64_e32 v[20:21], v[14:15], v[18:19]
	v_cvt_f64_i32_e32 v[18:19], v32
	v_mul_f64 v[22:23], v[18:19], s[16:17]
	v_fma_f64 v[24:25], v[18:19], s[16:17], -v[22:23]
	v_fmac_f64_e32 v[24:25], s[18:19], v[18:19]
	v_add_f64 v[18:19], v[22:23], v[24:25]
	v_add_f64 v[22:23], v[18:19], -v[22:23]
	v_mul_f64 v[14:15], v[16:17], v[14:15]
	v_add_f64 v[22:23], v[24:25], -v[22:23]
	v_ldexp_f64 v[24:25], v[16:17], 1
	v_mul_f64 v[14:15], v[14:15], v[20:21]
	v_add_f64 v[16:17], v[24:25], v[14:15]
	v_add_f64 v[20:21], v[16:17], -v[24:25]
	v_ldexp_f64 v[12:13], v[12:13], 1
	v_add_f64 v[14:15], v[14:15], -v[20:21]
	v_add_f64 v[12:13], v[12:13], v[14:15]
	v_add_f64 v[14:15], v[16:17], v[12:13]
	v_add_f64 v[16:17], v[14:15], -v[16:17]
	v_add_f64 v[12:13], v[12:13], -v[16:17]
	v_add_f64 v[16:17], v[18:19], v[14:15]
	v_add_f64 v[20:21], v[16:17], -v[18:19]
	v_add_f64 v[24:25], v[16:17], -v[20:21]
	;; [unrolled: 1-line block ×4, first 2 shown]
	v_add_f64 v[14:15], v[14:15], v[18:19]
	v_add_f64 v[18:19], v[22:23], v[12:13]
	v_add_f64 v[20:21], v[18:19], -v[22:23]
	v_add_f64 v[14:15], v[18:19], v[14:15]
	v_add_f64 v[24:25], v[18:19], -v[20:21]
	;; [unrolled: 2-line block ×3, first 2 shown]
	v_add_f64 v[12:13], v[12:13], -v[20:21]
	v_add_f64 v[16:17], v[18:19], -v[16:17]
	v_add_f64 v[12:13], v[12:13], v[22:23]
	v_add_f64 v[14:15], v[14:15], -v[16:17]
	s_mov_b32 s10, 0
	v_add_f64 v[12:13], v[12:13], v[14:15]
	s_mov_b32 s11, 0x7ff00000
	v_add_f64 v[12:13], v[18:19], v[12:13]
	v_cmp_eq_f64_e64 s[10:11], s[10:11], v[6:7]
	v_mov_b32_e32 v14, 0x7ff80000
	s_nop 0
	v_cndmask_b32_e64 v12, v12, v6, s[10:11]
	v_cndmask_b32_e64 v13, v13, v7, s[10:11]
	v_cmp_ngt_f64_e64 s[10:11], -1.0, v[6:7]
	s_nop 1
	v_cndmask_b32_e64 v13, v14, v13, s[10:11]
	v_cmp_nge_f64_e64 s[10:11], -1.0, v[6:7]
	v_mov_b32_e32 v14, 0xfff00000
	s_nop 0
	v_cndmask_b32_e64 v12, 0, v12, s[10:11]
	v_cmp_neq_f64_e64 s[10:11], -1.0, v[6:7]
	s_nop 1
	v_cndmask_b32_e64 v13, v14, v13, s[10:11]
	v_add_f64 v[134:135], v[4:5], v[12:13]
.LBB30_274:
	s_or_b64 exec, exec, s[14:15]
	v_max_f64 v[12:13], v[100:101], v[100:101]
	v_max_f64 v[4:5], v[134:135], v[134:135]
	v_min_f64 v[6:7], v[4:5], v[12:13]
	v_cmp_u_f64_e64 s[12:13], v[134:135], v[134:135]
	v_max_f64 v[4:5], v[4:5], v[12:13]
	v_cmp_u_f64_e64 s[10:11], v[100:101], v[100:101]
	v_cndmask_b32_e64 v6, v6, v134, s[12:13]
	v_cndmask_b32_e64 v7, v7, v135, s[12:13]
	v_cndmask_b32_e64 v4, v4, v134, s[12:13]
	v_cndmask_b32_e64 v5, v5, v135, s[12:13]
	v_cndmask_b32_e64 v7, v7, v101, s[10:11]
	v_cndmask_b32_e64 v6, v6, v100, s[10:11]
	v_cndmask_b32_e64 v5, v5, v101, s[10:11]
	v_cndmask_b32_e64 v4, v4, v100, s[10:11]
	v_cmp_neq_f64_e64 s[12:13], v[6:7], v[4:5]
	v_cmp_class_f64_e64 s[14:15], v[6:7], s20
	s_or_b64 s[12:13], s[12:13], s[14:15]
	s_and_saveexec_b64 s[16:17], s[12:13]
	s_cbranch_execz .LBB30_276
; %bb.275:
	s_mov_b32 s12, 0x652b82fe
	v_add_f64 v[6:7], v[6:7], -v[4:5]
	s_mov_b32 s13, 0x3ff71547
	v_mul_f64 v[14:15], v[6:7], s[12:13]
	v_rndne_f64_e32 v[14:15], v[14:15]
	s_mov_b32 s19, 0xbfe62e42
	s_mov_b32 s18, 0xfefa39ef
	v_fma_f64 v[16:17], s[18:19], v[14:15], v[6:7]
	s_mov_b32 s21, 0xbc7abc9e
	s_mov_b32 s20, 0x3b39803f
	;; [unrolled: 1-line block ×3, first 2 shown]
	v_fmac_f64_e32 v[16:17], s[20:21], v[14:15]
	v_mov_b32_e32 v18, 0xfca7ab0c
	v_mov_b32_e32 v19, 0x3e928af3
	s_mov_b32 s13, 0x3e5ade15
	v_fmac_f64_e32 v[18:19], s[12:13], v[16:17]
	v_mov_b32_e32 v20, 0x623fde64
	v_mov_b32_e32 v21, 0x3ec71dee
	v_fmac_f64_e32 v[20:21], v[16:17], v[18:19]
	v_mov_b32_e32 v18, 0x7c89e6b0
	v_mov_b32_e32 v19, 0x3efa0199
	;; [unrolled: 3-line block ×8, first 2 shown]
	v_fmac_f64_e32 v[18:19], v[16:17], v[20:21]
	v_fma_f64 v[18:19], v[16:17], v[18:19], 1.0
	s_mov_b32 s12, 0
	s_mov_b32 s14, 0
	v_fma_f64 v[16:17], v[16:17], v[18:19], 1.0
	v_cvt_i32_f64_e32 v14, v[14:15]
	s_mov_b32 s13, 0x40900000
	s_mov_b32 s15, 0xc090cc00
	v_ldexp_f64 v[14:15], v[16:17], v14
	v_mov_b32_e32 v16, 0x7ff00000
	v_cmp_nlt_f64_e64 s[12:13], s[12:13], v[6:7]
	v_cmp_ngt_f64_e64 s[14:15], s[14:15], v[6:7]
	s_mov_b32 s19, 0x3fe62e42
	v_cndmask_b32_e64 v15, v16, v15, s[12:13]
	s_and_b64 s[12:13], s[14:15], s[12:13]
	v_cndmask_b32_e64 v7, 0, v15, s[14:15]
	v_cndmask_b32_e64 v6, 0, v14, s[12:13]
	v_add_f64 v[14:15], v[6:7], 1.0
	v_add_f64 v[16:17], v[14:15], -1.0
	v_add_f64 v[18:19], v[16:17], -v[14:15]
	v_add_f64 v[18:19], v[18:19], 1.0
	v_add_f64 v[16:17], v[6:7], -v[16:17]
	s_mov_b32 s12, 0x55555555
	v_add_f64 v[16:17], v[16:17], v[18:19]
	v_frexp_mant_f64_e32 v[18:19], v[14:15]
	s_mov_b32 s13, 0x3fe55555
	v_frexp_exp_i32_f64_e32 v20, v[14:15]
	v_cmp_gt_f64_e64 s[12:13], s[12:13], v[18:19]
	s_mov_b32 s21, 0x3c7abc9e
	s_nop 0
	v_subbrev_co_u32_e64 v53, s[12:13], 0, v20, s[12:13]
	v_sub_u32_e32 v18, 0, v53
	v_ldexp_f64 v[14:15], v[14:15], v18
	v_ldexp_f64 v[16:17], v[16:17], v18
	v_add_f64 v[18:19], v[14:15], -1.0
	v_add_f64 v[24:25], v[14:15], 1.0
	v_add_f64 v[20:21], v[18:19], 1.0
	v_add_f64 v[26:27], v[24:25], -1.0
	v_add_f64 v[20:21], v[14:15], -v[20:21]
	v_add_f64 v[14:15], v[14:15], -v[26:27]
	v_add_f64 v[14:15], v[16:17], v[14:15]
	v_add_f64 v[20:21], v[16:17], v[20:21]
	;; [unrolled: 1-line block ×3, first 2 shown]
	v_rcp_f64_e32 v[26:27], v[16:17]
	v_add_f64 v[22:23], v[18:19], v[20:21]
	v_add_f64 v[18:19], v[22:23], -v[18:19]
	v_add_f64 v[18:19], v[20:21], -v[18:19]
	;; [unrolled: 1-line block ×4, first 2 shown]
	v_fma_f64 v[20:21], -v[16:17], v[26:27], 1.0
	v_fmac_f64_e32 v[26:27], v[20:21], v[26:27]
	v_fma_f64 v[20:21], -v[16:17], v[26:27], 1.0
	v_fmac_f64_e32 v[26:27], v[20:21], v[26:27]
	v_mul_f64 v[20:21], v[22:23], v[26:27]
	v_mul_f64 v[24:25], v[16:17], v[20:21]
	v_fma_f64 v[28:29], v[20:21], v[16:17], -v[24:25]
	v_fmac_f64_e32 v[28:29], v[20:21], v[14:15]
	v_add_f64 v[30:31], v[24:25], v[28:29]
	v_add_f64 v[32:33], v[22:23], -v[30:31]
	v_add_f64 v[22:23], v[22:23], -v[32:33]
	;; [unrolled: 1-line block ×4, first 2 shown]
	v_add_f64 v[18:19], v[18:19], v[22:23]
	v_add_f64 v[22:23], v[24:25], -v[28:29]
	v_add_f64 v[18:19], v[22:23], v[18:19]
	v_add_f64 v[22:23], v[32:33], v[18:19]
	v_add_f64 v[24:25], v[32:33], -v[22:23]
	v_add_f64 v[18:19], v[18:19], v[24:25]
	v_mul_f64 v[24:25], v[26:27], v[22:23]
	v_mul_f64 v[28:29], v[16:17], v[24:25]
	v_fma_f64 v[16:17], v[24:25], v[16:17], -v[28:29]
	v_fmac_f64_e32 v[16:17], v[24:25], v[14:15]
	v_add_f64 v[14:15], v[28:29], v[16:17]
	v_add_f64 v[30:31], v[22:23], -v[14:15]
	v_add_f64 v[22:23], v[22:23], -v[30:31]
	;; [unrolled: 1-line block ×4, first 2 shown]
	v_add_f64 v[14:15], v[18:19], v[14:15]
	v_add_f64 v[16:17], v[28:29], -v[16:17]
	v_add_f64 v[14:15], v[16:17], v[14:15]
	v_add_f64 v[16:17], v[20:21], v[24:25]
	;; [unrolled: 1-line block ×3, first 2 shown]
	v_add_f64 v[18:19], v[16:17], -v[20:21]
	v_mul_f64 v[14:15], v[26:27], v[14:15]
	v_add_f64 v[18:19], v[24:25], -v[18:19]
	v_add_f64 v[14:15], v[18:19], v[14:15]
	v_add_f64 v[18:19], v[16:17], v[14:15]
	v_add_f64 v[16:17], v[18:19], -v[16:17]
	s_mov_b32 s12, 0xbf559e2b
	v_add_f64 v[14:15], v[14:15], -v[16:17]
	v_mul_f64 v[16:17], v[18:19], v[18:19]
	v_mov_b32_e32 v20, 0x6b47b09a
	v_mov_b32_e32 v21, 0x3fc38538
	s_mov_b32 s13, 0x3fc3ab76
	v_fmac_f64_e32 v[20:21], s[12:13], v[16:17]
	v_mov_b32_e32 v22, 0xd7f4df2e
	v_mov_b32_e32 v23, 0x3fc7474d
	v_fmac_f64_e32 v[22:23], v[16:17], v[20:21]
	v_mov_b32_e32 v20, 0x16291751
	v_mov_b32_e32 v21, 0x3fcc71c0
	;; [unrolled: 3-line block ×5, first 2 shown]
	v_fmac_f64_e32 v[22:23], v[16:17], v[20:21]
	v_cvt_f64_i32_e32 v[20:21], v53
	v_mul_f64 v[24:25], v[20:21], s[18:19]
	v_fma_f64 v[26:27], v[20:21], s[18:19], -v[24:25]
	v_fmac_f64_e32 v[26:27], s[20:21], v[20:21]
	v_add_f64 v[20:21], v[24:25], v[26:27]
	v_add_f64 v[24:25], v[20:21], -v[24:25]
	v_mul_f64 v[16:17], v[18:19], v[16:17]
	v_add_f64 v[24:25], v[26:27], -v[24:25]
	v_ldexp_f64 v[26:27], v[18:19], 1
	v_mul_f64 v[16:17], v[16:17], v[22:23]
	v_add_f64 v[18:19], v[26:27], v[16:17]
	v_add_f64 v[22:23], v[18:19], -v[26:27]
	v_ldexp_f64 v[14:15], v[14:15], 1
	v_add_f64 v[16:17], v[16:17], -v[22:23]
	v_add_f64 v[14:15], v[14:15], v[16:17]
	v_add_f64 v[16:17], v[18:19], v[14:15]
	v_add_f64 v[18:19], v[16:17], -v[18:19]
	v_add_f64 v[14:15], v[14:15], -v[18:19]
	v_add_f64 v[18:19], v[20:21], v[16:17]
	v_add_f64 v[22:23], v[18:19], -v[20:21]
	v_add_f64 v[26:27], v[18:19], -v[22:23]
	;; [unrolled: 1-line block ×4, first 2 shown]
	v_add_f64 v[16:17], v[16:17], v[20:21]
	v_add_f64 v[20:21], v[24:25], v[14:15]
	v_add_f64 v[22:23], v[20:21], -v[24:25]
	v_add_f64 v[16:17], v[20:21], v[16:17]
	v_add_f64 v[26:27], v[20:21], -v[22:23]
	;; [unrolled: 2-line block ×3, first 2 shown]
	v_add_f64 v[14:15], v[14:15], -v[22:23]
	v_add_f64 v[18:19], v[20:21], -v[18:19]
	v_add_f64 v[14:15], v[14:15], v[24:25]
	v_add_f64 v[16:17], v[16:17], -v[18:19]
	s_mov_b32 s12, 0
	v_add_f64 v[14:15], v[14:15], v[16:17]
	s_mov_b32 s13, 0x7ff00000
	v_add_f64 v[14:15], v[20:21], v[14:15]
	v_cmp_eq_f64_e64 s[12:13], s[12:13], v[6:7]
	v_mov_b32_e32 v16, 0x7ff80000
	s_nop 0
	v_cndmask_b32_e64 v14, v14, v6, s[12:13]
	v_cndmask_b32_e64 v15, v15, v7, s[12:13]
	v_cmp_ngt_f64_e64 s[12:13], -1.0, v[6:7]
	s_nop 1
	v_cndmask_b32_e64 v15, v16, v15, s[12:13]
	v_cmp_nge_f64_e64 s[12:13], -1.0, v[6:7]
	v_mov_b32_e32 v16, 0xfff00000
	s_nop 0
	v_cndmask_b32_e64 v14, 0, v14, s[12:13]
	v_cmp_neq_f64_e64 s[12:13], -1.0, v[6:7]
	s_nop 1
	v_cndmask_b32_e64 v15, v16, v15, s[12:13]
	v_add_f64 v[134:135], v[4:5], v[14:15]
.LBB30_276:
	s_or_b64 exec, exec, s[16:17]
	v_max_f64 v[14:15], v[102:103], v[102:103]
	v_max_f64 v[4:5], v[134:135], v[134:135]
	v_min_f64 v[6:7], v[4:5], v[14:15]
	v_cmp_u_f64_e64 s[14:15], v[134:135], v[134:135]
	v_max_f64 v[4:5], v[4:5], v[14:15]
	v_cmp_u_f64_e64 s[12:13], v[102:103], v[102:103]
	v_cndmask_b32_e64 v6, v6, v134, s[14:15]
	v_cndmask_b32_e64 v7, v7, v135, s[14:15]
	;; [unrolled: 1-line block ×8, first 2 shown]
	s_movk_i32 s24, 0x1f8
	v_cmp_neq_f64_e64 s[14:15], v[6:7], v[4:5]
	v_cmp_class_f64_e64 s[16:17], v[6:7], s24
	s_or_b64 s[14:15], s[14:15], s[16:17]
	s_and_saveexec_b64 s[18:19], s[14:15]
	s_cbranch_execz .LBB30_278
; %bb.277:
	s_mov_b32 s14, 0x652b82fe
	v_add_f64 v[6:7], v[6:7], -v[4:5]
	s_mov_b32 s15, 0x3ff71547
	v_mul_f64 v[16:17], v[6:7], s[14:15]
	v_rndne_f64_e32 v[16:17], v[16:17]
	s_mov_b32 s21, 0xbfe62e42
	s_mov_b32 s20, 0xfefa39ef
	v_fma_f64 v[18:19], s[20:21], v[16:17], v[6:7]
	s_mov_b32 s23, 0xbc7abc9e
	s_mov_b32 s22, 0x3b39803f
	;; [unrolled: 1-line block ×3, first 2 shown]
	v_fmac_f64_e32 v[18:19], s[22:23], v[16:17]
	v_mov_b32_e32 v20, 0xfca7ab0c
	v_mov_b32_e32 v21, 0x3e928af3
	s_mov_b32 s15, 0x3e5ade15
	v_fmac_f64_e32 v[20:21], s[14:15], v[18:19]
	v_mov_b32_e32 v22, 0x623fde64
	v_mov_b32_e32 v23, 0x3ec71dee
	v_fmac_f64_e32 v[22:23], v[18:19], v[20:21]
	v_mov_b32_e32 v20, 0x7c89e6b0
	v_mov_b32_e32 v21, 0x3efa0199
	;; [unrolled: 3-line block ×8, first 2 shown]
	v_fmac_f64_e32 v[20:21], v[18:19], v[22:23]
	v_fma_f64 v[20:21], v[18:19], v[20:21], 1.0
	s_mov_b32 s14, 0
	s_mov_b32 s16, 0
	v_fma_f64 v[18:19], v[18:19], v[20:21], 1.0
	v_cvt_i32_f64_e32 v16, v[16:17]
	s_mov_b32 s15, 0x40900000
	s_mov_b32 s17, 0xc090cc00
	v_ldexp_f64 v[16:17], v[18:19], v16
	v_mov_b32_e32 v18, 0x7ff00000
	v_cmp_nlt_f64_e64 s[14:15], s[14:15], v[6:7]
	v_cmp_ngt_f64_e64 s[16:17], s[16:17], v[6:7]
	s_mov_b32 s21, 0x3fe62e42
	v_cndmask_b32_e64 v17, v18, v17, s[14:15]
	s_and_b64 s[14:15], s[16:17], s[14:15]
	v_cndmask_b32_e64 v7, 0, v17, s[16:17]
	v_cndmask_b32_e64 v6, 0, v16, s[14:15]
	v_add_f64 v[16:17], v[6:7], 1.0
	v_add_f64 v[18:19], v[16:17], -1.0
	v_add_f64 v[20:21], v[18:19], -v[16:17]
	v_add_f64 v[20:21], v[20:21], 1.0
	v_add_f64 v[18:19], v[6:7], -v[18:19]
	s_mov_b32 s14, 0x55555555
	v_add_f64 v[18:19], v[18:19], v[20:21]
	v_frexp_mant_f64_e32 v[20:21], v[16:17]
	s_mov_b32 s15, 0x3fe55555
	v_frexp_exp_i32_f64_e32 v22, v[16:17]
	v_cmp_gt_f64_e64 s[14:15], s[14:15], v[20:21]
	s_mov_b32 s23, 0x3c7abc9e
	s_nop 0
	v_subbrev_co_u32_e64 v53, s[14:15], 0, v22, s[14:15]
	v_sub_u32_e32 v20, 0, v53
	v_ldexp_f64 v[16:17], v[16:17], v20
	v_ldexp_f64 v[18:19], v[18:19], v20
	v_add_f64 v[20:21], v[16:17], -1.0
	v_add_f64 v[26:27], v[16:17], 1.0
	v_add_f64 v[22:23], v[20:21], 1.0
	v_add_f64 v[28:29], v[26:27], -1.0
	v_add_f64 v[22:23], v[16:17], -v[22:23]
	v_add_f64 v[16:17], v[16:17], -v[28:29]
	v_add_f64 v[16:17], v[18:19], v[16:17]
	v_add_f64 v[22:23], v[18:19], v[22:23]
	;; [unrolled: 1-line block ×3, first 2 shown]
	v_rcp_f64_e32 v[28:29], v[18:19]
	v_add_f64 v[24:25], v[20:21], v[22:23]
	v_add_f64 v[20:21], v[24:25], -v[20:21]
	v_add_f64 v[20:21], v[22:23], -v[20:21]
	;; [unrolled: 1-line block ×4, first 2 shown]
	v_fma_f64 v[22:23], -v[18:19], v[28:29], 1.0
	v_fmac_f64_e32 v[28:29], v[22:23], v[28:29]
	v_fma_f64 v[22:23], -v[18:19], v[28:29], 1.0
	v_fmac_f64_e32 v[28:29], v[22:23], v[28:29]
	v_mul_f64 v[22:23], v[24:25], v[28:29]
	v_mul_f64 v[26:27], v[18:19], v[22:23]
	v_fma_f64 v[30:31], v[22:23], v[18:19], -v[26:27]
	v_fmac_f64_e32 v[30:31], v[22:23], v[16:17]
	v_add_f64 v[32:33], v[26:27], v[30:31]
	v_add_f64 v[134:135], v[24:25], -v[32:33]
	v_add_f64 v[24:25], v[24:25], -v[134:135]
	;; [unrolled: 1-line block ×4, first 2 shown]
	v_add_f64 v[20:21], v[20:21], v[24:25]
	v_add_f64 v[24:25], v[26:27], -v[30:31]
	v_add_f64 v[20:21], v[24:25], v[20:21]
	v_add_f64 v[24:25], v[134:135], v[20:21]
	v_add_f64 v[26:27], v[134:135], -v[24:25]
	v_add_f64 v[20:21], v[20:21], v[26:27]
	v_mul_f64 v[26:27], v[28:29], v[24:25]
	v_mul_f64 v[30:31], v[18:19], v[26:27]
	v_fma_f64 v[18:19], v[26:27], v[18:19], -v[30:31]
	v_fmac_f64_e32 v[18:19], v[26:27], v[16:17]
	v_add_f64 v[16:17], v[30:31], v[18:19]
	v_add_f64 v[32:33], v[24:25], -v[16:17]
	v_add_f64 v[24:25], v[24:25], -v[32:33]
	v_add_f64 v[30:31], v[16:17], -v[30:31]
	v_add_f64 v[16:17], v[24:25], -v[16:17]
	v_add_f64 v[16:17], v[20:21], v[16:17]
	v_add_f64 v[18:19], v[30:31], -v[18:19]
	v_add_f64 v[16:17], v[18:19], v[16:17]
	v_add_f64 v[18:19], v[22:23], v[26:27]
	;; [unrolled: 1-line block ×3, first 2 shown]
	v_add_f64 v[20:21], v[18:19], -v[22:23]
	v_mul_f64 v[16:17], v[28:29], v[16:17]
	v_add_f64 v[20:21], v[26:27], -v[20:21]
	v_add_f64 v[16:17], v[20:21], v[16:17]
	v_add_f64 v[20:21], v[18:19], v[16:17]
	v_add_f64 v[18:19], v[20:21], -v[18:19]
	s_mov_b32 s14, 0xbf559e2b
	v_add_f64 v[16:17], v[16:17], -v[18:19]
	v_mul_f64 v[18:19], v[20:21], v[20:21]
	v_mov_b32_e32 v22, 0x6b47b09a
	v_mov_b32_e32 v23, 0x3fc38538
	s_mov_b32 s15, 0x3fc3ab76
	v_fmac_f64_e32 v[22:23], s[14:15], v[18:19]
	v_mov_b32_e32 v24, 0xd7f4df2e
	v_mov_b32_e32 v25, 0x3fc7474d
	v_fmac_f64_e32 v[24:25], v[18:19], v[22:23]
	v_mov_b32_e32 v22, 0x16291751
	v_mov_b32_e32 v23, 0x3fcc71c0
	v_fmac_f64_e32 v[22:23], v[18:19], v[24:25]
	v_mov_b32_e32 v24, 0x9b27acf1
	v_mov_b32_e32 v25, 0x3fd24924
	v_fmac_f64_e32 v[24:25], v[18:19], v[22:23]
	v_mov_b32_e32 v22, 0x998ef7b6
	v_mov_b32_e32 v23, 0x3fd99999
	v_fmac_f64_e32 v[22:23], v[18:19], v[24:25]
	v_mov_b32_e32 v24, 0x55555780
	v_mov_b32_e32 v25, 0x3fe55555
	v_fmac_f64_e32 v[24:25], v[18:19], v[22:23]
	v_cvt_f64_i32_e32 v[22:23], v53
	v_mul_f64 v[26:27], v[22:23], s[20:21]
	v_fma_f64 v[28:29], v[22:23], s[20:21], -v[26:27]
	v_fmac_f64_e32 v[28:29], s[22:23], v[22:23]
	v_add_f64 v[22:23], v[26:27], v[28:29]
	v_add_f64 v[26:27], v[22:23], -v[26:27]
	v_mul_f64 v[18:19], v[20:21], v[18:19]
	v_add_f64 v[26:27], v[28:29], -v[26:27]
	v_ldexp_f64 v[28:29], v[20:21], 1
	v_mul_f64 v[18:19], v[18:19], v[24:25]
	v_add_f64 v[20:21], v[28:29], v[18:19]
	v_add_f64 v[24:25], v[20:21], -v[28:29]
	v_ldexp_f64 v[16:17], v[16:17], 1
	v_add_f64 v[18:19], v[18:19], -v[24:25]
	v_add_f64 v[16:17], v[16:17], v[18:19]
	v_add_f64 v[18:19], v[20:21], v[16:17]
	v_add_f64 v[20:21], v[18:19], -v[20:21]
	v_add_f64 v[16:17], v[16:17], -v[20:21]
	v_add_f64 v[20:21], v[22:23], v[18:19]
	v_add_f64 v[24:25], v[20:21], -v[22:23]
	v_add_f64 v[28:29], v[20:21], -v[24:25]
	;; [unrolled: 1-line block ×4, first 2 shown]
	v_add_f64 v[18:19], v[18:19], v[22:23]
	v_add_f64 v[22:23], v[26:27], v[16:17]
	v_add_f64 v[24:25], v[22:23], -v[26:27]
	v_add_f64 v[18:19], v[22:23], v[18:19]
	v_add_f64 v[28:29], v[22:23], -v[24:25]
	;; [unrolled: 2-line block ×3, first 2 shown]
	v_add_f64 v[16:17], v[16:17], -v[24:25]
	v_add_f64 v[20:21], v[22:23], -v[20:21]
	v_add_f64 v[16:17], v[16:17], v[26:27]
	v_add_f64 v[18:19], v[18:19], -v[20:21]
	s_mov_b32 s14, 0
	v_add_f64 v[16:17], v[16:17], v[18:19]
	s_mov_b32 s15, 0x7ff00000
	v_add_f64 v[16:17], v[22:23], v[16:17]
	v_cmp_eq_f64_e64 s[14:15], s[14:15], v[6:7]
	v_mov_b32_e32 v18, 0x7ff80000
	s_nop 0
	v_cndmask_b32_e64 v16, v16, v6, s[14:15]
	v_cndmask_b32_e64 v17, v17, v7, s[14:15]
	v_cmp_ngt_f64_e64 s[14:15], -1.0, v[6:7]
	s_nop 1
	v_cndmask_b32_e64 v17, v18, v17, s[14:15]
	v_cmp_nge_f64_e64 s[14:15], -1.0, v[6:7]
	v_mov_b32_e32 v18, 0xfff00000
	s_nop 0
	v_cndmask_b32_e64 v16, 0, v16, s[14:15]
	v_cmp_neq_f64_e64 s[14:15], -1.0, v[6:7]
	s_nop 1
	v_cndmask_b32_e64 v17, v18, v17, s[14:15]
	v_add_f64 v[134:135], v[4:5], v[16:17]
.LBB30_278:
	s_or_b64 exec, exec, s[18:19]
	v_max_f64 v[16:17], v[96:97], v[96:97]
	v_max_f64 v[4:5], v[134:135], v[134:135]
	v_min_f64 v[6:7], v[4:5], v[16:17]
	v_cmp_u_f64_e64 s[16:17], v[134:135], v[134:135]
	v_max_f64 v[4:5], v[4:5], v[16:17]
	v_cmp_u_f64_e64 s[14:15], v[96:97], v[96:97]
	v_cndmask_b32_e64 v6, v6, v134, s[16:17]
	v_cndmask_b32_e64 v7, v7, v135, s[16:17]
	;; [unrolled: 1-line block ×8, first 2 shown]
	v_cmp_neq_f64_e64 s[16:17], v[6:7], v[4:5]
	v_cmp_class_f64_e64 s[18:19], v[6:7], s24
	s_or_b64 s[16:17], s[16:17], s[18:19]
	s_and_saveexec_b64 s[20:21], s[16:17]
	s_cbranch_execz .LBB30_280
; %bb.279:
	s_mov_b32 s16, 0x652b82fe
	v_add_f64 v[6:7], v[6:7], -v[4:5]
	s_mov_b32 s17, 0x3ff71547
	v_mul_f64 v[18:19], v[6:7], s[16:17]
	v_rndne_f64_e32 v[18:19], v[18:19]
	s_mov_b32 s23, 0xbfe62e42
	s_mov_b32 s22, 0xfefa39ef
	v_fma_f64 v[20:21], s[22:23], v[18:19], v[6:7]
	s_mov_b32 s25, 0xbc7abc9e
	s_mov_b32 s24, 0x3b39803f
	;; [unrolled: 1-line block ×3, first 2 shown]
	v_fmac_f64_e32 v[20:21], s[24:25], v[18:19]
	v_mov_b32_e32 v22, 0xfca7ab0c
	v_mov_b32_e32 v23, 0x3e928af3
	s_mov_b32 s17, 0x3e5ade15
	v_fmac_f64_e32 v[22:23], s[16:17], v[20:21]
	v_mov_b32_e32 v24, 0x623fde64
	v_mov_b32_e32 v25, 0x3ec71dee
	v_fmac_f64_e32 v[24:25], v[20:21], v[22:23]
	v_mov_b32_e32 v22, 0x7c89e6b0
	v_mov_b32_e32 v23, 0x3efa0199
	;; [unrolled: 3-line block ×8, first 2 shown]
	v_fmac_f64_e32 v[22:23], v[20:21], v[24:25]
	v_fma_f64 v[22:23], v[20:21], v[22:23], 1.0
	s_mov_b32 s16, 0
	s_mov_b32 s18, 0
	v_fma_f64 v[20:21], v[20:21], v[22:23], 1.0
	v_cvt_i32_f64_e32 v18, v[18:19]
	s_mov_b32 s17, 0x40900000
	s_mov_b32 s19, 0xc090cc00
	v_ldexp_f64 v[18:19], v[20:21], v18
	v_mov_b32_e32 v20, 0x7ff00000
	v_cmp_nlt_f64_e64 s[16:17], s[16:17], v[6:7]
	v_cmp_ngt_f64_e64 s[18:19], s[18:19], v[6:7]
	s_mov_b32 s23, 0x3fe62e42
	v_cndmask_b32_e64 v19, v20, v19, s[16:17]
	s_and_b64 s[16:17], s[18:19], s[16:17]
	v_cndmask_b32_e64 v7, 0, v19, s[18:19]
	v_cndmask_b32_e64 v6, 0, v18, s[16:17]
	v_add_f64 v[18:19], v[6:7], 1.0
	v_add_f64 v[20:21], v[18:19], -1.0
	v_add_f64 v[22:23], v[20:21], -v[18:19]
	v_add_f64 v[22:23], v[22:23], 1.0
	v_add_f64 v[20:21], v[6:7], -v[20:21]
	s_mov_b32 s16, 0x55555555
	v_add_f64 v[20:21], v[20:21], v[22:23]
	v_frexp_mant_f64_e32 v[22:23], v[18:19]
	s_mov_b32 s17, 0x3fe55555
	v_frexp_exp_i32_f64_e32 v24, v[18:19]
	v_cmp_gt_f64_e64 s[16:17], s[16:17], v[22:23]
	s_mov_b32 s25, 0x3c7abc9e
	s_nop 0
	v_subbrev_co_u32_e64 v53, s[16:17], 0, v24, s[16:17]
	v_sub_u32_e32 v22, 0, v53
	v_ldexp_f64 v[18:19], v[18:19], v22
	v_ldexp_f64 v[20:21], v[20:21], v22
	v_add_f64 v[22:23], v[18:19], -1.0
	v_add_f64 v[28:29], v[18:19], 1.0
	v_add_f64 v[24:25], v[22:23], 1.0
	v_add_f64 v[30:31], v[28:29], -1.0
	v_add_f64 v[24:25], v[18:19], -v[24:25]
	v_add_f64 v[18:19], v[18:19], -v[30:31]
	v_add_f64 v[18:19], v[20:21], v[18:19]
	v_add_f64 v[24:25], v[20:21], v[24:25]
	;; [unrolled: 1-line block ×3, first 2 shown]
	v_rcp_f64_e32 v[30:31], v[20:21]
	v_add_f64 v[26:27], v[22:23], v[24:25]
	v_add_f64 v[22:23], v[26:27], -v[22:23]
	v_add_f64 v[22:23], v[24:25], -v[22:23]
	;; [unrolled: 1-line block ×4, first 2 shown]
	v_fma_f64 v[24:25], -v[20:21], v[30:31], 1.0
	v_fmac_f64_e32 v[30:31], v[24:25], v[30:31]
	v_fma_f64 v[24:25], -v[20:21], v[30:31], 1.0
	v_fmac_f64_e32 v[30:31], v[24:25], v[30:31]
	v_mul_f64 v[24:25], v[26:27], v[30:31]
	v_mul_f64 v[28:29], v[20:21], v[24:25]
	v_fma_f64 v[32:33], v[24:25], v[20:21], -v[28:29]
	v_fmac_f64_e32 v[32:33], v[24:25], v[18:19]
	v_add_f64 v[134:135], v[28:29], v[32:33]
	v_add_f64 v[144:145], v[26:27], -v[134:135]
	v_add_f64 v[26:27], v[26:27], -v[144:145]
	;; [unrolled: 1-line block ×4, first 2 shown]
	v_add_f64 v[22:23], v[22:23], v[26:27]
	v_add_f64 v[26:27], v[28:29], -v[32:33]
	v_add_f64 v[22:23], v[26:27], v[22:23]
	v_add_f64 v[26:27], v[144:145], v[22:23]
	v_add_f64 v[28:29], v[144:145], -v[26:27]
	v_add_f64 v[22:23], v[22:23], v[28:29]
	v_mul_f64 v[28:29], v[30:31], v[26:27]
	v_mul_f64 v[32:33], v[20:21], v[28:29]
	v_fma_f64 v[20:21], v[28:29], v[20:21], -v[32:33]
	v_fmac_f64_e32 v[20:21], v[28:29], v[18:19]
	v_add_f64 v[18:19], v[32:33], v[20:21]
	v_add_f64 v[134:135], v[26:27], -v[18:19]
	v_add_f64 v[26:27], v[26:27], -v[134:135]
	;; [unrolled: 1-line block ×4, first 2 shown]
	v_add_f64 v[18:19], v[22:23], v[18:19]
	v_add_f64 v[20:21], v[32:33], -v[20:21]
	v_add_f64 v[18:19], v[20:21], v[18:19]
	v_add_f64 v[20:21], v[24:25], v[28:29]
	;; [unrolled: 1-line block ×3, first 2 shown]
	v_add_f64 v[22:23], v[20:21], -v[24:25]
	v_mul_f64 v[18:19], v[30:31], v[18:19]
	v_add_f64 v[22:23], v[28:29], -v[22:23]
	v_add_f64 v[18:19], v[22:23], v[18:19]
	v_add_f64 v[22:23], v[20:21], v[18:19]
	v_add_f64 v[20:21], v[22:23], -v[20:21]
	s_mov_b32 s16, 0xbf559e2b
	v_add_f64 v[18:19], v[18:19], -v[20:21]
	v_mul_f64 v[20:21], v[22:23], v[22:23]
	v_mov_b32_e32 v24, 0x6b47b09a
	v_mov_b32_e32 v25, 0x3fc38538
	s_mov_b32 s17, 0x3fc3ab76
	v_fmac_f64_e32 v[24:25], s[16:17], v[20:21]
	v_mov_b32_e32 v26, 0xd7f4df2e
	v_mov_b32_e32 v27, 0x3fc7474d
	v_fmac_f64_e32 v[26:27], v[20:21], v[24:25]
	v_mov_b32_e32 v24, 0x16291751
	v_mov_b32_e32 v25, 0x3fcc71c0
	;; [unrolled: 3-line block ×5, first 2 shown]
	v_fmac_f64_e32 v[26:27], v[20:21], v[24:25]
	v_cvt_f64_i32_e32 v[24:25], v53
	v_mul_f64 v[28:29], v[24:25], s[22:23]
	v_fma_f64 v[30:31], v[24:25], s[22:23], -v[28:29]
	v_fmac_f64_e32 v[30:31], s[24:25], v[24:25]
	v_add_f64 v[24:25], v[28:29], v[30:31]
	v_add_f64 v[28:29], v[24:25], -v[28:29]
	v_mul_f64 v[20:21], v[22:23], v[20:21]
	v_add_f64 v[28:29], v[30:31], -v[28:29]
	v_ldexp_f64 v[30:31], v[22:23], 1
	v_mul_f64 v[20:21], v[20:21], v[26:27]
	v_add_f64 v[22:23], v[30:31], v[20:21]
	v_add_f64 v[26:27], v[22:23], -v[30:31]
	v_ldexp_f64 v[18:19], v[18:19], 1
	v_add_f64 v[20:21], v[20:21], -v[26:27]
	v_add_f64 v[18:19], v[18:19], v[20:21]
	v_add_f64 v[20:21], v[22:23], v[18:19]
	v_add_f64 v[22:23], v[20:21], -v[22:23]
	v_add_f64 v[18:19], v[18:19], -v[22:23]
	v_add_f64 v[22:23], v[24:25], v[20:21]
	v_add_f64 v[26:27], v[22:23], -v[24:25]
	v_add_f64 v[30:31], v[22:23], -v[26:27]
	;; [unrolled: 1-line block ×4, first 2 shown]
	v_add_f64 v[20:21], v[20:21], v[24:25]
	v_add_f64 v[24:25], v[28:29], v[18:19]
	v_add_f64 v[26:27], v[24:25], -v[28:29]
	v_add_f64 v[20:21], v[24:25], v[20:21]
	v_add_f64 v[30:31], v[24:25], -v[26:27]
	;; [unrolled: 2-line block ×3, first 2 shown]
	v_add_f64 v[18:19], v[18:19], -v[26:27]
	v_add_f64 v[22:23], v[24:25], -v[22:23]
	v_add_f64 v[18:19], v[18:19], v[28:29]
	v_add_f64 v[20:21], v[20:21], -v[22:23]
	s_mov_b32 s16, 0
	v_add_f64 v[18:19], v[18:19], v[20:21]
	s_mov_b32 s17, 0x7ff00000
	v_add_f64 v[18:19], v[24:25], v[18:19]
	v_cmp_eq_f64_e64 s[16:17], s[16:17], v[6:7]
	v_mov_b32_e32 v20, 0x7ff80000
	s_nop 0
	v_cndmask_b32_e64 v18, v18, v6, s[16:17]
	v_cndmask_b32_e64 v19, v19, v7, s[16:17]
	v_cmp_ngt_f64_e64 s[16:17], -1.0, v[6:7]
	s_nop 1
	v_cndmask_b32_e64 v19, v20, v19, s[16:17]
	v_cmp_nge_f64_e64 s[16:17], -1.0, v[6:7]
	v_mov_b32_e32 v20, 0xfff00000
	s_nop 0
	v_cndmask_b32_e64 v18, 0, v18, s[16:17]
	v_cmp_neq_f64_e64 s[16:17], -1.0, v[6:7]
	s_nop 1
	v_cndmask_b32_e64 v19, v20, v19, s[16:17]
	v_add_f64 v[134:135], v[4:5], v[18:19]
.LBB30_280:
	s_or_b64 exec, exec, s[20:21]
	v_max_f64 v[18:19], v[98:99], v[98:99]
	v_max_f64 v[4:5], v[134:135], v[134:135]
	v_min_f64 v[6:7], v[4:5], v[18:19]
	v_cmp_u_f64_e64 s[18:19], v[134:135], v[134:135]
	v_max_f64 v[4:5], v[4:5], v[18:19]
	v_cmp_u_f64_e64 s[16:17], v[98:99], v[98:99]
	v_cndmask_b32_e64 v6, v6, v134, s[18:19]
	v_cndmask_b32_e64 v7, v7, v135, s[18:19]
	v_cndmask_b32_e64 v4, v4, v134, s[18:19]
	v_cndmask_b32_e64 v5, v5, v135, s[18:19]
	v_cndmask_b32_e64 v7, v7, v99, s[16:17]
	v_cndmask_b32_e64 v6, v6, v98, s[16:17]
	v_cndmask_b32_e64 v5, v5, v99, s[16:17]
	v_cndmask_b32_e64 v4, v4, v98, s[16:17]
	s_movk_i32 s28, 0x1f8
	v_cmp_neq_f64_e64 s[18:19], v[6:7], v[4:5]
	v_cmp_class_f64_e64 s[20:21], v[6:7], s28
	s_or_b64 s[18:19], s[18:19], s[20:21]
	s_and_saveexec_b64 s[22:23], s[18:19]
	s_cbranch_execz .LBB30_282
; %bb.281:
	s_mov_b32 s18, 0x652b82fe
	v_add_f64 v[6:7], v[6:7], -v[4:5]
	s_mov_b32 s19, 0x3ff71547
	v_mul_f64 v[20:21], v[6:7], s[18:19]
	v_rndne_f64_e32 v[20:21], v[20:21]
	s_mov_b32 s25, 0xbfe62e42
	s_mov_b32 s24, 0xfefa39ef
	v_fma_f64 v[22:23], s[24:25], v[20:21], v[6:7]
	s_mov_b32 s27, 0xbc7abc9e
	s_mov_b32 s26, 0x3b39803f
	;; [unrolled: 1-line block ×3, first 2 shown]
	v_fmac_f64_e32 v[22:23], s[26:27], v[20:21]
	v_mov_b32_e32 v24, 0xfca7ab0c
	v_mov_b32_e32 v25, 0x3e928af3
	s_mov_b32 s19, 0x3e5ade15
	v_fmac_f64_e32 v[24:25], s[18:19], v[22:23]
	v_mov_b32_e32 v26, 0x623fde64
	v_mov_b32_e32 v27, 0x3ec71dee
	v_fmac_f64_e32 v[26:27], v[22:23], v[24:25]
	v_mov_b32_e32 v24, 0x7c89e6b0
	v_mov_b32_e32 v25, 0x3efa0199
	;; [unrolled: 3-line block ×8, first 2 shown]
	v_fmac_f64_e32 v[24:25], v[22:23], v[26:27]
	v_fma_f64 v[24:25], v[22:23], v[24:25], 1.0
	s_mov_b32 s18, 0
	s_mov_b32 s20, 0
	v_fma_f64 v[22:23], v[22:23], v[24:25], 1.0
	v_cvt_i32_f64_e32 v20, v[20:21]
	s_mov_b32 s19, 0x40900000
	s_mov_b32 s21, 0xc090cc00
	v_ldexp_f64 v[20:21], v[22:23], v20
	v_mov_b32_e32 v22, 0x7ff00000
	v_cmp_nlt_f64_e64 s[18:19], s[18:19], v[6:7]
	v_cmp_ngt_f64_e64 s[20:21], s[20:21], v[6:7]
	s_mov_b32 s25, 0x3fe62e42
	v_cndmask_b32_e64 v21, v22, v21, s[18:19]
	s_and_b64 s[18:19], s[20:21], s[18:19]
	v_cndmask_b32_e64 v7, 0, v21, s[20:21]
	v_cndmask_b32_e64 v6, 0, v20, s[18:19]
	v_add_f64 v[20:21], v[6:7], 1.0
	v_add_f64 v[22:23], v[20:21], -1.0
	v_add_f64 v[24:25], v[22:23], -v[20:21]
	v_add_f64 v[24:25], v[24:25], 1.0
	v_add_f64 v[22:23], v[6:7], -v[22:23]
	s_mov_b32 s18, 0x55555555
	v_add_f64 v[22:23], v[22:23], v[24:25]
	v_frexp_mant_f64_e32 v[24:25], v[20:21]
	s_mov_b32 s19, 0x3fe55555
	v_frexp_exp_i32_f64_e32 v26, v[20:21]
	v_cmp_gt_f64_e64 s[18:19], s[18:19], v[24:25]
	s_mov_b32 s27, 0x3c7abc9e
	s_nop 0
	v_subbrev_co_u32_e64 v53, s[18:19], 0, v26, s[18:19]
	v_sub_u32_e32 v24, 0, v53
	v_ldexp_f64 v[20:21], v[20:21], v24
	v_ldexp_f64 v[22:23], v[22:23], v24
	v_add_f64 v[24:25], v[20:21], -1.0
	v_add_f64 v[30:31], v[20:21], 1.0
	v_add_f64 v[26:27], v[24:25], 1.0
	v_add_f64 v[32:33], v[30:31], -1.0
	v_add_f64 v[26:27], v[20:21], -v[26:27]
	v_add_f64 v[20:21], v[20:21], -v[32:33]
	v_add_f64 v[20:21], v[22:23], v[20:21]
	v_add_f64 v[26:27], v[22:23], v[26:27]
	;; [unrolled: 1-line block ×3, first 2 shown]
	v_rcp_f64_e32 v[32:33], v[22:23]
	v_add_f64 v[28:29], v[24:25], v[26:27]
	v_add_f64 v[24:25], v[28:29], -v[24:25]
	v_add_f64 v[24:25], v[26:27], -v[24:25]
	;; [unrolled: 1-line block ×4, first 2 shown]
	v_fma_f64 v[26:27], -v[22:23], v[32:33], 1.0
	v_fmac_f64_e32 v[32:33], v[26:27], v[32:33]
	v_fma_f64 v[26:27], -v[22:23], v[32:33], 1.0
	v_fmac_f64_e32 v[32:33], v[26:27], v[32:33]
	v_mul_f64 v[26:27], v[28:29], v[32:33]
	v_mul_f64 v[30:31], v[22:23], v[26:27]
	v_fma_f64 v[134:135], v[26:27], v[22:23], -v[30:31]
	v_fmac_f64_e32 v[134:135], v[26:27], v[20:21]
	v_add_f64 v[144:145], v[30:31], v[134:135]
	v_add_f64 v[146:147], v[28:29], -v[144:145]
	v_add_f64 v[28:29], v[28:29], -v[146:147]
	;; [unrolled: 1-line block ×4, first 2 shown]
	v_add_f64 v[24:25], v[24:25], v[28:29]
	v_add_f64 v[28:29], v[30:31], -v[134:135]
	v_add_f64 v[24:25], v[28:29], v[24:25]
	v_add_f64 v[28:29], v[146:147], v[24:25]
	v_add_f64 v[30:31], v[146:147], -v[28:29]
	v_add_f64 v[24:25], v[24:25], v[30:31]
	v_mul_f64 v[30:31], v[32:33], v[28:29]
	v_mul_f64 v[134:135], v[22:23], v[30:31]
	v_fma_f64 v[22:23], v[30:31], v[22:23], -v[134:135]
	v_fmac_f64_e32 v[22:23], v[30:31], v[20:21]
	v_add_f64 v[20:21], v[134:135], v[22:23]
	v_add_f64 v[144:145], v[28:29], -v[20:21]
	v_add_f64 v[28:29], v[28:29], -v[144:145]
	;; [unrolled: 1-line block ×4, first 2 shown]
	v_add_f64 v[20:21], v[24:25], v[20:21]
	v_add_f64 v[22:23], v[134:135], -v[22:23]
	v_add_f64 v[20:21], v[22:23], v[20:21]
	v_add_f64 v[22:23], v[26:27], v[30:31]
	;; [unrolled: 1-line block ×3, first 2 shown]
	v_add_f64 v[24:25], v[22:23], -v[26:27]
	v_mul_f64 v[20:21], v[32:33], v[20:21]
	v_add_f64 v[24:25], v[30:31], -v[24:25]
	v_add_f64 v[20:21], v[24:25], v[20:21]
	v_add_f64 v[24:25], v[22:23], v[20:21]
	v_add_f64 v[22:23], v[24:25], -v[22:23]
	s_mov_b32 s18, 0xbf559e2b
	v_add_f64 v[20:21], v[20:21], -v[22:23]
	v_mul_f64 v[22:23], v[24:25], v[24:25]
	v_mov_b32_e32 v26, 0x6b47b09a
	v_mov_b32_e32 v27, 0x3fc38538
	s_mov_b32 s19, 0x3fc3ab76
	v_fmac_f64_e32 v[26:27], s[18:19], v[22:23]
	v_mov_b32_e32 v28, 0xd7f4df2e
	v_mov_b32_e32 v29, 0x3fc7474d
	v_fmac_f64_e32 v[28:29], v[22:23], v[26:27]
	v_mov_b32_e32 v26, 0x16291751
	v_mov_b32_e32 v27, 0x3fcc71c0
	;; [unrolled: 3-line block ×5, first 2 shown]
	v_fmac_f64_e32 v[28:29], v[22:23], v[26:27]
	v_cvt_f64_i32_e32 v[26:27], v53
	v_mul_f64 v[30:31], v[26:27], s[24:25]
	v_fma_f64 v[32:33], v[26:27], s[24:25], -v[30:31]
	v_fmac_f64_e32 v[32:33], s[26:27], v[26:27]
	v_add_f64 v[26:27], v[30:31], v[32:33]
	v_add_f64 v[30:31], v[26:27], -v[30:31]
	v_mul_f64 v[22:23], v[24:25], v[22:23]
	v_add_f64 v[30:31], v[32:33], -v[30:31]
	v_ldexp_f64 v[32:33], v[24:25], 1
	v_mul_f64 v[22:23], v[22:23], v[28:29]
	v_add_f64 v[24:25], v[32:33], v[22:23]
	v_add_f64 v[28:29], v[24:25], -v[32:33]
	v_ldexp_f64 v[20:21], v[20:21], 1
	v_add_f64 v[22:23], v[22:23], -v[28:29]
	v_add_f64 v[20:21], v[20:21], v[22:23]
	v_add_f64 v[22:23], v[24:25], v[20:21]
	v_add_f64 v[24:25], v[22:23], -v[24:25]
	v_add_f64 v[20:21], v[20:21], -v[24:25]
	v_add_f64 v[24:25], v[26:27], v[22:23]
	v_add_f64 v[28:29], v[24:25], -v[26:27]
	v_add_f64 v[32:33], v[24:25], -v[28:29]
	;; [unrolled: 1-line block ×4, first 2 shown]
	v_add_f64 v[22:23], v[22:23], v[26:27]
	v_add_f64 v[26:27], v[30:31], v[20:21]
	v_add_f64 v[28:29], v[26:27], -v[30:31]
	v_add_f64 v[22:23], v[26:27], v[22:23]
	v_add_f64 v[32:33], v[26:27], -v[28:29]
	;; [unrolled: 2-line block ×3, first 2 shown]
	v_add_f64 v[20:21], v[20:21], -v[28:29]
	v_add_f64 v[24:25], v[26:27], -v[24:25]
	v_add_f64 v[20:21], v[20:21], v[30:31]
	v_add_f64 v[22:23], v[22:23], -v[24:25]
	s_mov_b32 s18, 0
	v_add_f64 v[20:21], v[20:21], v[22:23]
	s_mov_b32 s19, 0x7ff00000
	v_add_f64 v[20:21], v[26:27], v[20:21]
	v_cmp_eq_f64_e64 s[18:19], s[18:19], v[6:7]
	v_mov_b32_e32 v22, 0x7ff80000
	s_nop 0
	v_cndmask_b32_e64 v20, v20, v6, s[18:19]
	v_cndmask_b32_e64 v21, v21, v7, s[18:19]
	v_cmp_ngt_f64_e64 s[18:19], -1.0, v[6:7]
	s_nop 1
	v_cndmask_b32_e64 v21, v22, v21, s[18:19]
	v_cmp_nge_f64_e64 s[18:19], -1.0, v[6:7]
	v_mov_b32_e32 v22, 0xfff00000
	s_nop 0
	v_cndmask_b32_e64 v20, 0, v20, s[18:19]
	v_cmp_neq_f64_e64 s[18:19], -1.0, v[6:7]
	s_nop 1
	v_cndmask_b32_e64 v21, v22, v21, s[18:19]
	v_add_f64 v[134:135], v[4:5], v[20:21]
.LBB30_282:
	s_or_b64 exec, exec, s[22:23]
	v_max_f64 v[20:21], v[84:85], v[84:85]
	v_max_f64 v[4:5], v[134:135], v[134:135]
	v_min_f64 v[6:7], v[4:5], v[20:21]
	v_cmp_u_f64_e64 s[20:21], v[134:135], v[134:135]
	v_max_f64 v[4:5], v[4:5], v[20:21]
	v_cmp_u_f64_e64 s[18:19], v[84:85], v[84:85]
	v_cndmask_b32_e64 v6, v6, v134, s[20:21]
	v_cndmask_b32_e64 v7, v7, v135, s[20:21]
	;; [unrolled: 1-line block ×8, first 2 shown]
	v_cmp_neq_f64_e64 s[20:21], v[6:7], v[4:5]
	v_cmp_class_f64_e64 s[22:23], v[6:7], s28
	s_or_b64 s[20:21], s[20:21], s[22:23]
	s_and_saveexec_b64 s[24:25], s[20:21]
	s_cbranch_execz .LBB30_284
; %bb.283:
	s_mov_b32 s20, 0x652b82fe
	v_add_f64 v[6:7], v[6:7], -v[4:5]
	s_mov_b32 s21, 0x3ff71547
	v_mul_f64 v[22:23], v[6:7], s[20:21]
	v_rndne_f64_e32 v[22:23], v[22:23]
	s_mov_b32 s27, 0xbfe62e42
	s_mov_b32 s26, 0xfefa39ef
	v_fma_f64 v[24:25], s[26:27], v[22:23], v[6:7]
	s_mov_b32 s29, 0xbc7abc9e
	s_mov_b32 s28, 0x3b39803f
	;; [unrolled: 1-line block ×3, first 2 shown]
	v_fmac_f64_e32 v[24:25], s[28:29], v[22:23]
	v_mov_b32_e32 v26, 0xfca7ab0c
	v_mov_b32_e32 v27, 0x3e928af3
	s_mov_b32 s21, 0x3e5ade15
	v_fmac_f64_e32 v[26:27], s[20:21], v[24:25]
	v_mov_b32_e32 v28, 0x623fde64
	v_mov_b32_e32 v29, 0x3ec71dee
	v_fmac_f64_e32 v[28:29], v[24:25], v[26:27]
	v_mov_b32_e32 v26, 0x7c89e6b0
	v_mov_b32_e32 v27, 0x3efa0199
	;; [unrolled: 3-line block ×8, first 2 shown]
	v_fmac_f64_e32 v[26:27], v[24:25], v[28:29]
	v_fma_f64 v[26:27], v[24:25], v[26:27], 1.0
	s_mov_b32 s20, 0
	s_mov_b32 s22, 0
	v_fma_f64 v[24:25], v[24:25], v[26:27], 1.0
	v_cvt_i32_f64_e32 v22, v[22:23]
	s_mov_b32 s21, 0x40900000
	s_mov_b32 s23, 0xc090cc00
	v_ldexp_f64 v[22:23], v[24:25], v22
	v_mov_b32_e32 v24, 0x7ff00000
	v_cmp_nlt_f64_e64 s[20:21], s[20:21], v[6:7]
	v_cmp_ngt_f64_e64 s[22:23], s[22:23], v[6:7]
	s_mov_b32 s27, 0x3fe62e42
	v_cndmask_b32_e64 v23, v24, v23, s[20:21]
	s_and_b64 s[20:21], s[22:23], s[20:21]
	v_cndmask_b32_e64 v7, 0, v23, s[22:23]
	v_cndmask_b32_e64 v6, 0, v22, s[20:21]
	v_add_f64 v[22:23], v[6:7], 1.0
	v_add_f64 v[24:25], v[22:23], -1.0
	v_add_f64 v[26:27], v[24:25], -v[22:23]
	v_add_f64 v[26:27], v[26:27], 1.0
	v_add_f64 v[24:25], v[6:7], -v[24:25]
	s_mov_b32 s20, 0x55555555
	v_add_f64 v[24:25], v[24:25], v[26:27]
	v_frexp_mant_f64_e32 v[26:27], v[22:23]
	s_mov_b32 s21, 0x3fe55555
	v_frexp_exp_i32_f64_e32 v28, v[22:23]
	v_cmp_gt_f64_e64 s[20:21], s[20:21], v[26:27]
	s_mov_b32 s29, 0x3c7abc9e
	s_nop 0
	v_subbrev_co_u32_e64 v53, s[20:21], 0, v28, s[20:21]
	v_sub_u32_e32 v26, 0, v53
	v_ldexp_f64 v[22:23], v[22:23], v26
	v_ldexp_f64 v[24:25], v[24:25], v26
	v_add_f64 v[26:27], v[22:23], -1.0
	v_add_f64 v[32:33], v[22:23], 1.0
	v_add_f64 v[28:29], v[26:27], 1.0
	v_add_f64 v[134:135], v[32:33], -1.0
	v_add_f64 v[28:29], v[22:23], -v[28:29]
	v_add_f64 v[22:23], v[22:23], -v[134:135]
	v_add_f64 v[22:23], v[24:25], v[22:23]
	v_add_f64 v[28:29], v[24:25], v[28:29]
	;; [unrolled: 1-line block ×3, first 2 shown]
	v_rcp_f64_e32 v[134:135], v[24:25]
	v_add_f64 v[30:31], v[26:27], v[28:29]
	v_add_f64 v[26:27], v[30:31], -v[26:27]
	v_add_f64 v[26:27], v[28:29], -v[26:27]
	;; [unrolled: 1-line block ×4, first 2 shown]
	v_fma_f64 v[28:29], -v[24:25], v[134:135], 1.0
	v_fmac_f64_e32 v[134:135], v[28:29], v[134:135]
	v_fma_f64 v[28:29], -v[24:25], v[134:135], 1.0
	v_fmac_f64_e32 v[134:135], v[28:29], v[134:135]
	v_mul_f64 v[28:29], v[30:31], v[134:135]
	v_mul_f64 v[32:33], v[24:25], v[28:29]
	v_fma_f64 v[144:145], v[28:29], v[24:25], -v[32:33]
	v_fmac_f64_e32 v[144:145], v[28:29], v[22:23]
	v_add_f64 v[146:147], v[32:33], v[144:145]
	v_add_f64 v[148:149], v[30:31], -v[146:147]
	v_add_f64 v[30:31], v[30:31], -v[148:149]
	;; [unrolled: 1-line block ×4, first 2 shown]
	v_add_f64 v[26:27], v[26:27], v[30:31]
	v_add_f64 v[30:31], v[32:33], -v[144:145]
	v_add_f64 v[26:27], v[30:31], v[26:27]
	v_add_f64 v[30:31], v[148:149], v[26:27]
	v_add_f64 v[32:33], v[148:149], -v[30:31]
	v_add_f64 v[26:27], v[26:27], v[32:33]
	v_mul_f64 v[32:33], v[134:135], v[30:31]
	v_mul_f64 v[144:145], v[24:25], v[32:33]
	v_fma_f64 v[24:25], v[32:33], v[24:25], -v[144:145]
	v_fmac_f64_e32 v[24:25], v[32:33], v[22:23]
	v_add_f64 v[22:23], v[144:145], v[24:25]
	v_add_f64 v[146:147], v[30:31], -v[22:23]
	v_add_f64 v[30:31], v[30:31], -v[146:147]
	;; [unrolled: 1-line block ×4, first 2 shown]
	v_add_f64 v[22:23], v[26:27], v[22:23]
	v_add_f64 v[24:25], v[144:145], -v[24:25]
	v_add_f64 v[22:23], v[24:25], v[22:23]
	v_add_f64 v[24:25], v[28:29], v[32:33]
	;; [unrolled: 1-line block ×3, first 2 shown]
	v_add_f64 v[26:27], v[24:25], -v[28:29]
	v_mul_f64 v[22:23], v[134:135], v[22:23]
	v_add_f64 v[26:27], v[32:33], -v[26:27]
	v_add_f64 v[22:23], v[26:27], v[22:23]
	v_add_f64 v[26:27], v[24:25], v[22:23]
	v_add_f64 v[24:25], v[26:27], -v[24:25]
	s_mov_b32 s20, 0xbf559e2b
	v_add_f64 v[22:23], v[22:23], -v[24:25]
	v_mul_f64 v[24:25], v[26:27], v[26:27]
	v_mov_b32_e32 v28, 0x6b47b09a
	v_mov_b32_e32 v29, 0x3fc38538
	s_mov_b32 s21, 0x3fc3ab76
	v_fmac_f64_e32 v[28:29], s[20:21], v[24:25]
	v_mov_b32_e32 v30, 0xd7f4df2e
	v_mov_b32_e32 v31, 0x3fc7474d
	v_fmac_f64_e32 v[30:31], v[24:25], v[28:29]
	v_mov_b32_e32 v28, 0x16291751
	v_mov_b32_e32 v29, 0x3fcc71c0
	;; [unrolled: 3-line block ×5, first 2 shown]
	v_fmac_f64_e32 v[30:31], v[24:25], v[28:29]
	v_cvt_f64_i32_e32 v[28:29], v53
	v_mul_f64 v[32:33], v[28:29], s[26:27]
	v_fma_f64 v[134:135], v[28:29], s[26:27], -v[32:33]
	v_fmac_f64_e32 v[134:135], s[28:29], v[28:29]
	v_add_f64 v[28:29], v[32:33], v[134:135]
	v_add_f64 v[32:33], v[28:29], -v[32:33]
	v_mul_f64 v[24:25], v[26:27], v[24:25]
	v_add_f64 v[32:33], v[134:135], -v[32:33]
	v_ldexp_f64 v[134:135], v[26:27], 1
	v_mul_f64 v[24:25], v[24:25], v[30:31]
	v_add_f64 v[26:27], v[134:135], v[24:25]
	v_add_f64 v[30:31], v[26:27], -v[134:135]
	v_ldexp_f64 v[22:23], v[22:23], 1
	v_add_f64 v[24:25], v[24:25], -v[30:31]
	v_add_f64 v[22:23], v[22:23], v[24:25]
	v_add_f64 v[24:25], v[26:27], v[22:23]
	v_add_f64 v[26:27], v[24:25], -v[26:27]
	v_add_f64 v[22:23], v[22:23], -v[26:27]
	v_add_f64 v[26:27], v[28:29], v[24:25]
	v_add_f64 v[30:31], v[26:27], -v[28:29]
	v_add_f64 v[134:135], v[26:27], -v[30:31]
	;; [unrolled: 1-line block ×4, first 2 shown]
	v_add_f64 v[24:25], v[24:25], v[28:29]
	v_add_f64 v[28:29], v[32:33], v[22:23]
	v_add_f64 v[30:31], v[28:29], -v[32:33]
	v_add_f64 v[24:25], v[28:29], v[24:25]
	v_add_f64 v[134:135], v[28:29], -v[30:31]
	;; [unrolled: 2-line block ×3, first 2 shown]
	v_add_f64 v[22:23], v[22:23], -v[30:31]
	v_add_f64 v[26:27], v[28:29], -v[26:27]
	v_add_f64 v[22:23], v[22:23], v[32:33]
	v_add_f64 v[24:25], v[24:25], -v[26:27]
	s_mov_b32 s20, 0
	v_add_f64 v[22:23], v[22:23], v[24:25]
	s_mov_b32 s21, 0x7ff00000
	v_add_f64 v[22:23], v[28:29], v[22:23]
	v_cmp_eq_f64_e64 s[20:21], s[20:21], v[6:7]
	v_mov_b32_e32 v24, 0x7ff80000
	s_nop 0
	v_cndmask_b32_e64 v22, v22, v6, s[20:21]
	v_cndmask_b32_e64 v23, v23, v7, s[20:21]
	v_cmp_ngt_f64_e64 s[20:21], -1.0, v[6:7]
	s_nop 1
	v_cndmask_b32_e64 v23, v24, v23, s[20:21]
	v_cmp_nge_f64_e64 s[20:21], -1.0, v[6:7]
	v_mov_b32_e32 v24, 0xfff00000
	s_nop 0
	v_cndmask_b32_e64 v22, 0, v22, s[20:21]
	v_cmp_neq_f64_e64 s[20:21], -1.0, v[6:7]
	s_nop 1
	v_cndmask_b32_e64 v23, v24, v23, s[20:21]
	v_add_f64 v[134:135], v[4:5], v[22:23]
.LBB30_284:
	s_or_b64 exec, exec, s[24:25]
	v_max_f64 v[22:23], v[86:87], v[86:87]
	v_max_f64 v[4:5], v[134:135], v[134:135]
	v_min_f64 v[6:7], v[4:5], v[22:23]
	v_cmp_u_f64_e64 s[22:23], v[134:135], v[134:135]
	v_max_f64 v[4:5], v[4:5], v[22:23]
	v_cmp_u_f64_e64 s[20:21], v[86:87], v[86:87]
	v_cndmask_b32_e64 v6, v6, v134, s[22:23]
	v_cndmask_b32_e64 v7, v7, v135, s[22:23]
	;; [unrolled: 1-line block ×8, first 2 shown]
	s_movk_i32 s36, 0x1f8
	v_cmp_neq_f64_e64 s[22:23], v[6:7], v[4:5]
	v_cmp_class_f64_e64 s[24:25], v[6:7], s36
	s_or_b64 s[22:23], s[22:23], s[24:25]
	s_and_saveexec_b64 s[26:27], s[22:23]
	s_cbranch_execz .LBB30_286
; %bb.285:
	s_mov_b32 s22, 0x652b82fe
	v_add_f64 v[6:7], v[6:7], -v[4:5]
	s_mov_b32 s23, 0x3ff71547
	v_mul_f64 v[24:25], v[6:7], s[22:23]
	v_rndne_f64_e32 v[24:25], v[24:25]
	s_mov_b32 s29, 0xbfe62e42
	s_mov_b32 s28, 0xfefa39ef
	v_fma_f64 v[26:27], s[28:29], v[24:25], v[6:7]
	s_mov_b32 s31, 0xbc7abc9e
	s_mov_b32 s30, 0x3b39803f
	;; [unrolled: 1-line block ×3, first 2 shown]
	v_fmac_f64_e32 v[26:27], s[30:31], v[24:25]
	v_mov_b32_e32 v28, 0xfca7ab0c
	v_mov_b32_e32 v29, 0x3e928af3
	s_mov_b32 s23, 0x3e5ade15
	v_fmac_f64_e32 v[28:29], s[22:23], v[26:27]
	v_mov_b32_e32 v30, 0x623fde64
	v_mov_b32_e32 v31, 0x3ec71dee
	v_fmac_f64_e32 v[30:31], v[26:27], v[28:29]
	v_mov_b32_e32 v28, 0x7c89e6b0
	v_mov_b32_e32 v29, 0x3efa0199
	;; [unrolled: 3-line block ×8, first 2 shown]
	v_fmac_f64_e32 v[28:29], v[26:27], v[30:31]
	v_fma_f64 v[28:29], v[26:27], v[28:29], 1.0
	s_mov_b32 s22, 0
	s_mov_b32 s24, 0
	v_fma_f64 v[26:27], v[26:27], v[28:29], 1.0
	v_cvt_i32_f64_e32 v24, v[24:25]
	s_mov_b32 s23, 0x40900000
	s_mov_b32 s25, 0xc090cc00
	v_ldexp_f64 v[24:25], v[26:27], v24
	v_mov_b32_e32 v26, 0x7ff00000
	v_cmp_nlt_f64_e64 s[22:23], s[22:23], v[6:7]
	v_cmp_ngt_f64_e64 s[24:25], s[24:25], v[6:7]
	s_mov_b32 s29, 0x3fe62e42
	v_cndmask_b32_e64 v25, v26, v25, s[22:23]
	s_and_b64 s[22:23], s[24:25], s[22:23]
	v_cndmask_b32_e64 v7, 0, v25, s[24:25]
	v_cndmask_b32_e64 v6, 0, v24, s[22:23]
	v_add_f64 v[24:25], v[6:7], 1.0
	v_add_f64 v[26:27], v[24:25], -1.0
	v_add_f64 v[28:29], v[26:27], -v[24:25]
	v_add_f64 v[28:29], v[28:29], 1.0
	v_add_f64 v[26:27], v[6:7], -v[26:27]
	s_mov_b32 s22, 0x55555555
	v_add_f64 v[26:27], v[26:27], v[28:29]
	v_frexp_mant_f64_e32 v[28:29], v[24:25]
	s_mov_b32 s23, 0x3fe55555
	v_frexp_exp_i32_f64_e32 v30, v[24:25]
	v_cmp_gt_f64_e64 s[22:23], s[22:23], v[28:29]
	s_mov_b32 s31, 0x3c7abc9e
	s_nop 0
	v_subbrev_co_u32_e64 v53, s[22:23], 0, v30, s[22:23]
	v_sub_u32_e32 v28, 0, v53
	v_ldexp_f64 v[24:25], v[24:25], v28
	v_ldexp_f64 v[26:27], v[26:27], v28
	v_add_f64 v[28:29], v[24:25], -1.0
	v_add_f64 v[134:135], v[24:25], 1.0
	v_add_f64 v[30:31], v[28:29], 1.0
	v_add_f64 v[144:145], v[134:135], -1.0
	v_add_f64 v[30:31], v[24:25], -v[30:31]
	v_add_f64 v[24:25], v[24:25], -v[144:145]
	v_add_f64 v[24:25], v[26:27], v[24:25]
	v_add_f64 v[30:31], v[26:27], v[30:31]
	;; [unrolled: 1-line block ×3, first 2 shown]
	v_rcp_f64_e32 v[144:145], v[26:27]
	v_add_f64 v[32:33], v[28:29], v[30:31]
	v_add_f64 v[28:29], v[32:33], -v[28:29]
	v_add_f64 v[28:29], v[30:31], -v[28:29]
	;; [unrolled: 1-line block ×4, first 2 shown]
	v_fma_f64 v[30:31], -v[26:27], v[144:145], 1.0
	v_fmac_f64_e32 v[144:145], v[30:31], v[144:145]
	v_fma_f64 v[30:31], -v[26:27], v[144:145], 1.0
	v_fmac_f64_e32 v[144:145], v[30:31], v[144:145]
	v_mul_f64 v[30:31], v[32:33], v[144:145]
	v_mul_f64 v[134:135], v[26:27], v[30:31]
	v_fma_f64 v[146:147], v[30:31], v[26:27], -v[134:135]
	v_fmac_f64_e32 v[146:147], v[30:31], v[24:25]
	v_add_f64 v[148:149], v[134:135], v[146:147]
	v_add_f64 v[150:151], v[32:33], -v[148:149]
	v_add_f64 v[32:33], v[32:33], -v[150:151]
	;; [unrolled: 1-line block ×4, first 2 shown]
	v_add_f64 v[28:29], v[28:29], v[32:33]
	v_add_f64 v[32:33], v[134:135], -v[146:147]
	v_add_f64 v[28:29], v[32:33], v[28:29]
	v_add_f64 v[32:33], v[150:151], v[28:29]
	v_add_f64 v[134:135], v[150:151], -v[32:33]
	v_add_f64 v[28:29], v[28:29], v[134:135]
	v_mul_f64 v[134:135], v[144:145], v[32:33]
	v_mul_f64 v[146:147], v[26:27], v[134:135]
	v_fma_f64 v[26:27], v[134:135], v[26:27], -v[146:147]
	v_fmac_f64_e32 v[26:27], v[134:135], v[24:25]
	v_add_f64 v[24:25], v[146:147], v[26:27]
	v_add_f64 v[148:149], v[32:33], -v[24:25]
	v_add_f64 v[32:33], v[32:33], -v[148:149]
	v_add_f64 v[146:147], v[24:25], -v[146:147]
	v_add_f64 v[24:25], v[32:33], -v[24:25]
	v_add_f64 v[24:25], v[28:29], v[24:25]
	v_add_f64 v[26:27], v[146:147], -v[26:27]
	v_add_f64 v[24:25], v[26:27], v[24:25]
	v_add_f64 v[26:27], v[30:31], v[134:135]
	;; [unrolled: 1-line block ×3, first 2 shown]
	v_add_f64 v[28:29], v[26:27], -v[30:31]
	v_mul_f64 v[24:25], v[144:145], v[24:25]
	v_add_f64 v[28:29], v[134:135], -v[28:29]
	v_add_f64 v[24:25], v[28:29], v[24:25]
	v_add_f64 v[28:29], v[26:27], v[24:25]
	v_add_f64 v[26:27], v[28:29], -v[26:27]
	s_mov_b32 s22, 0xbf559e2b
	v_add_f64 v[24:25], v[24:25], -v[26:27]
	v_mul_f64 v[26:27], v[28:29], v[28:29]
	v_mov_b32_e32 v30, 0x6b47b09a
	v_mov_b32_e32 v31, 0x3fc38538
	s_mov_b32 s23, 0x3fc3ab76
	v_fmac_f64_e32 v[30:31], s[22:23], v[26:27]
	v_mov_b32_e32 v32, 0xd7f4df2e
	v_mov_b32_e32 v33, 0x3fc7474d
	v_fmac_f64_e32 v[32:33], v[26:27], v[30:31]
	v_mov_b32_e32 v30, 0x16291751
	v_mov_b32_e32 v31, 0x3fcc71c0
	v_fmac_f64_e32 v[30:31], v[26:27], v[32:33]
	v_mov_b32_e32 v32, 0x9b27acf1
	v_mov_b32_e32 v33, 0x3fd24924
	v_fmac_f64_e32 v[32:33], v[26:27], v[30:31]
	v_mov_b32_e32 v30, 0x998ef7b6
	v_mov_b32_e32 v31, 0x3fd99999
	v_fmac_f64_e32 v[30:31], v[26:27], v[32:33]
	v_mov_b32_e32 v32, 0x55555780
	v_mov_b32_e32 v33, 0x3fe55555
	v_fmac_f64_e32 v[32:33], v[26:27], v[30:31]
	v_cvt_f64_i32_e32 v[30:31], v53
	v_mul_f64 v[134:135], v[30:31], s[28:29]
	v_fma_f64 v[144:145], v[30:31], s[28:29], -v[134:135]
	v_fmac_f64_e32 v[144:145], s[30:31], v[30:31]
	v_add_f64 v[30:31], v[134:135], v[144:145]
	v_add_f64 v[134:135], v[30:31], -v[134:135]
	v_mul_f64 v[26:27], v[28:29], v[26:27]
	v_add_f64 v[134:135], v[144:145], -v[134:135]
	v_ldexp_f64 v[144:145], v[28:29], 1
	v_mul_f64 v[26:27], v[26:27], v[32:33]
	v_add_f64 v[28:29], v[144:145], v[26:27]
	v_add_f64 v[32:33], v[28:29], -v[144:145]
	v_ldexp_f64 v[24:25], v[24:25], 1
	v_add_f64 v[26:27], v[26:27], -v[32:33]
	v_add_f64 v[24:25], v[24:25], v[26:27]
	v_add_f64 v[26:27], v[28:29], v[24:25]
	v_add_f64 v[28:29], v[26:27], -v[28:29]
	v_add_f64 v[24:25], v[24:25], -v[28:29]
	v_add_f64 v[28:29], v[30:31], v[26:27]
	v_add_f64 v[32:33], v[28:29], -v[30:31]
	v_add_f64 v[144:145], v[28:29], -v[32:33]
	;; [unrolled: 1-line block ×4, first 2 shown]
	v_add_f64 v[26:27], v[26:27], v[30:31]
	v_add_f64 v[30:31], v[134:135], v[24:25]
	v_add_f64 v[32:33], v[30:31], -v[134:135]
	v_add_f64 v[26:27], v[30:31], v[26:27]
	v_add_f64 v[144:145], v[30:31], -v[32:33]
	;; [unrolled: 2-line block ×3, first 2 shown]
	v_add_f64 v[24:25], v[24:25], -v[32:33]
	v_add_f64 v[28:29], v[30:31], -v[28:29]
	v_add_f64 v[24:25], v[24:25], v[134:135]
	v_add_f64 v[26:27], v[26:27], -v[28:29]
	s_mov_b32 s22, 0
	v_add_f64 v[24:25], v[24:25], v[26:27]
	s_mov_b32 s23, 0x7ff00000
	v_add_f64 v[24:25], v[30:31], v[24:25]
	v_cmp_eq_f64_e64 s[22:23], s[22:23], v[6:7]
	v_mov_b32_e32 v26, 0x7ff80000
	s_nop 0
	v_cndmask_b32_e64 v24, v24, v6, s[22:23]
	v_cndmask_b32_e64 v25, v25, v7, s[22:23]
	v_cmp_ngt_f64_e64 s[22:23], -1.0, v[6:7]
	s_nop 1
	v_cndmask_b32_e64 v25, v26, v25, s[22:23]
	v_cmp_nge_f64_e64 s[22:23], -1.0, v[6:7]
	v_mov_b32_e32 v26, 0xfff00000
	s_nop 0
	v_cndmask_b32_e64 v24, 0, v24, s[22:23]
	v_cmp_neq_f64_e64 s[22:23], -1.0, v[6:7]
	s_nop 1
	v_cndmask_b32_e64 v25, v26, v25, s[22:23]
	v_add_f64 v[134:135], v[4:5], v[24:25]
.LBB30_286:
	s_or_b64 exec, exec, s[26:27]
	v_max_f64 v[24:25], v[80:81], v[80:81]
	v_max_f64 v[4:5], v[134:135], v[134:135]
	v_min_f64 v[6:7], v[4:5], v[24:25]
	v_cmp_u_f64_e64 s[24:25], v[134:135], v[134:135]
	v_max_f64 v[4:5], v[4:5], v[24:25]
	v_cmp_u_f64_e64 s[22:23], v[80:81], v[80:81]
	v_cndmask_b32_e64 v6, v6, v134, s[24:25]
	v_cndmask_b32_e64 v7, v7, v135, s[24:25]
	;; [unrolled: 1-line block ×8, first 2 shown]
	v_cmp_neq_f64_e64 s[24:25], v[6:7], v[4:5]
	v_cmp_class_f64_e64 s[26:27], v[6:7], s36
	s_or_b64 s[24:25], s[24:25], s[26:27]
	s_and_saveexec_b64 s[28:29], s[24:25]
	s_cbranch_execz .LBB30_288
; %bb.287:
	s_mov_b32 s24, 0x652b82fe
	v_add_f64 v[6:7], v[6:7], -v[4:5]
	s_mov_b32 s25, 0x3ff71547
	v_mul_f64 v[26:27], v[6:7], s[24:25]
	v_rndne_f64_e32 v[26:27], v[26:27]
	s_mov_b32 s31, 0xbfe62e42
	s_mov_b32 s30, 0xfefa39ef
	v_fma_f64 v[28:29], s[30:31], v[26:27], v[6:7]
	s_mov_b32 s37, 0xbc7abc9e
	s_mov_b32 s36, 0x3b39803f
	;; [unrolled: 1-line block ×3, first 2 shown]
	v_fmac_f64_e32 v[28:29], s[36:37], v[26:27]
	v_mov_b32_e32 v30, 0xfca7ab0c
	v_mov_b32_e32 v31, 0x3e928af3
	s_mov_b32 s25, 0x3e5ade15
	v_fmac_f64_e32 v[30:31], s[24:25], v[28:29]
	v_mov_b32_e32 v32, 0x623fde64
	v_mov_b32_e32 v33, 0x3ec71dee
	v_fmac_f64_e32 v[32:33], v[28:29], v[30:31]
	v_mov_b32_e32 v30, 0x7c89e6b0
	v_mov_b32_e32 v31, 0x3efa0199
	;; [unrolled: 3-line block ×8, first 2 shown]
	v_fmac_f64_e32 v[30:31], v[28:29], v[32:33]
	v_fma_f64 v[30:31], v[28:29], v[30:31], 1.0
	s_mov_b32 s24, 0
	s_mov_b32 s26, 0
	v_fma_f64 v[28:29], v[28:29], v[30:31], 1.0
	v_cvt_i32_f64_e32 v26, v[26:27]
	s_mov_b32 s25, 0x40900000
	s_mov_b32 s27, 0xc090cc00
	v_ldexp_f64 v[26:27], v[28:29], v26
	v_mov_b32_e32 v28, 0x7ff00000
	v_cmp_nlt_f64_e64 s[24:25], s[24:25], v[6:7]
	v_cmp_ngt_f64_e64 s[26:27], s[26:27], v[6:7]
	s_mov_b32 s31, 0x3fe62e42
	v_cndmask_b32_e64 v27, v28, v27, s[24:25]
	s_and_b64 s[24:25], s[26:27], s[24:25]
	v_cndmask_b32_e64 v7, 0, v27, s[26:27]
	v_cndmask_b32_e64 v6, 0, v26, s[24:25]
	v_add_f64 v[26:27], v[6:7], 1.0
	v_add_f64 v[28:29], v[26:27], -1.0
	v_add_f64 v[30:31], v[28:29], -v[26:27]
	v_add_f64 v[30:31], v[30:31], 1.0
	v_add_f64 v[28:29], v[6:7], -v[28:29]
	s_mov_b32 s24, 0x55555555
	v_add_f64 v[28:29], v[28:29], v[30:31]
	v_frexp_mant_f64_e32 v[30:31], v[26:27]
	s_mov_b32 s25, 0x3fe55555
	v_frexp_exp_i32_f64_e32 v32, v[26:27]
	v_cmp_gt_f64_e64 s[24:25], s[24:25], v[30:31]
	s_mov_b32 s37, 0x3c7abc9e
	s_nop 0
	v_subbrev_co_u32_e64 v53, s[24:25], 0, v32, s[24:25]
	v_sub_u32_e32 v30, 0, v53
	v_ldexp_f64 v[26:27], v[26:27], v30
	v_ldexp_f64 v[28:29], v[28:29], v30
	v_add_f64 v[30:31], v[26:27], -1.0
	v_add_f64 v[144:145], v[26:27], 1.0
	v_add_f64 v[32:33], v[30:31], 1.0
	v_add_f64 v[146:147], v[144:145], -1.0
	v_add_f64 v[32:33], v[26:27], -v[32:33]
	v_add_f64 v[26:27], v[26:27], -v[146:147]
	v_add_f64 v[26:27], v[28:29], v[26:27]
	v_add_f64 v[32:33], v[28:29], v[32:33]
	;; [unrolled: 1-line block ×3, first 2 shown]
	v_rcp_f64_e32 v[146:147], v[28:29]
	v_add_f64 v[134:135], v[30:31], v[32:33]
	v_add_f64 v[30:31], v[134:135], -v[30:31]
	v_add_f64 v[30:31], v[32:33], -v[30:31]
	v_add_f64 v[32:33], v[28:29], -v[144:145]
	v_add_f64 v[26:27], v[26:27], -v[32:33]
	v_fma_f64 v[32:33], -v[28:29], v[146:147], 1.0
	v_fmac_f64_e32 v[146:147], v[32:33], v[146:147]
	v_fma_f64 v[32:33], -v[28:29], v[146:147], 1.0
	v_fmac_f64_e32 v[146:147], v[32:33], v[146:147]
	v_mul_f64 v[32:33], v[134:135], v[146:147]
	v_mul_f64 v[144:145], v[28:29], v[32:33]
	v_fma_f64 v[148:149], v[32:33], v[28:29], -v[144:145]
	v_fmac_f64_e32 v[148:149], v[32:33], v[26:27]
	v_add_f64 v[150:151], v[144:145], v[148:149]
	v_add_f64 v[160:161], v[134:135], -v[150:151]
	v_add_f64 v[134:135], v[134:135], -v[160:161]
	;; [unrolled: 1-line block ×4, first 2 shown]
	v_add_f64 v[30:31], v[30:31], v[134:135]
	v_add_f64 v[134:135], v[144:145], -v[148:149]
	v_add_f64 v[30:31], v[134:135], v[30:31]
	v_add_f64 v[134:135], v[160:161], v[30:31]
	v_add_f64 v[144:145], v[160:161], -v[134:135]
	v_add_f64 v[30:31], v[30:31], v[144:145]
	v_mul_f64 v[144:145], v[146:147], v[134:135]
	v_mul_f64 v[148:149], v[28:29], v[144:145]
	v_fma_f64 v[28:29], v[144:145], v[28:29], -v[148:149]
	v_fmac_f64_e32 v[28:29], v[144:145], v[26:27]
	v_add_f64 v[26:27], v[148:149], v[28:29]
	v_add_f64 v[150:151], v[134:135], -v[26:27]
	v_add_f64 v[134:135], v[134:135], -v[150:151]
	v_add_f64 v[148:149], v[26:27], -v[148:149]
	v_add_f64 v[26:27], v[134:135], -v[26:27]
	v_add_f64 v[26:27], v[30:31], v[26:27]
	v_add_f64 v[28:29], v[148:149], -v[28:29]
	v_add_f64 v[26:27], v[28:29], v[26:27]
	v_add_f64 v[28:29], v[32:33], v[144:145]
	;; [unrolled: 1-line block ×3, first 2 shown]
	v_add_f64 v[30:31], v[28:29], -v[32:33]
	v_mul_f64 v[26:27], v[146:147], v[26:27]
	v_add_f64 v[30:31], v[144:145], -v[30:31]
	v_add_f64 v[26:27], v[30:31], v[26:27]
	v_add_f64 v[30:31], v[28:29], v[26:27]
	v_add_f64 v[28:29], v[30:31], -v[28:29]
	s_mov_b32 s24, 0xbf559e2b
	v_add_f64 v[26:27], v[26:27], -v[28:29]
	v_mul_f64 v[28:29], v[30:31], v[30:31]
	v_mov_b32_e32 v32, 0x6b47b09a
	v_mov_b32_e32 v33, 0x3fc38538
	s_mov_b32 s25, 0x3fc3ab76
	v_fmac_f64_e32 v[32:33], s[24:25], v[28:29]
	v_mov_b32_e32 v134, 0xd7f4df2e
	v_mov_b32_e32 v135, 0x3fc7474d
	v_fmac_f64_e32 v[134:135], v[28:29], v[32:33]
	v_mov_b32_e32 v32, 0x16291751
	v_mov_b32_e32 v33, 0x3fcc71c0
	v_fmac_f64_e32 v[32:33], v[28:29], v[134:135]
	v_mov_b32_e32 v134, 0x9b27acf1
	v_mov_b32_e32 v135, 0x3fd24924
	v_fmac_f64_e32 v[134:135], v[28:29], v[32:33]
	v_mov_b32_e32 v32, 0x998ef7b6
	v_mov_b32_e32 v33, 0x3fd99999
	v_fmac_f64_e32 v[32:33], v[28:29], v[134:135]
	v_mov_b32_e32 v134, 0x55555780
	v_mov_b32_e32 v135, 0x3fe55555
	v_fmac_f64_e32 v[134:135], v[28:29], v[32:33]
	v_cvt_f64_i32_e32 v[32:33], v53
	v_mul_f64 v[144:145], v[32:33], s[30:31]
	v_fma_f64 v[146:147], v[32:33], s[30:31], -v[144:145]
	v_fmac_f64_e32 v[146:147], s[36:37], v[32:33]
	v_add_f64 v[32:33], v[144:145], v[146:147]
	v_add_f64 v[144:145], v[32:33], -v[144:145]
	v_mul_f64 v[28:29], v[30:31], v[28:29]
	v_add_f64 v[144:145], v[146:147], -v[144:145]
	v_ldexp_f64 v[146:147], v[30:31], 1
	v_mul_f64 v[28:29], v[28:29], v[134:135]
	v_add_f64 v[30:31], v[146:147], v[28:29]
	v_add_f64 v[134:135], v[30:31], -v[146:147]
	v_ldexp_f64 v[26:27], v[26:27], 1
	v_add_f64 v[28:29], v[28:29], -v[134:135]
	v_add_f64 v[26:27], v[26:27], v[28:29]
	v_add_f64 v[28:29], v[30:31], v[26:27]
	v_add_f64 v[30:31], v[28:29], -v[30:31]
	v_add_f64 v[26:27], v[26:27], -v[30:31]
	v_add_f64 v[30:31], v[32:33], v[28:29]
	v_add_f64 v[134:135], v[30:31], -v[32:33]
	v_add_f64 v[146:147], v[30:31], -v[134:135]
	;; [unrolled: 1-line block ×4, first 2 shown]
	v_add_f64 v[28:29], v[28:29], v[32:33]
	v_add_f64 v[32:33], v[144:145], v[26:27]
	v_add_f64 v[134:135], v[32:33], -v[144:145]
	v_add_f64 v[28:29], v[32:33], v[28:29]
	v_add_f64 v[146:147], v[32:33], -v[134:135]
	;; [unrolled: 2-line block ×3, first 2 shown]
	v_add_f64 v[26:27], v[26:27], -v[134:135]
	v_add_f64 v[30:31], v[32:33], -v[30:31]
	v_add_f64 v[26:27], v[26:27], v[144:145]
	v_add_f64 v[28:29], v[28:29], -v[30:31]
	s_mov_b32 s24, 0
	v_add_f64 v[26:27], v[26:27], v[28:29]
	s_mov_b32 s25, 0x7ff00000
	v_add_f64 v[26:27], v[32:33], v[26:27]
	v_cmp_eq_f64_e64 s[24:25], s[24:25], v[6:7]
	v_mov_b32_e32 v28, 0x7ff80000
	s_nop 0
	v_cndmask_b32_e64 v26, v26, v6, s[24:25]
	v_cndmask_b32_e64 v27, v27, v7, s[24:25]
	v_cmp_ngt_f64_e64 s[24:25], -1.0, v[6:7]
	s_nop 1
	v_cndmask_b32_e64 v27, v28, v27, s[24:25]
	v_cmp_nge_f64_e64 s[24:25], -1.0, v[6:7]
	v_mov_b32_e32 v28, 0xfff00000
	s_nop 0
	v_cndmask_b32_e64 v26, 0, v26, s[24:25]
	v_cmp_neq_f64_e64 s[24:25], -1.0, v[6:7]
	s_nop 1
	v_cndmask_b32_e64 v27, v28, v27, s[24:25]
	v_add_f64 v[134:135], v[4:5], v[26:27]
.LBB30_288:
	s_or_b64 exec, exec, s[28:29]
	v_max_f64 v[26:27], v[82:83], v[82:83]
	v_max_f64 v[4:5], v[134:135], v[134:135]
	v_min_f64 v[6:7], v[4:5], v[26:27]
	v_cmp_u_f64_e64 s[26:27], v[134:135], v[134:135]
	v_max_f64 v[4:5], v[4:5], v[26:27]
	v_cmp_u_f64_e64 s[24:25], v[82:83], v[82:83]
	v_cndmask_b32_e64 v6, v6, v134, s[26:27]
	v_cndmask_b32_e64 v7, v7, v135, s[26:27]
	;; [unrolled: 1-line block ×8, first 2 shown]
	s_movk_i32 s40, 0x1f8
	v_cmp_neq_f64_e64 s[26:27], v[6:7], v[4:5]
	v_cmp_class_f64_e64 s[28:29], v[6:7], s40
	s_or_b64 s[26:27], s[26:27], s[28:29]
	s_and_saveexec_b64 s[30:31], s[26:27]
	s_cbranch_execz .LBB30_290
; %bb.289:
	s_mov_b32 s26, 0x652b82fe
	v_add_f64 v[6:7], v[6:7], -v[4:5]
	s_mov_b32 s27, 0x3ff71547
	v_mul_f64 v[28:29], v[6:7], s[26:27]
	v_rndne_f64_e32 v[28:29], v[28:29]
	s_mov_b32 s37, 0xbfe62e42
	s_mov_b32 s36, 0xfefa39ef
	v_fma_f64 v[30:31], s[36:37], v[28:29], v[6:7]
	s_mov_b32 s39, 0xbc7abc9e
	s_mov_b32 s38, 0x3b39803f
	;; [unrolled: 1-line block ×3, first 2 shown]
	v_fmac_f64_e32 v[30:31], s[38:39], v[28:29]
	v_mov_b32_e32 v32, 0xfca7ab0c
	v_mov_b32_e32 v33, 0x3e928af3
	s_mov_b32 s27, 0x3e5ade15
	v_fmac_f64_e32 v[32:33], s[26:27], v[30:31]
	v_mov_b32_e32 v134, 0x623fde64
	v_mov_b32_e32 v135, 0x3ec71dee
	v_fmac_f64_e32 v[134:135], v[30:31], v[32:33]
	v_mov_b32_e32 v32, 0x7c89e6b0
	v_mov_b32_e32 v33, 0x3efa0199
	v_fmac_f64_e32 v[32:33], v[30:31], v[134:135]
	v_mov_b32_e32 v134, 0x14761f6e
	v_mov_b32_e32 v135, 0x3f2a01a0
	v_fmac_f64_e32 v[134:135], v[30:31], v[32:33]
	v_mov_b32_e32 v32, 0x1852b7b0
	v_mov_b32_e32 v33, 0x3f56c16c
	v_fmac_f64_e32 v[32:33], v[30:31], v[134:135]
	v_mov_b32_e32 v134, 0x11122322
	v_mov_b32_e32 v135, 0x3f811111
	v_fmac_f64_e32 v[134:135], v[30:31], v[32:33]
	v_mov_b32_e32 v32, 0x555502a1
	v_mov_b32_e32 v33, 0x3fa55555
	v_fmac_f64_e32 v[32:33], v[30:31], v[134:135]
	v_mov_b32_e32 v134, 0x55555511
	v_mov_b32_e32 v135, 0x3fc55555
	v_fmac_f64_e32 v[134:135], v[30:31], v[32:33]
	v_mov_b32_e32 v32, 11
	v_mov_b32_e32 v33, 0x3fe00000
	v_fmac_f64_e32 v[32:33], v[30:31], v[134:135]
	v_fma_f64 v[32:33], v[30:31], v[32:33], 1.0
	s_mov_b32 s26, 0
	s_mov_b32 s28, 0
	v_fma_f64 v[30:31], v[30:31], v[32:33], 1.0
	v_cvt_i32_f64_e32 v28, v[28:29]
	s_mov_b32 s27, 0x40900000
	s_mov_b32 s29, 0xc090cc00
	v_ldexp_f64 v[28:29], v[30:31], v28
	v_mov_b32_e32 v30, 0x7ff00000
	v_cmp_nlt_f64_e64 s[26:27], s[26:27], v[6:7]
	v_cmp_ngt_f64_e64 s[28:29], s[28:29], v[6:7]
	s_mov_b32 s37, 0x3fe62e42
	v_cndmask_b32_e64 v29, v30, v29, s[26:27]
	s_and_b64 s[26:27], s[28:29], s[26:27]
	v_cndmask_b32_e64 v7, 0, v29, s[28:29]
	v_cndmask_b32_e64 v6, 0, v28, s[26:27]
	v_add_f64 v[28:29], v[6:7], 1.0
	v_add_f64 v[30:31], v[28:29], -1.0
	v_add_f64 v[32:33], v[30:31], -v[28:29]
	v_add_f64 v[32:33], v[32:33], 1.0
	v_add_f64 v[30:31], v[6:7], -v[30:31]
	s_mov_b32 s26, 0x55555555
	v_add_f64 v[30:31], v[30:31], v[32:33]
	v_frexp_mant_f64_e32 v[32:33], v[28:29]
	s_mov_b32 s27, 0x3fe55555
	v_frexp_exp_i32_f64_e32 v53, v[28:29]
	v_cmp_gt_f64_e64 s[26:27], s[26:27], v[32:33]
	s_mov_b32 s39, 0x3c7abc9e
	s_nop 0
	v_subbrev_co_u32_e64 v53, s[26:27], 0, v53, s[26:27]
	v_sub_u32_e32 v32, 0, v53
	v_ldexp_f64 v[28:29], v[28:29], v32
	v_ldexp_f64 v[30:31], v[30:31], v32
	v_add_f64 v[32:33], v[28:29], -1.0
	v_add_f64 v[146:147], v[28:29], 1.0
	v_add_f64 v[134:135], v[32:33], 1.0
	v_add_f64 v[148:149], v[146:147], -1.0
	v_add_f64 v[134:135], v[28:29], -v[134:135]
	v_add_f64 v[28:29], v[28:29], -v[148:149]
	v_add_f64 v[28:29], v[30:31], v[28:29]
	v_add_f64 v[134:135], v[30:31], v[134:135]
	;; [unrolled: 1-line block ×3, first 2 shown]
	v_rcp_f64_e32 v[148:149], v[30:31]
	v_add_f64 v[144:145], v[32:33], v[134:135]
	v_add_f64 v[32:33], v[144:145], -v[32:33]
	v_add_f64 v[32:33], v[134:135], -v[32:33]
	;; [unrolled: 1-line block ×4, first 2 shown]
	v_fma_f64 v[134:135], -v[30:31], v[148:149], 1.0
	v_fmac_f64_e32 v[148:149], v[134:135], v[148:149]
	v_fma_f64 v[134:135], -v[30:31], v[148:149], 1.0
	v_fmac_f64_e32 v[148:149], v[134:135], v[148:149]
	v_mul_f64 v[134:135], v[144:145], v[148:149]
	v_mul_f64 v[146:147], v[30:31], v[134:135]
	v_fma_f64 v[150:151], v[134:135], v[30:31], -v[146:147]
	v_fmac_f64_e32 v[150:151], v[134:135], v[28:29]
	v_add_f64 v[160:161], v[146:147], v[150:151]
	v_add_f64 v[162:163], v[144:145], -v[160:161]
	v_add_f64 v[144:145], v[144:145], -v[162:163]
	;; [unrolled: 1-line block ×4, first 2 shown]
	v_add_f64 v[32:33], v[32:33], v[144:145]
	v_add_f64 v[144:145], v[146:147], -v[150:151]
	v_add_f64 v[32:33], v[144:145], v[32:33]
	v_add_f64 v[144:145], v[162:163], v[32:33]
	v_add_f64 v[146:147], v[162:163], -v[144:145]
	v_add_f64 v[32:33], v[32:33], v[146:147]
	v_mul_f64 v[146:147], v[148:149], v[144:145]
	v_mul_f64 v[150:151], v[30:31], v[146:147]
	v_fma_f64 v[30:31], v[146:147], v[30:31], -v[150:151]
	v_fmac_f64_e32 v[30:31], v[146:147], v[28:29]
	v_add_f64 v[28:29], v[150:151], v[30:31]
	v_add_f64 v[160:161], v[144:145], -v[28:29]
	v_add_f64 v[144:145], v[144:145], -v[160:161]
	;; [unrolled: 1-line block ×4, first 2 shown]
	v_add_f64 v[28:29], v[32:33], v[28:29]
	v_add_f64 v[30:31], v[150:151], -v[30:31]
	v_add_f64 v[28:29], v[30:31], v[28:29]
	v_add_f64 v[30:31], v[134:135], v[146:147]
	;; [unrolled: 1-line block ×3, first 2 shown]
	v_add_f64 v[32:33], v[30:31], -v[134:135]
	v_mul_f64 v[28:29], v[148:149], v[28:29]
	v_add_f64 v[32:33], v[146:147], -v[32:33]
	v_add_f64 v[28:29], v[32:33], v[28:29]
	v_add_f64 v[32:33], v[30:31], v[28:29]
	v_add_f64 v[30:31], v[32:33], -v[30:31]
	s_mov_b32 s26, 0xbf559e2b
	v_add_f64 v[28:29], v[28:29], -v[30:31]
	v_mul_f64 v[30:31], v[32:33], v[32:33]
	v_mov_b32_e32 v134, 0x6b47b09a
	v_mov_b32_e32 v135, 0x3fc38538
	s_mov_b32 s27, 0x3fc3ab76
	v_fmac_f64_e32 v[134:135], s[26:27], v[30:31]
	v_mov_b32_e32 v144, 0xd7f4df2e
	v_mov_b32_e32 v145, 0x3fc7474d
	v_fmac_f64_e32 v[144:145], v[30:31], v[134:135]
	v_mov_b32_e32 v134, 0x16291751
	v_mov_b32_e32 v135, 0x3fcc71c0
	v_fmac_f64_e32 v[134:135], v[30:31], v[144:145]
	v_mov_b32_e32 v144, 0x9b27acf1
	v_mov_b32_e32 v145, 0x3fd24924
	v_fmac_f64_e32 v[144:145], v[30:31], v[134:135]
	v_mov_b32_e32 v134, 0x998ef7b6
	v_mov_b32_e32 v135, 0x3fd99999
	v_fmac_f64_e32 v[134:135], v[30:31], v[144:145]
	v_mov_b32_e32 v144, 0x55555780
	v_mov_b32_e32 v145, 0x3fe55555
	v_fmac_f64_e32 v[144:145], v[30:31], v[134:135]
	v_cvt_f64_i32_e32 v[134:135], v53
	v_mul_f64 v[146:147], v[134:135], s[36:37]
	v_fma_f64 v[148:149], v[134:135], s[36:37], -v[146:147]
	v_fmac_f64_e32 v[148:149], s[38:39], v[134:135]
	v_add_f64 v[134:135], v[146:147], v[148:149]
	v_add_f64 v[146:147], v[134:135], -v[146:147]
	v_mul_f64 v[30:31], v[32:33], v[30:31]
	v_add_f64 v[146:147], v[148:149], -v[146:147]
	v_ldexp_f64 v[148:149], v[32:33], 1
	v_mul_f64 v[30:31], v[30:31], v[144:145]
	v_add_f64 v[32:33], v[148:149], v[30:31]
	v_add_f64 v[144:145], v[32:33], -v[148:149]
	v_ldexp_f64 v[28:29], v[28:29], 1
	v_add_f64 v[30:31], v[30:31], -v[144:145]
	v_add_f64 v[28:29], v[28:29], v[30:31]
	v_add_f64 v[30:31], v[32:33], v[28:29]
	v_add_f64 v[32:33], v[30:31], -v[32:33]
	v_add_f64 v[28:29], v[28:29], -v[32:33]
	v_add_f64 v[32:33], v[134:135], v[30:31]
	v_add_f64 v[144:145], v[32:33], -v[134:135]
	v_add_f64 v[148:149], v[32:33], -v[144:145]
	;; [unrolled: 1-line block ×4, first 2 shown]
	v_add_f64 v[30:31], v[30:31], v[134:135]
	v_add_f64 v[134:135], v[146:147], v[28:29]
	v_add_f64 v[144:145], v[134:135], -v[146:147]
	v_add_f64 v[30:31], v[134:135], v[30:31]
	v_add_f64 v[148:149], v[134:135], -v[144:145]
	;; [unrolled: 2-line block ×3, first 2 shown]
	v_add_f64 v[28:29], v[28:29], -v[144:145]
	v_add_f64 v[32:33], v[134:135], -v[32:33]
	v_add_f64 v[28:29], v[28:29], v[146:147]
	v_add_f64 v[30:31], v[30:31], -v[32:33]
	s_mov_b32 s26, 0
	v_add_f64 v[28:29], v[28:29], v[30:31]
	s_mov_b32 s27, 0x7ff00000
	v_add_f64 v[28:29], v[134:135], v[28:29]
	v_cmp_eq_f64_e64 s[26:27], s[26:27], v[6:7]
	v_mov_b32_e32 v30, 0x7ff80000
	s_nop 0
	v_cndmask_b32_e64 v28, v28, v6, s[26:27]
	v_cndmask_b32_e64 v29, v29, v7, s[26:27]
	v_cmp_ngt_f64_e64 s[26:27], -1.0, v[6:7]
	s_nop 1
	v_cndmask_b32_e64 v29, v30, v29, s[26:27]
	v_cmp_nge_f64_e64 s[26:27], -1.0, v[6:7]
	v_mov_b32_e32 v30, 0xfff00000
	s_nop 0
	v_cndmask_b32_e64 v28, 0, v28, s[26:27]
	v_cmp_neq_f64_e64 s[26:27], -1.0, v[6:7]
	s_nop 1
	v_cndmask_b32_e64 v29, v30, v29, s[26:27]
	v_add_f64 v[134:135], v[4:5], v[28:29]
.LBB30_290:
	s_or_b64 exec, exec, s[30:31]
	v_max_f64 v[28:29], v[66:67], v[66:67]
	v_max_f64 v[4:5], v[134:135], v[134:135]
	v_min_f64 v[6:7], v[4:5], v[28:29]
	v_cmp_u_f64_e64 s[28:29], v[134:135], v[134:135]
	v_max_f64 v[4:5], v[4:5], v[28:29]
	v_cmp_u_f64_e64 s[26:27], v[66:67], v[66:67]
	v_cndmask_b32_e64 v6, v6, v134, s[28:29]
	v_cndmask_b32_e64 v7, v7, v135, s[28:29]
	;; [unrolled: 1-line block ×8, first 2 shown]
	v_cmp_neq_f64_e64 s[28:29], v[6:7], v[4:5]
	v_cmp_class_f64_e64 s[30:31], v[6:7], s40
	s_or_b64 s[28:29], s[28:29], s[30:31]
	s_and_saveexec_b64 s[36:37], s[28:29]
	s_cbranch_execz .LBB30_292
; %bb.291:
	s_mov_b32 s28, 0x652b82fe
	v_add_f64 v[6:7], v[6:7], -v[4:5]
	s_mov_b32 s29, 0x3ff71547
	v_mul_f64 v[30:31], v[6:7], s[28:29]
	v_rndne_f64_e32 v[30:31], v[30:31]
	s_mov_b32 s39, 0xbfe62e42
	s_mov_b32 s38, 0xfefa39ef
	v_fma_f64 v[32:33], s[38:39], v[30:31], v[6:7]
	s_mov_b32 s41, 0xbc7abc9e
	s_mov_b32 s40, 0x3b39803f
	;; [unrolled: 1-line block ×3, first 2 shown]
	v_fmac_f64_e32 v[32:33], s[40:41], v[30:31]
	v_mov_b32_e32 v134, 0xfca7ab0c
	v_mov_b32_e32 v135, 0x3e928af3
	s_mov_b32 s29, 0x3e5ade15
	v_fmac_f64_e32 v[134:135], s[28:29], v[32:33]
	v_mov_b32_e32 v144, 0x623fde64
	v_mov_b32_e32 v145, 0x3ec71dee
	v_fmac_f64_e32 v[144:145], v[32:33], v[134:135]
	v_mov_b32_e32 v134, 0x7c89e6b0
	v_mov_b32_e32 v135, 0x3efa0199
	;; [unrolled: 3-line block ×8, first 2 shown]
	v_fmac_f64_e32 v[134:135], v[32:33], v[144:145]
	v_fma_f64 v[134:135], v[32:33], v[134:135], 1.0
	s_mov_b32 s28, 0
	s_mov_b32 s30, 0
	v_fma_f64 v[32:33], v[32:33], v[134:135], 1.0
	v_cvt_i32_f64_e32 v30, v[30:31]
	s_mov_b32 s29, 0x40900000
	s_mov_b32 s31, 0xc090cc00
	v_ldexp_f64 v[30:31], v[32:33], v30
	v_mov_b32_e32 v32, 0x7ff00000
	v_cmp_nlt_f64_e64 s[28:29], s[28:29], v[6:7]
	v_cmp_ngt_f64_e64 s[30:31], s[30:31], v[6:7]
	s_mov_b32 s39, 0x3fe62e42
	v_cndmask_b32_e64 v31, v32, v31, s[28:29]
	s_and_b64 s[28:29], s[30:31], s[28:29]
	v_cndmask_b32_e64 v7, 0, v31, s[30:31]
	v_cndmask_b32_e64 v6, 0, v30, s[28:29]
	v_add_f64 v[30:31], v[6:7], 1.0
	v_add_f64 v[32:33], v[30:31], -1.0
	v_add_f64 v[134:135], v[32:33], -v[30:31]
	v_add_f64 v[134:135], v[134:135], 1.0
	v_add_f64 v[32:33], v[6:7], -v[32:33]
	s_mov_b32 s28, 0x55555555
	v_add_f64 v[32:33], v[32:33], v[134:135]
	v_frexp_mant_f64_e32 v[134:135], v[30:31]
	s_mov_b32 s29, 0x3fe55555
	v_frexp_exp_i32_f64_e32 v53, v[30:31]
	v_cmp_gt_f64_e64 s[28:29], s[28:29], v[134:135]
	s_mov_b32 s41, 0x3c7abc9e
	s_nop 0
	v_subbrev_co_u32_e64 v53, s[28:29], 0, v53, s[28:29]
	v_sub_u32_e32 v71, 0, v53
	v_ldexp_f64 v[30:31], v[30:31], v71
	v_add_f64 v[134:135], v[30:31], -1.0
	v_add_f64 v[148:149], v[30:31], 1.0
	v_add_f64 v[144:145], v[134:135], 1.0
	v_add_f64 v[150:151], v[148:149], -1.0
	v_ldexp_f64 v[32:33], v[32:33], v71
	v_add_f64 v[144:145], v[30:31], -v[144:145]
	v_add_f64 v[30:31], v[30:31], -v[150:151]
	v_add_f64 v[30:31], v[32:33], v[30:31]
	v_add_f64 v[144:145], v[32:33], v[144:145]
	v_add_f64 v[32:33], v[148:149], v[30:31]
	v_rcp_f64_e32 v[150:151], v[32:33]
	v_add_f64 v[146:147], v[134:135], v[144:145]
	v_add_f64 v[134:135], v[146:147], -v[134:135]
	v_add_f64 v[134:135], v[144:145], -v[134:135]
	;; [unrolled: 1-line block ×4, first 2 shown]
	v_fma_f64 v[144:145], -v[32:33], v[150:151], 1.0
	v_fmac_f64_e32 v[150:151], v[144:145], v[150:151]
	v_fma_f64 v[144:145], -v[32:33], v[150:151], 1.0
	v_fmac_f64_e32 v[150:151], v[144:145], v[150:151]
	v_mul_f64 v[144:145], v[146:147], v[150:151]
	v_mul_f64 v[148:149], v[32:33], v[144:145]
	v_fma_f64 v[160:161], v[144:145], v[32:33], -v[148:149]
	v_fmac_f64_e32 v[160:161], v[144:145], v[30:31]
	v_add_f64 v[162:163], v[148:149], v[160:161]
	v_add_f64 v[164:165], v[146:147], -v[162:163]
	v_add_f64 v[146:147], v[146:147], -v[164:165]
	;; [unrolled: 1-line block ×4, first 2 shown]
	v_add_f64 v[134:135], v[134:135], v[146:147]
	v_add_f64 v[146:147], v[148:149], -v[160:161]
	v_add_f64 v[134:135], v[146:147], v[134:135]
	v_add_f64 v[146:147], v[164:165], v[134:135]
	v_add_f64 v[148:149], v[164:165], -v[146:147]
	v_add_f64 v[134:135], v[134:135], v[148:149]
	v_mul_f64 v[148:149], v[150:151], v[146:147]
	v_mul_f64 v[160:161], v[32:33], v[148:149]
	v_fma_f64 v[32:33], v[148:149], v[32:33], -v[160:161]
	v_fmac_f64_e32 v[32:33], v[148:149], v[30:31]
	v_add_f64 v[30:31], v[160:161], v[32:33]
	v_add_f64 v[162:163], v[146:147], -v[30:31]
	v_add_f64 v[146:147], v[146:147], -v[162:163]
	;; [unrolled: 1-line block ×4, first 2 shown]
	v_add_f64 v[30:31], v[134:135], v[30:31]
	v_add_f64 v[32:33], v[160:161], -v[32:33]
	v_add_f64 v[30:31], v[32:33], v[30:31]
	v_add_f64 v[32:33], v[144:145], v[148:149]
	;; [unrolled: 1-line block ×3, first 2 shown]
	v_add_f64 v[134:135], v[32:33], -v[144:145]
	v_mul_f64 v[30:31], v[150:151], v[30:31]
	v_add_f64 v[134:135], v[148:149], -v[134:135]
	v_add_f64 v[30:31], v[134:135], v[30:31]
	v_add_f64 v[134:135], v[32:33], v[30:31]
	v_add_f64 v[32:33], v[134:135], -v[32:33]
	s_mov_b32 s28, 0xbf559e2b
	v_add_f64 v[30:31], v[30:31], -v[32:33]
	v_mul_f64 v[32:33], v[134:135], v[134:135]
	v_mov_b32_e32 v144, 0x6b47b09a
	v_mov_b32_e32 v145, 0x3fc38538
	s_mov_b32 s29, 0x3fc3ab76
	v_fmac_f64_e32 v[144:145], s[28:29], v[32:33]
	v_mov_b32_e32 v146, 0xd7f4df2e
	v_mov_b32_e32 v147, 0x3fc7474d
	v_fmac_f64_e32 v[146:147], v[32:33], v[144:145]
	v_mov_b32_e32 v144, 0x16291751
	v_mov_b32_e32 v145, 0x3fcc71c0
	;; [unrolled: 3-line block ×5, first 2 shown]
	v_fmac_f64_e32 v[146:147], v[32:33], v[144:145]
	v_cvt_f64_i32_e32 v[144:145], v53
	v_mul_f64 v[148:149], v[144:145], s[38:39]
	v_fma_f64 v[150:151], v[144:145], s[38:39], -v[148:149]
	v_fmac_f64_e32 v[150:151], s[40:41], v[144:145]
	v_add_f64 v[144:145], v[148:149], v[150:151]
	v_add_f64 v[148:149], v[144:145], -v[148:149]
	v_mul_f64 v[32:33], v[134:135], v[32:33]
	v_add_f64 v[148:149], v[150:151], -v[148:149]
	v_ldexp_f64 v[150:151], v[134:135], 1
	v_mul_f64 v[32:33], v[32:33], v[146:147]
	v_add_f64 v[134:135], v[150:151], v[32:33]
	v_add_f64 v[146:147], v[134:135], -v[150:151]
	v_ldexp_f64 v[30:31], v[30:31], 1
	v_add_f64 v[32:33], v[32:33], -v[146:147]
	v_add_f64 v[30:31], v[30:31], v[32:33]
	v_add_f64 v[32:33], v[134:135], v[30:31]
	v_add_f64 v[134:135], v[32:33], -v[134:135]
	v_add_f64 v[30:31], v[30:31], -v[134:135]
	v_add_f64 v[134:135], v[144:145], v[32:33]
	v_add_f64 v[146:147], v[134:135], -v[144:145]
	v_add_f64 v[150:151], v[134:135], -v[146:147]
	;; [unrolled: 1-line block ×4, first 2 shown]
	v_add_f64 v[32:33], v[32:33], v[144:145]
	v_add_f64 v[144:145], v[148:149], v[30:31]
	v_add_f64 v[146:147], v[144:145], -v[148:149]
	v_add_f64 v[32:33], v[144:145], v[32:33]
	v_add_f64 v[150:151], v[144:145], -v[146:147]
	;; [unrolled: 2-line block ×3, first 2 shown]
	v_add_f64 v[30:31], v[30:31], -v[146:147]
	v_add_f64 v[134:135], v[144:145], -v[134:135]
	v_add_f64 v[30:31], v[30:31], v[148:149]
	v_add_f64 v[32:33], v[32:33], -v[134:135]
	s_mov_b32 s28, 0
	v_add_f64 v[30:31], v[30:31], v[32:33]
	s_mov_b32 s29, 0x7ff00000
	v_add_f64 v[30:31], v[144:145], v[30:31]
	v_cmp_eq_f64_e64 s[28:29], s[28:29], v[6:7]
	v_mov_b32_e32 v32, 0x7ff80000
	s_nop 0
	v_cndmask_b32_e64 v30, v30, v6, s[28:29]
	v_cndmask_b32_e64 v31, v31, v7, s[28:29]
	v_cmp_ngt_f64_e64 s[28:29], -1.0, v[6:7]
	s_nop 1
	v_cndmask_b32_e64 v31, v32, v31, s[28:29]
	v_cmp_nge_f64_e64 s[28:29], -1.0, v[6:7]
	v_mov_b32_e32 v32, 0xfff00000
	s_nop 0
	v_cndmask_b32_e64 v30, 0, v30, s[28:29]
	v_cmp_neq_f64_e64 s[28:29], -1.0, v[6:7]
	s_nop 1
	v_cndmask_b32_e64 v31, v32, v31, s[28:29]
	v_add_f64 v[134:135], v[4:5], v[30:31]
.LBB30_292:
	s_or_b64 exec, exec, s[36:37]
	v_max_f64 v[30:31], v[68:69], v[68:69]
	v_max_f64 v[4:5], v[134:135], v[134:135]
	v_min_f64 v[6:7], v[4:5], v[30:31]
	v_cmp_u_f64_e64 s[30:31], v[134:135], v[134:135]
	v_max_f64 v[4:5], v[4:5], v[30:31]
	v_cmp_u_f64_e64 s[28:29], v[68:69], v[68:69]
	v_cndmask_b32_e64 v6, v6, v134, s[30:31]
	v_cndmask_b32_e64 v7, v7, v135, s[30:31]
	;; [unrolled: 1-line block ×8, first 2 shown]
	s_movk_i32 s44, 0x1f8
	v_cmp_neq_f64_e64 s[30:31], v[6:7], v[4:5]
	v_cmp_class_f64_e64 s[36:37], v[6:7], s44
	s_or_b64 s[30:31], s[30:31], s[36:37]
	s_and_saveexec_b64 s[38:39], s[30:31]
	s_cbranch_execz .LBB30_294
; %bb.293:
	s_mov_b32 s30, 0x652b82fe
	v_add_f64 v[6:7], v[6:7], -v[4:5]
	s_mov_b32 s31, 0x3ff71547
	v_mul_f64 v[32:33], v[6:7], s[30:31]
	v_rndne_f64_e32 v[32:33], v[32:33]
	s_mov_b32 s41, 0xbfe62e42
	s_mov_b32 s40, 0xfefa39ef
	v_fma_f64 v[134:135], s[40:41], v[32:33], v[6:7]
	s_mov_b32 s43, 0xbc7abc9e
	s_mov_b32 s42, 0x3b39803f
	;; [unrolled: 1-line block ×3, first 2 shown]
	v_fmac_f64_e32 v[134:135], s[42:43], v[32:33]
	v_mov_b32_e32 v144, 0xfca7ab0c
	v_mov_b32_e32 v145, 0x3e928af3
	s_mov_b32 s31, 0x3e5ade15
	v_fmac_f64_e32 v[144:145], s[30:31], v[134:135]
	v_mov_b32_e32 v146, 0x623fde64
	v_mov_b32_e32 v147, 0x3ec71dee
	v_fmac_f64_e32 v[146:147], v[134:135], v[144:145]
	v_mov_b32_e32 v144, 0x7c89e6b0
	v_mov_b32_e32 v145, 0x3efa0199
	;; [unrolled: 3-line block ×8, first 2 shown]
	v_fmac_f64_e32 v[144:145], v[134:135], v[146:147]
	v_fma_f64 v[144:145], v[134:135], v[144:145], 1.0
	s_mov_b32 s30, 0
	s_mov_b32 s36, 0
	v_fma_f64 v[134:135], v[134:135], v[144:145], 1.0
	v_cvt_i32_f64_e32 v32, v[32:33]
	s_mov_b32 s31, 0x40900000
	s_mov_b32 s37, 0xc090cc00
	v_ldexp_f64 v[32:33], v[134:135], v32
	v_mov_b32_e32 v53, 0x7ff00000
	v_cmp_nlt_f64_e64 s[30:31], s[30:31], v[6:7]
	v_cmp_ngt_f64_e64 s[36:37], s[36:37], v[6:7]
	s_mov_b32 s41, 0x3fe62e42
	v_cndmask_b32_e64 v33, v53, v33, s[30:31]
	s_and_b64 s[30:31], s[36:37], s[30:31]
	v_cndmask_b32_e64 v7, 0, v33, s[36:37]
	v_cndmask_b32_e64 v6, 0, v32, s[30:31]
	v_add_f64 v[32:33], v[6:7], 1.0
	v_add_f64 v[134:135], v[32:33], -1.0
	v_add_f64 v[144:145], v[134:135], -v[32:33]
	v_add_f64 v[144:145], v[144:145], 1.0
	v_add_f64 v[134:135], v[6:7], -v[134:135]
	s_mov_b32 s30, 0x55555555
	v_add_f64 v[134:135], v[134:135], v[144:145]
	v_frexp_mant_f64_e32 v[144:145], v[32:33]
	s_mov_b32 s31, 0x3fe55555
	v_frexp_exp_i32_f64_e32 v53, v[32:33]
	v_cmp_gt_f64_e64 s[30:31], s[30:31], v[144:145]
	s_mov_b32 s43, 0x3c7abc9e
	s_nop 0
	v_subbrev_co_u32_e64 v53, s[30:31], 0, v53, s[30:31]
	v_sub_u32_e32 v71, 0, v53
	v_ldexp_f64 v[32:33], v[32:33], v71
	v_add_f64 v[144:145], v[32:33], -1.0
	v_add_f64 v[150:151], v[32:33], 1.0
	v_add_f64 v[146:147], v[144:145], 1.0
	v_add_f64 v[160:161], v[150:151], -1.0
	v_ldexp_f64 v[134:135], v[134:135], v71
	v_add_f64 v[146:147], v[32:33], -v[146:147]
	v_add_f64 v[32:33], v[32:33], -v[160:161]
	v_add_f64 v[32:33], v[134:135], v[32:33]
	v_add_f64 v[146:147], v[134:135], v[146:147]
	v_add_f64 v[134:135], v[150:151], v[32:33]
	v_rcp_f64_e32 v[160:161], v[134:135]
	v_add_f64 v[148:149], v[144:145], v[146:147]
	v_add_f64 v[144:145], v[148:149], -v[144:145]
	v_add_f64 v[144:145], v[146:147], -v[144:145]
	v_add_f64 v[146:147], v[134:135], -v[150:151]
	v_add_f64 v[32:33], v[32:33], -v[146:147]
	v_fma_f64 v[146:147], -v[134:135], v[160:161], 1.0
	v_fmac_f64_e32 v[160:161], v[146:147], v[160:161]
	v_fma_f64 v[146:147], -v[134:135], v[160:161], 1.0
	v_fmac_f64_e32 v[160:161], v[146:147], v[160:161]
	v_mul_f64 v[146:147], v[148:149], v[160:161]
	v_mul_f64 v[150:151], v[134:135], v[146:147]
	v_fma_f64 v[162:163], v[146:147], v[134:135], -v[150:151]
	v_fmac_f64_e32 v[162:163], v[146:147], v[32:33]
	v_add_f64 v[164:165], v[150:151], v[162:163]
	v_add_f64 v[166:167], v[148:149], -v[164:165]
	v_add_f64 v[148:149], v[148:149], -v[166:167]
	;; [unrolled: 1-line block ×4, first 2 shown]
	v_add_f64 v[144:145], v[144:145], v[148:149]
	v_add_f64 v[148:149], v[150:151], -v[162:163]
	v_add_f64 v[144:145], v[148:149], v[144:145]
	v_add_f64 v[148:149], v[166:167], v[144:145]
	v_add_f64 v[150:151], v[166:167], -v[148:149]
	v_add_f64 v[144:145], v[144:145], v[150:151]
	v_mul_f64 v[150:151], v[160:161], v[148:149]
	v_mul_f64 v[162:163], v[134:135], v[150:151]
	v_fma_f64 v[134:135], v[150:151], v[134:135], -v[162:163]
	v_fmac_f64_e32 v[134:135], v[150:151], v[32:33]
	v_add_f64 v[32:33], v[162:163], v[134:135]
	v_add_f64 v[164:165], v[148:149], -v[32:33]
	v_add_f64 v[148:149], v[148:149], -v[164:165]
	;; [unrolled: 1-line block ×4, first 2 shown]
	v_add_f64 v[32:33], v[144:145], v[32:33]
	v_add_f64 v[134:135], v[162:163], -v[134:135]
	v_add_f64 v[32:33], v[134:135], v[32:33]
	v_add_f64 v[134:135], v[146:147], v[150:151]
	;; [unrolled: 1-line block ×3, first 2 shown]
	v_add_f64 v[144:145], v[134:135], -v[146:147]
	v_mul_f64 v[32:33], v[160:161], v[32:33]
	v_add_f64 v[144:145], v[150:151], -v[144:145]
	v_add_f64 v[32:33], v[144:145], v[32:33]
	v_add_f64 v[144:145], v[134:135], v[32:33]
	v_add_f64 v[134:135], v[144:145], -v[134:135]
	s_mov_b32 s30, 0xbf559e2b
	v_add_f64 v[32:33], v[32:33], -v[134:135]
	v_mul_f64 v[134:135], v[144:145], v[144:145]
	v_mov_b32_e32 v146, 0x6b47b09a
	v_mov_b32_e32 v147, 0x3fc38538
	s_mov_b32 s31, 0x3fc3ab76
	v_fmac_f64_e32 v[146:147], s[30:31], v[134:135]
	v_mov_b32_e32 v148, 0xd7f4df2e
	v_mov_b32_e32 v149, 0x3fc7474d
	v_fmac_f64_e32 v[148:149], v[134:135], v[146:147]
	v_mov_b32_e32 v146, 0x16291751
	v_mov_b32_e32 v147, 0x3fcc71c0
	;; [unrolled: 3-line block ×5, first 2 shown]
	v_fmac_f64_e32 v[148:149], v[134:135], v[146:147]
	v_cvt_f64_i32_e32 v[146:147], v53
	v_mul_f64 v[150:151], v[146:147], s[40:41]
	v_fma_f64 v[160:161], v[146:147], s[40:41], -v[150:151]
	v_fmac_f64_e32 v[160:161], s[42:43], v[146:147]
	v_add_f64 v[146:147], v[150:151], v[160:161]
	v_add_f64 v[150:151], v[146:147], -v[150:151]
	v_mul_f64 v[134:135], v[144:145], v[134:135]
	v_add_f64 v[150:151], v[160:161], -v[150:151]
	v_ldexp_f64 v[160:161], v[144:145], 1
	v_mul_f64 v[134:135], v[134:135], v[148:149]
	v_add_f64 v[144:145], v[160:161], v[134:135]
	v_add_f64 v[148:149], v[144:145], -v[160:161]
	v_ldexp_f64 v[32:33], v[32:33], 1
	v_add_f64 v[134:135], v[134:135], -v[148:149]
	v_add_f64 v[32:33], v[32:33], v[134:135]
	v_add_f64 v[134:135], v[144:145], v[32:33]
	v_add_f64 v[144:145], v[134:135], -v[144:145]
	v_add_f64 v[32:33], v[32:33], -v[144:145]
	v_add_f64 v[144:145], v[146:147], v[134:135]
	v_add_f64 v[148:149], v[144:145], -v[146:147]
	v_add_f64 v[160:161], v[144:145], -v[148:149]
	;; [unrolled: 1-line block ×4, first 2 shown]
	v_add_f64 v[134:135], v[134:135], v[146:147]
	v_add_f64 v[146:147], v[150:151], v[32:33]
	v_add_f64 v[148:149], v[146:147], -v[150:151]
	v_add_f64 v[134:135], v[146:147], v[134:135]
	v_add_f64 v[160:161], v[146:147], -v[148:149]
	;; [unrolled: 2-line block ×3, first 2 shown]
	v_add_f64 v[32:33], v[32:33], -v[148:149]
	v_add_f64 v[144:145], v[146:147], -v[144:145]
	v_add_f64 v[32:33], v[32:33], v[150:151]
	v_add_f64 v[134:135], v[134:135], -v[144:145]
	s_mov_b32 s30, 0
	v_add_f64 v[32:33], v[32:33], v[134:135]
	s_mov_b32 s31, 0x7ff00000
	v_add_f64 v[32:33], v[146:147], v[32:33]
	v_cmp_eq_f64_e64 s[30:31], s[30:31], v[6:7]
	v_mov_b32_e32 v53, 0x7ff80000
	s_nop 0
	v_cndmask_b32_e64 v32, v32, v6, s[30:31]
	v_cndmask_b32_e64 v33, v33, v7, s[30:31]
	v_cmp_ngt_f64_e64 s[30:31], -1.0, v[6:7]
	s_nop 1
	v_cndmask_b32_e64 v33, v53, v33, s[30:31]
	v_cmp_nge_f64_e64 s[30:31], -1.0, v[6:7]
	v_mov_b32_e32 v53, 0xfff00000
	s_nop 0
	v_cndmask_b32_e64 v32, 0, v32, s[30:31]
	v_cmp_neq_f64_e64 s[30:31], -1.0, v[6:7]
	s_nop 1
	v_cndmask_b32_e64 v33, v53, v33, s[30:31]
	v_add_f64 v[134:135], v[4:5], v[32:33]
.LBB30_294:
	s_or_b64 exec, exec, s[38:39]
	v_max_f64 v[32:33], v[130:131], v[130:131]
	v_max_f64 v[4:5], v[134:135], v[134:135]
	v_min_f64 v[6:7], v[4:5], v[32:33]
	v_cmp_u_f64_e64 s[36:37], v[134:135], v[134:135]
	v_max_f64 v[4:5], v[4:5], v[32:33]
	v_cmp_u_f64_e64 s[30:31], v[130:131], v[130:131]
	v_cndmask_b32_e64 v6, v6, v134, s[36:37]
	v_cndmask_b32_e64 v7, v7, v135, s[36:37]
	;; [unrolled: 1-line block ×8, first 2 shown]
	v_cmp_neq_f64_e64 s[36:37], v[6:7], v[4:5]
	v_cmp_class_f64_e64 s[38:39], v[6:7], s44
	s_or_b64 s[36:37], s[36:37], s[38:39]
	s_and_saveexec_b64 s[40:41], s[36:37]
	s_cbranch_execz .LBB30_296
; %bb.295:
	s_mov_b32 s36, 0x652b82fe
	v_add_f64 v[6:7], v[6:7], -v[4:5]
	s_mov_b32 s37, 0x3ff71547
	v_mul_f64 v[134:135], v[6:7], s[36:37]
	v_rndne_f64_e32 v[134:135], v[134:135]
	s_mov_b32 s43, 0xbfe62e42
	s_mov_b32 s42, 0xfefa39ef
	v_fma_f64 v[144:145], s[42:43], v[134:135], v[6:7]
	s_mov_b32 s45, 0xbc7abc9e
	s_mov_b32 s44, 0x3b39803f
	;; [unrolled: 1-line block ×3, first 2 shown]
	v_fmac_f64_e32 v[144:145], s[44:45], v[134:135]
	v_mov_b32_e32 v146, 0xfca7ab0c
	v_mov_b32_e32 v147, 0x3e928af3
	s_mov_b32 s37, 0x3e5ade15
	v_fmac_f64_e32 v[146:147], s[36:37], v[144:145]
	v_mov_b32_e32 v148, 0x623fde64
	v_mov_b32_e32 v149, 0x3ec71dee
	v_fmac_f64_e32 v[148:149], v[144:145], v[146:147]
	v_mov_b32_e32 v146, 0x7c89e6b0
	v_mov_b32_e32 v147, 0x3efa0199
	;; [unrolled: 3-line block ×8, first 2 shown]
	v_fmac_f64_e32 v[146:147], v[144:145], v[148:149]
	v_fma_f64 v[146:147], v[144:145], v[146:147], 1.0
	s_mov_b32 s36, 0
	s_mov_b32 s38, 0
	v_fma_f64 v[144:145], v[144:145], v[146:147], 1.0
	v_cvt_i32_f64_e32 v53, v[134:135]
	s_mov_b32 s37, 0x40900000
	s_mov_b32 s39, 0xc090cc00
	v_ldexp_f64 v[134:135], v[144:145], v53
	v_mov_b32_e32 v53, 0x7ff00000
	v_cmp_nlt_f64_e64 s[36:37], s[36:37], v[6:7]
	v_cmp_ngt_f64_e64 s[38:39], s[38:39], v[6:7]
	s_mov_b32 s43, 0x3fe62e42
	v_cndmask_b32_e64 v53, v53, v135, s[36:37]
	s_and_b64 s[36:37], s[38:39], s[36:37]
	v_cndmask_b32_e64 v7, 0, v53, s[38:39]
	v_cndmask_b32_e64 v6, 0, v134, s[36:37]
	v_add_f64 v[134:135], v[6:7], 1.0
	v_add_f64 v[144:145], v[134:135], -1.0
	v_add_f64 v[146:147], v[144:145], -v[134:135]
	v_add_f64 v[146:147], v[146:147], 1.0
	v_add_f64 v[144:145], v[6:7], -v[144:145]
	s_mov_b32 s36, 0x55555555
	v_add_f64 v[144:145], v[144:145], v[146:147]
	v_frexp_mant_f64_e32 v[146:147], v[134:135]
	s_mov_b32 s37, 0x3fe55555
	v_frexp_exp_i32_f64_e32 v53, v[134:135]
	v_cmp_gt_f64_e64 s[36:37], s[36:37], v[146:147]
	s_mov_b32 s45, 0x3c7abc9e
	s_nop 0
	v_subbrev_co_u32_e64 v53, s[36:37], 0, v53, s[36:37]
	v_sub_u32_e32 v71, 0, v53
	v_ldexp_f64 v[134:135], v[134:135], v71
	v_add_f64 v[146:147], v[134:135], -1.0
	v_add_f64 v[160:161], v[134:135], 1.0
	v_add_f64 v[148:149], v[146:147], 1.0
	v_add_f64 v[162:163], v[160:161], -1.0
	v_ldexp_f64 v[144:145], v[144:145], v71
	v_add_f64 v[148:149], v[134:135], -v[148:149]
	v_add_f64 v[134:135], v[134:135], -v[162:163]
	v_add_f64 v[134:135], v[144:145], v[134:135]
	v_add_f64 v[148:149], v[144:145], v[148:149]
	v_add_f64 v[144:145], v[160:161], v[134:135]
	v_rcp_f64_e32 v[162:163], v[144:145]
	v_add_f64 v[150:151], v[146:147], v[148:149]
	v_add_f64 v[146:147], v[150:151], -v[146:147]
	v_add_f64 v[146:147], v[148:149], -v[146:147]
	;; [unrolled: 1-line block ×4, first 2 shown]
	v_fma_f64 v[148:149], -v[144:145], v[162:163], 1.0
	v_fmac_f64_e32 v[162:163], v[148:149], v[162:163]
	v_fma_f64 v[148:149], -v[144:145], v[162:163], 1.0
	v_fmac_f64_e32 v[162:163], v[148:149], v[162:163]
	v_mul_f64 v[148:149], v[150:151], v[162:163]
	v_mul_f64 v[160:161], v[144:145], v[148:149]
	v_fma_f64 v[164:165], v[148:149], v[144:145], -v[160:161]
	v_fmac_f64_e32 v[164:165], v[148:149], v[134:135]
	v_add_f64 v[166:167], v[160:161], v[164:165]
	v_add_f64 v[176:177], v[150:151], -v[166:167]
	v_add_f64 v[150:151], v[150:151], -v[176:177]
	;; [unrolled: 1-line block ×4, first 2 shown]
	v_add_f64 v[146:147], v[146:147], v[150:151]
	v_add_f64 v[150:151], v[160:161], -v[164:165]
	v_add_f64 v[146:147], v[150:151], v[146:147]
	v_add_f64 v[150:151], v[176:177], v[146:147]
	v_add_f64 v[160:161], v[176:177], -v[150:151]
	v_add_f64 v[146:147], v[146:147], v[160:161]
	v_mul_f64 v[160:161], v[162:163], v[150:151]
	v_mul_f64 v[164:165], v[144:145], v[160:161]
	v_fma_f64 v[144:145], v[160:161], v[144:145], -v[164:165]
	v_fmac_f64_e32 v[144:145], v[160:161], v[134:135]
	v_add_f64 v[134:135], v[164:165], v[144:145]
	v_add_f64 v[166:167], v[150:151], -v[134:135]
	v_add_f64 v[150:151], v[150:151], -v[166:167]
	;; [unrolled: 1-line block ×4, first 2 shown]
	v_add_f64 v[134:135], v[146:147], v[134:135]
	v_add_f64 v[144:145], v[164:165], -v[144:145]
	v_add_f64 v[134:135], v[144:145], v[134:135]
	v_add_f64 v[144:145], v[148:149], v[160:161]
	;; [unrolled: 1-line block ×3, first 2 shown]
	v_add_f64 v[146:147], v[144:145], -v[148:149]
	v_mul_f64 v[134:135], v[162:163], v[134:135]
	v_add_f64 v[146:147], v[160:161], -v[146:147]
	v_add_f64 v[134:135], v[146:147], v[134:135]
	v_add_f64 v[146:147], v[144:145], v[134:135]
	v_add_f64 v[144:145], v[146:147], -v[144:145]
	s_mov_b32 s36, 0xbf559e2b
	v_add_f64 v[134:135], v[134:135], -v[144:145]
	v_mul_f64 v[144:145], v[146:147], v[146:147]
	v_mov_b32_e32 v148, 0x6b47b09a
	v_mov_b32_e32 v149, 0x3fc38538
	s_mov_b32 s37, 0x3fc3ab76
	v_fmac_f64_e32 v[148:149], s[36:37], v[144:145]
	v_mov_b32_e32 v150, 0xd7f4df2e
	v_mov_b32_e32 v151, 0x3fc7474d
	v_fmac_f64_e32 v[150:151], v[144:145], v[148:149]
	v_mov_b32_e32 v148, 0x16291751
	v_mov_b32_e32 v149, 0x3fcc71c0
	;; [unrolled: 3-line block ×5, first 2 shown]
	v_fmac_f64_e32 v[150:151], v[144:145], v[148:149]
	v_cvt_f64_i32_e32 v[148:149], v53
	v_mul_f64 v[160:161], v[148:149], s[42:43]
	v_fma_f64 v[162:163], v[148:149], s[42:43], -v[160:161]
	v_fmac_f64_e32 v[162:163], s[44:45], v[148:149]
	v_add_f64 v[148:149], v[160:161], v[162:163]
	v_add_f64 v[160:161], v[148:149], -v[160:161]
	v_mul_f64 v[144:145], v[146:147], v[144:145]
	v_add_f64 v[160:161], v[162:163], -v[160:161]
	v_ldexp_f64 v[162:163], v[146:147], 1
	v_mul_f64 v[144:145], v[144:145], v[150:151]
	v_add_f64 v[146:147], v[162:163], v[144:145]
	v_add_f64 v[150:151], v[146:147], -v[162:163]
	v_ldexp_f64 v[134:135], v[134:135], 1
	v_add_f64 v[144:145], v[144:145], -v[150:151]
	v_add_f64 v[134:135], v[134:135], v[144:145]
	v_add_f64 v[144:145], v[146:147], v[134:135]
	v_add_f64 v[146:147], v[144:145], -v[146:147]
	v_add_f64 v[134:135], v[134:135], -v[146:147]
	v_add_f64 v[146:147], v[148:149], v[144:145]
	v_add_f64 v[150:151], v[146:147], -v[148:149]
	v_add_f64 v[162:163], v[146:147], -v[150:151]
	v_add_f64 v[148:149], v[148:149], -v[162:163]
	v_add_f64 v[144:145], v[144:145], -v[150:151]
	v_add_f64 v[144:145], v[144:145], v[148:149]
	v_add_f64 v[148:149], v[160:161], v[134:135]
	v_add_f64 v[150:151], v[148:149], -v[160:161]
	v_add_f64 v[144:145], v[148:149], v[144:145]
	v_add_f64 v[162:163], v[148:149], -v[150:151]
	;; [unrolled: 2-line block ×3, first 2 shown]
	v_add_f64 v[134:135], v[134:135], -v[150:151]
	v_add_f64 v[146:147], v[148:149], -v[146:147]
	v_add_f64 v[134:135], v[134:135], v[160:161]
	v_add_f64 v[144:145], v[144:145], -v[146:147]
	s_mov_b32 s36, 0
	v_add_f64 v[134:135], v[134:135], v[144:145]
	s_mov_b32 s37, 0x7ff00000
	v_add_f64 v[134:135], v[148:149], v[134:135]
	v_cmp_eq_f64_e64 s[36:37], s[36:37], v[6:7]
	s_nop 1
	v_cndmask_b32_e64 v53, v134, v6, s[36:37]
	v_cndmask_b32_e64 v71, v135, v7, s[36:37]
	v_mov_b32_e32 v134, 0x7ff80000
	v_cmp_ngt_f64_e64 s[36:37], -1.0, v[6:7]
	s_nop 1
	v_cndmask_b32_e64 v71, v134, v71, s[36:37]
	v_cmp_nge_f64_e64 s[36:37], -1.0, v[6:7]
	s_nop 1
	v_cndmask_b32_e64 v134, 0, v53, s[36:37]
	v_mov_b32_e32 v53, 0xfff00000
	v_cmp_neq_f64_e64 s[36:37], -1.0, v[6:7]
	s_nop 1
	v_cndmask_b32_e64 v135, v53, v71, s[36:37]
	v_add_f64 v[134:135], v[4:5], v[134:135]
.LBB30_296:
	s_or_b64 exec, exec, s[40:41]
	v_lshrrev_b32_e32 v4, 5, v70
	v_add_lshl_u32 v4, v4, v70, 3
	v_cmp_gt_u32_e64 s[36:37], 64, v70
	ds_write_b64 v4, v[134:135]
	s_waitcnt lgkmcnt(0)
	s_barrier
	s_and_saveexec_b64 s[42:43], s[36:37]
	s_cbranch_execz .LBB30_336
; %bb.297:
	v_lshlrev_b32_e32 v4, 2, v70
	v_lshrrev_b32_e32 v5, 3, v70
	v_add_lshl_u32 v53, v5, v4, 3
	ds_read2_b64 v[4:7], v53 offset1:1
	s_movk_i32 s50, 0x1f8
	s_waitcnt lgkmcnt(0)
	v_max_f64 v[146:147], v[6:7], v[6:7]
	v_max_f64 v[144:145], v[4:5], v[4:5]
	v_min_f64 v[148:149], v[144:145], v[146:147]
	v_cmp_u_f64_e64 s[36:37], v[4:5], v[4:5]
	v_cmp_u_f64_e64 s[38:39], v[6:7], v[6:7]
	v_max_f64 v[146:147], v[144:145], v[146:147]
	v_cndmask_b32_e64 v71, v148, v4, s[36:37]
	v_cndmask_b32_e64 v148, v149, v5, s[36:37]
	;; [unrolled: 1-line block ×8, first 2 shown]
	v_cmp_neq_f64_e64 s[38:39], v[148:149], v[146:147]
	v_cmp_class_f64_e64 s[40:41], v[148:149], s50
	s_or_b64 s[38:39], s[38:39], s[40:41]
	v_mov_b64_e32 v[6:7], v[4:5]
	s_and_saveexec_b64 s[44:45], s[38:39]
	s_cbranch_execz .LBB30_299
; %bb.298:
	s_mov_b32 s38, 0x652b82fe
	v_add_f64 v[6:7], v[148:149], -v[146:147]
	s_mov_b32 s39, 0x3ff71547
	v_mul_f64 v[148:149], v[6:7], s[38:39]
	v_rndne_f64_e32 v[148:149], v[148:149]
	s_mov_b32 s47, 0xbfe62e42
	s_mov_b32 s46, 0xfefa39ef
	v_fma_f64 v[150:151], s[46:47], v[148:149], v[6:7]
	s_mov_b32 s49, 0xbc7abc9e
	s_mov_b32 s48, 0x3b39803f
	;; [unrolled: 1-line block ×3, first 2 shown]
	v_fmac_f64_e32 v[150:151], s[48:49], v[148:149]
	v_mov_b32_e32 v160, 0xfca7ab0c
	v_mov_b32_e32 v161, 0x3e928af3
	s_mov_b32 s39, 0x3e5ade15
	v_fmac_f64_e32 v[160:161], s[38:39], v[150:151]
	v_mov_b32_e32 v162, 0x623fde64
	v_mov_b32_e32 v163, 0x3ec71dee
	v_fmac_f64_e32 v[162:163], v[150:151], v[160:161]
	v_mov_b32_e32 v160, 0x7c89e6b0
	v_mov_b32_e32 v161, 0x3efa0199
	;; [unrolled: 3-line block ×8, first 2 shown]
	v_fmac_f64_e32 v[160:161], v[150:151], v[162:163]
	v_fma_f64 v[160:161], v[150:151], v[160:161], 1.0
	s_mov_b32 s38, 0
	s_mov_b32 s40, 0
	v_fma_f64 v[150:151], v[150:151], v[160:161], 1.0
	v_cvt_i32_f64_e32 v71, v[148:149]
	s_mov_b32 s39, 0x40900000
	s_mov_b32 s41, 0xc090cc00
	v_ldexp_f64 v[148:149], v[150:151], v71
	v_mov_b32_e32 v71, 0x7ff00000
	v_cmp_nlt_f64_e64 s[38:39], s[38:39], v[6:7]
	v_cmp_ngt_f64_e64 s[40:41], s[40:41], v[6:7]
	s_mov_b32 s47, 0x3fe62e42
	v_cndmask_b32_e64 v71, v71, v149, s[38:39]
	s_and_b64 s[38:39], s[40:41], s[38:39]
	v_cndmask_b32_e64 v7, 0, v71, s[40:41]
	v_cndmask_b32_e64 v6, 0, v148, s[38:39]
	v_add_f64 v[148:149], v[6:7], 1.0
	v_add_f64 v[150:151], v[148:149], -1.0
	v_add_f64 v[160:161], v[150:151], -v[148:149]
	v_add_f64 v[160:161], v[160:161], 1.0
	v_add_f64 v[150:151], v[6:7], -v[150:151]
	s_mov_b32 s38, 0x55555555
	v_add_f64 v[150:151], v[150:151], v[160:161]
	v_frexp_mant_f64_e32 v[160:161], v[148:149]
	s_mov_b32 s39, 0x3fe55555
	v_frexp_exp_i32_f64_e32 v71, v[148:149]
	v_cmp_gt_f64_e64 s[38:39], s[38:39], v[160:161]
	s_mov_b32 s49, 0x3c7abc9e
	s_nop 0
	v_subbrev_co_u32_e64 v71, s[38:39], 0, v71, s[38:39]
	v_sub_u32_e32 v160, 0, v71
	v_ldexp_f64 v[148:149], v[148:149], v160
	v_ldexp_f64 v[150:151], v[150:151], v160
	v_add_f64 v[160:161], v[148:149], -1.0
	v_add_f64 v[166:167], v[148:149], 1.0
	v_add_f64 v[162:163], v[160:161], 1.0
	v_add_f64 v[176:177], v[166:167], -1.0
	v_add_f64 v[162:163], v[148:149], -v[162:163]
	v_add_f64 v[148:149], v[148:149], -v[176:177]
	v_add_f64 v[148:149], v[150:151], v[148:149]
	v_add_f64 v[162:163], v[150:151], v[162:163]
	;; [unrolled: 1-line block ×3, first 2 shown]
	v_rcp_f64_e32 v[176:177], v[150:151]
	v_add_f64 v[164:165], v[160:161], v[162:163]
	v_add_f64 v[160:161], v[164:165], -v[160:161]
	v_add_f64 v[160:161], v[162:163], -v[160:161]
	;; [unrolled: 1-line block ×4, first 2 shown]
	v_fma_f64 v[162:163], -v[150:151], v[176:177], 1.0
	v_fmac_f64_e32 v[176:177], v[162:163], v[176:177]
	v_fma_f64 v[162:163], -v[150:151], v[176:177], 1.0
	v_fmac_f64_e32 v[176:177], v[162:163], v[176:177]
	v_mul_f64 v[162:163], v[164:165], v[176:177]
	v_mul_f64 v[166:167], v[150:151], v[162:163]
	v_fma_f64 v[178:179], v[162:163], v[150:151], -v[166:167]
	v_fmac_f64_e32 v[178:179], v[162:163], v[148:149]
	v_add_f64 v[180:181], v[166:167], v[178:179]
	v_add_f64 v[182:183], v[164:165], -v[180:181]
	v_add_f64 v[164:165], v[164:165], -v[182:183]
	;; [unrolled: 1-line block ×4, first 2 shown]
	v_add_f64 v[160:161], v[160:161], v[164:165]
	v_add_f64 v[164:165], v[166:167], -v[178:179]
	v_add_f64 v[160:161], v[164:165], v[160:161]
	v_add_f64 v[164:165], v[182:183], v[160:161]
	v_add_f64 v[166:167], v[182:183], -v[164:165]
	v_add_f64 v[160:161], v[160:161], v[166:167]
	v_mul_f64 v[166:167], v[176:177], v[164:165]
	v_mul_f64 v[178:179], v[150:151], v[166:167]
	v_fma_f64 v[150:151], v[166:167], v[150:151], -v[178:179]
	v_fmac_f64_e32 v[150:151], v[166:167], v[148:149]
	v_add_f64 v[148:149], v[178:179], v[150:151]
	v_add_f64 v[180:181], v[164:165], -v[148:149]
	v_add_f64 v[164:165], v[164:165], -v[180:181]
	;; [unrolled: 1-line block ×4, first 2 shown]
	v_add_f64 v[148:149], v[160:161], v[148:149]
	v_add_f64 v[150:151], v[178:179], -v[150:151]
	v_add_f64 v[148:149], v[150:151], v[148:149]
	v_add_f64 v[150:151], v[162:163], v[166:167]
	;; [unrolled: 1-line block ×3, first 2 shown]
	v_add_f64 v[160:161], v[150:151], -v[162:163]
	v_mul_f64 v[148:149], v[176:177], v[148:149]
	v_add_f64 v[160:161], v[166:167], -v[160:161]
	v_add_f64 v[148:149], v[160:161], v[148:149]
	v_add_f64 v[160:161], v[150:151], v[148:149]
	v_add_f64 v[150:151], v[160:161], -v[150:151]
	s_mov_b32 s38, 0xbf559e2b
	v_add_f64 v[148:149], v[148:149], -v[150:151]
	v_mul_f64 v[150:151], v[160:161], v[160:161]
	v_mov_b32_e32 v162, 0x6b47b09a
	v_mov_b32_e32 v163, 0x3fc38538
	s_mov_b32 s39, 0x3fc3ab76
	v_fmac_f64_e32 v[162:163], s[38:39], v[150:151]
	v_mov_b32_e32 v164, 0xd7f4df2e
	v_mov_b32_e32 v165, 0x3fc7474d
	v_fmac_f64_e32 v[164:165], v[150:151], v[162:163]
	v_mov_b32_e32 v162, 0x16291751
	v_mov_b32_e32 v163, 0x3fcc71c0
	;; [unrolled: 3-line block ×5, first 2 shown]
	v_fmac_f64_e32 v[164:165], v[150:151], v[162:163]
	v_cvt_f64_i32_e32 v[162:163], v71
	v_mul_f64 v[166:167], v[162:163], s[46:47]
	v_fma_f64 v[176:177], v[162:163], s[46:47], -v[166:167]
	v_fmac_f64_e32 v[176:177], s[48:49], v[162:163]
	v_add_f64 v[162:163], v[166:167], v[176:177]
	v_add_f64 v[166:167], v[162:163], -v[166:167]
	v_mul_f64 v[150:151], v[160:161], v[150:151]
	v_add_f64 v[166:167], v[176:177], -v[166:167]
	v_ldexp_f64 v[176:177], v[160:161], 1
	v_mul_f64 v[150:151], v[150:151], v[164:165]
	v_add_f64 v[160:161], v[176:177], v[150:151]
	v_add_f64 v[164:165], v[160:161], -v[176:177]
	v_ldexp_f64 v[148:149], v[148:149], 1
	v_add_f64 v[150:151], v[150:151], -v[164:165]
	v_add_f64 v[148:149], v[148:149], v[150:151]
	v_add_f64 v[150:151], v[160:161], v[148:149]
	v_add_f64 v[160:161], v[150:151], -v[160:161]
	v_add_f64 v[148:149], v[148:149], -v[160:161]
	v_add_f64 v[160:161], v[162:163], v[150:151]
	v_add_f64 v[164:165], v[160:161], -v[162:163]
	v_add_f64 v[176:177], v[160:161], -v[164:165]
	;; [unrolled: 1-line block ×4, first 2 shown]
	v_add_f64 v[150:151], v[150:151], v[162:163]
	v_add_f64 v[162:163], v[166:167], v[148:149]
	v_add_f64 v[164:165], v[162:163], -v[166:167]
	v_add_f64 v[150:151], v[162:163], v[150:151]
	v_add_f64 v[176:177], v[162:163], -v[164:165]
	;; [unrolled: 2-line block ×3, first 2 shown]
	v_add_f64 v[148:149], v[148:149], -v[164:165]
	v_add_f64 v[160:161], v[162:163], -v[160:161]
	v_add_f64 v[148:149], v[148:149], v[166:167]
	v_add_f64 v[150:151], v[150:151], -v[160:161]
	s_mov_b32 s38, 0
	v_add_f64 v[148:149], v[148:149], v[150:151]
	s_mov_b32 s39, 0x7ff00000
	v_add_f64 v[148:149], v[162:163], v[148:149]
	v_cmp_eq_f64_e64 s[38:39], s[38:39], v[6:7]
	s_nop 1
	v_cndmask_b32_e64 v71, v148, v6, s[38:39]
	v_cndmask_b32_e64 v148, v149, v7, s[38:39]
	v_mov_b32_e32 v149, 0x7ff80000
	v_cmp_ngt_f64_e64 s[38:39], -1.0, v[6:7]
	s_nop 1
	v_cndmask_b32_e64 v149, v149, v148, s[38:39]
	v_cmp_nge_f64_e64 s[38:39], -1.0, v[6:7]
	s_nop 1
	v_cndmask_b32_e64 v148, 0, v71, s[38:39]
	v_mov_b32_e32 v71, 0xfff00000
	v_cmp_neq_f64_e64 s[38:39], -1.0, v[6:7]
	s_nop 1
	v_cndmask_b32_e64 v149, v71, v149, s[38:39]
	v_add_f64 v[6:7], v[146:147], v[148:149]
.LBB30_299:
	s_or_b64 exec, exec, s[44:45]
	ds_read_b64 v[146:147], v53 offset:16
	v_max_f64 v[150:151], v[6:7], v[6:7]
	v_cmp_u_f64_e64 s[38:39], v[6:7], v[6:7]
	s_waitcnt lgkmcnt(0)
	v_max_f64 v[160:161], v[146:147], v[146:147]
	v_min_f64 v[148:149], v[150:151], v[160:161]
	v_cndmask_b32_e64 v71, v148, v6, s[38:39]
	v_cndmask_b32_e64 v148, v149, v7, s[38:39]
	v_cmp_u_f64_e64 s[40:41], v[146:147], v[146:147]
	v_max_f64 v[150:151], v[150:151], v[160:161]
	s_nop 0
	v_cndmask_b32_e64 v149, v148, v147, s[40:41]
	v_cndmask_b32_e64 v148, v71, v146, s[40:41]
	;; [unrolled: 1-line block ×6, first 2 shown]
	v_cmp_neq_f64_e64 s[38:39], v[148:149], v[146:147]
	v_cmp_class_f64_e64 s[40:41], v[148:149], s50
	s_or_b64 s[38:39], s[38:39], s[40:41]
	s_and_saveexec_b64 s[44:45], s[38:39]
	s_cbranch_execz .LBB30_301
; %bb.300:
	s_mov_b32 s38, 0x652b82fe
	v_add_f64 v[6:7], v[148:149], -v[146:147]
	s_mov_b32 s39, 0x3ff71547
	v_mul_f64 v[148:149], v[6:7], s[38:39]
	v_rndne_f64_e32 v[148:149], v[148:149]
	s_mov_b32 s47, 0xbfe62e42
	s_mov_b32 s46, 0xfefa39ef
	v_fma_f64 v[150:151], s[46:47], v[148:149], v[6:7]
	s_mov_b32 s49, 0xbc7abc9e
	s_mov_b32 s48, 0x3b39803f
	;; [unrolled: 1-line block ×3, first 2 shown]
	v_fmac_f64_e32 v[150:151], s[48:49], v[148:149]
	v_mov_b32_e32 v160, 0xfca7ab0c
	v_mov_b32_e32 v161, 0x3e928af3
	s_mov_b32 s39, 0x3e5ade15
	v_fmac_f64_e32 v[160:161], s[38:39], v[150:151]
	v_mov_b32_e32 v162, 0x623fde64
	v_mov_b32_e32 v163, 0x3ec71dee
	v_fmac_f64_e32 v[162:163], v[150:151], v[160:161]
	v_mov_b32_e32 v160, 0x7c89e6b0
	v_mov_b32_e32 v161, 0x3efa0199
	;; [unrolled: 3-line block ×8, first 2 shown]
	v_fmac_f64_e32 v[160:161], v[150:151], v[162:163]
	v_fma_f64 v[160:161], v[150:151], v[160:161], 1.0
	s_mov_b32 s38, 0
	s_mov_b32 s40, 0
	v_fma_f64 v[150:151], v[150:151], v[160:161], 1.0
	v_cvt_i32_f64_e32 v71, v[148:149]
	s_mov_b32 s39, 0x40900000
	s_mov_b32 s41, 0xc090cc00
	v_ldexp_f64 v[148:149], v[150:151], v71
	v_mov_b32_e32 v71, 0x7ff00000
	v_cmp_nlt_f64_e64 s[38:39], s[38:39], v[6:7]
	v_cmp_ngt_f64_e64 s[40:41], s[40:41], v[6:7]
	s_mov_b32 s47, 0x3fe62e42
	v_cndmask_b32_e64 v71, v71, v149, s[38:39]
	s_and_b64 s[38:39], s[40:41], s[38:39]
	v_cndmask_b32_e64 v7, 0, v71, s[40:41]
	v_cndmask_b32_e64 v6, 0, v148, s[38:39]
	v_add_f64 v[148:149], v[6:7], 1.0
	v_add_f64 v[150:151], v[148:149], -1.0
	v_add_f64 v[160:161], v[150:151], -v[148:149]
	v_add_f64 v[160:161], v[160:161], 1.0
	v_add_f64 v[150:151], v[6:7], -v[150:151]
	s_mov_b32 s38, 0x55555555
	v_add_f64 v[150:151], v[150:151], v[160:161]
	v_frexp_mant_f64_e32 v[160:161], v[148:149]
	s_mov_b32 s39, 0x3fe55555
	v_frexp_exp_i32_f64_e32 v71, v[148:149]
	v_cmp_gt_f64_e64 s[38:39], s[38:39], v[160:161]
	s_mov_b32 s49, 0x3c7abc9e
	s_nop 0
	v_subbrev_co_u32_e64 v71, s[38:39], 0, v71, s[38:39]
	v_sub_u32_e32 v160, 0, v71
	v_ldexp_f64 v[148:149], v[148:149], v160
	v_ldexp_f64 v[150:151], v[150:151], v160
	v_add_f64 v[160:161], v[148:149], -1.0
	v_add_f64 v[166:167], v[148:149], 1.0
	v_add_f64 v[162:163], v[160:161], 1.0
	v_add_f64 v[176:177], v[166:167], -1.0
	v_add_f64 v[162:163], v[148:149], -v[162:163]
	v_add_f64 v[148:149], v[148:149], -v[176:177]
	v_add_f64 v[148:149], v[150:151], v[148:149]
	v_add_f64 v[162:163], v[150:151], v[162:163]
	;; [unrolled: 1-line block ×3, first 2 shown]
	v_rcp_f64_e32 v[176:177], v[150:151]
	v_add_f64 v[164:165], v[160:161], v[162:163]
	v_add_f64 v[160:161], v[164:165], -v[160:161]
	v_add_f64 v[160:161], v[162:163], -v[160:161]
	;; [unrolled: 1-line block ×4, first 2 shown]
	v_fma_f64 v[162:163], -v[150:151], v[176:177], 1.0
	v_fmac_f64_e32 v[176:177], v[162:163], v[176:177]
	v_fma_f64 v[162:163], -v[150:151], v[176:177], 1.0
	v_fmac_f64_e32 v[176:177], v[162:163], v[176:177]
	v_mul_f64 v[162:163], v[164:165], v[176:177]
	v_mul_f64 v[166:167], v[150:151], v[162:163]
	v_fma_f64 v[178:179], v[162:163], v[150:151], -v[166:167]
	v_fmac_f64_e32 v[178:179], v[162:163], v[148:149]
	v_add_f64 v[180:181], v[166:167], v[178:179]
	v_add_f64 v[182:183], v[164:165], -v[180:181]
	v_add_f64 v[164:165], v[164:165], -v[182:183]
	;; [unrolled: 1-line block ×4, first 2 shown]
	v_add_f64 v[160:161], v[160:161], v[164:165]
	v_add_f64 v[164:165], v[166:167], -v[178:179]
	v_add_f64 v[160:161], v[164:165], v[160:161]
	v_add_f64 v[164:165], v[182:183], v[160:161]
	v_add_f64 v[166:167], v[182:183], -v[164:165]
	v_add_f64 v[160:161], v[160:161], v[166:167]
	v_mul_f64 v[166:167], v[176:177], v[164:165]
	v_mul_f64 v[178:179], v[150:151], v[166:167]
	v_fma_f64 v[150:151], v[166:167], v[150:151], -v[178:179]
	v_fmac_f64_e32 v[150:151], v[166:167], v[148:149]
	v_add_f64 v[148:149], v[178:179], v[150:151]
	v_add_f64 v[180:181], v[164:165], -v[148:149]
	v_add_f64 v[164:165], v[164:165], -v[180:181]
	;; [unrolled: 1-line block ×4, first 2 shown]
	v_add_f64 v[148:149], v[160:161], v[148:149]
	v_add_f64 v[150:151], v[178:179], -v[150:151]
	v_add_f64 v[148:149], v[150:151], v[148:149]
	v_add_f64 v[150:151], v[162:163], v[166:167]
	;; [unrolled: 1-line block ×3, first 2 shown]
	v_add_f64 v[160:161], v[150:151], -v[162:163]
	v_mul_f64 v[148:149], v[176:177], v[148:149]
	v_add_f64 v[160:161], v[166:167], -v[160:161]
	v_add_f64 v[148:149], v[160:161], v[148:149]
	v_add_f64 v[160:161], v[150:151], v[148:149]
	v_add_f64 v[150:151], v[160:161], -v[150:151]
	s_mov_b32 s38, 0xbf559e2b
	v_add_f64 v[148:149], v[148:149], -v[150:151]
	v_mul_f64 v[150:151], v[160:161], v[160:161]
	v_mov_b32_e32 v162, 0x6b47b09a
	v_mov_b32_e32 v163, 0x3fc38538
	s_mov_b32 s39, 0x3fc3ab76
	v_fmac_f64_e32 v[162:163], s[38:39], v[150:151]
	v_mov_b32_e32 v164, 0xd7f4df2e
	v_mov_b32_e32 v165, 0x3fc7474d
	v_fmac_f64_e32 v[164:165], v[150:151], v[162:163]
	v_mov_b32_e32 v162, 0x16291751
	v_mov_b32_e32 v163, 0x3fcc71c0
	;; [unrolled: 3-line block ×5, first 2 shown]
	v_fmac_f64_e32 v[164:165], v[150:151], v[162:163]
	v_cvt_f64_i32_e32 v[162:163], v71
	v_mul_f64 v[166:167], v[162:163], s[46:47]
	v_fma_f64 v[176:177], v[162:163], s[46:47], -v[166:167]
	v_fmac_f64_e32 v[176:177], s[48:49], v[162:163]
	v_add_f64 v[162:163], v[166:167], v[176:177]
	v_add_f64 v[166:167], v[162:163], -v[166:167]
	v_mul_f64 v[150:151], v[160:161], v[150:151]
	v_add_f64 v[166:167], v[176:177], -v[166:167]
	v_ldexp_f64 v[176:177], v[160:161], 1
	v_mul_f64 v[150:151], v[150:151], v[164:165]
	v_add_f64 v[160:161], v[176:177], v[150:151]
	v_add_f64 v[164:165], v[160:161], -v[176:177]
	v_ldexp_f64 v[148:149], v[148:149], 1
	v_add_f64 v[150:151], v[150:151], -v[164:165]
	v_add_f64 v[148:149], v[148:149], v[150:151]
	v_add_f64 v[150:151], v[160:161], v[148:149]
	v_add_f64 v[160:161], v[150:151], -v[160:161]
	v_add_f64 v[148:149], v[148:149], -v[160:161]
	v_add_f64 v[160:161], v[162:163], v[150:151]
	v_add_f64 v[164:165], v[160:161], -v[162:163]
	v_add_f64 v[176:177], v[160:161], -v[164:165]
	;; [unrolled: 1-line block ×4, first 2 shown]
	v_add_f64 v[150:151], v[150:151], v[162:163]
	v_add_f64 v[162:163], v[166:167], v[148:149]
	v_add_f64 v[164:165], v[162:163], -v[166:167]
	v_add_f64 v[150:151], v[162:163], v[150:151]
	v_add_f64 v[176:177], v[162:163], -v[164:165]
	;; [unrolled: 2-line block ×3, first 2 shown]
	v_add_f64 v[148:149], v[148:149], -v[164:165]
	v_add_f64 v[160:161], v[162:163], -v[160:161]
	v_add_f64 v[148:149], v[148:149], v[166:167]
	v_add_f64 v[150:151], v[150:151], -v[160:161]
	s_mov_b32 s38, 0
	v_add_f64 v[148:149], v[148:149], v[150:151]
	s_mov_b32 s39, 0x7ff00000
	v_add_f64 v[148:149], v[162:163], v[148:149]
	v_cmp_eq_f64_e64 s[38:39], s[38:39], v[6:7]
	s_nop 1
	v_cndmask_b32_e64 v71, v148, v6, s[38:39]
	v_cndmask_b32_e64 v148, v149, v7, s[38:39]
	v_mov_b32_e32 v149, 0x7ff80000
	v_cmp_ngt_f64_e64 s[38:39], -1.0, v[6:7]
	s_nop 1
	v_cndmask_b32_e64 v149, v149, v148, s[38:39]
	v_cmp_nge_f64_e64 s[38:39], -1.0, v[6:7]
	s_nop 1
	v_cndmask_b32_e64 v148, 0, v71, s[38:39]
	v_mov_b32_e32 v71, 0xfff00000
	v_cmp_neq_f64_e64 s[38:39], -1.0, v[6:7]
	s_nop 1
	v_cndmask_b32_e64 v149, v71, v149, s[38:39]
	v_add_f64 v[6:7], v[146:147], v[148:149]
.LBB30_301:
	s_or_b64 exec, exec, s[44:45]
	ds_read_b64 v[146:147], v53 offset:24
	v_max_f64 v[150:151], v[6:7], v[6:7]
	v_cmp_u_f64_e64 s[38:39], v[6:7], v[6:7]
	s_waitcnt lgkmcnt(0)
	v_max_f64 v[160:161], v[146:147], v[146:147]
	v_min_f64 v[148:149], v[150:151], v[160:161]
	v_cndmask_b32_e64 v71, v148, v6, s[38:39]
	v_cndmask_b32_e64 v148, v149, v7, s[38:39]
	v_cmp_u_f64_e64 s[40:41], v[146:147], v[146:147]
	v_max_f64 v[150:151], v[150:151], v[160:161]
	s_nop 0
	v_cndmask_b32_e64 v149, v148, v147, s[40:41]
	v_cndmask_b32_e64 v148, v71, v146, s[40:41]
	;; [unrolled: 1-line block ×6, first 2 shown]
	s_movk_i32 s40, 0x1f8
	v_cmp_neq_f64_e64 s[38:39], v[148:149], v[146:147]
	v_cmp_class_f64_e64 s[40:41], v[148:149], s40
	s_or_b64 s[38:39], s[38:39], s[40:41]
	s_and_saveexec_b64 s[44:45], s[38:39]
	s_cbranch_execz .LBB30_303
; %bb.302:
	s_mov_b32 s38, 0x652b82fe
	v_add_f64 v[6:7], v[148:149], -v[146:147]
	s_mov_b32 s39, 0x3ff71547
	v_mul_f64 v[148:149], v[6:7], s[38:39]
	v_rndne_f64_e32 v[148:149], v[148:149]
	s_mov_b32 s47, 0xbfe62e42
	s_mov_b32 s46, 0xfefa39ef
	v_fma_f64 v[150:151], s[46:47], v[148:149], v[6:7]
	s_mov_b32 s49, 0xbc7abc9e
	s_mov_b32 s48, 0x3b39803f
	;; [unrolled: 1-line block ×3, first 2 shown]
	v_fmac_f64_e32 v[150:151], s[48:49], v[148:149]
	v_mov_b32_e32 v160, 0xfca7ab0c
	v_mov_b32_e32 v161, 0x3e928af3
	s_mov_b32 s39, 0x3e5ade15
	v_fmac_f64_e32 v[160:161], s[38:39], v[150:151]
	v_mov_b32_e32 v162, 0x623fde64
	v_mov_b32_e32 v163, 0x3ec71dee
	v_fmac_f64_e32 v[162:163], v[150:151], v[160:161]
	v_mov_b32_e32 v160, 0x7c89e6b0
	v_mov_b32_e32 v161, 0x3efa0199
	;; [unrolled: 3-line block ×8, first 2 shown]
	v_fmac_f64_e32 v[160:161], v[150:151], v[162:163]
	v_fma_f64 v[160:161], v[150:151], v[160:161], 1.0
	s_mov_b32 s38, 0
	s_mov_b32 s40, 0
	v_fma_f64 v[150:151], v[150:151], v[160:161], 1.0
	v_cvt_i32_f64_e32 v71, v[148:149]
	s_mov_b32 s39, 0x40900000
	s_mov_b32 s41, 0xc090cc00
	v_ldexp_f64 v[148:149], v[150:151], v71
	v_mov_b32_e32 v71, 0x7ff00000
	v_cmp_nlt_f64_e64 s[38:39], s[38:39], v[6:7]
	v_cmp_ngt_f64_e64 s[40:41], s[40:41], v[6:7]
	s_mov_b32 s47, 0x3fe62e42
	v_cndmask_b32_e64 v71, v71, v149, s[38:39]
	s_and_b64 s[38:39], s[40:41], s[38:39]
	v_cndmask_b32_e64 v7, 0, v71, s[40:41]
	v_cndmask_b32_e64 v6, 0, v148, s[38:39]
	v_add_f64 v[148:149], v[6:7], 1.0
	v_add_f64 v[150:151], v[148:149], -1.0
	v_add_f64 v[160:161], v[150:151], -v[148:149]
	v_add_f64 v[160:161], v[160:161], 1.0
	v_add_f64 v[150:151], v[6:7], -v[150:151]
	s_mov_b32 s38, 0x55555555
	v_add_f64 v[150:151], v[150:151], v[160:161]
	v_frexp_mant_f64_e32 v[160:161], v[148:149]
	s_mov_b32 s39, 0x3fe55555
	v_frexp_exp_i32_f64_e32 v71, v[148:149]
	v_cmp_gt_f64_e64 s[38:39], s[38:39], v[160:161]
	s_mov_b32 s49, 0x3c7abc9e
	s_nop 0
	v_subbrev_co_u32_e64 v71, s[38:39], 0, v71, s[38:39]
	v_sub_u32_e32 v160, 0, v71
	v_ldexp_f64 v[148:149], v[148:149], v160
	v_ldexp_f64 v[150:151], v[150:151], v160
	v_add_f64 v[160:161], v[148:149], -1.0
	v_add_f64 v[166:167], v[148:149], 1.0
	v_add_f64 v[162:163], v[160:161], 1.0
	v_add_f64 v[176:177], v[166:167], -1.0
	v_add_f64 v[162:163], v[148:149], -v[162:163]
	v_add_f64 v[148:149], v[148:149], -v[176:177]
	v_add_f64 v[148:149], v[150:151], v[148:149]
	v_add_f64 v[162:163], v[150:151], v[162:163]
	;; [unrolled: 1-line block ×3, first 2 shown]
	v_rcp_f64_e32 v[176:177], v[150:151]
	v_add_f64 v[164:165], v[160:161], v[162:163]
	v_add_f64 v[160:161], v[164:165], -v[160:161]
	v_add_f64 v[160:161], v[162:163], -v[160:161]
	;; [unrolled: 1-line block ×4, first 2 shown]
	v_fma_f64 v[162:163], -v[150:151], v[176:177], 1.0
	v_fmac_f64_e32 v[176:177], v[162:163], v[176:177]
	v_fma_f64 v[162:163], -v[150:151], v[176:177], 1.0
	v_fmac_f64_e32 v[176:177], v[162:163], v[176:177]
	v_mul_f64 v[162:163], v[164:165], v[176:177]
	v_mul_f64 v[166:167], v[150:151], v[162:163]
	v_fma_f64 v[178:179], v[162:163], v[150:151], -v[166:167]
	v_fmac_f64_e32 v[178:179], v[162:163], v[148:149]
	v_add_f64 v[180:181], v[166:167], v[178:179]
	v_add_f64 v[182:183], v[164:165], -v[180:181]
	v_add_f64 v[164:165], v[164:165], -v[182:183]
	;; [unrolled: 1-line block ×4, first 2 shown]
	v_add_f64 v[160:161], v[160:161], v[164:165]
	v_add_f64 v[164:165], v[166:167], -v[178:179]
	v_add_f64 v[160:161], v[164:165], v[160:161]
	v_add_f64 v[164:165], v[182:183], v[160:161]
	v_add_f64 v[166:167], v[182:183], -v[164:165]
	v_add_f64 v[160:161], v[160:161], v[166:167]
	v_mul_f64 v[166:167], v[176:177], v[164:165]
	v_mul_f64 v[178:179], v[150:151], v[166:167]
	v_fma_f64 v[150:151], v[166:167], v[150:151], -v[178:179]
	v_fmac_f64_e32 v[150:151], v[166:167], v[148:149]
	v_add_f64 v[148:149], v[178:179], v[150:151]
	v_add_f64 v[180:181], v[164:165], -v[148:149]
	v_add_f64 v[164:165], v[164:165], -v[180:181]
	;; [unrolled: 1-line block ×4, first 2 shown]
	v_add_f64 v[148:149], v[160:161], v[148:149]
	v_add_f64 v[150:151], v[178:179], -v[150:151]
	v_add_f64 v[148:149], v[150:151], v[148:149]
	v_add_f64 v[150:151], v[162:163], v[166:167]
	v_add_f64 v[148:149], v[180:181], v[148:149]
	v_add_f64 v[160:161], v[150:151], -v[162:163]
	v_mul_f64 v[148:149], v[176:177], v[148:149]
	v_add_f64 v[160:161], v[166:167], -v[160:161]
	v_add_f64 v[148:149], v[160:161], v[148:149]
	v_add_f64 v[160:161], v[150:151], v[148:149]
	v_add_f64 v[150:151], v[160:161], -v[150:151]
	s_mov_b32 s38, 0xbf559e2b
	v_add_f64 v[148:149], v[148:149], -v[150:151]
	v_mul_f64 v[150:151], v[160:161], v[160:161]
	v_mov_b32_e32 v162, 0x6b47b09a
	v_mov_b32_e32 v163, 0x3fc38538
	s_mov_b32 s39, 0x3fc3ab76
	v_fmac_f64_e32 v[162:163], s[38:39], v[150:151]
	v_mov_b32_e32 v164, 0xd7f4df2e
	v_mov_b32_e32 v165, 0x3fc7474d
	v_fmac_f64_e32 v[164:165], v[150:151], v[162:163]
	v_mov_b32_e32 v162, 0x16291751
	v_mov_b32_e32 v163, 0x3fcc71c0
	;; [unrolled: 3-line block ×5, first 2 shown]
	v_fmac_f64_e32 v[164:165], v[150:151], v[162:163]
	v_cvt_f64_i32_e32 v[162:163], v71
	v_mul_f64 v[166:167], v[162:163], s[46:47]
	v_fma_f64 v[176:177], v[162:163], s[46:47], -v[166:167]
	v_fmac_f64_e32 v[176:177], s[48:49], v[162:163]
	v_add_f64 v[162:163], v[166:167], v[176:177]
	v_add_f64 v[166:167], v[162:163], -v[166:167]
	v_mul_f64 v[150:151], v[160:161], v[150:151]
	v_add_f64 v[166:167], v[176:177], -v[166:167]
	v_ldexp_f64 v[176:177], v[160:161], 1
	v_mul_f64 v[150:151], v[150:151], v[164:165]
	v_add_f64 v[160:161], v[176:177], v[150:151]
	v_add_f64 v[164:165], v[160:161], -v[176:177]
	v_ldexp_f64 v[148:149], v[148:149], 1
	v_add_f64 v[150:151], v[150:151], -v[164:165]
	v_add_f64 v[148:149], v[148:149], v[150:151]
	v_add_f64 v[150:151], v[160:161], v[148:149]
	v_add_f64 v[160:161], v[150:151], -v[160:161]
	v_add_f64 v[148:149], v[148:149], -v[160:161]
	v_add_f64 v[160:161], v[162:163], v[150:151]
	v_add_f64 v[164:165], v[160:161], -v[162:163]
	v_add_f64 v[176:177], v[160:161], -v[164:165]
	;; [unrolled: 1-line block ×4, first 2 shown]
	v_add_f64 v[150:151], v[150:151], v[162:163]
	v_add_f64 v[162:163], v[166:167], v[148:149]
	v_add_f64 v[164:165], v[162:163], -v[166:167]
	v_add_f64 v[150:151], v[162:163], v[150:151]
	v_add_f64 v[176:177], v[162:163], -v[164:165]
	;; [unrolled: 2-line block ×3, first 2 shown]
	v_add_f64 v[148:149], v[148:149], -v[164:165]
	v_add_f64 v[160:161], v[162:163], -v[160:161]
	v_add_f64 v[148:149], v[148:149], v[166:167]
	v_add_f64 v[150:151], v[150:151], -v[160:161]
	s_mov_b32 s38, 0
	v_add_f64 v[148:149], v[148:149], v[150:151]
	s_mov_b32 s39, 0x7ff00000
	v_add_f64 v[148:149], v[162:163], v[148:149]
	v_cmp_eq_f64_e64 s[38:39], s[38:39], v[6:7]
	s_nop 1
	v_cndmask_b32_e64 v71, v148, v6, s[38:39]
	v_cndmask_b32_e64 v148, v149, v7, s[38:39]
	v_mov_b32_e32 v149, 0x7ff80000
	v_cmp_ngt_f64_e64 s[38:39], -1.0, v[6:7]
	s_nop 1
	v_cndmask_b32_e64 v149, v149, v148, s[38:39]
	v_cmp_nge_f64_e64 s[38:39], -1.0, v[6:7]
	s_nop 1
	v_cndmask_b32_e64 v148, 0, v71, s[38:39]
	v_mov_b32_e32 v71, 0xfff00000
	v_cmp_neq_f64_e64 s[38:39], -1.0, v[6:7]
	s_nop 1
	v_cndmask_b32_e64 v149, v71, v149, s[38:39]
	v_add_f64 v[6:7], v[146:147], v[148:149]
.LBB30_303:
	s_or_b64 exec, exec, s[44:45]
	v_mbcnt_lo_u32_b32 v71, -1, 0
	v_mbcnt_hi_u32_b32 v71, -1, v71
	v_and_b32_e32 v150, 15, v71
	v_mov_b32_dpp v146, v6 row_shr:1 row_mask:0xf bank_mask:0xf
	v_mov_b32_dpp v147, v7 row_shr:1 row_mask:0xf bank_mask:0xf
	v_cmp_ne_u32_e64 s[38:39], 0, v150
	v_mov_b32_e32 v148, v6
	v_mov_b32_e32 v149, v7
	s_and_saveexec_b64 s[40:41], s[38:39]
	s_xor_b64 s[44:45], exec, s[40:41]
	s_cbranch_execz .LBB30_307
; %bb.304:
	v_max_f64 v[160:161], v[146:147], v[146:147]
	v_max_f64 v[162:163], v[6:7], v[6:7]
	v_min_f64 v[148:149], v[160:161], v[162:163]
	v_cmp_u_f64_e64 s[38:39], v[146:147], v[146:147]
	v_max_f64 v[160:161], v[160:161], v[162:163]
	v_cmp_u_f64_e64 s[40:41], v[6:7], v[6:7]
	v_cndmask_b32_e64 v148, v148, v146, s[38:39]
	v_cndmask_b32_e64 v149, v149, v147, s[38:39]
	;; [unrolled: 1-line block ×8, first 2 shown]
	s_movk_i32 s40, 0x1f8
	v_cmp_neq_f64_e64 s[38:39], v[148:149], v[6:7]
	v_cmp_class_f64_e64 s[40:41], v[148:149], s40
	s_or_b64 s[38:39], s[38:39], s[40:41]
	s_and_saveexec_b64 s[46:47], s[38:39]
	s_cbranch_execz .LBB30_306
; %bb.305:
	s_mov_b32 s38, 0x652b82fe
	v_add_f64 v[146:147], v[148:149], -v[6:7]
	s_mov_b32 s39, 0x3ff71547
	v_mul_f64 v[148:149], v[146:147], s[38:39]
	v_rndne_f64_e32 v[148:149], v[148:149]
	s_mov_b32 s49, 0xbfe62e42
	s_mov_b32 s48, 0xfefa39ef
	v_fma_f64 v[160:161], s[48:49], v[148:149], v[146:147]
	s_mov_b32 s51, 0xbc7abc9e
	s_mov_b32 s50, 0x3b39803f
	;; [unrolled: 1-line block ×3, first 2 shown]
	v_fmac_f64_e32 v[160:161], s[50:51], v[148:149]
	v_mov_b32_e32 v162, 0xfca7ab0c
	v_mov_b32_e32 v163, 0x3e928af3
	s_mov_b32 s39, 0x3e5ade15
	v_fmac_f64_e32 v[162:163], s[38:39], v[160:161]
	v_mov_b32_e32 v164, 0x623fde64
	v_mov_b32_e32 v165, 0x3ec71dee
	v_fmac_f64_e32 v[164:165], v[160:161], v[162:163]
	v_mov_b32_e32 v162, 0x7c89e6b0
	v_mov_b32_e32 v163, 0x3efa0199
	;; [unrolled: 3-line block ×8, first 2 shown]
	v_fmac_f64_e32 v[162:163], v[160:161], v[164:165]
	v_fma_f64 v[162:163], v[160:161], v[162:163], 1.0
	s_mov_b32 s38, 0
	s_mov_b32 s40, 0
	v_fma_f64 v[160:161], v[160:161], v[162:163], 1.0
	v_cvt_i32_f64_e32 v148, v[148:149]
	s_mov_b32 s39, 0x40900000
	s_mov_b32 s41, 0xc090cc00
	v_ldexp_f64 v[148:149], v[160:161], v148
	v_mov_b32_e32 v151, 0x7ff00000
	v_cmp_nlt_f64_e64 s[38:39], s[38:39], v[146:147]
	v_cmp_ngt_f64_e64 s[40:41], s[40:41], v[146:147]
	s_mov_b32 s49, 0x3fe62e42
	v_cndmask_b32_e64 v149, v151, v149, s[38:39]
	s_and_b64 s[38:39], s[40:41], s[38:39]
	v_cndmask_b32_e64 v147, 0, v149, s[40:41]
	v_cndmask_b32_e64 v146, 0, v148, s[38:39]
	v_add_f64 v[148:149], v[146:147], 1.0
	v_add_f64 v[160:161], v[148:149], -1.0
	v_add_f64 v[162:163], v[160:161], -v[148:149]
	v_add_f64 v[162:163], v[162:163], 1.0
	v_add_f64 v[160:161], v[146:147], -v[160:161]
	s_mov_b32 s38, 0x55555555
	v_add_f64 v[160:161], v[160:161], v[162:163]
	v_frexp_mant_f64_e32 v[162:163], v[148:149]
	s_mov_b32 s39, 0x3fe55555
	v_frexp_exp_i32_f64_e32 v151, v[148:149]
	v_cmp_gt_f64_e64 s[38:39], s[38:39], v[162:163]
	s_mov_b32 s51, 0x3c7abc9e
	s_nop 0
	v_subbrev_co_u32_e64 v151, s[38:39], 0, v151, s[38:39]
	v_sub_u32_e32 v162, 0, v151
	v_ldexp_f64 v[148:149], v[148:149], v162
	v_ldexp_f64 v[160:161], v[160:161], v162
	v_add_f64 v[162:163], v[148:149], -1.0
	v_add_f64 v[176:177], v[148:149], 1.0
	v_add_f64 v[164:165], v[162:163], 1.0
	v_add_f64 v[178:179], v[176:177], -1.0
	v_add_f64 v[164:165], v[148:149], -v[164:165]
	v_add_f64 v[148:149], v[148:149], -v[178:179]
	v_add_f64 v[148:149], v[160:161], v[148:149]
	v_add_f64 v[164:165], v[160:161], v[164:165]
	;; [unrolled: 1-line block ×3, first 2 shown]
	v_rcp_f64_e32 v[178:179], v[160:161]
	v_add_f64 v[166:167], v[162:163], v[164:165]
	v_add_f64 v[162:163], v[166:167], -v[162:163]
	v_add_f64 v[162:163], v[164:165], -v[162:163]
	;; [unrolled: 1-line block ×4, first 2 shown]
	v_fma_f64 v[164:165], -v[160:161], v[178:179], 1.0
	v_fmac_f64_e32 v[178:179], v[164:165], v[178:179]
	v_fma_f64 v[164:165], -v[160:161], v[178:179], 1.0
	v_fmac_f64_e32 v[178:179], v[164:165], v[178:179]
	v_mul_f64 v[164:165], v[166:167], v[178:179]
	v_mul_f64 v[176:177], v[160:161], v[164:165]
	v_fma_f64 v[180:181], v[164:165], v[160:161], -v[176:177]
	v_fmac_f64_e32 v[180:181], v[164:165], v[148:149]
	v_add_f64 v[182:183], v[176:177], v[180:181]
	v_add_f64 v[192:193], v[166:167], -v[182:183]
	v_add_f64 v[166:167], v[166:167], -v[192:193]
	;; [unrolled: 1-line block ×4, first 2 shown]
	v_add_f64 v[162:163], v[162:163], v[166:167]
	v_add_f64 v[166:167], v[176:177], -v[180:181]
	v_add_f64 v[162:163], v[166:167], v[162:163]
	v_add_f64 v[166:167], v[192:193], v[162:163]
	v_add_f64 v[176:177], v[192:193], -v[166:167]
	v_add_f64 v[162:163], v[162:163], v[176:177]
	v_mul_f64 v[176:177], v[178:179], v[166:167]
	v_mul_f64 v[180:181], v[160:161], v[176:177]
	v_fma_f64 v[160:161], v[176:177], v[160:161], -v[180:181]
	v_fmac_f64_e32 v[160:161], v[176:177], v[148:149]
	v_add_f64 v[148:149], v[180:181], v[160:161]
	v_add_f64 v[182:183], v[166:167], -v[148:149]
	v_add_f64 v[166:167], v[166:167], -v[182:183]
	;; [unrolled: 1-line block ×4, first 2 shown]
	v_add_f64 v[148:149], v[162:163], v[148:149]
	v_add_f64 v[160:161], v[180:181], -v[160:161]
	v_add_f64 v[148:149], v[160:161], v[148:149]
	v_add_f64 v[160:161], v[164:165], v[176:177]
	;; [unrolled: 1-line block ×3, first 2 shown]
	v_add_f64 v[162:163], v[160:161], -v[164:165]
	v_mul_f64 v[148:149], v[178:179], v[148:149]
	v_add_f64 v[162:163], v[176:177], -v[162:163]
	v_add_f64 v[148:149], v[162:163], v[148:149]
	v_add_f64 v[162:163], v[160:161], v[148:149]
	v_add_f64 v[160:161], v[162:163], -v[160:161]
	s_mov_b32 s38, 0xbf559e2b
	v_add_f64 v[148:149], v[148:149], -v[160:161]
	v_mul_f64 v[160:161], v[162:163], v[162:163]
	v_mov_b32_e32 v164, 0x6b47b09a
	v_mov_b32_e32 v165, 0x3fc38538
	s_mov_b32 s39, 0x3fc3ab76
	v_fmac_f64_e32 v[164:165], s[38:39], v[160:161]
	v_mov_b32_e32 v166, 0xd7f4df2e
	v_mov_b32_e32 v167, 0x3fc7474d
	v_fmac_f64_e32 v[166:167], v[160:161], v[164:165]
	v_mov_b32_e32 v164, 0x16291751
	v_mov_b32_e32 v165, 0x3fcc71c0
	;; [unrolled: 3-line block ×5, first 2 shown]
	v_fmac_f64_e32 v[166:167], v[160:161], v[164:165]
	v_cvt_f64_i32_e32 v[164:165], v151
	v_mul_f64 v[176:177], v[164:165], s[48:49]
	v_fma_f64 v[178:179], v[164:165], s[48:49], -v[176:177]
	v_fmac_f64_e32 v[178:179], s[50:51], v[164:165]
	v_add_f64 v[164:165], v[176:177], v[178:179]
	v_add_f64 v[176:177], v[164:165], -v[176:177]
	v_mul_f64 v[160:161], v[162:163], v[160:161]
	v_add_f64 v[176:177], v[178:179], -v[176:177]
	v_ldexp_f64 v[178:179], v[162:163], 1
	v_mul_f64 v[160:161], v[160:161], v[166:167]
	v_add_f64 v[162:163], v[178:179], v[160:161]
	v_add_f64 v[166:167], v[162:163], -v[178:179]
	v_ldexp_f64 v[148:149], v[148:149], 1
	v_add_f64 v[160:161], v[160:161], -v[166:167]
	v_add_f64 v[148:149], v[148:149], v[160:161]
	v_add_f64 v[160:161], v[162:163], v[148:149]
	v_add_f64 v[162:163], v[160:161], -v[162:163]
	v_add_f64 v[148:149], v[148:149], -v[162:163]
	v_add_f64 v[162:163], v[164:165], v[160:161]
	v_add_f64 v[166:167], v[162:163], -v[164:165]
	v_add_f64 v[178:179], v[162:163], -v[166:167]
	;; [unrolled: 1-line block ×4, first 2 shown]
	v_add_f64 v[160:161], v[160:161], v[164:165]
	v_add_f64 v[164:165], v[176:177], v[148:149]
	v_add_f64 v[166:167], v[164:165], -v[176:177]
	v_add_f64 v[160:161], v[164:165], v[160:161]
	v_add_f64 v[178:179], v[164:165], -v[166:167]
	;; [unrolled: 2-line block ×3, first 2 shown]
	v_add_f64 v[148:149], v[148:149], -v[166:167]
	v_add_f64 v[162:163], v[164:165], -v[162:163]
	v_add_f64 v[148:149], v[148:149], v[176:177]
	v_add_f64 v[160:161], v[160:161], -v[162:163]
	s_mov_b32 s38, 0
	v_add_f64 v[148:149], v[148:149], v[160:161]
	s_mov_b32 s39, 0x7ff00000
	v_add_f64 v[148:149], v[164:165], v[148:149]
	v_cmp_eq_f64_e64 s[38:39], s[38:39], v[146:147]
	v_mov_b32_e32 v151, 0x7ff80000
	s_nop 0
	v_cndmask_b32_e64 v148, v148, v146, s[38:39]
	v_cndmask_b32_e64 v149, v149, v147, s[38:39]
	v_cmp_ngt_f64_e64 s[38:39], -1.0, v[146:147]
	s_nop 1
	v_cndmask_b32_e64 v149, v151, v149, s[38:39]
	v_cmp_nge_f64_e64 s[38:39], -1.0, v[146:147]
	v_mov_b32_e32 v151, 0xfff00000
	s_nop 0
	v_cndmask_b32_e64 v148, 0, v148, s[38:39]
	v_cmp_neq_f64_e64 s[38:39], -1.0, v[146:147]
	s_nop 1
	v_cndmask_b32_e64 v149, v151, v149, s[38:39]
	v_add_f64 v[146:147], v[6:7], v[148:149]
.LBB30_306:
	s_or_b64 exec, exec, s[46:47]
	v_mov_b32_e32 v148, v146
	v_mov_b32_e32 v149, v147
	v_mov_b64_e32 v[6:7], v[146:147]
.LBB30_307:
	s_or_b64 exec, exec, s[44:45]
	v_mov_b32_dpp v146, v148 row_shr:2 row_mask:0xf bank_mask:0xf
	v_mov_b32_dpp v147, v149 row_shr:2 row_mask:0xf bank_mask:0xf
	v_cmp_lt_u32_e64 s[38:39], 1, v150
	s_and_saveexec_b64 s[44:45], s[38:39]
	s_cbranch_execz .LBB30_311
; %bb.308:
	v_max_f64 v[160:161], v[146:147], v[146:147]
	v_max_f64 v[162:163], v[6:7], v[6:7]
	v_min_f64 v[148:149], v[160:161], v[162:163]
	v_cmp_u_f64_e64 s[38:39], v[146:147], v[146:147]
	v_max_f64 v[160:161], v[160:161], v[162:163]
	v_cmp_u_f64_e64 s[40:41], v[6:7], v[6:7]
	v_cndmask_b32_e64 v148, v148, v146, s[38:39]
	v_cndmask_b32_e64 v149, v149, v147, s[38:39]
	v_cndmask_b32_e64 v151, v160, v146, s[38:39]
	v_cndmask_b32_e64 v160, v161, v147, s[38:39]
	v_cndmask_b32_e64 v149, v149, v7, s[40:41]
	v_cndmask_b32_e64 v148, v148, v6, s[40:41]
	v_cndmask_b32_e64 v7, v160, v7, s[40:41]
	v_cndmask_b32_e64 v6, v151, v6, s[40:41]
	s_movk_i32 s40, 0x1f8
	v_cmp_neq_f64_e64 s[38:39], v[148:149], v[6:7]
	v_cmp_class_f64_e64 s[40:41], v[148:149], s40
	s_or_b64 s[38:39], s[38:39], s[40:41]
	s_and_saveexec_b64 s[46:47], s[38:39]
	s_cbranch_execz .LBB30_310
; %bb.309:
	s_mov_b32 s38, 0x652b82fe
	v_add_f64 v[146:147], v[148:149], -v[6:7]
	s_mov_b32 s39, 0x3ff71547
	v_mul_f64 v[148:149], v[146:147], s[38:39]
	v_rndne_f64_e32 v[148:149], v[148:149]
	s_mov_b32 s49, 0xbfe62e42
	s_mov_b32 s48, 0xfefa39ef
	v_fma_f64 v[160:161], s[48:49], v[148:149], v[146:147]
	s_mov_b32 s51, 0xbc7abc9e
	s_mov_b32 s50, 0x3b39803f
	;; [unrolled: 1-line block ×3, first 2 shown]
	v_fmac_f64_e32 v[160:161], s[50:51], v[148:149]
	v_mov_b32_e32 v162, 0xfca7ab0c
	v_mov_b32_e32 v163, 0x3e928af3
	s_mov_b32 s39, 0x3e5ade15
	v_fmac_f64_e32 v[162:163], s[38:39], v[160:161]
	v_mov_b32_e32 v164, 0x623fde64
	v_mov_b32_e32 v165, 0x3ec71dee
	v_fmac_f64_e32 v[164:165], v[160:161], v[162:163]
	v_mov_b32_e32 v162, 0x7c89e6b0
	v_mov_b32_e32 v163, 0x3efa0199
	;; [unrolled: 3-line block ×8, first 2 shown]
	v_fmac_f64_e32 v[162:163], v[160:161], v[164:165]
	v_fma_f64 v[162:163], v[160:161], v[162:163], 1.0
	s_mov_b32 s38, 0
	s_mov_b32 s40, 0
	v_fma_f64 v[160:161], v[160:161], v[162:163], 1.0
	v_cvt_i32_f64_e32 v148, v[148:149]
	s_mov_b32 s39, 0x40900000
	s_mov_b32 s41, 0xc090cc00
	v_ldexp_f64 v[148:149], v[160:161], v148
	v_mov_b32_e32 v151, 0x7ff00000
	v_cmp_nlt_f64_e64 s[38:39], s[38:39], v[146:147]
	v_cmp_ngt_f64_e64 s[40:41], s[40:41], v[146:147]
	s_mov_b32 s49, 0x3fe62e42
	v_cndmask_b32_e64 v149, v151, v149, s[38:39]
	s_and_b64 s[38:39], s[40:41], s[38:39]
	v_cndmask_b32_e64 v147, 0, v149, s[40:41]
	v_cndmask_b32_e64 v146, 0, v148, s[38:39]
	v_add_f64 v[148:149], v[146:147], 1.0
	v_add_f64 v[160:161], v[148:149], -1.0
	v_add_f64 v[162:163], v[160:161], -v[148:149]
	v_add_f64 v[162:163], v[162:163], 1.0
	v_add_f64 v[160:161], v[146:147], -v[160:161]
	s_mov_b32 s38, 0x55555555
	v_add_f64 v[160:161], v[160:161], v[162:163]
	v_frexp_mant_f64_e32 v[162:163], v[148:149]
	s_mov_b32 s39, 0x3fe55555
	v_frexp_exp_i32_f64_e32 v151, v[148:149]
	v_cmp_gt_f64_e64 s[38:39], s[38:39], v[162:163]
	s_mov_b32 s51, 0x3c7abc9e
	s_nop 0
	v_subbrev_co_u32_e64 v151, s[38:39], 0, v151, s[38:39]
	v_sub_u32_e32 v162, 0, v151
	v_ldexp_f64 v[148:149], v[148:149], v162
	v_ldexp_f64 v[160:161], v[160:161], v162
	v_add_f64 v[162:163], v[148:149], -1.0
	v_add_f64 v[176:177], v[148:149], 1.0
	v_add_f64 v[164:165], v[162:163], 1.0
	v_add_f64 v[178:179], v[176:177], -1.0
	v_add_f64 v[164:165], v[148:149], -v[164:165]
	v_add_f64 v[148:149], v[148:149], -v[178:179]
	v_add_f64 v[148:149], v[160:161], v[148:149]
	v_add_f64 v[164:165], v[160:161], v[164:165]
	v_add_f64 v[160:161], v[176:177], v[148:149]
	v_rcp_f64_e32 v[178:179], v[160:161]
	v_add_f64 v[166:167], v[162:163], v[164:165]
	v_add_f64 v[162:163], v[166:167], -v[162:163]
	v_add_f64 v[162:163], v[164:165], -v[162:163]
	;; [unrolled: 1-line block ×4, first 2 shown]
	v_fma_f64 v[164:165], -v[160:161], v[178:179], 1.0
	v_fmac_f64_e32 v[178:179], v[164:165], v[178:179]
	v_fma_f64 v[164:165], -v[160:161], v[178:179], 1.0
	v_fmac_f64_e32 v[178:179], v[164:165], v[178:179]
	v_mul_f64 v[164:165], v[166:167], v[178:179]
	v_mul_f64 v[176:177], v[160:161], v[164:165]
	v_fma_f64 v[180:181], v[164:165], v[160:161], -v[176:177]
	v_fmac_f64_e32 v[180:181], v[164:165], v[148:149]
	v_add_f64 v[182:183], v[176:177], v[180:181]
	v_add_f64 v[192:193], v[166:167], -v[182:183]
	v_add_f64 v[166:167], v[166:167], -v[192:193]
	;; [unrolled: 1-line block ×4, first 2 shown]
	v_add_f64 v[162:163], v[162:163], v[166:167]
	v_add_f64 v[166:167], v[176:177], -v[180:181]
	v_add_f64 v[162:163], v[166:167], v[162:163]
	v_add_f64 v[166:167], v[192:193], v[162:163]
	v_add_f64 v[176:177], v[192:193], -v[166:167]
	v_add_f64 v[162:163], v[162:163], v[176:177]
	v_mul_f64 v[176:177], v[178:179], v[166:167]
	v_mul_f64 v[180:181], v[160:161], v[176:177]
	v_fma_f64 v[160:161], v[176:177], v[160:161], -v[180:181]
	v_fmac_f64_e32 v[160:161], v[176:177], v[148:149]
	v_add_f64 v[148:149], v[180:181], v[160:161]
	v_add_f64 v[182:183], v[166:167], -v[148:149]
	v_add_f64 v[166:167], v[166:167], -v[182:183]
	;; [unrolled: 1-line block ×4, first 2 shown]
	v_add_f64 v[148:149], v[162:163], v[148:149]
	v_add_f64 v[160:161], v[180:181], -v[160:161]
	v_add_f64 v[148:149], v[160:161], v[148:149]
	v_add_f64 v[160:161], v[164:165], v[176:177]
	;; [unrolled: 1-line block ×3, first 2 shown]
	v_add_f64 v[162:163], v[160:161], -v[164:165]
	v_mul_f64 v[148:149], v[178:179], v[148:149]
	v_add_f64 v[162:163], v[176:177], -v[162:163]
	v_add_f64 v[148:149], v[162:163], v[148:149]
	v_add_f64 v[162:163], v[160:161], v[148:149]
	v_add_f64 v[160:161], v[162:163], -v[160:161]
	s_mov_b32 s38, 0xbf559e2b
	v_add_f64 v[148:149], v[148:149], -v[160:161]
	v_mul_f64 v[160:161], v[162:163], v[162:163]
	v_mov_b32_e32 v164, 0x6b47b09a
	v_mov_b32_e32 v165, 0x3fc38538
	s_mov_b32 s39, 0x3fc3ab76
	v_fmac_f64_e32 v[164:165], s[38:39], v[160:161]
	v_mov_b32_e32 v166, 0xd7f4df2e
	v_mov_b32_e32 v167, 0x3fc7474d
	v_fmac_f64_e32 v[166:167], v[160:161], v[164:165]
	v_mov_b32_e32 v164, 0x16291751
	v_mov_b32_e32 v165, 0x3fcc71c0
	;; [unrolled: 3-line block ×5, first 2 shown]
	v_fmac_f64_e32 v[166:167], v[160:161], v[164:165]
	v_cvt_f64_i32_e32 v[164:165], v151
	v_mul_f64 v[176:177], v[164:165], s[48:49]
	v_fma_f64 v[178:179], v[164:165], s[48:49], -v[176:177]
	v_fmac_f64_e32 v[178:179], s[50:51], v[164:165]
	v_add_f64 v[164:165], v[176:177], v[178:179]
	v_add_f64 v[176:177], v[164:165], -v[176:177]
	v_mul_f64 v[160:161], v[162:163], v[160:161]
	v_add_f64 v[176:177], v[178:179], -v[176:177]
	v_ldexp_f64 v[178:179], v[162:163], 1
	v_mul_f64 v[160:161], v[160:161], v[166:167]
	v_add_f64 v[162:163], v[178:179], v[160:161]
	v_add_f64 v[166:167], v[162:163], -v[178:179]
	v_ldexp_f64 v[148:149], v[148:149], 1
	v_add_f64 v[160:161], v[160:161], -v[166:167]
	v_add_f64 v[148:149], v[148:149], v[160:161]
	v_add_f64 v[160:161], v[162:163], v[148:149]
	v_add_f64 v[162:163], v[160:161], -v[162:163]
	v_add_f64 v[148:149], v[148:149], -v[162:163]
	v_add_f64 v[162:163], v[164:165], v[160:161]
	v_add_f64 v[166:167], v[162:163], -v[164:165]
	v_add_f64 v[178:179], v[162:163], -v[166:167]
	;; [unrolled: 1-line block ×4, first 2 shown]
	v_add_f64 v[160:161], v[160:161], v[164:165]
	v_add_f64 v[164:165], v[176:177], v[148:149]
	v_add_f64 v[166:167], v[164:165], -v[176:177]
	v_add_f64 v[160:161], v[164:165], v[160:161]
	v_add_f64 v[178:179], v[164:165], -v[166:167]
	;; [unrolled: 2-line block ×3, first 2 shown]
	v_add_f64 v[148:149], v[148:149], -v[166:167]
	v_add_f64 v[162:163], v[164:165], -v[162:163]
	v_add_f64 v[148:149], v[148:149], v[176:177]
	v_add_f64 v[160:161], v[160:161], -v[162:163]
	s_mov_b32 s38, 0
	v_add_f64 v[148:149], v[148:149], v[160:161]
	s_mov_b32 s39, 0x7ff00000
	v_add_f64 v[148:149], v[164:165], v[148:149]
	v_cmp_eq_f64_e64 s[38:39], s[38:39], v[146:147]
	v_mov_b32_e32 v151, 0x7ff80000
	s_nop 0
	v_cndmask_b32_e64 v148, v148, v146, s[38:39]
	v_cndmask_b32_e64 v149, v149, v147, s[38:39]
	v_cmp_ngt_f64_e64 s[38:39], -1.0, v[146:147]
	s_nop 1
	v_cndmask_b32_e64 v149, v151, v149, s[38:39]
	v_cmp_nge_f64_e64 s[38:39], -1.0, v[146:147]
	v_mov_b32_e32 v151, 0xfff00000
	s_nop 0
	v_cndmask_b32_e64 v148, 0, v148, s[38:39]
	v_cmp_neq_f64_e64 s[38:39], -1.0, v[146:147]
	s_nop 1
	v_cndmask_b32_e64 v149, v151, v149, s[38:39]
	v_add_f64 v[146:147], v[6:7], v[148:149]
.LBB30_310:
	s_or_b64 exec, exec, s[46:47]
	v_mov_b64_e32 v[6:7], v[146:147]
	v_mov_b32_e32 v148, v146
	v_mov_b32_e32 v149, v147
.LBB30_311:
	s_or_b64 exec, exec, s[44:45]
	v_mov_b32_dpp v146, v148 row_shr:4 row_mask:0xf bank_mask:0xf
	v_mov_b32_dpp v147, v149 row_shr:4 row_mask:0xf bank_mask:0xf
	v_cmp_lt_u32_e64 s[38:39], 3, v150
	s_and_saveexec_b64 s[44:45], s[38:39]
	s_cbranch_execz .LBB30_315
; %bb.312:
	v_max_f64 v[160:161], v[146:147], v[146:147]
	v_max_f64 v[162:163], v[6:7], v[6:7]
	v_min_f64 v[148:149], v[160:161], v[162:163]
	v_cmp_u_f64_e64 s[38:39], v[146:147], v[146:147]
	v_max_f64 v[160:161], v[160:161], v[162:163]
	v_cmp_u_f64_e64 s[40:41], v[6:7], v[6:7]
	v_cndmask_b32_e64 v148, v148, v146, s[38:39]
	v_cndmask_b32_e64 v149, v149, v147, s[38:39]
	;; [unrolled: 1-line block ×8, first 2 shown]
	s_movk_i32 s40, 0x1f8
	v_cmp_neq_f64_e64 s[38:39], v[148:149], v[6:7]
	v_cmp_class_f64_e64 s[40:41], v[148:149], s40
	s_or_b64 s[38:39], s[38:39], s[40:41]
	s_and_saveexec_b64 s[46:47], s[38:39]
	s_cbranch_execz .LBB30_314
; %bb.313:
	s_mov_b32 s38, 0x652b82fe
	v_add_f64 v[146:147], v[148:149], -v[6:7]
	s_mov_b32 s39, 0x3ff71547
	v_mul_f64 v[148:149], v[146:147], s[38:39]
	v_rndne_f64_e32 v[148:149], v[148:149]
	s_mov_b32 s49, 0xbfe62e42
	s_mov_b32 s48, 0xfefa39ef
	v_fma_f64 v[160:161], s[48:49], v[148:149], v[146:147]
	s_mov_b32 s51, 0xbc7abc9e
	s_mov_b32 s50, 0x3b39803f
	;; [unrolled: 1-line block ×3, first 2 shown]
	v_fmac_f64_e32 v[160:161], s[50:51], v[148:149]
	v_mov_b32_e32 v162, 0xfca7ab0c
	v_mov_b32_e32 v163, 0x3e928af3
	s_mov_b32 s39, 0x3e5ade15
	v_fmac_f64_e32 v[162:163], s[38:39], v[160:161]
	v_mov_b32_e32 v164, 0x623fde64
	v_mov_b32_e32 v165, 0x3ec71dee
	v_fmac_f64_e32 v[164:165], v[160:161], v[162:163]
	v_mov_b32_e32 v162, 0x7c89e6b0
	v_mov_b32_e32 v163, 0x3efa0199
	;; [unrolled: 3-line block ×8, first 2 shown]
	v_fmac_f64_e32 v[162:163], v[160:161], v[164:165]
	v_fma_f64 v[162:163], v[160:161], v[162:163], 1.0
	s_mov_b32 s38, 0
	s_mov_b32 s40, 0
	v_fma_f64 v[160:161], v[160:161], v[162:163], 1.0
	v_cvt_i32_f64_e32 v148, v[148:149]
	s_mov_b32 s39, 0x40900000
	s_mov_b32 s41, 0xc090cc00
	v_ldexp_f64 v[148:149], v[160:161], v148
	v_mov_b32_e32 v151, 0x7ff00000
	v_cmp_nlt_f64_e64 s[38:39], s[38:39], v[146:147]
	v_cmp_ngt_f64_e64 s[40:41], s[40:41], v[146:147]
	s_mov_b32 s49, 0x3fe62e42
	v_cndmask_b32_e64 v149, v151, v149, s[38:39]
	s_and_b64 s[38:39], s[40:41], s[38:39]
	v_cndmask_b32_e64 v147, 0, v149, s[40:41]
	v_cndmask_b32_e64 v146, 0, v148, s[38:39]
	v_add_f64 v[148:149], v[146:147], 1.0
	v_add_f64 v[160:161], v[148:149], -1.0
	v_add_f64 v[162:163], v[160:161], -v[148:149]
	v_add_f64 v[162:163], v[162:163], 1.0
	v_add_f64 v[160:161], v[146:147], -v[160:161]
	s_mov_b32 s38, 0x55555555
	v_add_f64 v[160:161], v[160:161], v[162:163]
	v_frexp_mant_f64_e32 v[162:163], v[148:149]
	s_mov_b32 s39, 0x3fe55555
	v_frexp_exp_i32_f64_e32 v151, v[148:149]
	v_cmp_gt_f64_e64 s[38:39], s[38:39], v[162:163]
	s_mov_b32 s51, 0x3c7abc9e
	s_nop 0
	v_subbrev_co_u32_e64 v151, s[38:39], 0, v151, s[38:39]
	v_sub_u32_e32 v162, 0, v151
	v_ldexp_f64 v[148:149], v[148:149], v162
	v_ldexp_f64 v[160:161], v[160:161], v162
	v_add_f64 v[162:163], v[148:149], -1.0
	v_add_f64 v[176:177], v[148:149], 1.0
	v_add_f64 v[164:165], v[162:163], 1.0
	v_add_f64 v[178:179], v[176:177], -1.0
	v_add_f64 v[164:165], v[148:149], -v[164:165]
	v_add_f64 v[148:149], v[148:149], -v[178:179]
	v_add_f64 v[148:149], v[160:161], v[148:149]
	v_add_f64 v[164:165], v[160:161], v[164:165]
	;; [unrolled: 1-line block ×3, first 2 shown]
	v_rcp_f64_e32 v[178:179], v[160:161]
	v_add_f64 v[166:167], v[162:163], v[164:165]
	v_add_f64 v[162:163], v[166:167], -v[162:163]
	v_add_f64 v[162:163], v[164:165], -v[162:163]
	;; [unrolled: 1-line block ×4, first 2 shown]
	v_fma_f64 v[164:165], -v[160:161], v[178:179], 1.0
	v_fmac_f64_e32 v[178:179], v[164:165], v[178:179]
	v_fma_f64 v[164:165], -v[160:161], v[178:179], 1.0
	v_fmac_f64_e32 v[178:179], v[164:165], v[178:179]
	v_mul_f64 v[164:165], v[166:167], v[178:179]
	v_mul_f64 v[176:177], v[160:161], v[164:165]
	v_fma_f64 v[180:181], v[164:165], v[160:161], -v[176:177]
	v_fmac_f64_e32 v[180:181], v[164:165], v[148:149]
	v_add_f64 v[182:183], v[176:177], v[180:181]
	v_add_f64 v[192:193], v[166:167], -v[182:183]
	v_add_f64 v[166:167], v[166:167], -v[192:193]
	;; [unrolled: 1-line block ×4, first 2 shown]
	v_add_f64 v[162:163], v[162:163], v[166:167]
	v_add_f64 v[166:167], v[176:177], -v[180:181]
	v_add_f64 v[162:163], v[166:167], v[162:163]
	v_add_f64 v[166:167], v[192:193], v[162:163]
	v_add_f64 v[176:177], v[192:193], -v[166:167]
	v_add_f64 v[162:163], v[162:163], v[176:177]
	v_mul_f64 v[176:177], v[178:179], v[166:167]
	v_mul_f64 v[180:181], v[160:161], v[176:177]
	v_fma_f64 v[160:161], v[176:177], v[160:161], -v[180:181]
	v_fmac_f64_e32 v[160:161], v[176:177], v[148:149]
	v_add_f64 v[148:149], v[180:181], v[160:161]
	v_add_f64 v[182:183], v[166:167], -v[148:149]
	v_add_f64 v[166:167], v[166:167], -v[182:183]
	;; [unrolled: 1-line block ×4, first 2 shown]
	v_add_f64 v[148:149], v[162:163], v[148:149]
	v_add_f64 v[160:161], v[180:181], -v[160:161]
	v_add_f64 v[148:149], v[160:161], v[148:149]
	v_add_f64 v[160:161], v[164:165], v[176:177]
	v_add_f64 v[148:149], v[182:183], v[148:149]
	v_add_f64 v[162:163], v[160:161], -v[164:165]
	v_mul_f64 v[148:149], v[178:179], v[148:149]
	v_add_f64 v[162:163], v[176:177], -v[162:163]
	v_add_f64 v[148:149], v[162:163], v[148:149]
	v_add_f64 v[162:163], v[160:161], v[148:149]
	v_add_f64 v[160:161], v[162:163], -v[160:161]
	s_mov_b32 s38, 0xbf559e2b
	v_add_f64 v[148:149], v[148:149], -v[160:161]
	v_mul_f64 v[160:161], v[162:163], v[162:163]
	v_mov_b32_e32 v164, 0x6b47b09a
	v_mov_b32_e32 v165, 0x3fc38538
	s_mov_b32 s39, 0x3fc3ab76
	v_fmac_f64_e32 v[164:165], s[38:39], v[160:161]
	v_mov_b32_e32 v166, 0xd7f4df2e
	v_mov_b32_e32 v167, 0x3fc7474d
	v_fmac_f64_e32 v[166:167], v[160:161], v[164:165]
	v_mov_b32_e32 v164, 0x16291751
	v_mov_b32_e32 v165, 0x3fcc71c0
	v_fmac_f64_e32 v[164:165], v[160:161], v[166:167]
	v_mov_b32_e32 v166, 0x9b27acf1
	v_mov_b32_e32 v167, 0x3fd24924
	v_fmac_f64_e32 v[166:167], v[160:161], v[164:165]
	v_mov_b32_e32 v164, 0x998ef7b6
	v_mov_b32_e32 v165, 0x3fd99999
	v_fmac_f64_e32 v[164:165], v[160:161], v[166:167]
	v_mov_b32_e32 v166, 0x55555780
	v_mov_b32_e32 v167, 0x3fe55555
	v_fmac_f64_e32 v[166:167], v[160:161], v[164:165]
	v_cvt_f64_i32_e32 v[164:165], v151
	v_mul_f64 v[176:177], v[164:165], s[48:49]
	v_fma_f64 v[178:179], v[164:165], s[48:49], -v[176:177]
	v_fmac_f64_e32 v[178:179], s[50:51], v[164:165]
	v_add_f64 v[164:165], v[176:177], v[178:179]
	v_add_f64 v[176:177], v[164:165], -v[176:177]
	v_mul_f64 v[160:161], v[162:163], v[160:161]
	v_add_f64 v[176:177], v[178:179], -v[176:177]
	v_ldexp_f64 v[178:179], v[162:163], 1
	v_mul_f64 v[160:161], v[160:161], v[166:167]
	v_add_f64 v[162:163], v[178:179], v[160:161]
	v_add_f64 v[166:167], v[162:163], -v[178:179]
	v_ldexp_f64 v[148:149], v[148:149], 1
	v_add_f64 v[160:161], v[160:161], -v[166:167]
	v_add_f64 v[148:149], v[148:149], v[160:161]
	v_add_f64 v[160:161], v[162:163], v[148:149]
	v_add_f64 v[162:163], v[160:161], -v[162:163]
	v_add_f64 v[148:149], v[148:149], -v[162:163]
	v_add_f64 v[162:163], v[164:165], v[160:161]
	v_add_f64 v[166:167], v[162:163], -v[164:165]
	v_add_f64 v[178:179], v[162:163], -v[166:167]
	;; [unrolled: 1-line block ×4, first 2 shown]
	v_add_f64 v[160:161], v[160:161], v[164:165]
	v_add_f64 v[164:165], v[176:177], v[148:149]
	v_add_f64 v[166:167], v[164:165], -v[176:177]
	v_add_f64 v[160:161], v[164:165], v[160:161]
	v_add_f64 v[178:179], v[164:165], -v[166:167]
	;; [unrolled: 2-line block ×3, first 2 shown]
	v_add_f64 v[148:149], v[148:149], -v[166:167]
	v_add_f64 v[162:163], v[164:165], -v[162:163]
	v_add_f64 v[148:149], v[148:149], v[176:177]
	v_add_f64 v[160:161], v[160:161], -v[162:163]
	s_mov_b32 s38, 0
	v_add_f64 v[148:149], v[148:149], v[160:161]
	s_mov_b32 s39, 0x7ff00000
	v_add_f64 v[148:149], v[164:165], v[148:149]
	v_cmp_eq_f64_e64 s[38:39], s[38:39], v[146:147]
	v_mov_b32_e32 v151, 0x7ff80000
	s_nop 0
	v_cndmask_b32_e64 v148, v148, v146, s[38:39]
	v_cndmask_b32_e64 v149, v149, v147, s[38:39]
	v_cmp_ngt_f64_e64 s[38:39], -1.0, v[146:147]
	s_nop 1
	v_cndmask_b32_e64 v149, v151, v149, s[38:39]
	v_cmp_nge_f64_e64 s[38:39], -1.0, v[146:147]
	v_mov_b32_e32 v151, 0xfff00000
	s_nop 0
	v_cndmask_b32_e64 v148, 0, v148, s[38:39]
	v_cmp_neq_f64_e64 s[38:39], -1.0, v[146:147]
	s_nop 1
	v_cndmask_b32_e64 v149, v151, v149, s[38:39]
	v_add_f64 v[146:147], v[6:7], v[148:149]
.LBB30_314:
	s_or_b64 exec, exec, s[46:47]
	v_mov_b64_e32 v[6:7], v[146:147]
	v_mov_b32_e32 v148, v146
	v_mov_b32_e32 v149, v147
.LBB30_315:
	s_or_b64 exec, exec, s[44:45]
	v_mov_b32_dpp v146, v148 row_shr:8 row_mask:0xf bank_mask:0xf
	v_mov_b32_dpp v147, v149 row_shr:8 row_mask:0xf bank_mask:0xf
	v_cmp_lt_u32_e64 s[38:39], 7, v150
	s_and_saveexec_b64 s[44:45], s[38:39]
	s_cbranch_execz .LBB30_319
; %bb.316:
	v_max_f64 v[150:151], v[146:147], v[146:147]
	v_max_f64 v[160:161], v[6:7], v[6:7]
	v_min_f64 v[148:149], v[150:151], v[160:161]
	v_cmp_u_f64_e64 s[38:39], v[146:147], v[146:147]
	v_max_f64 v[150:151], v[150:151], v[160:161]
	v_cmp_u_f64_e64 s[40:41], v[6:7], v[6:7]
	v_cndmask_b32_e64 v148, v148, v146, s[38:39]
	v_cndmask_b32_e64 v149, v149, v147, s[38:39]
	v_cndmask_b32_e64 v150, v150, v146, s[38:39]
	v_cndmask_b32_e64 v151, v151, v147, s[38:39]
	v_cndmask_b32_e64 v149, v149, v7, s[40:41]
	v_cndmask_b32_e64 v148, v148, v6, s[40:41]
	v_cndmask_b32_e64 v7, v151, v7, s[40:41]
	v_cndmask_b32_e64 v6, v150, v6, s[40:41]
	s_movk_i32 s40, 0x1f8
	v_cmp_neq_f64_e64 s[38:39], v[148:149], v[6:7]
	v_cmp_class_f64_e64 s[40:41], v[148:149], s40
	s_or_b64 s[38:39], s[38:39], s[40:41]
	s_and_saveexec_b64 s[46:47], s[38:39]
	s_cbranch_execz .LBB30_318
; %bb.317:
	s_mov_b32 s38, 0x652b82fe
	v_add_f64 v[146:147], v[148:149], -v[6:7]
	s_mov_b32 s39, 0x3ff71547
	v_mul_f64 v[148:149], v[146:147], s[38:39]
	v_rndne_f64_e32 v[148:149], v[148:149]
	s_mov_b32 s49, 0xbfe62e42
	s_mov_b32 s48, 0xfefa39ef
	v_fma_f64 v[150:151], s[48:49], v[148:149], v[146:147]
	s_mov_b32 s51, 0xbc7abc9e
	s_mov_b32 s50, 0x3b39803f
	;; [unrolled: 1-line block ×3, first 2 shown]
	v_fmac_f64_e32 v[150:151], s[50:51], v[148:149]
	v_mov_b32_e32 v160, 0xfca7ab0c
	v_mov_b32_e32 v161, 0x3e928af3
	s_mov_b32 s39, 0x3e5ade15
	v_fmac_f64_e32 v[160:161], s[38:39], v[150:151]
	v_mov_b32_e32 v162, 0x623fde64
	v_mov_b32_e32 v163, 0x3ec71dee
	v_fmac_f64_e32 v[162:163], v[150:151], v[160:161]
	v_mov_b32_e32 v160, 0x7c89e6b0
	v_mov_b32_e32 v161, 0x3efa0199
	;; [unrolled: 3-line block ×8, first 2 shown]
	v_fmac_f64_e32 v[160:161], v[150:151], v[162:163]
	v_fma_f64 v[160:161], v[150:151], v[160:161], 1.0
	s_mov_b32 s38, 0
	s_mov_b32 s40, 0
	v_fma_f64 v[150:151], v[150:151], v[160:161], 1.0
	v_cvt_i32_f64_e32 v148, v[148:149]
	s_mov_b32 s39, 0x40900000
	s_mov_b32 s41, 0xc090cc00
	v_ldexp_f64 v[148:149], v[150:151], v148
	v_mov_b32_e32 v150, 0x7ff00000
	v_cmp_nlt_f64_e64 s[38:39], s[38:39], v[146:147]
	v_cmp_ngt_f64_e64 s[40:41], s[40:41], v[146:147]
	s_mov_b32 s49, 0x3fe62e42
	v_cndmask_b32_e64 v149, v150, v149, s[38:39]
	s_and_b64 s[38:39], s[40:41], s[38:39]
	v_cndmask_b32_e64 v147, 0, v149, s[40:41]
	v_cndmask_b32_e64 v146, 0, v148, s[38:39]
	v_add_f64 v[148:149], v[146:147], 1.0
	v_add_f64 v[150:151], v[148:149], -1.0
	v_add_f64 v[160:161], v[150:151], -v[148:149]
	v_add_f64 v[160:161], v[160:161], 1.0
	v_add_f64 v[150:151], v[146:147], -v[150:151]
	s_mov_b32 s38, 0x55555555
	v_add_f64 v[150:151], v[150:151], v[160:161]
	v_frexp_mant_f64_e32 v[160:161], v[148:149]
	s_mov_b32 s39, 0x3fe55555
	v_frexp_exp_i32_f64_e32 v162, v[148:149]
	v_cmp_gt_f64_e64 s[38:39], s[38:39], v[160:161]
	s_mov_b32 s51, 0x3c7abc9e
	s_nop 0
	v_subbrev_co_u32_e64 v192, s[38:39], 0, v162, s[38:39]
	v_sub_u32_e32 v160, 0, v192
	v_ldexp_f64 v[148:149], v[148:149], v160
	v_ldexp_f64 v[150:151], v[150:151], v160
	v_add_f64 v[160:161], v[148:149], -1.0
	v_add_f64 v[166:167], v[148:149], 1.0
	v_add_f64 v[162:163], v[160:161], 1.0
	v_add_f64 v[176:177], v[166:167], -1.0
	v_add_f64 v[162:163], v[148:149], -v[162:163]
	v_add_f64 v[148:149], v[148:149], -v[176:177]
	v_add_f64 v[148:149], v[150:151], v[148:149]
	v_add_f64 v[162:163], v[150:151], v[162:163]
	;; [unrolled: 1-line block ×3, first 2 shown]
	v_rcp_f64_e32 v[176:177], v[150:151]
	v_add_f64 v[164:165], v[160:161], v[162:163]
	v_add_f64 v[160:161], v[164:165], -v[160:161]
	v_add_f64 v[160:161], v[162:163], -v[160:161]
	;; [unrolled: 1-line block ×4, first 2 shown]
	v_fma_f64 v[162:163], -v[150:151], v[176:177], 1.0
	v_fmac_f64_e32 v[176:177], v[162:163], v[176:177]
	v_fma_f64 v[162:163], -v[150:151], v[176:177], 1.0
	v_fmac_f64_e32 v[176:177], v[162:163], v[176:177]
	v_mul_f64 v[162:163], v[164:165], v[176:177]
	v_mul_f64 v[166:167], v[150:151], v[162:163]
	v_fma_f64 v[178:179], v[162:163], v[150:151], -v[166:167]
	v_fmac_f64_e32 v[178:179], v[162:163], v[148:149]
	v_add_f64 v[180:181], v[166:167], v[178:179]
	v_add_f64 v[182:183], v[164:165], -v[180:181]
	v_add_f64 v[164:165], v[164:165], -v[182:183]
	;; [unrolled: 1-line block ×4, first 2 shown]
	v_add_f64 v[160:161], v[160:161], v[164:165]
	v_add_f64 v[164:165], v[166:167], -v[178:179]
	v_add_f64 v[160:161], v[164:165], v[160:161]
	v_add_f64 v[164:165], v[182:183], v[160:161]
	v_add_f64 v[166:167], v[182:183], -v[164:165]
	v_add_f64 v[160:161], v[160:161], v[166:167]
	v_mul_f64 v[166:167], v[176:177], v[164:165]
	v_mul_f64 v[178:179], v[150:151], v[166:167]
	v_fma_f64 v[150:151], v[166:167], v[150:151], -v[178:179]
	v_fmac_f64_e32 v[150:151], v[166:167], v[148:149]
	v_add_f64 v[148:149], v[178:179], v[150:151]
	v_add_f64 v[180:181], v[164:165], -v[148:149]
	v_add_f64 v[164:165], v[164:165], -v[180:181]
	;; [unrolled: 1-line block ×4, first 2 shown]
	v_add_f64 v[148:149], v[160:161], v[148:149]
	v_add_f64 v[150:151], v[178:179], -v[150:151]
	v_add_f64 v[148:149], v[150:151], v[148:149]
	v_add_f64 v[150:151], v[162:163], v[166:167]
	;; [unrolled: 1-line block ×3, first 2 shown]
	v_add_f64 v[160:161], v[150:151], -v[162:163]
	v_mul_f64 v[148:149], v[176:177], v[148:149]
	v_add_f64 v[160:161], v[166:167], -v[160:161]
	v_add_f64 v[148:149], v[160:161], v[148:149]
	v_add_f64 v[160:161], v[150:151], v[148:149]
	v_add_f64 v[150:151], v[160:161], -v[150:151]
	s_mov_b32 s38, 0xbf559e2b
	v_add_f64 v[148:149], v[148:149], -v[150:151]
	v_mul_f64 v[150:151], v[160:161], v[160:161]
	v_mov_b32_e32 v162, 0x6b47b09a
	v_mov_b32_e32 v163, 0x3fc38538
	s_mov_b32 s39, 0x3fc3ab76
	v_fmac_f64_e32 v[162:163], s[38:39], v[150:151]
	v_mov_b32_e32 v164, 0xd7f4df2e
	v_mov_b32_e32 v165, 0x3fc7474d
	v_fmac_f64_e32 v[164:165], v[150:151], v[162:163]
	v_mov_b32_e32 v162, 0x16291751
	v_mov_b32_e32 v163, 0x3fcc71c0
	;; [unrolled: 3-line block ×5, first 2 shown]
	v_fmac_f64_e32 v[164:165], v[150:151], v[162:163]
	v_cvt_f64_i32_e32 v[162:163], v192
	v_mul_f64 v[166:167], v[162:163], s[48:49]
	v_fma_f64 v[176:177], v[162:163], s[48:49], -v[166:167]
	v_fmac_f64_e32 v[176:177], s[50:51], v[162:163]
	v_add_f64 v[162:163], v[166:167], v[176:177]
	v_add_f64 v[166:167], v[162:163], -v[166:167]
	v_mul_f64 v[150:151], v[160:161], v[150:151]
	v_add_f64 v[166:167], v[176:177], -v[166:167]
	v_ldexp_f64 v[176:177], v[160:161], 1
	v_mul_f64 v[150:151], v[150:151], v[164:165]
	v_add_f64 v[160:161], v[176:177], v[150:151]
	v_add_f64 v[164:165], v[160:161], -v[176:177]
	v_ldexp_f64 v[148:149], v[148:149], 1
	v_add_f64 v[150:151], v[150:151], -v[164:165]
	v_add_f64 v[148:149], v[148:149], v[150:151]
	v_add_f64 v[150:151], v[160:161], v[148:149]
	v_add_f64 v[160:161], v[150:151], -v[160:161]
	v_add_f64 v[148:149], v[148:149], -v[160:161]
	v_add_f64 v[160:161], v[162:163], v[150:151]
	v_add_f64 v[164:165], v[160:161], -v[162:163]
	v_add_f64 v[176:177], v[160:161], -v[164:165]
	;; [unrolled: 1-line block ×4, first 2 shown]
	v_add_f64 v[150:151], v[150:151], v[162:163]
	v_add_f64 v[162:163], v[166:167], v[148:149]
	v_add_f64 v[164:165], v[162:163], -v[166:167]
	v_add_f64 v[150:151], v[162:163], v[150:151]
	v_add_f64 v[176:177], v[162:163], -v[164:165]
	;; [unrolled: 2-line block ×3, first 2 shown]
	v_add_f64 v[148:149], v[148:149], -v[164:165]
	v_add_f64 v[160:161], v[162:163], -v[160:161]
	v_add_f64 v[148:149], v[148:149], v[166:167]
	v_add_f64 v[150:151], v[150:151], -v[160:161]
	s_mov_b32 s38, 0
	v_add_f64 v[148:149], v[148:149], v[150:151]
	s_mov_b32 s39, 0x7ff00000
	v_add_f64 v[148:149], v[162:163], v[148:149]
	v_cmp_eq_f64_e64 s[38:39], s[38:39], v[146:147]
	v_mov_b32_e32 v150, 0x7ff80000
	s_nop 0
	v_cndmask_b32_e64 v148, v148, v146, s[38:39]
	v_cndmask_b32_e64 v149, v149, v147, s[38:39]
	v_cmp_ngt_f64_e64 s[38:39], -1.0, v[146:147]
	s_nop 1
	v_cndmask_b32_e64 v149, v150, v149, s[38:39]
	v_cmp_nge_f64_e64 s[38:39], -1.0, v[146:147]
	v_mov_b32_e32 v150, 0xfff00000
	s_nop 0
	v_cndmask_b32_e64 v148, 0, v148, s[38:39]
	v_cmp_neq_f64_e64 s[38:39], -1.0, v[146:147]
	s_nop 1
	v_cndmask_b32_e64 v149, v150, v149, s[38:39]
	v_add_f64 v[146:147], v[6:7], v[148:149]
.LBB30_318:
	s_or_b64 exec, exec, s[46:47]
	v_mov_b64_e32 v[6:7], v[146:147]
	v_mov_b32_e32 v148, v146
	v_mov_b32_e32 v149, v147
.LBB30_319:
	s_or_b64 exec, exec, s[44:45]
	v_and_b32_e32 v150, 16, v71
	v_mov_b32_dpp v146, v148 row_bcast:15 row_mask:0xf bank_mask:0xf
	v_mov_b32_dpp v147, v149 row_bcast:15 row_mask:0xf bank_mask:0xf
	v_cmp_ne_u32_e64 s[38:39], 0, v150
	s_and_saveexec_b64 s[44:45], s[38:39]
	s_cbranch_execz .LBB30_323
; %bb.320:
	v_max_f64 v[150:151], v[146:147], v[146:147]
	v_max_f64 v[160:161], v[6:7], v[6:7]
	v_min_f64 v[148:149], v[150:151], v[160:161]
	v_cmp_u_f64_e64 s[38:39], v[146:147], v[146:147]
	v_max_f64 v[150:151], v[150:151], v[160:161]
	v_cmp_u_f64_e64 s[40:41], v[6:7], v[6:7]
	v_cndmask_b32_e64 v148, v148, v146, s[38:39]
	v_cndmask_b32_e64 v149, v149, v147, s[38:39]
	;; [unrolled: 1-line block ×8, first 2 shown]
	s_movk_i32 s40, 0x1f8
	v_cmp_neq_f64_e64 s[38:39], v[148:149], v[6:7]
	v_cmp_class_f64_e64 s[40:41], v[148:149], s40
	s_or_b64 s[38:39], s[38:39], s[40:41]
	s_and_saveexec_b64 s[46:47], s[38:39]
	s_cbranch_execz .LBB30_322
; %bb.321:
	s_mov_b32 s38, 0x652b82fe
	v_add_f64 v[146:147], v[148:149], -v[6:7]
	s_mov_b32 s39, 0x3ff71547
	v_mul_f64 v[148:149], v[146:147], s[38:39]
	v_rndne_f64_e32 v[148:149], v[148:149]
	s_mov_b32 s49, 0xbfe62e42
	s_mov_b32 s48, 0xfefa39ef
	v_fma_f64 v[150:151], s[48:49], v[148:149], v[146:147]
	s_mov_b32 s51, 0xbc7abc9e
	s_mov_b32 s50, 0x3b39803f
	;; [unrolled: 1-line block ×3, first 2 shown]
	v_fmac_f64_e32 v[150:151], s[50:51], v[148:149]
	v_mov_b32_e32 v160, 0xfca7ab0c
	v_mov_b32_e32 v161, 0x3e928af3
	s_mov_b32 s39, 0x3e5ade15
	v_fmac_f64_e32 v[160:161], s[38:39], v[150:151]
	v_mov_b32_e32 v162, 0x623fde64
	v_mov_b32_e32 v163, 0x3ec71dee
	v_fmac_f64_e32 v[162:163], v[150:151], v[160:161]
	v_mov_b32_e32 v160, 0x7c89e6b0
	v_mov_b32_e32 v161, 0x3efa0199
	;; [unrolled: 3-line block ×8, first 2 shown]
	v_fmac_f64_e32 v[160:161], v[150:151], v[162:163]
	v_fma_f64 v[160:161], v[150:151], v[160:161], 1.0
	s_mov_b32 s38, 0
	s_mov_b32 s40, 0
	v_fma_f64 v[150:151], v[150:151], v[160:161], 1.0
	v_cvt_i32_f64_e32 v148, v[148:149]
	s_mov_b32 s39, 0x40900000
	s_mov_b32 s41, 0xc090cc00
	v_ldexp_f64 v[148:149], v[150:151], v148
	v_mov_b32_e32 v150, 0x7ff00000
	v_cmp_nlt_f64_e64 s[38:39], s[38:39], v[146:147]
	v_cmp_ngt_f64_e64 s[40:41], s[40:41], v[146:147]
	s_mov_b32 s49, 0x3fe62e42
	v_cndmask_b32_e64 v149, v150, v149, s[38:39]
	s_and_b64 s[38:39], s[40:41], s[38:39]
	v_cndmask_b32_e64 v147, 0, v149, s[40:41]
	v_cndmask_b32_e64 v146, 0, v148, s[38:39]
	v_add_f64 v[148:149], v[146:147], 1.0
	v_add_f64 v[150:151], v[148:149], -1.0
	v_add_f64 v[160:161], v[150:151], -v[148:149]
	v_add_f64 v[160:161], v[160:161], 1.0
	v_add_f64 v[150:151], v[146:147], -v[150:151]
	s_mov_b32 s38, 0x55555555
	v_add_f64 v[150:151], v[150:151], v[160:161]
	v_frexp_mant_f64_e32 v[160:161], v[148:149]
	s_mov_b32 s39, 0x3fe55555
	v_frexp_exp_i32_f64_e32 v162, v[148:149]
	v_cmp_gt_f64_e64 s[38:39], s[38:39], v[160:161]
	s_mov_b32 s51, 0x3c7abc9e
	s_nop 0
	v_subbrev_co_u32_e64 v192, s[38:39], 0, v162, s[38:39]
	v_sub_u32_e32 v160, 0, v192
	v_ldexp_f64 v[148:149], v[148:149], v160
	v_ldexp_f64 v[150:151], v[150:151], v160
	v_add_f64 v[160:161], v[148:149], -1.0
	v_add_f64 v[166:167], v[148:149], 1.0
	v_add_f64 v[162:163], v[160:161], 1.0
	v_add_f64 v[176:177], v[166:167], -1.0
	v_add_f64 v[162:163], v[148:149], -v[162:163]
	v_add_f64 v[148:149], v[148:149], -v[176:177]
	v_add_f64 v[148:149], v[150:151], v[148:149]
	v_add_f64 v[162:163], v[150:151], v[162:163]
	;; [unrolled: 1-line block ×3, first 2 shown]
	v_rcp_f64_e32 v[176:177], v[150:151]
	v_add_f64 v[164:165], v[160:161], v[162:163]
	v_add_f64 v[160:161], v[164:165], -v[160:161]
	v_add_f64 v[160:161], v[162:163], -v[160:161]
	;; [unrolled: 1-line block ×4, first 2 shown]
	v_fma_f64 v[162:163], -v[150:151], v[176:177], 1.0
	v_fmac_f64_e32 v[176:177], v[162:163], v[176:177]
	v_fma_f64 v[162:163], -v[150:151], v[176:177], 1.0
	v_fmac_f64_e32 v[176:177], v[162:163], v[176:177]
	v_mul_f64 v[162:163], v[164:165], v[176:177]
	v_mul_f64 v[166:167], v[150:151], v[162:163]
	v_fma_f64 v[178:179], v[162:163], v[150:151], -v[166:167]
	v_fmac_f64_e32 v[178:179], v[162:163], v[148:149]
	v_add_f64 v[180:181], v[166:167], v[178:179]
	v_add_f64 v[182:183], v[164:165], -v[180:181]
	v_add_f64 v[164:165], v[164:165], -v[182:183]
	;; [unrolled: 1-line block ×4, first 2 shown]
	v_add_f64 v[160:161], v[160:161], v[164:165]
	v_add_f64 v[164:165], v[166:167], -v[178:179]
	v_add_f64 v[160:161], v[164:165], v[160:161]
	v_add_f64 v[164:165], v[182:183], v[160:161]
	v_add_f64 v[166:167], v[182:183], -v[164:165]
	v_add_f64 v[160:161], v[160:161], v[166:167]
	v_mul_f64 v[166:167], v[176:177], v[164:165]
	v_mul_f64 v[178:179], v[150:151], v[166:167]
	v_fma_f64 v[150:151], v[166:167], v[150:151], -v[178:179]
	v_fmac_f64_e32 v[150:151], v[166:167], v[148:149]
	v_add_f64 v[148:149], v[178:179], v[150:151]
	v_add_f64 v[180:181], v[164:165], -v[148:149]
	v_add_f64 v[164:165], v[164:165], -v[180:181]
	;; [unrolled: 1-line block ×4, first 2 shown]
	v_add_f64 v[148:149], v[160:161], v[148:149]
	v_add_f64 v[150:151], v[178:179], -v[150:151]
	v_add_f64 v[148:149], v[150:151], v[148:149]
	v_add_f64 v[150:151], v[162:163], v[166:167]
	;; [unrolled: 1-line block ×3, first 2 shown]
	v_add_f64 v[160:161], v[150:151], -v[162:163]
	v_mul_f64 v[148:149], v[176:177], v[148:149]
	v_add_f64 v[160:161], v[166:167], -v[160:161]
	v_add_f64 v[148:149], v[160:161], v[148:149]
	v_add_f64 v[160:161], v[150:151], v[148:149]
	v_add_f64 v[150:151], v[160:161], -v[150:151]
	s_mov_b32 s38, 0xbf559e2b
	v_add_f64 v[148:149], v[148:149], -v[150:151]
	v_mul_f64 v[150:151], v[160:161], v[160:161]
	v_mov_b32_e32 v162, 0x6b47b09a
	v_mov_b32_e32 v163, 0x3fc38538
	s_mov_b32 s39, 0x3fc3ab76
	v_fmac_f64_e32 v[162:163], s[38:39], v[150:151]
	v_mov_b32_e32 v164, 0xd7f4df2e
	v_mov_b32_e32 v165, 0x3fc7474d
	v_fmac_f64_e32 v[164:165], v[150:151], v[162:163]
	v_mov_b32_e32 v162, 0x16291751
	v_mov_b32_e32 v163, 0x3fcc71c0
	;; [unrolled: 3-line block ×5, first 2 shown]
	v_fmac_f64_e32 v[164:165], v[150:151], v[162:163]
	v_cvt_f64_i32_e32 v[162:163], v192
	v_mul_f64 v[166:167], v[162:163], s[48:49]
	v_fma_f64 v[176:177], v[162:163], s[48:49], -v[166:167]
	v_fmac_f64_e32 v[176:177], s[50:51], v[162:163]
	v_add_f64 v[162:163], v[166:167], v[176:177]
	v_add_f64 v[166:167], v[162:163], -v[166:167]
	v_mul_f64 v[150:151], v[160:161], v[150:151]
	v_add_f64 v[166:167], v[176:177], -v[166:167]
	v_ldexp_f64 v[176:177], v[160:161], 1
	v_mul_f64 v[150:151], v[150:151], v[164:165]
	v_add_f64 v[160:161], v[176:177], v[150:151]
	v_add_f64 v[164:165], v[160:161], -v[176:177]
	v_ldexp_f64 v[148:149], v[148:149], 1
	v_add_f64 v[150:151], v[150:151], -v[164:165]
	v_add_f64 v[148:149], v[148:149], v[150:151]
	v_add_f64 v[150:151], v[160:161], v[148:149]
	v_add_f64 v[160:161], v[150:151], -v[160:161]
	v_add_f64 v[148:149], v[148:149], -v[160:161]
	v_add_f64 v[160:161], v[162:163], v[150:151]
	v_add_f64 v[164:165], v[160:161], -v[162:163]
	v_add_f64 v[176:177], v[160:161], -v[164:165]
	;; [unrolled: 1-line block ×4, first 2 shown]
	v_add_f64 v[150:151], v[150:151], v[162:163]
	v_add_f64 v[162:163], v[166:167], v[148:149]
	v_add_f64 v[164:165], v[162:163], -v[166:167]
	v_add_f64 v[150:151], v[162:163], v[150:151]
	v_add_f64 v[176:177], v[162:163], -v[164:165]
	;; [unrolled: 2-line block ×3, first 2 shown]
	v_add_f64 v[148:149], v[148:149], -v[164:165]
	v_add_f64 v[160:161], v[162:163], -v[160:161]
	v_add_f64 v[148:149], v[148:149], v[166:167]
	v_add_f64 v[150:151], v[150:151], -v[160:161]
	s_mov_b32 s38, 0
	v_add_f64 v[148:149], v[148:149], v[150:151]
	s_mov_b32 s39, 0x7ff00000
	v_add_f64 v[148:149], v[162:163], v[148:149]
	v_cmp_eq_f64_e64 s[38:39], s[38:39], v[146:147]
	v_mov_b32_e32 v150, 0x7ff80000
	s_nop 0
	v_cndmask_b32_e64 v148, v148, v146, s[38:39]
	v_cndmask_b32_e64 v149, v149, v147, s[38:39]
	v_cmp_ngt_f64_e64 s[38:39], -1.0, v[146:147]
	s_nop 1
	v_cndmask_b32_e64 v149, v150, v149, s[38:39]
	v_cmp_nge_f64_e64 s[38:39], -1.0, v[146:147]
	v_mov_b32_e32 v150, 0xfff00000
	s_nop 0
	v_cndmask_b32_e64 v148, 0, v148, s[38:39]
	v_cmp_neq_f64_e64 s[38:39], -1.0, v[146:147]
	s_nop 1
	v_cndmask_b32_e64 v149, v150, v149, s[38:39]
	v_add_f64 v[146:147], v[6:7], v[148:149]
.LBB30_322:
	s_or_b64 exec, exec, s[46:47]
	v_mov_b32_e32 v148, v146
	v_mov_b32_e32 v149, v147
	v_mov_b64_e32 v[6:7], v[146:147]
.LBB30_323:
	s_or_b64 exec, exec, s[44:45]
	v_mov_b32_dpp v146, v148 row_bcast:31 row_mask:0xf bank_mask:0xf
	v_mov_b32_dpp v147, v149 row_bcast:31 row_mask:0xf bank_mask:0xf
	v_cmp_lt_u32_e64 s[38:39], 31, v71
	s_and_saveexec_b64 s[44:45], s[38:39]
	s_cbranch_execz .LBB30_327
; %bb.324:
	v_max_f64 v[150:151], v[146:147], v[146:147]
	v_max_f64 v[160:161], v[6:7], v[6:7]
	v_min_f64 v[148:149], v[150:151], v[160:161]
	v_cmp_u_f64_e64 s[38:39], v[146:147], v[146:147]
	v_max_f64 v[150:151], v[150:151], v[160:161]
	v_cmp_u_f64_e64 s[40:41], v[6:7], v[6:7]
	v_cndmask_b32_e64 v148, v148, v146, s[38:39]
	v_cndmask_b32_e64 v149, v149, v147, s[38:39]
	;; [unrolled: 1-line block ×8, first 2 shown]
	s_movk_i32 s40, 0x1f8
	v_cmp_neq_f64_e64 s[38:39], v[148:149], v[6:7]
	v_cmp_class_f64_e64 s[40:41], v[148:149], s40
	s_or_b64 s[38:39], s[38:39], s[40:41]
	s_and_saveexec_b64 s[46:47], s[38:39]
	s_cbranch_execz .LBB30_326
; %bb.325:
	s_mov_b32 s38, 0x652b82fe
	v_add_f64 v[146:147], v[148:149], -v[6:7]
	s_mov_b32 s39, 0x3ff71547
	v_mul_f64 v[148:149], v[146:147], s[38:39]
	v_rndne_f64_e32 v[148:149], v[148:149]
	s_mov_b32 s49, 0xbfe62e42
	s_mov_b32 s48, 0xfefa39ef
	v_fma_f64 v[150:151], s[48:49], v[148:149], v[146:147]
	s_mov_b32 s51, 0xbc7abc9e
	s_mov_b32 s50, 0x3b39803f
	;; [unrolled: 1-line block ×3, first 2 shown]
	v_fmac_f64_e32 v[150:151], s[50:51], v[148:149]
	v_mov_b32_e32 v160, 0xfca7ab0c
	v_mov_b32_e32 v161, 0x3e928af3
	s_mov_b32 s39, 0x3e5ade15
	v_fmac_f64_e32 v[160:161], s[38:39], v[150:151]
	v_mov_b32_e32 v162, 0x623fde64
	v_mov_b32_e32 v163, 0x3ec71dee
	v_fmac_f64_e32 v[162:163], v[150:151], v[160:161]
	v_mov_b32_e32 v160, 0x7c89e6b0
	v_mov_b32_e32 v161, 0x3efa0199
	;; [unrolled: 3-line block ×8, first 2 shown]
	v_fmac_f64_e32 v[160:161], v[150:151], v[162:163]
	v_fma_f64 v[160:161], v[150:151], v[160:161], 1.0
	s_mov_b32 s38, 0
	s_mov_b32 s40, 0
	v_fma_f64 v[150:151], v[150:151], v[160:161], 1.0
	v_cvt_i32_f64_e32 v148, v[148:149]
	s_mov_b32 s39, 0x40900000
	s_mov_b32 s41, 0xc090cc00
	v_ldexp_f64 v[148:149], v[150:151], v148
	v_mov_b32_e32 v150, 0x7ff00000
	v_cmp_nlt_f64_e64 s[38:39], s[38:39], v[146:147]
	v_cmp_ngt_f64_e64 s[40:41], s[40:41], v[146:147]
	s_mov_b32 s49, 0x3fe62e42
	v_cndmask_b32_e64 v149, v150, v149, s[38:39]
	s_and_b64 s[38:39], s[40:41], s[38:39]
	v_cndmask_b32_e64 v147, 0, v149, s[40:41]
	v_cndmask_b32_e64 v146, 0, v148, s[38:39]
	v_add_f64 v[148:149], v[146:147], 1.0
	v_add_f64 v[150:151], v[148:149], -1.0
	v_add_f64 v[160:161], v[150:151], -v[148:149]
	v_add_f64 v[160:161], v[160:161], 1.0
	v_add_f64 v[150:151], v[146:147], -v[150:151]
	s_mov_b32 s38, 0x55555555
	v_add_f64 v[150:151], v[150:151], v[160:161]
	v_frexp_mant_f64_e32 v[160:161], v[148:149]
	s_mov_b32 s39, 0x3fe55555
	v_frexp_exp_i32_f64_e32 v162, v[148:149]
	v_cmp_gt_f64_e64 s[38:39], s[38:39], v[160:161]
	s_mov_b32 s51, 0x3c7abc9e
	s_nop 0
	v_subbrev_co_u32_e64 v192, s[38:39], 0, v162, s[38:39]
	v_sub_u32_e32 v160, 0, v192
	v_ldexp_f64 v[148:149], v[148:149], v160
	v_ldexp_f64 v[150:151], v[150:151], v160
	v_add_f64 v[160:161], v[148:149], -1.0
	v_add_f64 v[166:167], v[148:149], 1.0
	v_add_f64 v[162:163], v[160:161], 1.0
	v_add_f64 v[176:177], v[166:167], -1.0
	v_add_f64 v[162:163], v[148:149], -v[162:163]
	v_add_f64 v[148:149], v[148:149], -v[176:177]
	v_add_f64 v[148:149], v[150:151], v[148:149]
	v_add_f64 v[162:163], v[150:151], v[162:163]
	;; [unrolled: 1-line block ×3, first 2 shown]
	v_rcp_f64_e32 v[176:177], v[150:151]
	v_add_f64 v[164:165], v[160:161], v[162:163]
	v_add_f64 v[160:161], v[164:165], -v[160:161]
	v_add_f64 v[160:161], v[162:163], -v[160:161]
	;; [unrolled: 1-line block ×4, first 2 shown]
	v_fma_f64 v[162:163], -v[150:151], v[176:177], 1.0
	v_fmac_f64_e32 v[176:177], v[162:163], v[176:177]
	v_fma_f64 v[162:163], -v[150:151], v[176:177], 1.0
	v_fmac_f64_e32 v[176:177], v[162:163], v[176:177]
	v_mul_f64 v[162:163], v[164:165], v[176:177]
	v_mul_f64 v[166:167], v[150:151], v[162:163]
	v_fma_f64 v[178:179], v[162:163], v[150:151], -v[166:167]
	v_fmac_f64_e32 v[178:179], v[162:163], v[148:149]
	v_add_f64 v[180:181], v[166:167], v[178:179]
	v_add_f64 v[182:183], v[164:165], -v[180:181]
	v_add_f64 v[164:165], v[164:165], -v[182:183]
	;; [unrolled: 1-line block ×4, first 2 shown]
	v_add_f64 v[160:161], v[160:161], v[164:165]
	v_add_f64 v[164:165], v[166:167], -v[178:179]
	v_add_f64 v[160:161], v[164:165], v[160:161]
	v_add_f64 v[164:165], v[182:183], v[160:161]
	v_add_f64 v[166:167], v[182:183], -v[164:165]
	v_add_f64 v[160:161], v[160:161], v[166:167]
	v_mul_f64 v[166:167], v[176:177], v[164:165]
	v_mul_f64 v[178:179], v[150:151], v[166:167]
	v_fma_f64 v[150:151], v[166:167], v[150:151], -v[178:179]
	v_fmac_f64_e32 v[150:151], v[166:167], v[148:149]
	v_add_f64 v[148:149], v[178:179], v[150:151]
	v_add_f64 v[180:181], v[164:165], -v[148:149]
	v_add_f64 v[164:165], v[164:165], -v[180:181]
	v_add_f64 v[178:179], v[148:149], -v[178:179]
	v_add_f64 v[148:149], v[164:165], -v[148:149]
	v_add_f64 v[148:149], v[160:161], v[148:149]
	v_add_f64 v[150:151], v[178:179], -v[150:151]
	v_add_f64 v[148:149], v[150:151], v[148:149]
	v_add_f64 v[150:151], v[162:163], v[166:167]
	;; [unrolled: 1-line block ×3, first 2 shown]
	v_add_f64 v[160:161], v[150:151], -v[162:163]
	v_mul_f64 v[148:149], v[176:177], v[148:149]
	v_add_f64 v[160:161], v[166:167], -v[160:161]
	v_add_f64 v[148:149], v[160:161], v[148:149]
	v_add_f64 v[160:161], v[150:151], v[148:149]
	v_add_f64 v[150:151], v[160:161], -v[150:151]
	s_mov_b32 s38, 0xbf559e2b
	v_add_f64 v[148:149], v[148:149], -v[150:151]
	v_mul_f64 v[150:151], v[160:161], v[160:161]
	v_mov_b32_e32 v162, 0x6b47b09a
	v_mov_b32_e32 v163, 0x3fc38538
	s_mov_b32 s39, 0x3fc3ab76
	v_fmac_f64_e32 v[162:163], s[38:39], v[150:151]
	v_mov_b32_e32 v164, 0xd7f4df2e
	v_mov_b32_e32 v165, 0x3fc7474d
	v_fmac_f64_e32 v[164:165], v[150:151], v[162:163]
	v_mov_b32_e32 v162, 0x16291751
	v_mov_b32_e32 v163, 0x3fcc71c0
	;; [unrolled: 3-line block ×5, first 2 shown]
	v_fmac_f64_e32 v[164:165], v[150:151], v[162:163]
	v_cvt_f64_i32_e32 v[162:163], v192
	v_mul_f64 v[166:167], v[162:163], s[48:49]
	v_fma_f64 v[176:177], v[162:163], s[48:49], -v[166:167]
	v_fmac_f64_e32 v[176:177], s[50:51], v[162:163]
	v_add_f64 v[162:163], v[166:167], v[176:177]
	v_add_f64 v[166:167], v[162:163], -v[166:167]
	v_mul_f64 v[150:151], v[160:161], v[150:151]
	v_add_f64 v[166:167], v[176:177], -v[166:167]
	v_ldexp_f64 v[176:177], v[160:161], 1
	v_mul_f64 v[150:151], v[150:151], v[164:165]
	v_add_f64 v[160:161], v[176:177], v[150:151]
	v_add_f64 v[164:165], v[160:161], -v[176:177]
	v_ldexp_f64 v[148:149], v[148:149], 1
	v_add_f64 v[150:151], v[150:151], -v[164:165]
	v_add_f64 v[148:149], v[148:149], v[150:151]
	v_add_f64 v[150:151], v[160:161], v[148:149]
	v_add_f64 v[160:161], v[150:151], -v[160:161]
	v_add_f64 v[148:149], v[148:149], -v[160:161]
	v_add_f64 v[160:161], v[162:163], v[150:151]
	v_add_f64 v[164:165], v[160:161], -v[162:163]
	v_add_f64 v[176:177], v[160:161], -v[164:165]
	;; [unrolled: 1-line block ×4, first 2 shown]
	v_add_f64 v[150:151], v[150:151], v[162:163]
	v_add_f64 v[162:163], v[166:167], v[148:149]
	v_add_f64 v[164:165], v[162:163], -v[166:167]
	v_add_f64 v[150:151], v[162:163], v[150:151]
	v_add_f64 v[176:177], v[162:163], -v[164:165]
	;; [unrolled: 2-line block ×3, first 2 shown]
	v_add_f64 v[148:149], v[148:149], -v[164:165]
	v_add_f64 v[160:161], v[162:163], -v[160:161]
	v_add_f64 v[148:149], v[148:149], v[166:167]
	v_add_f64 v[150:151], v[150:151], -v[160:161]
	s_mov_b32 s38, 0
	v_add_f64 v[148:149], v[148:149], v[150:151]
	s_mov_b32 s39, 0x7ff00000
	v_add_f64 v[148:149], v[162:163], v[148:149]
	v_cmp_eq_f64_e64 s[38:39], s[38:39], v[146:147]
	v_mov_b32_e32 v150, 0x7ff80000
	s_nop 0
	v_cndmask_b32_e64 v148, v148, v146, s[38:39]
	v_cndmask_b32_e64 v149, v149, v147, s[38:39]
	v_cmp_ngt_f64_e64 s[38:39], -1.0, v[146:147]
	s_nop 1
	v_cndmask_b32_e64 v149, v150, v149, s[38:39]
	v_cmp_nge_f64_e64 s[38:39], -1.0, v[146:147]
	v_mov_b32_e32 v150, 0xfff00000
	s_nop 0
	v_cndmask_b32_e64 v148, 0, v148, s[38:39]
	v_cmp_neq_f64_e64 s[38:39], -1.0, v[146:147]
	s_nop 1
	v_cndmask_b32_e64 v149, v150, v149, s[38:39]
	v_add_f64 v[146:147], v[6:7], v[148:149]
.LBB30_326:
	s_or_b64 exec, exec, s[46:47]
	v_mov_b64_e32 v[6:7], v[146:147]
.LBB30_327:
	s_or_b64 exec, exec, s[44:45]
	v_add_u32_e32 v146, -1, v71
	v_and_b32_e32 v147, 64, v71
	v_cmp_lt_i32_e64 s[38:39], v146, v147
	s_movk_i32 s48, 0x1f8
	s_nop 0
	v_cndmask_b32_e64 v71, v146, v71, s[38:39]
	v_lshlrev_b32_e32 v71, 2, v71
	ds_bpermute_b32 v6, v71, v6
	ds_bpermute_b32 v7, v71, v7
	s_waitcnt lgkmcnt(0)
	v_max_f64 v[148:149], v[6:7], v[6:7]
	v_min_f64 v[146:147], v[148:149], v[144:145]
	v_cmp_u_f64_e64 s[38:39], v[6:7], v[6:7]
	v_max_f64 v[144:145], v[148:149], v[144:145]
	s_nop 0
	v_cndmask_b32_e64 v71, v146, v6, s[38:39]
	v_cndmask_b32_e64 v146, v147, v7, s[38:39]
	;; [unrolled: 1-line block ×8, first 2 shown]
	v_cmp_neq_f64_e64 s[36:37], v[146:147], v[4:5]
	v_cmp_class_f64_e64 s[38:39], v[146:147], s48
	s_or_b64 s[36:37], s[36:37], s[38:39]
	s_and_saveexec_b64 s[40:41], s[36:37]
	s_cbranch_execz .LBB30_329
; %bb.328:
	s_mov_b32 s36, 0x652b82fe
	v_add_f64 v[6:7], v[146:147], -v[4:5]
	s_mov_b32 s37, 0x3ff71547
	v_mul_f64 v[144:145], v[6:7], s[36:37]
	v_rndne_f64_e32 v[144:145], v[144:145]
	s_mov_b32 s45, 0xbfe62e42
	s_mov_b32 s44, 0xfefa39ef
	v_fma_f64 v[146:147], s[44:45], v[144:145], v[6:7]
	s_mov_b32 s47, 0xbc7abc9e
	s_mov_b32 s46, 0x3b39803f
	;; [unrolled: 1-line block ×3, first 2 shown]
	v_fmac_f64_e32 v[146:147], s[46:47], v[144:145]
	v_mov_b32_e32 v148, 0xfca7ab0c
	v_mov_b32_e32 v149, 0x3e928af3
	s_mov_b32 s37, 0x3e5ade15
	v_fmac_f64_e32 v[148:149], s[36:37], v[146:147]
	v_mov_b32_e32 v150, 0x623fde64
	v_mov_b32_e32 v151, 0x3ec71dee
	v_fmac_f64_e32 v[150:151], v[146:147], v[148:149]
	v_mov_b32_e32 v148, 0x7c89e6b0
	v_mov_b32_e32 v149, 0x3efa0199
	;; [unrolled: 3-line block ×8, first 2 shown]
	v_fmac_f64_e32 v[148:149], v[146:147], v[150:151]
	v_fma_f64 v[148:149], v[146:147], v[148:149], 1.0
	s_mov_b32 s36, 0
	s_mov_b32 s38, 0
	v_fma_f64 v[146:147], v[146:147], v[148:149], 1.0
	v_cvt_i32_f64_e32 v71, v[144:145]
	s_mov_b32 s37, 0x40900000
	s_mov_b32 s39, 0xc090cc00
	v_ldexp_f64 v[144:145], v[146:147], v71
	v_mov_b32_e32 v71, 0x7ff00000
	v_cmp_nlt_f64_e64 s[36:37], s[36:37], v[6:7]
	v_cmp_ngt_f64_e64 s[38:39], s[38:39], v[6:7]
	s_mov_b32 s45, 0x3fe62e42
	v_cndmask_b32_e64 v71, v71, v145, s[36:37]
	s_and_b64 s[36:37], s[38:39], s[36:37]
	v_cndmask_b32_e64 v7, 0, v71, s[38:39]
	v_cndmask_b32_e64 v6, 0, v144, s[36:37]
	v_add_f64 v[144:145], v[6:7], 1.0
	v_add_f64 v[146:147], v[144:145], -1.0
	v_add_f64 v[148:149], v[146:147], -v[144:145]
	v_add_f64 v[148:149], v[148:149], 1.0
	v_add_f64 v[146:147], v[6:7], -v[146:147]
	s_mov_b32 s36, 0x55555555
	v_add_f64 v[146:147], v[146:147], v[148:149]
	v_frexp_mant_f64_e32 v[148:149], v[144:145]
	s_mov_b32 s37, 0x3fe55555
	v_frexp_exp_i32_f64_e32 v71, v[144:145]
	v_cmp_gt_f64_e64 s[36:37], s[36:37], v[148:149]
	s_mov_b32 s47, 0x3c7abc9e
	s_nop 0
	v_subbrev_co_u32_e64 v71, s[36:37], 0, v71, s[36:37]
	v_sub_u32_e32 v148, 0, v71
	v_ldexp_f64 v[144:145], v[144:145], v148
	v_ldexp_f64 v[146:147], v[146:147], v148
	v_add_f64 v[148:149], v[144:145], -1.0
	v_add_f64 v[162:163], v[144:145], 1.0
	v_add_f64 v[150:151], v[148:149], 1.0
	v_add_f64 v[164:165], v[162:163], -1.0
	v_add_f64 v[150:151], v[144:145], -v[150:151]
	v_add_f64 v[144:145], v[144:145], -v[164:165]
	v_add_f64 v[144:145], v[146:147], v[144:145]
	v_add_f64 v[150:151], v[146:147], v[150:151]
	;; [unrolled: 1-line block ×3, first 2 shown]
	v_rcp_f64_e32 v[164:165], v[146:147]
	v_add_f64 v[160:161], v[148:149], v[150:151]
	v_add_f64 v[148:149], v[160:161], -v[148:149]
	v_add_f64 v[148:149], v[150:151], -v[148:149]
	;; [unrolled: 1-line block ×4, first 2 shown]
	v_fma_f64 v[150:151], -v[146:147], v[164:165], 1.0
	v_fmac_f64_e32 v[164:165], v[150:151], v[164:165]
	v_fma_f64 v[150:151], -v[146:147], v[164:165], 1.0
	v_fmac_f64_e32 v[164:165], v[150:151], v[164:165]
	v_mul_f64 v[150:151], v[160:161], v[164:165]
	v_mul_f64 v[162:163], v[146:147], v[150:151]
	v_fma_f64 v[166:167], v[150:151], v[146:147], -v[162:163]
	v_fmac_f64_e32 v[166:167], v[150:151], v[144:145]
	v_add_f64 v[176:177], v[162:163], v[166:167]
	v_add_f64 v[178:179], v[160:161], -v[176:177]
	v_add_f64 v[160:161], v[160:161], -v[178:179]
	;; [unrolled: 1-line block ×4, first 2 shown]
	v_add_f64 v[148:149], v[148:149], v[160:161]
	v_add_f64 v[160:161], v[162:163], -v[166:167]
	v_add_f64 v[148:149], v[160:161], v[148:149]
	v_add_f64 v[160:161], v[178:179], v[148:149]
	v_add_f64 v[162:163], v[178:179], -v[160:161]
	v_add_f64 v[148:149], v[148:149], v[162:163]
	v_mul_f64 v[162:163], v[164:165], v[160:161]
	v_mul_f64 v[166:167], v[146:147], v[162:163]
	v_fma_f64 v[146:147], v[162:163], v[146:147], -v[166:167]
	v_fmac_f64_e32 v[146:147], v[162:163], v[144:145]
	v_add_f64 v[144:145], v[166:167], v[146:147]
	v_add_f64 v[176:177], v[160:161], -v[144:145]
	v_add_f64 v[160:161], v[160:161], -v[176:177]
	;; [unrolled: 1-line block ×4, first 2 shown]
	v_add_f64 v[144:145], v[148:149], v[144:145]
	v_add_f64 v[146:147], v[166:167], -v[146:147]
	v_add_f64 v[144:145], v[146:147], v[144:145]
	v_add_f64 v[146:147], v[150:151], v[162:163]
	v_add_f64 v[144:145], v[176:177], v[144:145]
	v_add_f64 v[148:149], v[146:147], -v[150:151]
	v_mul_f64 v[144:145], v[164:165], v[144:145]
	v_add_f64 v[148:149], v[162:163], -v[148:149]
	v_add_f64 v[144:145], v[148:149], v[144:145]
	v_add_f64 v[148:149], v[146:147], v[144:145]
	v_add_f64 v[146:147], v[148:149], -v[146:147]
	s_mov_b32 s36, 0xbf559e2b
	v_add_f64 v[144:145], v[144:145], -v[146:147]
	v_mul_f64 v[146:147], v[148:149], v[148:149]
	v_mov_b32_e32 v150, 0x6b47b09a
	v_mov_b32_e32 v151, 0x3fc38538
	s_mov_b32 s37, 0x3fc3ab76
	v_fmac_f64_e32 v[150:151], s[36:37], v[146:147]
	v_mov_b32_e32 v160, 0xd7f4df2e
	v_mov_b32_e32 v161, 0x3fc7474d
	v_fmac_f64_e32 v[160:161], v[146:147], v[150:151]
	v_mov_b32_e32 v150, 0x16291751
	v_mov_b32_e32 v151, 0x3fcc71c0
	;; [unrolled: 3-line block ×5, first 2 shown]
	v_fmac_f64_e32 v[160:161], v[146:147], v[150:151]
	v_cvt_f64_i32_e32 v[150:151], v71
	v_mul_f64 v[162:163], v[150:151], s[44:45]
	v_fma_f64 v[164:165], v[150:151], s[44:45], -v[162:163]
	v_fmac_f64_e32 v[164:165], s[46:47], v[150:151]
	v_add_f64 v[150:151], v[162:163], v[164:165]
	v_add_f64 v[162:163], v[150:151], -v[162:163]
	v_mul_f64 v[146:147], v[148:149], v[146:147]
	v_add_f64 v[162:163], v[164:165], -v[162:163]
	v_ldexp_f64 v[164:165], v[148:149], 1
	v_mul_f64 v[146:147], v[146:147], v[160:161]
	v_add_f64 v[148:149], v[164:165], v[146:147]
	v_add_f64 v[160:161], v[148:149], -v[164:165]
	v_ldexp_f64 v[144:145], v[144:145], 1
	v_add_f64 v[146:147], v[146:147], -v[160:161]
	v_add_f64 v[144:145], v[144:145], v[146:147]
	v_add_f64 v[146:147], v[148:149], v[144:145]
	v_add_f64 v[148:149], v[146:147], -v[148:149]
	v_add_f64 v[144:145], v[144:145], -v[148:149]
	v_add_f64 v[148:149], v[150:151], v[146:147]
	v_add_f64 v[160:161], v[148:149], -v[150:151]
	v_add_f64 v[164:165], v[148:149], -v[160:161]
	;; [unrolled: 1-line block ×4, first 2 shown]
	v_add_f64 v[146:147], v[146:147], v[150:151]
	v_add_f64 v[150:151], v[162:163], v[144:145]
	v_add_f64 v[160:161], v[150:151], -v[162:163]
	v_add_f64 v[146:147], v[150:151], v[146:147]
	v_add_f64 v[164:165], v[150:151], -v[160:161]
	v_add_f64 v[150:151], v[148:149], v[146:147]
	v_add_f64 v[162:163], v[162:163], -v[164:165]
	v_add_f64 v[144:145], v[144:145], -v[160:161]
	v_add_f64 v[148:149], v[150:151], -v[148:149]
	v_add_f64 v[144:145], v[144:145], v[162:163]
	v_add_f64 v[146:147], v[146:147], -v[148:149]
	s_mov_b32 s36, 0
	v_add_f64 v[144:145], v[144:145], v[146:147]
	s_mov_b32 s37, 0x7ff00000
	v_add_f64 v[144:145], v[150:151], v[144:145]
	v_cmp_eq_f64_e64 s[36:37], s[36:37], v[6:7]
	s_nop 1
	v_cndmask_b32_e64 v71, v144, v6, s[36:37]
	v_cndmask_b32_e64 v144, v145, v7, s[36:37]
	v_mov_b32_e32 v145, 0x7ff80000
	v_cmp_ngt_f64_e64 s[36:37], -1.0, v[6:7]
	s_nop 1
	v_cndmask_b32_e64 v145, v145, v144, s[36:37]
	v_cmp_nge_f64_e64 s[36:37], -1.0, v[6:7]
	s_nop 1
	v_cndmask_b32_e64 v144, 0, v71, s[36:37]
	v_mov_b32_e32 v71, 0xfff00000
	v_cmp_neq_f64_e64 s[36:37], -1.0, v[6:7]
	s_nop 1
	v_cndmask_b32_e64 v145, v71, v145, s[36:37]
	v_add_f64 v[6:7], v[4:5], v[144:145]
.LBB30_329:
	s_or_b64 exec, exec, s[40:41]
	v_cndmask_b32_e64 v7, v7, v135, s[4:5]
	v_cndmask_b32_e64 v6, v6, v134, s[4:5]
	; wave barrier
	ds_write_b64 v53, v[6:7]
	; wave barrier
	ds_read_b64 v[4:5], v53 offset:8
	v_max_f64 v[146:147], v[6:7], v[6:7]
	v_cmp_u_f64_e64 s[4:5], v[6:7], v[6:7]
	s_waitcnt lgkmcnt(0)
	v_max_f64 v[148:149], v[4:5], v[4:5]
	v_min_f64 v[144:145], v[146:147], v[148:149]
	v_cndmask_b32_e64 v71, v144, v6, s[4:5]
	v_cndmask_b32_e64 v144, v145, v7, s[4:5]
	v_cmp_u_f64_e64 s[36:37], v[4:5], v[4:5]
	v_max_f64 v[146:147], v[146:147], v[148:149]
	s_nop 0
	v_cndmask_b32_e64 v145, v144, v5, s[36:37]
	v_cndmask_b32_e64 v144, v71, v4, s[36:37]
	;; [unrolled: 1-line block ×6, first 2 shown]
	v_cmp_neq_f64_e64 s[4:5], v[144:145], v[4:5]
	v_cmp_class_f64_e64 s[36:37], v[144:145], s48
	s_or_b64 s[4:5], s[4:5], s[36:37]
	s_and_saveexec_b64 s[38:39], s[4:5]
	s_cbranch_execz .LBB30_331
; %bb.330:
	s_mov_b32 s4, 0x652b82fe
	v_add_f64 v[6:7], v[144:145], -v[4:5]
	s_mov_b32 s5, 0x3ff71547
	v_mul_f64 v[144:145], v[6:7], s[4:5]
	v_rndne_f64_e32 v[144:145], v[144:145]
	s_mov_b32 s41, 0xbfe62e42
	s_mov_b32 s40, 0xfefa39ef
	v_fma_f64 v[146:147], s[40:41], v[144:145], v[6:7]
	s_mov_b32 s45, 0xbc7abc9e
	s_mov_b32 s44, 0x3b39803f
	s_mov_b32 s4, 0x6a5dcb37
	v_fmac_f64_e32 v[146:147], s[44:45], v[144:145]
	v_mov_b32_e32 v148, 0xfca7ab0c
	v_mov_b32_e32 v149, 0x3e928af3
	s_mov_b32 s5, 0x3e5ade15
	v_fmac_f64_e32 v[148:149], s[4:5], v[146:147]
	v_mov_b32_e32 v150, 0x623fde64
	v_mov_b32_e32 v151, 0x3ec71dee
	v_fmac_f64_e32 v[150:151], v[146:147], v[148:149]
	v_mov_b32_e32 v148, 0x7c89e6b0
	v_mov_b32_e32 v149, 0x3efa0199
	;; [unrolled: 3-line block ×8, first 2 shown]
	v_fmac_f64_e32 v[148:149], v[146:147], v[150:151]
	v_fma_f64 v[148:149], v[146:147], v[148:149], 1.0
	s_mov_b32 s4, 0
	s_mov_b32 s36, 0
	v_fma_f64 v[146:147], v[146:147], v[148:149], 1.0
	v_cvt_i32_f64_e32 v71, v[144:145]
	s_mov_b32 s5, 0x40900000
	s_mov_b32 s37, 0xc090cc00
	v_ldexp_f64 v[144:145], v[146:147], v71
	v_mov_b32_e32 v71, 0x7ff00000
	v_cmp_nlt_f64_e64 s[4:5], s[4:5], v[6:7]
	v_cmp_ngt_f64_e64 s[36:37], s[36:37], v[6:7]
	s_mov_b32 s41, 0x3fe62e42
	v_cndmask_b32_e64 v71, v71, v145, s[4:5]
	s_and_b64 s[4:5], s[36:37], s[4:5]
	v_cndmask_b32_e64 v7, 0, v71, s[36:37]
	v_cndmask_b32_e64 v6, 0, v144, s[4:5]
	v_add_f64 v[144:145], v[6:7], 1.0
	v_add_f64 v[146:147], v[144:145], -1.0
	v_add_f64 v[148:149], v[146:147], -v[144:145]
	v_add_f64 v[148:149], v[148:149], 1.0
	v_add_f64 v[146:147], v[6:7], -v[146:147]
	s_mov_b32 s4, 0x55555555
	v_add_f64 v[146:147], v[146:147], v[148:149]
	v_frexp_mant_f64_e32 v[148:149], v[144:145]
	s_mov_b32 s5, 0x3fe55555
	v_frexp_exp_i32_f64_e32 v71, v[144:145]
	v_cmp_gt_f64_e64 s[4:5], s[4:5], v[148:149]
	s_mov_b32 s45, 0x3c7abc9e
	s_nop 0
	v_subbrev_co_u32_e64 v71, s[4:5], 0, v71, s[4:5]
	v_sub_u32_e32 v148, 0, v71
	v_ldexp_f64 v[144:145], v[144:145], v148
	v_ldexp_f64 v[146:147], v[146:147], v148
	v_add_f64 v[148:149], v[144:145], -1.0
	v_add_f64 v[162:163], v[144:145], 1.0
	v_add_f64 v[150:151], v[148:149], 1.0
	v_add_f64 v[164:165], v[162:163], -1.0
	v_add_f64 v[150:151], v[144:145], -v[150:151]
	v_add_f64 v[144:145], v[144:145], -v[164:165]
	v_add_f64 v[144:145], v[146:147], v[144:145]
	v_add_f64 v[150:151], v[146:147], v[150:151]
	;; [unrolled: 1-line block ×3, first 2 shown]
	v_rcp_f64_e32 v[164:165], v[146:147]
	v_add_f64 v[160:161], v[148:149], v[150:151]
	v_add_f64 v[148:149], v[160:161], -v[148:149]
	v_add_f64 v[148:149], v[150:151], -v[148:149]
	;; [unrolled: 1-line block ×4, first 2 shown]
	v_fma_f64 v[150:151], -v[146:147], v[164:165], 1.0
	v_fmac_f64_e32 v[164:165], v[150:151], v[164:165]
	v_fma_f64 v[150:151], -v[146:147], v[164:165], 1.0
	v_fmac_f64_e32 v[164:165], v[150:151], v[164:165]
	v_mul_f64 v[150:151], v[160:161], v[164:165]
	v_mul_f64 v[162:163], v[146:147], v[150:151]
	v_fma_f64 v[166:167], v[150:151], v[146:147], -v[162:163]
	v_fmac_f64_e32 v[166:167], v[150:151], v[144:145]
	v_add_f64 v[176:177], v[162:163], v[166:167]
	v_add_f64 v[178:179], v[160:161], -v[176:177]
	v_add_f64 v[160:161], v[160:161], -v[178:179]
	;; [unrolled: 1-line block ×4, first 2 shown]
	v_add_f64 v[148:149], v[148:149], v[160:161]
	v_add_f64 v[160:161], v[162:163], -v[166:167]
	v_add_f64 v[148:149], v[160:161], v[148:149]
	v_add_f64 v[160:161], v[178:179], v[148:149]
	v_add_f64 v[162:163], v[178:179], -v[160:161]
	v_add_f64 v[148:149], v[148:149], v[162:163]
	v_mul_f64 v[162:163], v[164:165], v[160:161]
	v_mul_f64 v[166:167], v[146:147], v[162:163]
	v_fma_f64 v[146:147], v[162:163], v[146:147], -v[166:167]
	v_fmac_f64_e32 v[146:147], v[162:163], v[144:145]
	v_add_f64 v[144:145], v[166:167], v[146:147]
	v_add_f64 v[176:177], v[160:161], -v[144:145]
	v_add_f64 v[160:161], v[160:161], -v[176:177]
	;; [unrolled: 1-line block ×4, first 2 shown]
	v_add_f64 v[144:145], v[148:149], v[144:145]
	v_add_f64 v[146:147], v[166:167], -v[146:147]
	v_add_f64 v[144:145], v[146:147], v[144:145]
	v_add_f64 v[146:147], v[150:151], v[162:163]
	;; [unrolled: 1-line block ×3, first 2 shown]
	v_add_f64 v[148:149], v[146:147], -v[150:151]
	v_mul_f64 v[144:145], v[164:165], v[144:145]
	v_add_f64 v[148:149], v[162:163], -v[148:149]
	v_add_f64 v[144:145], v[148:149], v[144:145]
	v_add_f64 v[148:149], v[146:147], v[144:145]
	v_add_f64 v[146:147], v[148:149], -v[146:147]
	s_mov_b32 s4, 0xbf559e2b
	v_add_f64 v[144:145], v[144:145], -v[146:147]
	v_mul_f64 v[146:147], v[148:149], v[148:149]
	v_mov_b32_e32 v150, 0x6b47b09a
	v_mov_b32_e32 v151, 0x3fc38538
	s_mov_b32 s5, 0x3fc3ab76
	v_fmac_f64_e32 v[150:151], s[4:5], v[146:147]
	v_mov_b32_e32 v160, 0xd7f4df2e
	v_mov_b32_e32 v161, 0x3fc7474d
	v_fmac_f64_e32 v[160:161], v[146:147], v[150:151]
	v_mov_b32_e32 v150, 0x16291751
	v_mov_b32_e32 v151, 0x3fcc71c0
	;; [unrolled: 3-line block ×5, first 2 shown]
	v_fmac_f64_e32 v[160:161], v[146:147], v[150:151]
	v_cvt_f64_i32_e32 v[150:151], v71
	v_mul_f64 v[162:163], v[150:151], s[40:41]
	v_fma_f64 v[164:165], v[150:151], s[40:41], -v[162:163]
	v_fmac_f64_e32 v[164:165], s[44:45], v[150:151]
	v_add_f64 v[150:151], v[162:163], v[164:165]
	v_add_f64 v[162:163], v[150:151], -v[162:163]
	v_mul_f64 v[146:147], v[148:149], v[146:147]
	v_add_f64 v[162:163], v[164:165], -v[162:163]
	v_ldexp_f64 v[164:165], v[148:149], 1
	v_mul_f64 v[146:147], v[146:147], v[160:161]
	v_add_f64 v[148:149], v[164:165], v[146:147]
	v_add_f64 v[160:161], v[148:149], -v[164:165]
	v_ldexp_f64 v[144:145], v[144:145], 1
	v_add_f64 v[146:147], v[146:147], -v[160:161]
	v_add_f64 v[144:145], v[144:145], v[146:147]
	v_add_f64 v[146:147], v[148:149], v[144:145]
	v_add_f64 v[148:149], v[146:147], -v[148:149]
	v_add_f64 v[144:145], v[144:145], -v[148:149]
	v_add_f64 v[148:149], v[150:151], v[146:147]
	v_add_f64 v[160:161], v[148:149], -v[150:151]
	v_add_f64 v[164:165], v[148:149], -v[160:161]
	;; [unrolled: 1-line block ×4, first 2 shown]
	v_add_f64 v[146:147], v[146:147], v[150:151]
	v_add_f64 v[150:151], v[162:163], v[144:145]
	v_add_f64 v[160:161], v[150:151], -v[162:163]
	v_add_f64 v[146:147], v[150:151], v[146:147]
	v_add_f64 v[164:165], v[150:151], -v[160:161]
	;; [unrolled: 2-line block ×3, first 2 shown]
	v_add_f64 v[144:145], v[144:145], -v[160:161]
	v_add_f64 v[148:149], v[150:151], -v[148:149]
	v_add_f64 v[144:145], v[144:145], v[162:163]
	v_add_f64 v[146:147], v[146:147], -v[148:149]
	s_mov_b32 s4, 0
	v_add_f64 v[144:145], v[144:145], v[146:147]
	s_mov_b32 s5, 0x7ff00000
	v_add_f64 v[144:145], v[150:151], v[144:145]
	v_cmp_eq_f64_e64 s[4:5], s[4:5], v[6:7]
	s_nop 1
	v_cndmask_b32_e64 v71, v144, v6, s[4:5]
	v_cndmask_b32_e64 v144, v145, v7, s[4:5]
	v_mov_b32_e32 v145, 0x7ff80000
	v_cmp_ngt_f64_e64 s[4:5], -1.0, v[6:7]
	s_nop 1
	v_cndmask_b32_e64 v145, v145, v144, s[4:5]
	v_cmp_nge_f64_e64 s[4:5], -1.0, v[6:7]
	s_nop 1
	v_cndmask_b32_e64 v144, 0, v71, s[4:5]
	v_mov_b32_e32 v71, 0xfff00000
	v_cmp_neq_f64_e64 s[4:5], -1.0, v[6:7]
	s_nop 1
	v_cndmask_b32_e64 v145, v71, v145, s[4:5]
	v_add_f64 v[6:7], v[4:5], v[144:145]
.LBB30_331:
	s_or_b64 exec, exec, s[38:39]
	ds_read_b64 v[4:5], v53 offset:16
	v_max_f64 v[146:147], v[6:7], v[6:7]
	v_cmp_u_f64_e64 s[4:5], v[6:7], v[6:7]
	s_movk_i32 s46, 0x1f8
	ds_write_b64 v53, v[6:7] offset:8
	s_waitcnt lgkmcnt(1)
	v_max_f64 v[148:149], v[4:5], v[4:5]
	v_min_f64 v[144:145], v[146:147], v[148:149]
	v_cndmask_b32_e64 v71, v144, v6, s[4:5]
	v_cndmask_b32_e64 v144, v145, v7, s[4:5]
	v_cmp_u_f64_e64 s[36:37], v[4:5], v[4:5]
	v_max_f64 v[146:147], v[146:147], v[148:149]
	s_nop 0
	v_cndmask_b32_e64 v145, v144, v5, s[36:37]
	v_cndmask_b32_e64 v144, v71, v4, s[36:37]
	v_cndmask_b32_e64 v71, v146, v6, s[4:5]
	v_cndmask_b32_e64 v146, v147, v7, s[4:5]
	v_cndmask_b32_e64 v5, v146, v5, s[36:37]
	v_cndmask_b32_e64 v4, v71, v4, s[36:37]
	v_cmp_neq_f64_e64 s[4:5], v[144:145], v[4:5]
	v_cmp_class_f64_e64 s[36:37], v[144:145], s46
	s_or_b64 s[4:5], s[4:5], s[36:37]
	s_and_saveexec_b64 s[38:39], s[4:5]
	s_cbranch_execz .LBB30_333
; %bb.332:
	s_mov_b32 s4, 0x652b82fe
	v_add_f64 v[6:7], v[144:145], -v[4:5]
	s_mov_b32 s5, 0x3ff71547
	v_mul_f64 v[144:145], v[6:7], s[4:5]
	v_rndne_f64_e32 v[144:145], v[144:145]
	s_mov_b32 s41, 0xbfe62e42
	s_mov_b32 s40, 0xfefa39ef
	v_fma_f64 v[146:147], s[40:41], v[144:145], v[6:7]
	s_mov_b32 s45, 0xbc7abc9e
	s_mov_b32 s44, 0x3b39803f
	;; [unrolled: 1-line block ×3, first 2 shown]
	v_fmac_f64_e32 v[146:147], s[44:45], v[144:145]
	v_mov_b32_e32 v148, 0xfca7ab0c
	v_mov_b32_e32 v149, 0x3e928af3
	s_mov_b32 s5, 0x3e5ade15
	v_fmac_f64_e32 v[148:149], s[4:5], v[146:147]
	v_mov_b32_e32 v150, 0x623fde64
	v_mov_b32_e32 v151, 0x3ec71dee
	v_fmac_f64_e32 v[150:151], v[146:147], v[148:149]
	v_mov_b32_e32 v148, 0x7c89e6b0
	v_mov_b32_e32 v149, 0x3efa0199
	;; [unrolled: 3-line block ×8, first 2 shown]
	v_fmac_f64_e32 v[148:149], v[146:147], v[150:151]
	v_fma_f64 v[148:149], v[146:147], v[148:149], 1.0
	s_mov_b32 s4, 0
	s_mov_b32 s36, 0
	v_fma_f64 v[146:147], v[146:147], v[148:149], 1.0
	v_cvt_i32_f64_e32 v71, v[144:145]
	s_mov_b32 s5, 0x40900000
	s_mov_b32 s37, 0xc090cc00
	v_ldexp_f64 v[144:145], v[146:147], v71
	v_mov_b32_e32 v71, 0x7ff00000
	v_cmp_nlt_f64_e64 s[4:5], s[4:5], v[6:7]
	v_cmp_ngt_f64_e64 s[36:37], s[36:37], v[6:7]
	s_mov_b32 s41, 0x3fe62e42
	v_cndmask_b32_e64 v71, v71, v145, s[4:5]
	s_and_b64 s[4:5], s[36:37], s[4:5]
	v_cndmask_b32_e64 v7, 0, v71, s[36:37]
	v_cndmask_b32_e64 v6, 0, v144, s[4:5]
	v_add_f64 v[144:145], v[6:7], 1.0
	v_add_f64 v[146:147], v[144:145], -1.0
	v_add_f64 v[148:149], v[146:147], -v[144:145]
	v_add_f64 v[148:149], v[148:149], 1.0
	v_add_f64 v[146:147], v[6:7], -v[146:147]
	s_mov_b32 s4, 0x55555555
	v_add_f64 v[146:147], v[146:147], v[148:149]
	v_frexp_mant_f64_e32 v[148:149], v[144:145]
	s_mov_b32 s5, 0x3fe55555
	v_frexp_exp_i32_f64_e32 v71, v[144:145]
	v_cmp_gt_f64_e64 s[4:5], s[4:5], v[148:149]
	s_mov_b32 s45, 0x3c7abc9e
	s_nop 0
	v_subbrev_co_u32_e64 v71, s[4:5], 0, v71, s[4:5]
	v_sub_u32_e32 v148, 0, v71
	v_ldexp_f64 v[144:145], v[144:145], v148
	v_ldexp_f64 v[146:147], v[146:147], v148
	v_add_f64 v[148:149], v[144:145], -1.0
	v_add_f64 v[162:163], v[144:145], 1.0
	v_add_f64 v[150:151], v[148:149], 1.0
	v_add_f64 v[164:165], v[162:163], -1.0
	v_add_f64 v[150:151], v[144:145], -v[150:151]
	v_add_f64 v[144:145], v[144:145], -v[164:165]
	v_add_f64 v[144:145], v[146:147], v[144:145]
	v_add_f64 v[150:151], v[146:147], v[150:151]
	;; [unrolled: 1-line block ×3, first 2 shown]
	v_rcp_f64_e32 v[164:165], v[146:147]
	v_add_f64 v[160:161], v[148:149], v[150:151]
	v_add_f64 v[148:149], v[160:161], -v[148:149]
	v_add_f64 v[148:149], v[150:151], -v[148:149]
	;; [unrolled: 1-line block ×4, first 2 shown]
	v_fma_f64 v[150:151], -v[146:147], v[164:165], 1.0
	v_fmac_f64_e32 v[164:165], v[150:151], v[164:165]
	v_fma_f64 v[150:151], -v[146:147], v[164:165], 1.0
	v_fmac_f64_e32 v[164:165], v[150:151], v[164:165]
	v_mul_f64 v[150:151], v[160:161], v[164:165]
	v_mul_f64 v[162:163], v[146:147], v[150:151]
	v_fma_f64 v[166:167], v[150:151], v[146:147], -v[162:163]
	v_fmac_f64_e32 v[166:167], v[150:151], v[144:145]
	v_add_f64 v[176:177], v[162:163], v[166:167]
	v_add_f64 v[178:179], v[160:161], -v[176:177]
	v_add_f64 v[160:161], v[160:161], -v[178:179]
	;; [unrolled: 1-line block ×4, first 2 shown]
	v_add_f64 v[148:149], v[148:149], v[160:161]
	v_add_f64 v[160:161], v[162:163], -v[166:167]
	v_add_f64 v[148:149], v[160:161], v[148:149]
	v_add_f64 v[160:161], v[178:179], v[148:149]
	v_add_f64 v[162:163], v[178:179], -v[160:161]
	v_add_f64 v[148:149], v[148:149], v[162:163]
	v_mul_f64 v[162:163], v[164:165], v[160:161]
	v_mul_f64 v[166:167], v[146:147], v[162:163]
	v_fma_f64 v[146:147], v[162:163], v[146:147], -v[166:167]
	v_fmac_f64_e32 v[146:147], v[162:163], v[144:145]
	v_add_f64 v[144:145], v[166:167], v[146:147]
	v_add_f64 v[176:177], v[160:161], -v[144:145]
	v_add_f64 v[160:161], v[160:161], -v[176:177]
	;; [unrolled: 1-line block ×4, first 2 shown]
	v_add_f64 v[144:145], v[148:149], v[144:145]
	v_add_f64 v[146:147], v[166:167], -v[146:147]
	v_add_f64 v[144:145], v[146:147], v[144:145]
	v_add_f64 v[146:147], v[150:151], v[162:163]
	;; [unrolled: 1-line block ×3, first 2 shown]
	v_add_f64 v[148:149], v[146:147], -v[150:151]
	v_mul_f64 v[144:145], v[164:165], v[144:145]
	v_add_f64 v[148:149], v[162:163], -v[148:149]
	v_add_f64 v[144:145], v[148:149], v[144:145]
	v_add_f64 v[148:149], v[146:147], v[144:145]
	v_add_f64 v[146:147], v[148:149], -v[146:147]
	s_mov_b32 s4, 0xbf559e2b
	v_add_f64 v[144:145], v[144:145], -v[146:147]
	v_mul_f64 v[146:147], v[148:149], v[148:149]
	v_mov_b32_e32 v150, 0x6b47b09a
	v_mov_b32_e32 v151, 0x3fc38538
	s_mov_b32 s5, 0x3fc3ab76
	v_fmac_f64_e32 v[150:151], s[4:5], v[146:147]
	v_mov_b32_e32 v160, 0xd7f4df2e
	v_mov_b32_e32 v161, 0x3fc7474d
	v_fmac_f64_e32 v[160:161], v[146:147], v[150:151]
	v_mov_b32_e32 v150, 0x16291751
	v_mov_b32_e32 v151, 0x3fcc71c0
	;; [unrolled: 3-line block ×5, first 2 shown]
	v_fmac_f64_e32 v[160:161], v[146:147], v[150:151]
	v_cvt_f64_i32_e32 v[150:151], v71
	v_mul_f64 v[162:163], v[150:151], s[40:41]
	v_fma_f64 v[164:165], v[150:151], s[40:41], -v[162:163]
	v_fmac_f64_e32 v[164:165], s[44:45], v[150:151]
	v_add_f64 v[150:151], v[162:163], v[164:165]
	v_add_f64 v[162:163], v[150:151], -v[162:163]
	v_mul_f64 v[146:147], v[148:149], v[146:147]
	v_add_f64 v[162:163], v[164:165], -v[162:163]
	v_ldexp_f64 v[164:165], v[148:149], 1
	v_mul_f64 v[146:147], v[146:147], v[160:161]
	v_add_f64 v[148:149], v[164:165], v[146:147]
	v_add_f64 v[160:161], v[148:149], -v[164:165]
	v_ldexp_f64 v[144:145], v[144:145], 1
	v_add_f64 v[146:147], v[146:147], -v[160:161]
	v_add_f64 v[144:145], v[144:145], v[146:147]
	v_add_f64 v[146:147], v[148:149], v[144:145]
	v_add_f64 v[148:149], v[146:147], -v[148:149]
	v_add_f64 v[144:145], v[144:145], -v[148:149]
	v_add_f64 v[148:149], v[150:151], v[146:147]
	v_add_f64 v[160:161], v[148:149], -v[150:151]
	v_add_f64 v[164:165], v[148:149], -v[160:161]
	;; [unrolled: 1-line block ×4, first 2 shown]
	v_add_f64 v[146:147], v[146:147], v[150:151]
	v_add_f64 v[150:151], v[162:163], v[144:145]
	v_add_f64 v[160:161], v[150:151], -v[162:163]
	v_add_f64 v[146:147], v[150:151], v[146:147]
	v_add_f64 v[164:165], v[150:151], -v[160:161]
	;; [unrolled: 2-line block ×3, first 2 shown]
	v_add_f64 v[144:145], v[144:145], -v[160:161]
	v_add_f64 v[148:149], v[150:151], -v[148:149]
	v_add_f64 v[144:145], v[144:145], v[162:163]
	v_add_f64 v[146:147], v[146:147], -v[148:149]
	s_mov_b32 s4, 0
	v_add_f64 v[144:145], v[144:145], v[146:147]
	s_mov_b32 s5, 0x7ff00000
	v_add_f64 v[144:145], v[150:151], v[144:145]
	v_cmp_eq_f64_e64 s[4:5], s[4:5], v[6:7]
	s_nop 1
	v_cndmask_b32_e64 v71, v144, v6, s[4:5]
	v_cndmask_b32_e64 v144, v145, v7, s[4:5]
	v_mov_b32_e32 v145, 0x7ff80000
	v_cmp_ngt_f64_e64 s[4:5], -1.0, v[6:7]
	s_nop 1
	v_cndmask_b32_e64 v145, v145, v144, s[4:5]
	v_cmp_nge_f64_e64 s[4:5], -1.0, v[6:7]
	s_nop 1
	v_cndmask_b32_e64 v144, 0, v71, s[4:5]
	v_mov_b32_e32 v71, 0xfff00000
	v_cmp_neq_f64_e64 s[4:5], -1.0, v[6:7]
	s_nop 1
	v_cndmask_b32_e64 v145, v71, v145, s[4:5]
	v_add_f64 v[6:7], v[4:5], v[144:145]
.LBB30_333:
	s_or_b64 exec, exec, s[38:39]
	ds_read_b64 v[4:5], v53 offset:24
	v_max_f64 v[146:147], v[6:7], v[6:7]
	v_cmp_u_f64_e64 s[4:5], v[6:7], v[6:7]
	ds_write_b64 v53, v[6:7] offset:16
	s_waitcnt lgkmcnt(1)
	v_max_f64 v[148:149], v[4:5], v[4:5]
	v_min_f64 v[144:145], v[146:147], v[148:149]
	v_cndmask_b32_e64 v71, v144, v6, s[4:5]
	v_cndmask_b32_e64 v144, v145, v7, s[4:5]
	v_cmp_u_f64_e64 s[36:37], v[4:5], v[4:5]
	v_max_f64 v[146:147], v[146:147], v[148:149]
	s_nop 0
	v_cndmask_b32_e64 v145, v144, v5, s[36:37]
	v_cndmask_b32_e64 v144, v71, v4, s[36:37]
	v_cndmask_b32_e64 v71, v146, v6, s[4:5]
	v_cndmask_b32_e64 v146, v147, v7, s[4:5]
	v_cndmask_b32_e64 v5, v146, v5, s[36:37]
	v_cndmask_b32_e64 v4, v71, v4, s[36:37]
	v_cmp_neq_f64_e64 s[4:5], v[144:145], v[4:5]
	v_cmp_class_f64_e64 s[36:37], v[144:145], s46
	s_or_b64 s[4:5], s[4:5], s[36:37]
	s_and_saveexec_b64 s[38:39], s[4:5]
	s_cbranch_execz .LBB30_335
; %bb.334:
	s_mov_b32 s4, 0x652b82fe
	v_add_f64 v[6:7], v[144:145], -v[4:5]
	s_mov_b32 s5, 0x3ff71547
	v_mul_f64 v[144:145], v[6:7], s[4:5]
	v_rndne_f64_e32 v[144:145], v[144:145]
	s_mov_b32 s41, 0xbfe62e42
	s_mov_b32 s40, 0xfefa39ef
	v_fma_f64 v[146:147], s[40:41], v[144:145], v[6:7]
	s_mov_b32 s45, 0xbc7abc9e
	s_mov_b32 s44, 0x3b39803f
	;; [unrolled: 1-line block ×3, first 2 shown]
	v_fmac_f64_e32 v[146:147], s[44:45], v[144:145]
	v_mov_b32_e32 v148, 0xfca7ab0c
	v_mov_b32_e32 v149, 0x3e928af3
	s_mov_b32 s5, 0x3e5ade15
	v_fmac_f64_e32 v[148:149], s[4:5], v[146:147]
	v_mov_b32_e32 v150, 0x623fde64
	v_mov_b32_e32 v151, 0x3ec71dee
	v_fmac_f64_e32 v[150:151], v[146:147], v[148:149]
	v_mov_b32_e32 v148, 0x7c89e6b0
	v_mov_b32_e32 v149, 0x3efa0199
	;; [unrolled: 3-line block ×8, first 2 shown]
	v_fmac_f64_e32 v[148:149], v[146:147], v[150:151]
	v_fma_f64 v[148:149], v[146:147], v[148:149], 1.0
	s_mov_b32 s4, 0
	s_mov_b32 s36, 0
	v_fma_f64 v[146:147], v[146:147], v[148:149], 1.0
	v_cvt_i32_f64_e32 v71, v[144:145]
	s_mov_b32 s5, 0x40900000
	s_mov_b32 s37, 0xc090cc00
	v_ldexp_f64 v[144:145], v[146:147], v71
	v_mov_b32_e32 v71, 0x7ff00000
	v_cmp_nlt_f64_e64 s[4:5], s[4:5], v[6:7]
	v_cmp_ngt_f64_e64 s[36:37], s[36:37], v[6:7]
	s_mov_b32 s41, 0x3fe62e42
	v_cndmask_b32_e64 v71, v71, v145, s[4:5]
	s_and_b64 s[4:5], s[36:37], s[4:5]
	v_cndmask_b32_e64 v7, 0, v71, s[36:37]
	v_cndmask_b32_e64 v6, 0, v144, s[4:5]
	v_add_f64 v[144:145], v[6:7], 1.0
	v_add_f64 v[146:147], v[144:145], -1.0
	v_add_f64 v[148:149], v[146:147], -v[144:145]
	v_add_f64 v[148:149], v[148:149], 1.0
	v_add_f64 v[146:147], v[6:7], -v[146:147]
	s_mov_b32 s4, 0x55555555
	v_add_f64 v[146:147], v[146:147], v[148:149]
	v_frexp_mant_f64_e32 v[148:149], v[144:145]
	s_mov_b32 s5, 0x3fe55555
	v_frexp_exp_i32_f64_e32 v71, v[144:145]
	v_cmp_gt_f64_e64 s[4:5], s[4:5], v[148:149]
	s_mov_b32 s45, 0x3c7abc9e
	s_nop 0
	v_subbrev_co_u32_e64 v71, s[4:5], 0, v71, s[4:5]
	v_sub_u32_e32 v148, 0, v71
	v_ldexp_f64 v[144:145], v[144:145], v148
	v_ldexp_f64 v[146:147], v[146:147], v148
	v_add_f64 v[148:149], v[144:145], -1.0
	v_add_f64 v[162:163], v[144:145], 1.0
	v_add_f64 v[150:151], v[148:149], 1.0
	v_add_f64 v[164:165], v[162:163], -1.0
	v_add_f64 v[150:151], v[144:145], -v[150:151]
	v_add_f64 v[144:145], v[144:145], -v[164:165]
	v_add_f64 v[144:145], v[146:147], v[144:145]
	v_add_f64 v[150:151], v[146:147], v[150:151]
	;; [unrolled: 1-line block ×3, first 2 shown]
	v_rcp_f64_e32 v[164:165], v[146:147]
	v_add_f64 v[160:161], v[148:149], v[150:151]
	v_add_f64 v[148:149], v[160:161], -v[148:149]
	v_add_f64 v[148:149], v[150:151], -v[148:149]
	;; [unrolled: 1-line block ×4, first 2 shown]
	v_fma_f64 v[150:151], -v[146:147], v[164:165], 1.0
	v_fmac_f64_e32 v[164:165], v[150:151], v[164:165]
	v_fma_f64 v[150:151], -v[146:147], v[164:165], 1.0
	v_fmac_f64_e32 v[164:165], v[150:151], v[164:165]
	v_mul_f64 v[150:151], v[160:161], v[164:165]
	v_mul_f64 v[162:163], v[146:147], v[150:151]
	v_fma_f64 v[166:167], v[150:151], v[146:147], -v[162:163]
	v_fmac_f64_e32 v[166:167], v[150:151], v[144:145]
	v_add_f64 v[176:177], v[162:163], v[166:167]
	v_add_f64 v[178:179], v[160:161], -v[176:177]
	v_add_f64 v[160:161], v[160:161], -v[178:179]
	;; [unrolled: 1-line block ×4, first 2 shown]
	v_add_f64 v[148:149], v[148:149], v[160:161]
	v_add_f64 v[160:161], v[162:163], -v[166:167]
	v_add_f64 v[148:149], v[160:161], v[148:149]
	v_add_f64 v[160:161], v[178:179], v[148:149]
	v_add_f64 v[162:163], v[178:179], -v[160:161]
	v_add_f64 v[148:149], v[148:149], v[162:163]
	v_mul_f64 v[162:163], v[164:165], v[160:161]
	v_mul_f64 v[166:167], v[146:147], v[162:163]
	v_fma_f64 v[146:147], v[162:163], v[146:147], -v[166:167]
	v_fmac_f64_e32 v[146:147], v[162:163], v[144:145]
	v_add_f64 v[144:145], v[166:167], v[146:147]
	v_add_f64 v[176:177], v[160:161], -v[144:145]
	v_add_f64 v[160:161], v[160:161], -v[176:177]
	;; [unrolled: 1-line block ×4, first 2 shown]
	v_add_f64 v[144:145], v[148:149], v[144:145]
	v_add_f64 v[146:147], v[166:167], -v[146:147]
	v_add_f64 v[144:145], v[146:147], v[144:145]
	v_add_f64 v[146:147], v[150:151], v[162:163]
	;; [unrolled: 1-line block ×3, first 2 shown]
	v_add_f64 v[148:149], v[146:147], -v[150:151]
	v_mul_f64 v[144:145], v[164:165], v[144:145]
	v_add_f64 v[148:149], v[162:163], -v[148:149]
	v_add_f64 v[144:145], v[148:149], v[144:145]
	v_add_f64 v[148:149], v[146:147], v[144:145]
	v_add_f64 v[146:147], v[148:149], -v[146:147]
	s_mov_b32 s4, 0xbf559e2b
	v_add_f64 v[144:145], v[144:145], -v[146:147]
	v_mul_f64 v[146:147], v[148:149], v[148:149]
	v_mov_b32_e32 v150, 0x6b47b09a
	v_mov_b32_e32 v151, 0x3fc38538
	s_mov_b32 s5, 0x3fc3ab76
	v_fmac_f64_e32 v[150:151], s[4:5], v[146:147]
	v_mov_b32_e32 v160, 0xd7f4df2e
	v_mov_b32_e32 v161, 0x3fc7474d
	v_fmac_f64_e32 v[160:161], v[146:147], v[150:151]
	v_mov_b32_e32 v150, 0x16291751
	v_mov_b32_e32 v151, 0x3fcc71c0
	;; [unrolled: 3-line block ×5, first 2 shown]
	v_fmac_f64_e32 v[160:161], v[146:147], v[150:151]
	v_cvt_f64_i32_e32 v[150:151], v71
	v_mul_f64 v[162:163], v[150:151], s[40:41]
	v_fma_f64 v[164:165], v[150:151], s[40:41], -v[162:163]
	v_fmac_f64_e32 v[164:165], s[44:45], v[150:151]
	v_add_f64 v[150:151], v[162:163], v[164:165]
	v_add_f64 v[162:163], v[150:151], -v[162:163]
	v_mul_f64 v[146:147], v[148:149], v[146:147]
	v_add_f64 v[162:163], v[164:165], -v[162:163]
	v_ldexp_f64 v[164:165], v[148:149], 1
	v_mul_f64 v[146:147], v[146:147], v[160:161]
	v_add_f64 v[148:149], v[164:165], v[146:147]
	v_add_f64 v[160:161], v[148:149], -v[164:165]
	v_ldexp_f64 v[144:145], v[144:145], 1
	v_add_f64 v[146:147], v[146:147], -v[160:161]
	v_add_f64 v[144:145], v[144:145], v[146:147]
	v_add_f64 v[146:147], v[148:149], v[144:145]
	v_add_f64 v[148:149], v[146:147], -v[148:149]
	v_add_f64 v[144:145], v[144:145], -v[148:149]
	v_add_f64 v[148:149], v[150:151], v[146:147]
	v_add_f64 v[160:161], v[148:149], -v[150:151]
	v_add_f64 v[164:165], v[148:149], -v[160:161]
	;; [unrolled: 1-line block ×4, first 2 shown]
	v_add_f64 v[146:147], v[146:147], v[150:151]
	v_add_f64 v[150:151], v[162:163], v[144:145]
	v_add_f64 v[160:161], v[150:151], -v[162:163]
	v_add_f64 v[146:147], v[150:151], v[146:147]
	v_add_f64 v[164:165], v[150:151], -v[160:161]
	v_add_f64 v[150:151], v[148:149], v[146:147]
	v_add_f64 v[162:163], v[162:163], -v[164:165]
	v_add_f64 v[144:145], v[144:145], -v[160:161]
	v_add_f64 v[148:149], v[150:151], -v[148:149]
	v_add_f64 v[144:145], v[144:145], v[162:163]
	v_add_f64 v[146:147], v[146:147], -v[148:149]
	s_mov_b32 s4, 0
	v_add_f64 v[144:145], v[144:145], v[146:147]
	s_mov_b32 s5, 0x7ff00000
	v_add_f64 v[144:145], v[150:151], v[144:145]
	v_cmp_eq_f64_e64 s[4:5], s[4:5], v[6:7]
	s_nop 1
	v_cndmask_b32_e64 v71, v144, v6, s[4:5]
	v_cndmask_b32_e64 v144, v145, v7, s[4:5]
	v_mov_b32_e32 v145, 0x7ff80000
	v_cmp_ngt_f64_e64 s[4:5], -1.0, v[6:7]
	s_nop 1
	v_cndmask_b32_e64 v145, v145, v144, s[4:5]
	v_cmp_nge_f64_e64 s[4:5], -1.0, v[6:7]
	s_nop 1
	v_cndmask_b32_e64 v144, 0, v71, s[4:5]
	v_mov_b32_e32 v71, 0xfff00000
	v_cmp_neq_f64_e64 s[4:5], -1.0, v[6:7]
	s_nop 1
	v_cndmask_b32_e64 v145, v71, v145, s[4:5]
	v_add_f64 v[6:7], v[4:5], v[144:145]
.LBB30_335:
	s_or_b64 exec, exec, s[38:39]
	ds_write_b64 v53, v[6:7] offset:24
.LBB30_336:
	s_or_b64 exec, exec, s[42:43]
	s_waitcnt lgkmcnt(0)
	s_barrier
	s_and_saveexec_b64 s[4:5], s[2:3]
	s_cbranch_execz .LBB30_338
; %bb.337:
	v_add_u32_e32 v4, -1, v70
	v_lshrrev_b32_e32 v5, 5, v4
	v_add_lshl_u32 v4, v5, v4, 3
	ds_read_b64 v[134:135], v4
.LBB30_338:
	s_or_b64 exec, exec, s[4:5]
	s_and_saveexec_b64 s[36:37], s[2:3]
	s_cbranch_execz .LBB30_342
; %bb.339:
	s_waitcnt lgkmcnt(0)
	v_max_f64 v[6:7], v[134:135], v[134:135]
	v_min_f64 v[4:5], v[6:7], v[34:35]
	v_cmp_u_f64_e64 s[2:3], v[134:135], v[134:135]
	v_max_f64 v[6:7], v[6:7], v[34:35]
	s_movk_i32 s4, 0x1f8
	v_cndmask_b32_e64 v4, v4, v134, s[2:3]
	v_cndmask_b32_e64 v5, v5, v135, s[2:3]
	;; [unrolled: 1-line block ×8, first 2 shown]
	v_cmp_neq_f64_e64 s[2:3], v[4:5], v[0:1]
	v_cmp_class_f64_e64 s[4:5], v[4:5], s4
	s_or_b64 s[2:3], s[2:3], s[4:5]
	s_and_saveexec_b64 s[34:35], s[2:3]
	s_cbranch_execz .LBB30_341
; %bb.340:
	s_mov_b32 s2, 0x652b82fe
	v_add_f64 v[4:5], v[4:5], -v[0:1]
	s_mov_b32 s3, 0x3ff71547
	v_mul_f64 v[6:7], v[4:5], s[2:3]
	v_rndne_f64_e32 v[6:7], v[6:7]
	s_mov_b32 s39, 0xbfe62e42
	s_mov_b32 s38, 0xfefa39ef
	v_fma_f64 v[34:35], s[38:39], v[6:7], v[4:5]
	s_mov_b32 s41, 0xbc7abc9e
	s_mov_b32 s40, 0x3b39803f
	;; [unrolled: 1-line block ×3, first 2 shown]
	v_fmac_f64_e32 v[34:35], s[40:41], v[6:7]
	v_mov_b32_e32 v36, 0xfca7ab0c
	v_mov_b32_e32 v37, 0x3e928af3
	s_mov_b32 s3, 0x3e5ade15
	v_fmac_f64_e32 v[36:37], s[2:3], v[34:35]
	v_mov_b32_e32 v48, 0x623fde64
	v_mov_b32_e32 v49, 0x3ec71dee
	v_fmac_f64_e32 v[48:49], v[34:35], v[36:37]
	v_mov_b32_e32 v36, 0x7c89e6b0
	v_mov_b32_e32 v37, 0x3efa0199
	;; [unrolled: 3-line block ×8, first 2 shown]
	v_fmac_f64_e32 v[36:37], v[34:35], v[48:49]
	v_fma_f64 v[36:37], v[34:35], v[36:37], 1.0
	s_mov_b32 s2, 0
	s_mov_b32 s4, 0
	v_fma_f64 v[34:35], v[34:35], v[36:37], 1.0
	v_cvt_i32_f64_e32 v6, v[6:7]
	s_mov_b32 s3, 0x40900000
	s_mov_b32 s5, 0xc090cc00
	v_ldexp_f64 v[6:7], v[34:35], v6
	v_mov_b32_e32 v34, 0x7ff00000
	v_cmp_nlt_f64_e64 s[2:3], s[2:3], v[4:5]
	v_cmp_ngt_f64_e64 s[4:5], s[4:5], v[4:5]
	s_mov_b32 s39, 0x3fe62e42
	v_cndmask_b32_e64 v7, v34, v7, s[2:3]
	s_and_b64 s[2:3], s[4:5], s[2:3]
	v_cndmask_b32_e64 v5, 0, v7, s[4:5]
	v_cndmask_b32_e64 v4, 0, v6, s[2:3]
	v_add_f64 v[6:7], v[4:5], 1.0
	v_add_f64 v[34:35], v[6:7], -1.0
	v_add_f64 v[36:37], v[34:35], -v[6:7]
	v_add_f64 v[36:37], v[36:37], 1.0
	v_add_f64 v[34:35], v[4:5], -v[34:35]
	s_mov_b32 s2, 0x55555555
	v_add_f64 v[34:35], v[34:35], v[36:37]
	v_frexp_mant_f64_e32 v[36:37], v[6:7]
	s_mov_b32 s3, 0x3fe55555
	v_frexp_exp_i32_f64_e32 v48, v[6:7]
	v_cmp_gt_f64_e64 s[2:3], s[2:3], v[36:37]
	s_mov_b32 s41, 0x3c7abc9e
	s_nop 0
	v_subbrev_co_u32_e64 v53, s[2:3], 0, v48, s[2:3]
	v_sub_u32_e32 v36, 0, v53
	v_ldexp_f64 v[6:7], v[6:7], v36
	v_ldexp_f64 v[34:35], v[34:35], v36
	v_add_f64 v[36:37], v[6:7], -1.0
	v_add_f64 v[144:145], v[6:7], 1.0
	v_add_f64 v[48:49], v[36:37], 1.0
	v_add_f64 v[146:147], v[144:145], -1.0
	v_add_f64 v[48:49], v[6:7], -v[48:49]
	v_add_f64 v[6:7], v[6:7], -v[146:147]
	v_add_f64 v[6:7], v[34:35], v[6:7]
	v_add_f64 v[48:49], v[34:35], v[48:49]
	;; [unrolled: 1-line block ×3, first 2 shown]
	v_rcp_f64_e32 v[146:147], v[34:35]
	v_add_f64 v[134:135], v[36:37], v[48:49]
	v_add_f64 v[36:37], v[134:135], -v[36:37]
	v_add_f64 v[36:37], v[48:49], -v[36:37]
	;; [unrolled: 1-line block ×4, first 2 shown]
	v_fma_f64 v[48:49], -v[34:35], v[146:147], 1.0
	v_fmac_f64_e32 v[146:147], v[48:49], v[146:147]
	v_fma_f64 v[48:49], -v[34:35], v[146:147], 1.0
	v_fmac_f64_e32 v[146:147], v[48:49], v[146:147]
	v_mul_f64 v[48:49], v[134:135], v[146:147]
	v_mul_f64 v[144:145], v[34:35], v[48:49]
	v_fma_f64 v[148:149], v[48:49], v[34:35], -v[144:145]
	v_fmac_f64_e32 v[148:149], v[48:49], v[6:7]
	v_add_f64 v[150:151], v[144:145], v[148:149]
	v_add_f64 v[160:161], v[134:135], -v[150:151]
	v_add_f64 v[134:135], v[134:135], -v[160:161]
	;; [unrolled: 1-line block ×4, first 2 shown]
	v_add_f64 v[36:37], v[36:37], v[134:135]
	v_add_f64 v[134:135], v[144:145], -v[148:149]
	v_add_f64 v[36:37], v[134:135], v[36:37]
	v_add_f64 v[134:135], v[160:161], v[36:37]
	v_add_f64 v[144:145], v[160:161], -v[134:135]
	v_add_f64 v[36:37], v[36:37], v[144:145]
	v_mul_f64 v[144:145], v[146:147], v[134:135]
	v_mul_f64 v[148:149], v[34:35], v[144:145]
	v_fma_f64 v[34:35], v[144:145], v[34:35], -v[148:149]
	v_fmac_f64_e32 v[34:35], v[144:145], v[6:7]
	v_add_f64 v[6:7], v[148:149], v[34:35]
	v_add_f64 v[150:151], v[134:135], -v[6:7]
	v_add_f64 v[134:135], v[134:135], -v[150:151]
	;; [unrolled: 1-line block ×4, first 2 shown]
	v_add_f64 v[6:7], v[36:37], v[6:7]
	v_add_f64 v[34:35], v[148:149], -v[34:35]
	v_add_f64 v[6:7], v[34:35], v[6:7]
	v_add_f64 v[34:35], v[48:49], v[144:145]
	;; [unrolled: 1-line block ×3, first 2 shown]
	v_add_f64 v[36:37], v[34:35], -v[48:49]
	v_mul_f64 v[6:7], v[146:147], v[6:7]
	v_add_f64 v[36:37], v[144:145], -v[36:37]
	v_add_f64 v[6:7], v[36:37], v[6:7]
	v_add_f64 v[36:37], v[34:35], v[6:7]
	v_add_f64 v[34:35], v[36:37], -v[34:35]
	s_mov_b32 s2, 0xbf559e2b
	v_add_f64 v[6:7], v[6:7], -v[34:35]
	v_mul_f64 v[34:35], v[36:37], v[36:37]
	v_mov_b32_e32 v48, 0x6b47b09a
	v_mov_b32_e32 v49, 0x3fc38538
	s_mov_b32 s3, 0x3fc3ab76
	v_fmac_f64_e32 v[48:49], s[2:3], v[34:35]
	v_mov_b32_e32 v134, 0xd7f4df2e
	v_mov_b32_e32 v135, 0x3fc7474d
	v_fmac_f64_e32 v[134:135], v[34:35], v[48:49]
	v_mov_b32_e32 v48, 0x16291751
	v_mov_b32_e32 v49, 0x3fcc71c0
	;; [unrolled: 3-line block ×5, first 2 shown]
	v_fmac_f64_e32 v[134:135], v[34:35], v[48:49]
	v_cvt_f64_i32_e32 v[48:49], v53
	v_mul_f64 v[144:145], v[48:49], s[38:39]
	v_fma_f64 v[146:147], v[48:49], s[38:39], -v[144:145]
	v_fmac_f64_e32 v[146:147], s[40:41], v[48:49]
	v_add_f64 v[48:49], v[144:145], v[146:147]
	v_add_f64 v[144:145], v[48:49], -v[144:145]
	v_mul_f64 v[34:35], v[36:37], v[34:35]
	v_add_f64 v[144:145], v[146:147], -v[144:145]
	v_ldexp_f64 v[146:147], v[36:37], 1
	v_mul_f64 v[34:35], v[34:35], v[134:135]
	v_add_f64 v[36:37], v[146:147], v[34:35]
	v_add_f64 v[134:135], v[36:37], -v[146:147]
	v_ldexp_f64 v[6:7], v[6:7], 1
	v_add_f64 v[34:35], v[34:35], -v[134:135]
	v_add_f64 v[6:7], v[6:7], v[34:35]
	v_add_f64 v[34:35], v[36:37], v[6:7]
	v_add_f64 v[36:37], v[34:35], -v[36:37]
	v_add_f64 v[6:7], v[6:7], -v[36:37]
	v_add_f64 v[36:37], v[48:49], v[34:35]
	v_add_f64 v[134:135], v[36:37], -v[48:49]
	v_add_f64 v[146:147], v[36:37], -v[134:135]
	;; [unrolled: 1-line block ×4, first 2 shown]
	v_add_f64 v[34:35], v[34:35], v[48:49]
	v_add_f64 v[48:49], v[144:145], v[6:7]
	v_add_f64 v[134:135], v[48:49], -v[144:145]
	v_add_f64 v[34:35], v[48:49], v[34:35]
	v_add_f64 v[146:147], v[48:49], -v[134:135]
	;; [unrolled: 2-line block ×3, first 2 shown]
	v_add_f64 v[6:7], v[6:7], -v[134:135]
	v_add_f64 v[36:37], v[48:49], -v[36:37]
	v_add_f64 v[6:7], v[6:7], v[144:145]
	v_add_f64 v[34:35], v[34:35], -v[36:37]
	s_mov_b32 s2, 0
	v_add_f64 v[6:7], v[6:7], v[34:35]
	s_mov_b32 s3, 0x7ff00000
	v_add_f64 v[6:7], v[48:49], v[6:7]
	v_cmp_eq_f64_e64 s[2:3], s[2:3], v[4:5]
	v_mov_b32_e32 v34, 0x7ff80000
	s_nop 0
	v_cndmask_b32_e64 v6, v6, v4, s[2:3]
	v_cndmask_b32_e64 v7, v7, v5, s[2:3]
	v_cmp_ngt_f64_e64 s[2:3], -1.0, v[4:5]
	s_nop 1
	v_cndmask_b32_e64 v7, v34, v7, s[2:3]
	v_cmp_nge_f64_e64 s[2:3], -1.0, v[4:5]
	v_mov_b32_e32 v34, 0xfff00000
	s_nop 0
	v_cndmask_b32_e64 v6, 0, v6, s[2:3]
	v_cmp_neq_f64_e64 s[2:3], -1.0, v[4:5]
	s_nop 1
	v_cndmask_b32_e64 v7, v34, v7, s[2:3]
	v_add_f64 v[134:135], v[0:1], v[6:7]
.LBB30_341:
	s_or_b64 exec, exec, s[34:35]
	v_max_f64 v[0:1], v[134:135], v[134:135]
	v_min_f64 v[36:37], v[0:1], v[132:133]
	v_max_f64 v[48:49], v[0:1], v[132:133]
	v_mov_b64_e32 v[0:1], v[134:135]
	;;#ASMSTART
	;;#ASMEND
.LBB30_342:
	s_or_b64 exec, exec, s[36:37]
	v_cmp_u_f64_e64 s[2:3], v[0:1], v[0:1]
	s_movk_i32 s38, 0x1f8
	s_nop 0
	v_cndmask_b32_e64 v4, v36, v0, s[2:3]
	v_cndmask_b32_e64 v5, v37, v1, s[2:3]
	v_cndmask_b32_e32 v7, v5, v3, vcc
	v_cndmask_b32_e32 v6, v4, v2, vcc
	v_cndmask_b32_e64 v4, v48, v0, s[2:3]
	v_cndmask_b32_e64 v5, v49, v1, s[2:3]
	v_cndmask_b32_e32 v5, v5, v3, vcc
	v_cndmask_b32_e32 v4, v4, v2, vcc
	v_cmp_neq_f64_e32 vcc, v[6:7], v[4:5]
	v_cmp_class_f64_e64 s[2:3], v[6:7], s38
	s_or_b64 s[2:3], vcc, s[2:3]
	v_mov_b64_e32 v[2:3], v[0:1]
	s_and_saveexec_b64 s[4:5], s[2:3]
	s_cbranch_execz .LBB30_344
; %bb.343:
	s_mov_b32 s2, 0x652b82fe
	v_add_f64 v[2:3], v[6:7], -v[4:5]
	s_mov_b32 s3, 0x3ff71547
	v_mul_f64 v[6:7], v[2:3], s[2:3]
	v_rndne_f64_e32 v[6:7], v[6:7]
	s_mov_b32 s35, 0xbfe62e42
	s_mov_b32 s34, 0xfefa39ef
	v_fma_f64 v[34:35], s[34:35], v[6:7], v[2:3]
	s_mov_b32 s37, 0xbc7abc9e
	s_mov_b32 s36, 0x3b39803f
	;; [unrolled: 1-line block ×3, first 2 shown]
	v_fmac_f64_e32 v[34:35], s[36:37], v[6:7]
	v_mov_b32_e32 v36, 0xfca7ab0c
	v_mov_b32_e32 v37, 0x3e928af3
	s_mov_b32 s3, 0x3e5ade15
	v_fmac_f64_e32 v[36:37], s[2:3], v[34:35]
	v_mov_b32_e32 v48, 0x623fde64
	v_mov_b32_e32 v49, 0x3ec71dee
	v_fmac_f64_e32 v[48:49], v[34:35], v[36:37]
	v_mov_b32_e32 v36, 0x7c89e6b0
	v_mov_b32_e32 v37, 0x3efa0199
	;; [unrolled: 3-line block ×8, first 2 shown]
	s_mov_b32 s2, 0
	v_fmac_f64_e32 v[36:37], v[34:35], v[48:49]
	s_mov_b32 s3, 0x40900000
	v_fma_f64 v[36:37], v[34:35], v[36:37], 1.0
	v_cmp_nlt_f64_e32 vcc, s[2:3], v[2:3]
	s_mov_b32 s2, 0
	v_fma_f64 v[34:35], v[34:35], v[36:37], 1.0
	v_cvt_i32_f64_e32 v6, v[6:7]
	s_mov_b32 s3, 0xc090cc00
	v_ldexp_f64 v[6:7], v[34:35], v6
	v_mov_b32_e32 v34, 0x7ff00000
	v_cmp_ngt_f64_e64 s[2:3], s[2:3], v[2:3]
	v_cndmask_b32_e32 v7, v34, v7, vcc
	s_and_b64 vcc, s[2:3], vcc
	v_cndmask_b32_e64 v3, 0, v7, s[2:3]
	v_cndmask_b32_e32 v2, 0, v6, vcc
	v_add_f64 v[6:7], v[2:3], 1.0
	v_add_f64 v[34:35], v[6:7], -1.0
	v_add_f64 v[36:37], v[34:35], -v[6:7]
	v_add_f64 v[36:37], v[36:37], 1.0
	v_add_f64 v[34:35], v[2:3], -v[34:35]
	s_mov_b32 s2, 0x55555555
	v_add_f64 v[34:35], v[34:35], v[36:37]
	v_frexp_mant_f64_e32 v[36:37], v[6:7]
	s_mov_b32 s3, 0x3fe55555
	v_frexp_exp_i32_f64_e32 v48, v[6:7]
	v_cmp_gt_f64_e32 vcc, s[2:3], v[36:37]
	s_mov_b32 s2, 0xbf559e2b
	s_mov_b32 s3, 0x3fc3ab76
	v_subbrev_co_u32_e32 v53, vcc, 0, v48, vcc
	v_sub_u32_e32 v36, 0, v53
	v_ldexp_f64 v[6:7], v[6:7], v36
	v_ldexp_f64 v[34:35], v[34:35], v36
	v_add_f64 v[36:37], v[6:7], -1.0
	s_waitcnt lgkmcnt(0)
	v_add_f64 v[134:135], v[6:7], 1.0
	v_add_f64 v[48:49], v[36:37], 1.0
	v_add_f64 v[144:145], v[134:135], -1.0
	v_add_f64 v[48:49], v[6:7], -v[48:49]
	v_add_f64 v[6:7], v[6:7], -v[144:145]
	v_add_f64 v[6:7], v[34:35], v[6:7]
	v_add_f64 v[48:49], v[34:35], v[48:49]
	;; [unrolled: 1-line block ×3, first 2 shown]
	v_rcp_f64_e32 v[144:145], v[34:35]
	v_add_f64 v[132:133], v[36:37], v[48:49]
	v_add_f64 v[36:37], v[132:133], -v[36:37]
	v_add_f64 v[36:37], v[48:49], -v[36:37]
	;; [unrolled: 1-line block ×4, first 2 shown]
	v_fma_f64 v[48:49], -v[34:35], v[144:145], 1.0
	v_fmac_f64_e32 v[144:145], v[48:49], v[144:145]
	v_fma_f64 v[48:49], -v[34:35], v[144:145], 1.0
	v_fmac_f64_e32 v[144:145], v[48:49], v[144:145]
	v_mul_f64 v[48:49], v[132:133], v[144:145]
	v_mul_f64 v[134:135], v[34:35], v[48:49]
	v_fma_f64 v[146:147], v[48:49], v[34:35], -v[134:135]
	v_fmac_f64_e32 v[146:147], v[48:49], v[6:7]
	v_add_f64 v[148:149], v[134:135], v[146:147]
	v_add_f64 v[150:151], v[132:133], -v[148:149]
	v_add_f64 v[132:133], v[132:133], -v[150:151]
	v_add_f64 v[134:135], v[148:149], -v[134:135]
	v_add_f64 v[132:133], v[132:133], -v[148:149]
	v_add_f64 v[36:37], v[36:37], v[132:133]
	v_add_f64 v[132:133], v[134:135], -v[146:147]
	v_add_f64 v[36:37], v[132:133], v[36:37]
	v_add_f64 v[132:133], v[150:151], v[36:37]
	v_add_f64 v[134:135], v[150:151], -v[132:133]
	v_add_f64 v[36:37], v[36:37], v[134:135]
	v_mul_f64 v[134:135], v[144:145], v[132:133]
	v_mul_f64 v[146:147], v[34:35], v[134:135]
	v_fma_f64 v[34:35], v[134:135], v[34:35], -v[146:147]
	v_fmac_f64_e32 v[34:35], v[134:135], v[6:7]
	v_add_f64 v[6:7], v[146:147], v[34:35]
	v_add_f64 v[148:149], v[132:133], -v[6:7]
	v_add_f64 v[132:133], v[132:133], -v[148:149]
	;; [unrolled: 1-line block ×4, first 2 shown]
	v_add_f64 v[6:7], v[36:37], v[6:7]
	v_add_f64 v[34:35], v[146:147], -v[34:35]
	v_add_f64 v[6:7], v[34:35], v[6:7]
	v_add_f64 v[34:35], v[48:49], v[134:135]
	;; [unrolled: 1-line block ×3, first 2 shown]
	v_add_f64 v[36:37], v[34:35], -v[48:49]
	v_mul_f64 v[6:7], v[144:145], v[6:7]
	v_add_f64 v[36:37], v[134:135], -v[36:37]
	v_add_f64 v[6:7], v[36:37], v[6:7]
	v_add_f64 v[36:37], v[34:35], v[6:7]
	v_add_f64 v[34:35], v[36:37], -v[34:35]
	v_add_f64 v[6:7], v[6:7], -v[34:35]
	v_mul_f64 v[34:35], v[36:37], v[36:37]
	v_mov_b32_e32 v48, 0x6b47b09a
	v_mov_b32_e32 v49, 0x3fc38538
	v_fmac_f64_e32 v[48:49], s[2:3], v[34:35]
	v_mov_b32_e32 v132, 0xd7f4df2e
	v_mov_b32_e32 v133, 0x3fc7474d
	v_fmac_f64_e32 v[132:133], v[34:35], v[48:49]
	;; [unrolled: 3-line block ×6, first 2 shown]
	v_cvt_f64_i32_e32 v[48:49], v53
	s_mov_b32 s35, 0x3fe62e42
	v_mul_f64 v[134:135], v[48:49], s[34:35]
	v_fma_f64 v[144:145], v[48:49], s[34:35], -v[134:135]
	s_mov_b32 s37, 0x3c7abc9e
	v_fmac_f64_e32 v[144:145], s[36:37], v[48:49]
	v_add_f64 v[48:49], v[134:135], v[144:145]
	v_add_f64 v[134:135], v[48:49], -v[134:135]
	v_mul_f64 v[34:35], v[36:37], v[34:35]
	v_add_f64 v[134:135], v[144:145], -v[134:135]
	v_ldexp_f64 v[144:145], v[36:37], 1
	v_mul_f64 v[34:35], v[34:35], v[132:133]
	v_add_f64 v[36:37], v[144:145], v[34:35]
	v_add_f64 v[132:133], v[36:37], -v[144:145]
	v_ldexp_f64 v[6:7], v[6:7], 1
	v_add_f64 v[34:35], v[34:35], -v[132:133]
	v_add_f64 v[6:7], v[6:7], v[34:35]
	v_add_f64 v[34:35], v[36:37], v[6:7]
	v_add_f64 v[36:37], v[34:35], -v[36:37]
	v_add_f64 v[6:7], v[6:7], -v[36:37]
	v_add_f64 v[36:37], v[48:49], v[34:35]
	v_add_f64 v[132:133], v[36:37], -v[48:49]
	v_add_f64 v[144:145], v[36:37], -v[132:133]
	;; [unrolled: 1-line block ×4, first 2 shown]
	v_add_f64 v[34:35], v[34:35], v[48:49]
	v_add_f64 v[48:49], v[134:135], v[6:7]
	v_add_f64 v[132:133], v[48:49], -v[134:135]
	v_add_f64 v[34:35], v[48:49], v[34:35]
	v_add_f64 v[144:145], v[48:49], -v[132:133]
	;; [unrolled: 2-line block ×3, first 2 shown]
	v_add_f64 v[6:7], v[6:7], -v[132:133]
	v_add_f64 v[36:37], v[48:49], -v[36:37]
	v_add_f64 v[6:7], v[6:7], v[134:135]
	v_add_f64 v[34:35], v[34:35], -v[36:37]
	s_mov_b32 s2, 0
	v_add_f64 v[6:7], v[6:7], v[34:35]
	s_mov_b32 s3, 0x7ff00000
	v_add_f64 v[6:7], v[48:49], v[6:7]
	v_cmp_eq_f64_e32 vcc, s[2:3], v[2:3]
	v_mov_b32_e32 v34, 0x7ff80000
	s_nop 0
	v_cndmask_b32_e32 v6, v6, v2, vcc
	v_cndmask_b32_e32 v7, v7, v3, vcc
	v_cmp_ngt_f64_e32 vcc, -1.0, v[2:3]
	s_nop 1
	v_cndmask_b32_e32 v7, v34, v7, vcc
	v_cmp_nge_f64_e32 vcc, -1.0, v[2:3]
	v_mov_b32_e32 v34, 0xfff00000
	s_nop 0
	v_cndmask_b32_e32 v6, 0, v6, vcc
	v_cmp_neq_f64_e32 vcc, -1.0, v[2:3]
	s_nop 1
	v_cndmask_b32_e32 v7, v34, v7, vcc
	v_add_f64 v[2:3], v[4:5], v[6:7]
.LBB30_344:
	s_or_b64 exec, exec, s[4:5]
	v_max_f64 v[4:5], v[2:3], v[2:3]
	v_min_f64 v[6:7], v[4:5], v[8:9]
	v_cmp_u_f64_e32 vcc, v[2:3], v[2:3]
	v_max_f64 v[4:5], v[4:5], v[8:9]
	s_nop 0
	v_cndmask_b32_e32 v6, v6, v2, vcc
	v_cndmask_b32_e32 v7, v7, v3, vcc
	;; [unrolled: 1-line block ×4, first 2 shown]
	v_cndmask_b32_e64 v35, v7, v113, s[6:7]
	v_cndmask_b32_e64 v34, v6, v112, s[6:7]
	;; [unrolled: 1-line block ×4, first 2 shown]
	v_cmp_neq_f64_e32 vcc, v[34:35], v[6:7]
	v_cmp_class_f64_e64 s[2:3], v[34:35], s38
	s_or_b64 s[2:3], vcc, s[2:3]
	v_mov_b64_e32 v[4:5], v[2:3]
	s_and_saveexec_b64 s[4:5], s[2:3]
	s_cbranch_execz .LBB30_346
; %bb.345:
	s_mov_b32 s2, 0x652b82fe
	v_add_f64 v[4:5], v[34:35], -v[6:7]
	s_mov_b32 s3, 0x3ff71547
	v_mul_f64 v[8:9], v[4:5], s[2:3]
	v_rndne_f64_e32 v[8:9], v[8:9]
	s_mov_b32 s7, 0xbfe62e42
	s_mov_b32 s6, 0xfefa39ef
	v_fma_f64 v[34:35], s[6:7], v[8:9], v[4:5]
	s_mov_b32 s35, 0xbc7abc9e
	s_mov_b32 s34, 0x3b39803f
	;; [unrolled: 1-line block ×3, first 2 shown]
	v_fmac_f64_e32 v[34:35], s[34:35], v[8:9]
	v_mov_b32_e32 v36, 0xfca7ab0c
	v_mov_b32_e32 v37, 0x3e928af3
	s_mov_b32 s3, 0x3e5ade15
	v_fmac_f64_e32 v[36:37], s[2:3], v[34:35]
	v_mov_b32_e32 v48, 0x623fde64
	v_mov_b32_e32 v49, 0x3ec71dee
	v_fmac_f64_e32 v[48:49], v[34:35], v[36:37]
	v_mov_b32_e32 v36, 0x7c89e6b0
	v_mov_b32_e32 v37, 0x3efa0199
	;; [unrolled: 3-line block ×8, first 2 shown]
	s_mov_b32 s2, 0
	v_fmac_f64_e32 v[36:37], v[34:35], v[48:49]
	s_mov_b32 s3, 0x40900000
	v_fma_f64 v[36:37], v[34:35], v[36:37], 1.0
	v_cmp_nlt_f64_e32 vcc, s[2:3], v[4:5]
	s_mov_b32 s2, 0
	v_fma_f64 v[34:35], v[34:35], v[36:37], 1.0
	v_cvt_i32_f64_e32 v8, v[8:9]
	s_mov_b32 s3, 0xc090cc00
	v_ldexp_f64 v[8:9], v[34:35], v8
	v_mov_b32_e32 v34, 0x7ff00000
	v_cmp_ngt_f64_e64 s[2:3], s[2:3], v[4:5]
	v_cndmask_b32_e32 v9, v34, v9, vcc
	s_and_b64 vcc, s[2:3], vcc
	v_cndmask_b32_e64 v5, 0, v9, s[2:3]
	v_cndmask_b32_e32 v4, 0, v8, vcc
	v_add_f64 v[8:9], v[4:5], 1.0
	v_add_f64 v[34:35], v[8:9], -1.0
	v_add_f64 v[36:37], v[34:35], -v[8:9]
	v_add_f64 v[36:37], v[36:37], 1.0
	v_add_f64 v[34:35], v[4:5], -v[34:35]
	s_mov_b32 s2, 0x55555555
	v_add_f64 v[34:35], v[34:35], v[36:37]
	v_frexp_mant_f64_e32 v[36:37], v[8:9]
	s_mov_b32 s3, 0x3fe55555
	v_frexp_exp_i32_f64_e32 v48, v[8:9]
	v_cmp_gt_f64_e32 vcc, s[2:3], v[36:37]
	s_mov_b32 s2, 0xbf559e2b
	s_mov_b32 s3, 0x3fc3ab76
	v_subbrev_co_u32_e32 v53, vcc, 0, v48, vcc
	v_sub_u32_e32 v36, 0, v53
	v_ldexp_f64 v[8:9], v[8:9], v36
	v_ldexp_f64 v[34:35], v[34:35], v36
	v_add_f64 v[36:37], v[8:9], -1.0
	v_add_f64 v[132:133], v[8:9], 1.0
	v_add_f64 v[48:49], v[36:37], 1.0
	s_waitcnt lgkmcnt(0)
	v_add_f64 v[134:135], v[132:133], -1.0
	v_add_f64 v[48:49], v[8:9], -v[48:49]
	v_add_f64 v[8:9], v[8:9], -v[134:135]
	v_add_f64 v[8:9], v[34:35], v[8:9]
	v_add_f64 v[48:49], v[34:35], v[48:49]
	;; [unrolled: 1-line block ×3, first 2 shown]
	v_rcp_f64_e32 v[134:135], v[34:35]
	v_add_f64 v[112:113], v[36:37], v[48:49]
	v_add_f64 v[36:37], v[112:113], -v[36:37]
	v_add_f64 v[36:37], v[48:49], -v[36:37]
	;; [unrolled: 1-line block ×4, first 2 shown]
	v_fma_f64 v[48:49], -v[34:35], v[134:135], 1.0
	v_fmac_f64_e32 v[134:135], v[48:49], v[134:135]
	v_fma_f64 v[48:49], -v[34:35], v[134:135], 1.0
	v_fmac_f64_e32 v[134:135], v[48:49], v[134:135]
	v_mul_f64 v[48:49], v[112:113], v[134:135]
	v_mul_f64 v[132:133], v[34:35], v[48:49]
	v_fma_f64 v[144:145], v[48:49], v[34:35], -v[132:133]
	v_fmac_f64_e32 v[144:145], v[48:49], v[8:9]
	v_add_f64 v[146:147], v[132:133], v[144:145]
	v_add_f64 v[148:149], v[112:113], -v[146:147]
	v_add_f64 v[112:113], v[112:113], -v[148:149]
	;; [unrolled: 1-line block ×4, first 2 shown]
	v_add_f64 v[36:37], v[36:37], v[112:113]
	v_add_f64 v[112:113], v[132:133], -v[144:145]
	v_add_f64 v[36:37], v[112:113], v[36:37]
	v_add_f64 v[112:113], v[148:149], v[36:37]
	v_add_f64 v[132:133], v[148:149], -v[112:113]
	v_add_f64 v[36:37], v[36:37], v[132:133]
	v_mul_f64 v[132:133], v[134:135], v[112:113]
	v_mul_f64 v[144:145], v[34:35], v[132:133]
	v_fma_f64 v[34:35], v[132:133], v[34:35], -v[144:145]
	v_fmac_f64_e32 v[34:35], v[132:133], v[8:9]
	v_add_f64 v[8:9], v[144:145], v[34:35]
	v_add_f64 v[146:147], v[112:113], -v[8:9]
	v_add_f64 v[112:113], v[112:113], -v[146:147]
	;; [unrolled: 1-line block ×4, first 2 shown]
	v_add_f64 v[8:9], v[36:37], v[8:9]
	v_add_f64 v[34:35], v[144:145], -v[34:35]
	v_add_f64 v[8:9], v[34:35], v[8:9]
	v_add_f64 v[34:35], v[48:49], v[132:133]
	;; [unrolled: 1-line block ×3, first 2 shown]
	v_add_f64 v[36:37], v[34:35], -v[48:49]
	v_mul_f64 v[8:9], v[134:135], v[8:9]
	v_add_f64 v[36:37], v[132:133], -v[36:37]
	v_add_f64 v[8:9], v[36:37], v[8:9]
	v_add_f64 v[36:37], v[34:35], v[8:9]
	v_add_f64 v[34:35], v[36:37], -v[34:35]
	v_add_f64 v[8:9], v[8:9], -v[34:35]
	v_mul_f64 v[34:35], v[36:37], v[36:37]
	v_mov_b32_e32 v48, 0x6b47b09a
	v_mov_b32_e32 v49, 0x3fc38538
	v_fmac_f64_e32 v[48:49], s[2:3], v[34:35]
	v_mov_b32_e32 v112, 0xd7f4df2e
	v_mov_b32_e32 v113, 0x3fc7474d
	v_fmac_f64_e32 v[112:113], v[34:35], v[48:49]
	v_mov_b32_e32 v48, 0x16291751
	v_mov_b32_e32 v49, 0x3fcc71c0
	v_fmac_f64_e32 v[48:49], v[34:35], v[112:113]
	v_mov_b32_e32 v112, 0x9b27acf1
	v_mov_b32_e32 v113, 0x3fd24924
	v_fmac_f64_e32 v[112:113], v[34:35], v[48:49]
	v_mov_b32_e32 v48, 0x998ef7b6
	v_mov_b32_e32 v49, 0x3fd99999
	v_fmac_f64_e32 v[48:49], v[34:35], v[112:113]
	v_mov_b32_e32 v112, 0x55555780
	v_mov_b32_e32 v113, 0x3fe55555
	v_fmac_f64_e32 v[112:113], v[34:35], v[48:49]
	v_cvt_f64_i32_e32 v[48:49], v53
	s_mov_b32 s7, 0x3fe62e42
	v_mul_f64 v[132:133], v[48:49], s[6:7]
	v_fma_f64 v[134:135], v[48:49], s[6:7], -v[132:133]
	s_mov_b32 s35, 0x3c7abc9e
	v_fmac_f64_e32 v[134:135], s[34:35], v[48:49]
	v_add_f64 v[48:49], v[132:133], v[134:135]
	v_add_f64 v[132:133], v[48:49], -v[132:133]
	v_mul_f64 v[34:35], v[36:37], v[34:35]
	v_add_f64 v[132:133], v[134:135], -v[132:133]
	v_ldexp_f64 v[134:135], v[36:37], 1
	v_mul_f64 v[34:35], v[34:35], v[112:113]
	v_add_f64 v[36:37], v[134:135], v[34:35]
	v_add_f64 v[112:113], v[36:37], -v[134:135]
	v_ldexp_f64 v[8:9], v[8:9], 1
	v_add_f64 v[34:35], v[34:35], -v[112:113]
	v_add_f64 v[8:9], v[8:9], v[34:35]
	v_add_f64 v[34:35], v[36:37], v[8:9]
	v_add_f64 v[36:37], v[34:35], -v[36:37]
	v_add_f64 v[8:9], v[8:9], -v[36:37]
	v_add_f64 v[36:37], v[48:49], v[34:35]
	v_add_f64 v[112:113], v[36:37], -v[48:49]
	v_add_f64 v[134:135], v[36:37], -v[112:113]
	;; [unrolled: 1-line block ×4, first 2 shown]
	v_add_f64 v[34:35], v[34:35], v[48:49]
	v_add_f64 v[48:49], v[132:133], v[8:9]
	v_add_f64 v[112:113], v[48:49], -v[132:133]
	v_add_f64 v[34:35], v[48:49], v[34:35]
	v_add_f64 v[134:135], v[48:49], -v[112:113]
	;; [unrolled: 2-line block ×3, first 2 shown]
	v_add_f64 v[8:9], v[8:9], -v[112:113]
	v_add_f64 v[36:37], v[48:49], -v[36:37]
	v_add_f64 v[8:9], v[8:9], v[132:133]
	v_add_f64 v[34:35], v[34:35], -v[36:37]
	s_mov_b32 s2, 0
	v_add_f64 v[8:9], v[8:9], v[34:35]
	s_mov_b32 s3, 0x7ff00000
	v_add_f64 v[8:9], v[48:49], v[8:9]
	v_cmp_eq_f64_e32 vcc, s[2:3], v[4:5]
	v_mov_b32_e32 v34, 0x7ff80000
	s_nop 0
	v_cndmask_b32_e32 v8, v8, v4, vcc
	v_cndmask_b32_e32 v9, v9, v5, vcc
	v_cmp_ngt_f64_e32 vcc, -1.0, v[4:5]
	s_nop 1
	v_cndmask_b32_e32 v9, v34, v9, vcc
	v_cmp_nge_f64_e32 vcc, -1.0, v[4:5]
	v_mov_b32_e32 v34, 0xfff00000
	s_nop 0
	v_cndmask_b32_e32 v8, 0, v8, vcc
	v_cmp_neq_f64_e32 vcc, -1.0, v[4:5]
	s_nop 1
	v_cndmask_b32_e32 v9, v34, v9, vcc
	v_add_f64 v[4:5], v[6:7], v[8:9]
.LBB30_346:
	s_or_b64 exec, exec, s[4:5]
	v_max_f64 v[6:7], v[4:5], v[4:5]
	v_min_f64 v[8:9], v[6:7], v[10:11]
	v_cmp_u_f64_e32 vcc, v[4:5], v[4:5]
	v_max_f64 v[6:7], v[6:7], v[10:11]
	s_movk_i32 s34, 0x1f8
	v_cndmask_b32_e32 v8, v8, v4, vcc
	v_cndmask_b32_e32 v9, v9, v5, vcc
	;; [unrolled: 1-line block ×4, first 2 shown]
	v_cndmask_b32_e64 v35, v9, v115, s[8:9]
	v_cndmask_b32_e64 v34, v8, v114, s[8:9]
	;; [unrolled: 1-line block ×4, first 2 shown]
	v_cmp_neq_f64_e32 vcc, v[34:35], v[8:9]
	v_cmp_class_f64_e64 s[2:3], v[34:35], s34
	s_or_b64 s[2:3], vcc, s[2:3]
	v_mov_b64_e32 v[6:7], v[4:5]
	s_and_saveexec_b64 s[4:5], s[2:3]
	s_cbranch_execz .LBB30_348
; %bb.347:
	s_mov_b32 s2, 0x652b82fe
	v_add_f64 v[6:7], v[34:35], -v[8:9]
	s_mov_b32 s3, 0x3ff71547
	v_mul_f64 v[10:11], v[6:7], s[2:3]
	v_rndne_f64_e32 v[10:11], v[10:11]
	s_mov_b32 s7, 0xbfe62e42
	s_mov_b32 s6, 0xfefa39ef
	v_fma_f64 v[34:35], s[6:7], v[10:11], v[6:7]
	s_mov_b32 s9, 0xbc7abc9e
	s_mov_b32 s8, 0x3b39803f
	;; [unrolled: 1-line block ×3, first 2 shown]
	v_fmac_f64_e32 v[34:35], s[8:9], v[10:11]
	v_mov_b32_e32 v36, 0xfca7ab0c
	v_mov_b32_e32 v37, 0x3e928af3
	s_mov_b32 s3, 0x3e5ade15
	v_fmac_f64_e32 v[36:37], s[2:3], v[34:35]
	v_mov_b32_e32 v48, 0x623fde64
	v_mov_b32_e32 v49, 0x3ec71dee
	v_fmac_f64_e32 v[48:49], v[34:35], v[36:37]
	v_mov_b32_e32 v36, 0x7c89e6b0
	v_mov_b32_e32 v37, 0x3efa0199
	;; [unrolled: 3-line block ×8, first 2 shown]
	s_mov_b32 s2, 0
	v_fmac_f64_e32 v[36:37], v[34:35], v[48:49]
	s_mov_b32 s3, 0x40900000
	v_fma_f64 v[36:37], v[34:35], v[36:37], 1.0
	v_cmp_nlt_f64_e32 vcc, s[2:3], v[6:7]
	s_mov_b32 s2, 0
	v_fma_f64 v[34:35], v[34:35], v[36:37], 1.0
	v_cvt_i32_f64_e32 v10, v[10:11]
	s_mov_b32 s3, 0xc090cc00
	v_ldexp_f64 v[10:11], v[34:35], v10
	v_mov_b32_e32 v34, 0x7ff00000
	v_cmp_ngt_f64_e64 s[2:3], s[2:3], v[6:7]
	v_cndmask_b32_e32 v11, v34, v11, vcc
	s_and_b64 vcc, s[2:3], vcc
	v_cndmask_b32_e64 v7, 0, v11, s[2:3]
	v_cndmask_b32_e32 v6, 0, v10, vcc
	v_add_f64 v[10:11], v[6:7], 1.0
	v_add_f64 v[34:35], v[10:11], -1.0
	v_add_f64 v[36:37], v[34:35], -v[10:11]
	v_add_f64 v[36:37], v[36:37], 1.0
	v_add_f64 v[34:35], v[6:7], -v[34:35]
	s_mov_b32 s2, 0x55555555
	v_add_f64 v[34:35], v[34:35], v[36:37]
	v_frexp_mant_f64_e32 v[36:37], v[10:11]
	s_mov_b32 s3, 0x3fe55555
	v_frexp_exp_i32_f64_e32 v48, v[10:11]
	v_cmp_gt_f64_e32 vcc, s[2:3], v[36:37]
	s_mov_b32 s2, 0xbf559e2b
	s_mov_b32 s3, 0x3fc3ab76
	v_subbrev_co_u32_e32 v53, vcc, 0, v48, vcc
	v_sub_u32_e32 v36, 0, v53
	v_ldexp_f64 v[10:11], v[10:11], v36
	v_ldexp_f64 v[34:35], v[34:35], v36
	v_add_f64 v[36:37], v[10:11], -1.0
	v_add_f64 v[114:115], v[10:11], 1.0
	v_add_f64 v[48:49], v[36:37], 1.0
	v_add_f64 v[132:133], v[114:115], -1.0
	v_add_f64 v[48:49], v[10:11], -v[48:49]
	v_add_f64 v[10:11], v[10:11], -v[132:133]
	v_add_f64 v[10:11], v[34:35], v[10:11]
	v_add_f64 v[48:49], v[34:35], v[48:49]
	;; [unrolled: 1-line block ×3, first 2 shown]
	v_rcp_f64_e32 v[132:133], v[34:35]
	v_add_f64 v[112:113], v[36:37], v[48:49]
	v_add_f64 v[36:37], v[112:113], -v[36:37]
	v_add_f64 v[36:37], v[48:49], -v[36:37]
	;; [unrolled: 1-line block ×4, first 2 shown]
	v_fma_f64 v[48:49], -v[34:35], v[132:133], 1.0
	v_fmac_f64_e32 v[132:133], v[48:49], v[132:133]
	v_fma_f64 v[48:49], -v[34:35], v[132:133], 1.0
	v_fmac_f64_e32 v[132:133], v[48:49], v[132:133]
	v_mul_f64 v[48:49], v[112:113], v[132:133]
	v_mul_f64 v[114:115], v[34:35], v[48:49]
	s_waitcnt lgkmcnt(0)
	v_fma_f64 v[134:135], v[48:49], v[34:35], -v[114:115]
	v_fmac_f64_e32 v[134:135], v[48:49], v[10:11]
	v_add_f64 v[144:145], v[114:115], v[134:135]
	v_add_f64 v[146:147], v[112:113], -v[144:145]
	v_add_f64 v[112:113], v[112:113], -v[146:147]
	;; [unrolled: 1-line block ×4, first 2 shown]
	v_add_f64 v[36:37], v[36:37], v[112:113]
	v_add_f64 v[112:113], v[114:115], -v[134:135]
	v_add_f64 v[36:37], v[112:113], v[36:37]
	v_add_f64 v[112:113], v[146:147], v[36:37]
	v_add_f64 v[114:115], v[146:147], -v[112:113]
	v_add_f64 v[36:37], v[36:37], v[114:115]
	v_mul_f64 v[114:115], v[132:133], v[112:113]
	v_mul_f64 v[134:135], v[34:35], v[114:115]
	v_fma_f64 v[34:35], v[114:115], v[34:35], -v[134:135]
	v_fmac_f64_e32 v[34:35], v[114:115], v[10:11]
	v_add_f64 v[10:11], v[134:135], v[34:35]
	v_add_f64 v[144:145], v[112:113], -v[10:11]
	v_add_f64 v[112:113], v[112:113], -v[144:145]
	;; [unrolled: 1-line block ×4, first 2 shown]
	v_add_f64 v[10:11], v[36:37], v[10:11]
	v_add_f64 v[34:35], v[134:135], -v[34:35]
	v_add_f64 v[10:11], v[34:35], v[10:11]
	v_add_f64 v[34:35], v[48:49], v[114:115]
	;; [unrolled: 1-line block ×3, first 2 shown]
	v_add_f64 v[36:37], v[34:35], -v[48:49]
	v_mul_f64 v[10:11], v[132:133], v[10:11]
	v_add_f64 v[36:37], v[114:115], -v[36:37]
	v_add_f64 v[10:11], v[36:37], v[10:11]
	v_add_f64 v[36:37], v[34:35], v[10:11]
	v_add_f64 v[34:35], v[36:37], -v[34:35]
	v_add_f64 v[10:11], v[10:11], -v[34:35]
	v_mul_f64 v[34:35], v[36:37], v[36:37]
	v_mov_b32_e32 v48, 0x6b47b09a
	v_mov_b32_e32 v49, 0x3fc38538
	v_fmac_f64_e32 v[48:49], s[2:3], v[34:35]
	v_mov_b32_e32 v112, 0xd7f4df2e
	v_mov_b32_e32 v113, 0x3fc7474d
	v_fmac_f64_e32 v[112:113], v[34:35], v[48:49]
	;; [unrolled: 3-line block ×6, first 2 shown]
	v_cvt_f64_i32_e32 v[48:49], v53
	s_mov_b32 s7, 0x3fe62e42
	v_mul_f64 v[114:115], v[48:49], s[6:7]
	v_fma_f64 v[132:133], v[48:49], s[6:7], -v[114:115]
	s_mov_b32 s9, 0x3c7abc9e
	v_fmac_f64_e32 v[132:133], s[8:9], v[48:49]
	v_add_f64 v[48:49], v[114:115], v[132:133]
	v_add_f64 v[114:115], v[48:49], -v[114:115]
	v_mul_f64 v[34:35], v[36:37], v[34:35]
	v_add_f64 v[114:115], v[132:133], -v[114:115]
	v_ldexp_f64 v[132:133], v[36:37], 1
	v_mul_f64 v[34:35], v[34:35], v[112:113]
	v_add_f64 v[36:37], v[132:133], v[34:35]
	v_add_f64 v[112:113], v[36:37], -v[132:133]
	v_ldexp_f64 v[10:11], v[10:11], 1
	v_add_f64 v[34:35], v[34:35], -v[112:113]
	v_add_f64 v[10:11], v[10:11], v[34:35]
	v_add_f64 v[34:35], v[36:37], v[10:11]
	v_add_f64 v[36:37], v[34:35], -v[36:37]
	v_add_f64 v[10:11], v[10:11], -v[36:37]
	v_add_f64 v[36:37], v[48:49], v[34:35]
	v_add_f64 v[112:113], v[36:37], -v[48:49]
	v_add_f64 v[132:133], v[36:37], -v[112:113]
	;; [unrolled: 1-line block ×4, first 2 shown]
	v_add_f64 v[34:35], v[34:35], v[48:49]
	v_add_f64 v[48:49], v[114:115], v[10:11]
	v_add_f64 v[112:113], v[48:49], -v[114:115]
	v_add_f64 v[34:35], v[48:49], v[34:35]
	v_add_f64 v[132:133], v[48:49], -v[112:113]
	;; [unrolled: 2-line block ×3, first 2 shown]
	v_add_f64 v[10:11], v[10:11], -v[112:113]
	v_add_f64 v[36:37], v[48:49], -v[36:37]
	v_add_f64 v[10:11], v[10:11], v[114:115]
	v_add_f64 v[34:35], v[34:35], -v[36:37]
	s_mov_b32 s2, 0
	v_add_f64 v[10:11], v[10:11], v[34:35]
	s_mov_b32 s3, 0x7ff00000
	v_add_f64 v[10:11], v[48:49], v[10:11]
	v_cmp_eq_f64_e32 vcc, s[2:3], v[6:7]
	v_mov_b32_e32 v34, 0x7ff80000
	s_nop 0
	v_cndmask_b32_e32 v10, v10, v6, vcc
	v_cndmask_b32_e32 v11, v11, v7, vcc
	v_cmp_ngt_f64_e32 vcc, -1.0, v[6:7]
	s_nop 1
	v_cndmask_b32_e32 v11, v34, v11, vcc
	v_cmp_nge_f64_e32 vcc, -1.0, v[6:7]
	v_mov_b32_e32 v34, 0xfff00000
	s_nop 0
	v_cndmask_b32_e32 v10, 0, v10, vcc
	v_cmp_neq_f64_e32 vcc, -1.0, v[6:7]
	s_nop 1
	v_cndmask_b32_e32 v11, v34, v11, vcc
	v_add_f64 v[6:7], v[8:9], v[10:11]
.LBB30_348:
	s_or_b64 exec, exec, s[4:5]
	v_max_f64 v[8:9], v[6:7], v[6:7]
	v_min_f64 v[10:11], v[8:9], v[12:13]
	v_cmp_u_f64_e32 vcc, v[6:7], v[6:7]
	v_max_f64 v[8:9], v[8:9], v[12:13]
	s_nop 0
	v_cndmask_b32_e32 v10, v10, v6, vcc
	v_cndmask_b32_e32 v11, v11, v7, vcc
	;; [unrolled: 1-line block ×4, first 2 shown]
	v_cndmask_b32_e64 v35, v11, v101, s[10:11]
	v_cndmask_b32_e64 v34, v10, v100, s[10:11]
	;; [unrolled: 1-line block ×4, first 2 shown]
	v_cmp_neq_f64_e32 vcc, v[34:35], v[10:11]
	v_cmp_class_f64_e64 s[2:3], v[34:35], s34
	s_or_b64 s[2:3], vcc, s[2:3]
	v_mov_b64_e32 v[8:9], v[6:7]
	s_and_saveexec_b64 s[4:5], s[2:3]
	s_cbranch_execz .LBB30_350
; %bb.349:
	s_mov_b32 s2, 0x652b82fe
	v_add_f64 v[8:9], v[34:35], -v[10:11]
	s_mov_b32 s3, 0x3ff71547
	v_mul_f64 v[12:13], v[8:9], s[2:3]
	v_rndne_f64_e32 v[12:13], v[12:13]
	s_mov_b32 s7, 0xbfe62e42
	s_mov_b32 s6, 0xfefa39ef
	v_fma_f64 v[34:35], s[6:7], v[12:13], v[8:9]
	s_mov_b32 s9, 0xbc7abc9e
	s_mov_b32 s8, 0x3b39803f
	;; [unrolled: 1-line block ×3, first 2 shown]
	v_fmac_f64_e32 v[34:35], s[8:9], v[12:13]
	v_mov_b32_e32 v36, 0xfca7ab0c
	v_mov_b32_e32 v37, 0x3e928af3
	s_mov_b32 s3, 0x3e5ade15
	v_fmac_f64_e32 v[36:37], s[2:3], v[34:35]
	v_mov_b32_e32 v48, 0x623fde64
	v_mov_b32_e32 v49, 0x3ec71dee
	v_fmac_f64_e32 v[48:49], v[34:35], v[36:37]
	v_mov_b32_e32 v36, 0x7c89e6b0
	v_mov_b32_e32 v37, 0x3efa0199
	;; [unrolled: 3-line block ×8, first 2 shown]
	s_mov_b32 s2, 0
	v_fmac_f64_e32 v[36:37], v[34:35], v[48:49]
	s_mov_b32 s3, 0x40900000
	v_fma_f64 v[36:37], v[34:35], v[36:37], 1.0
	v_cmp_nlt_f64_e32 vcc, s[2:3], v[8:9]
	s_mov_b32 s2, 0
	v_fma_f64 v[34:35], v[34:35], v[36:37], 1.0
	v_cvt_i32_f64_e32 v12, v[12:13]
	s_mov_b32 s3, 0xc090cc00
	v_ldexp_f64 v[12:13], v[34:35], v12
	v_mov_b32_e32 v34, 0x7ff00000
	v_cmp_ngt_f64_e64 s[2:3], s[2:3], v[8:9]
	v_cndmask_b32_e32 v13, v34, v13, vcc
	s_and_b64 vcc, s[2:3], vcc
	v_cndmask_b32_e64 v9, 0, v13, s[2:3]
	v_cndmask_b32_e32 v8, 0, v12, vcc
	v_add_f64 v[12:13], v[8:9], 1.0
	v_add_f64 v[34:35], v[12:13], -1.0
	v_add_f64 v[36:37], v[34:35], -v[12:13]
	v_add_f64 v[36:37], v[36:37], 1.0
	v_add_f64 v[34:35], v[8:9], -v[34:35]
	s_mov_b32 s2, 0x55555555
	v_add_f64 v[34:35], v[34:35], v[36:37]
	v_frexp_mant_f64_e32 v[36:37], v[12:13]
	s_mov_b32 s3, 0x3fe55555
	v_frexp_exp_i32_f64_e32 v48, v[12:13]
	v_cmp_gt_f64_e32 vcc, s[2:3], v[36:37]
	s_mov_b32 s2, 0xbf559e2b
	s_mov_b32 s3, 0x3fc3ab76
	v_subbrev_co_u32_e32 v53, vcc, 0, v48, vcc
	v_sub_u32_e32 v36, 0, v53
	v_ldexp_f64 v[12:13], v[12:13], v36
	v_ldexp_f64 v[34:35], v[34:35], v36
	v_add_f64 v[36:37], v[12:13], -1.0
	v_add_f64 v[112:113], v[12:13], 1.0
	v_add_f64 v[48:49], v[36:37], 1.0
	v_add_f64 v[114:115], v[112:113], -1.0
	v_add_f64 v[48:49], v[12:13], -v[48:49]
	v_add_f64 v[12:13], v[12:13], -v[114:115]
	v_add_f64 v[12:13], v[34:35], v[12:13]
	v_add_f64 v[48:49], v[34:35], v[48:49]
	;; [unrolled: 1-line block ×3, first 2 shown]
	v_rcp_f64_e32 v[114:115], v[34:35]
	v_add_f64 v[100:101], v[36:37], v[48:49]
	v_add_f64 v[36:37], v[100:101], -v[36:37]
	v_add_f64 v[36:37], v[48:49], -v[36:37]
	;; [unrolled: 1-line block ×4, first 2 shown]
	v_fma_f64 v[48:49], -v[34:35], v[114:115], 1.0
	v_fmac_f64_e32 v[114:115], v[48:49], v[114:115]
	v_fma_f64 v[48:49], -v[34:35], v[114:115], 1.0
	v_fmac_f64_e32 v[114:115], v[48:49], v[114:115]
	v_mul_f64 v[48:49], v[100:101], v[114:115]
	v_mul_f64 v[112:113], v[34:35], v[48:49]
	v_fma_f64 v[132:133], v[48:49], v[34:35], -v[112:113]
	v_fmac_f64_e32 v[132:133], v[48:49], v[12:13]
	s_waitcnt lgkmcnt(0)
	v_add_f64 v[134:135], v[112:113], v[132:133]
	v_add_f64 v[144:145], v[100:101], -v[134:135]
	v_add_f64 v[100:101], v[100:101], -v[144:145]
	;; [unrolled: 1-line block ×4, first 2 shown]
	v_add_f64 v[36:37], v[36:37], v[100:101]
	v_add_f64 v[100:101], v[112:113], -v[132:133]
	v_add_f64 v[36:37], v[100:101], v[36:37]
	v_add_f64 v[100:101], v[144:145], v[36:37]
	v_add_f64 v[112:113], v[144:145], -v[100:101]
	v_add_f64 v[36:37], v[36:37], v[112:113]
	v_mul_f64 v[112:113], v[114:115], v[100:101]
	v_mul_f64 v[132:133], v[34:35], v[112:113]
	v_fma_f64 v[34:35], v[112:113], v[34:35], -v[132:133]
	v_fmac_f64_e32 v[34:35], v[112:113], v[12:13]
	v_add_f64 v[12:13], v[132:133], v[34:35]
	v_add_f64 v[134:135], v[100:101], -v[12:13]
	v_add_f64 v[100:101], v[100:101], -v[134:135]
	;; [unrolled: 1-line block ×4, first 2 shown]
	v_add_f64 v[12:13], v[36:37], v[12:13]
	v_add_f64 v[34:35], v[132:133], -v[34:35]
	v_add_f64 v[12:13], v[34:35], v[12:13]
	v_add_f64 v[34:35], v[48:49], v[112:113]
	;; [unrolled: 1-line block ×3, first 2 shown]
	v_add_f64 v[36:37], v[34:35], -v[48:49]
	v_mul_f64 v[12:13], v[114:115], v[12:13]
	v_add_f64 v[36:37], v[112:113], -v[36:37]
	v_add_f64 v[12:13], v[36:37], v[12:13]
	v_add_f64 v[36:37], v[34:35], v[12:13]
	v_add_f64 v[34:35], v[36:37], -v[34:35]
	v_add_f64 v[12:13], v[12:13], -v[34:35]
	v_mul_f64 v[34:35], v[36:37], v[36:37]
	v_mov_b32_e32 v48, 0x6b47b09a
	v_mov_b32_e32 v49, 0x3fc38538
	v_fmac_f64_e32 v[48:49], s[2:3], v[34:35]
	v_mov_b32_e32 v100, 0xd7f4df2e
	v_mov_b32_e32 v101, 0x3fc7474d
	v_fmac_f64_e32 v[100:101], v[34:35], v[48:49]
	;; [unrolled: 3-line block ×6, first 2 shown]
	v_cvt_f64_i32_e32 v[48:49], v53
	s_mov_b32 s7, 0x3fe62e42
	v_mul_f64 v[112:113], v[48:49], s[6:7]
	v_fma_f64 v[114:115], v[48:49], s[6:7], -v[112:113]
	s_mov_b32 s9, 0x3c7abc9e
	v_fmac_f64_e32 v[114:115], s[8:9], v[48:49]
	v_add_f64 v[48:49], v[112:113], v[114:115]
	v_add_f64 v[112:113], v[48:49], -v[112:113]
	v_mul_f64 v[34:35], v[36:37], v[34:35]
	v_add_f64 v[112:113], v[114:115], -v[112:113]
	v_ldexp_f64 v[114:115], v[36:37], 1
	v_mul_f64 v[34:35], v[34:35], v[100:101]
	v_add_f64 v[36:37], v[114:115], v[34:35]
	v_add_f64 v[100:101], v[36:37], -v[114:115]
	v_ldexp_f64 v[12:13], v[12:13], 1
	v_add_f64 v[34:35], v[34:35], -v[100:101]
	v_add_f64 v[12:13], v[12:13], v[34:35]
	v_add_f64 v[34:35], v[36:37], v[12:13]
	v_add_f64 v[36:37], v[34:35], -v[36:37]
	v_add_f64 v[12:13], v[12:13], -v[36:37]
	v_add_f64 v[36:37], v[48:49], v[34:35]
	v_add_f64 v[100:101], v[36:37], -v[48:49]
	v_add_f64 v[114:115], v[36:37], -v[100:101]
	v_add_f64 v[48:49], v[48:49], -v[114:115]
	v_add_f64 v[34:35], v[34:35], -v[100:101]
	v_add_f64 v[34:35], v[34:35], v[48:49]
	v_add_f64 v[48:49], v[112:113], v[12:13]
	v_add_f64 v[100:101], v[48:49], -v[112:113]
	v_add_f64 v[34:35], v[48:49], v[34:35]
	v_add_f64 v[114:115], v[48:49], -v[100:101]
	;; [unrolled: 2-line block ×3, first 2 shown]
	v_add_f64 v[12:13], v[12:13], -v[100:101]
	v_add_f64 v[36:37], v[48:49], -v[36:37]
	v_add_f64 v[12:13], v[12:13], v[112:113]
	v_add_f64 v[34:35], v[34:35], -v[36:37]
	s_mov_b32 s2, 0
	v_add_f64 v[12:13], v[12:13], v[34:35]
	s_mov_b32 s3, 0x7ff00000
	v_add_f64 v[12:13], v[48:49], v[12:13]
	v_cmp_eq_f64_e32 vcc, s[2:3], v[8:9]
	v_mov_b32_e32 v34, 0x7ff80000
	s_nop 0
	v_cndmask_b32_e32 v12, v12, v8, vcc
	v_cndmask_b32_e32 v13, v13, v9, vcc
	v_cmp_ngt_f64_e32 vcc, -1.0, v[8:9]
	s_nop 1
	v_cndmask_b32_e32 v13, v34, v13, vcc
	v_cmp_nge_f64_e32 vcc, -1.0, v[8:9]
	v_mov_b32_e32 v34, 0xfff00000
	s_nop 0
	v_cndmask_b32_e32 v12, 0, v12, vcc
	v_cmp_neq_f64_e32 vcc, -1.0, v[8:9]
	s_nop 1
	v_cndmask_b32_e32 v13, v34, v13, vcc
	v_add_f64 v[8:9], v[10:11], v[12:13]
.LBB30_350:
	s_or_b64 exec, exec, s[4:5]
	v_max_f64 v[10:11], v[8:9], v[8:9]
	v_min_f64 v[12:13], v[10:11], v[14:15]
	v_cmp_u_f64_e32 vcc, v[8:9], v[8:9]
	v_max_f64 v[10:11], v[10:11], v[14:15]
	s_movk_i32 s10, 0x1f8
	v_cndmask_b32_e32 v12, v12, v8, vcc
	v_cndmask_b32_e32 v13, v13, v9, vcc
	;; [unrolled: 1-line block ×4, first 2 shown]
	v_cndmask_b32_e64 v35, v13, v103, s[12:13]
	v_cndmask_b32_e64 v34, v12, v102, s[12:13]
	;; [unrolled: 1-line block ×4, first 2 shown]
	v_cmp_neq_f64_e32 vcc, v[34:35], v[12:13]
	v_cmp_class_f64_e64 s[2:3], v[34:35], s10
	s_or_b64 s[2:3], vcc, s[2:3]
	v_mov_b64_e32 v[10:11], v[8:9]
	s_and_saveexec_b64 s[4:5], s[2:3]
	s_cbranch_execz .LBB30_352
; %bb.351:
	s_mov_b32 s2, 0x652b82fe
	v_add_f64 v[10:11], v[34:35], -v[12:13]
	s_mov_b32 s3, 0x3ff71547
	v_mul_f64 v[14:15], v[10:11], s[2:3]
	v_rndne_f64_e32 v[14:15], v[14:15]
	s_mov_b32 s7, 0xbfe62e42
	s_mov_b32 s6, 0xfefa39ef
	v_fma_f64 v[34:35], s[6:7], v[14:15], v[10:11]
	s_mov_b32 s9, 0xbc7abc9e
	s_mov_b32 s8, 0x3b39803f
	;; [unrolled: 1-line block ×3, first 2 shown]
	v_fmac_f64_e32 v[34:35], s[8:9], v[14:15]
	v_mov_b32_e32 v36, 0xfca7ab0c
	v_mov_b32_e32 v37, 0x3e928af3
	s_mov_b32 s3, 0x3e5ade15
	v_fmac_f64_e32 v[36:37], s[2:3], v[34:35]
	v_mov_b32_e32 v48, 0x623fde64
	v_mov_b32_e32 v49, 0x3ec71dee
	v_fmac_f64_e32 v[48:49], v[34:35], v[36:37]
	v_mov_b32_e32 v36, 0x7c89e6b0
	v_mov_b32_e32 v37, 0x3efa0199
	;; [unrolled: 3-line block ×8, first 2 shown]
	s_mov_b32 s2, 0
	v_fmac_f64_e32 v[36:37], v[34:35], v[48:49]
	s_mov_b32 s3, 0x40900000
	v_fma_f64 v[36:37], v[34:35], v[36:37], 1.0
	v_cmp_nlt_f64_e32 vcc, s[2:3], v[10:11]
	s_mov_b32 s2, 0
	v_fma_f64 v[34:35], v[34:35], v[36:37], 1.0
	v_cvt_i32_f64_e32 v14, v[14:15]
	s_mov_b32 s3, 0xc090cc00
	v_ldexp_f64 v[14:15], v[34:35], v14
	v_mov_b32_e32 v34, 0x7ff00000
	v_cmp_ngt_f64_e64 s[2:3], s[2:3], v[10:11]
	v_cndmask_b32_e32 v15, v34, v15, vcc
	s_and_b64 vcc, s[2:3], vcc
	v_cndmask_b32_e64 v11, 0, v15, s[2:3]
	v_cndmask_b32_e32 v10, 0, v14, vcc
	v_add_f64 v[14:15], v[10:11], 1.0
	v_add_f64 v[34:35], v[14:15], -1.0
	v_add_f64 v[36:37], v[34:35], -v[14:15]
	v_add_f64 v[36:37], v[36:37], 1.0
	v_add_f64 v[34:35], v[10:11], -v[34:35]
	s_mov_b32 s2, 0x55555555
	v_add_f64 v[34:35], v[34:35], v[36:37]
	v_frexp_mant_f64_e32 v[36:37], v[14:15]
	s_mov_b32 s3, 0x3fe55555
	v_frexp_exp_i32_f64_e32 v48, v[14:15]
	v_cmp_gt_f64_e32 vcc, s[2:3], v[36:37]
	s_mov_b32 s2, 0xbf559e2b
	s_mov_b32 s3, 0x3fc3ab76
	v_subbrev_co_u32_e32 v53, vcc, 0, v48, vcc
	v_sub_u32_e32 v36, 0, v53
	v_ldexp_f64 v[14:15], v[14:15], v36
	v_ldexp_f64 v[34:35], v[34:35], v36
	v_add_f64 v[36:37], v[14:15], -1.0
	v_add_f64 v[102:103], v[14:15], 1.0
	v_add_f64 v[48:49], v[36:37], 1.0
	v_add_f64 v[112:113], v[102:103], -1.0
	v_add_f64 v[48:49], v[14:15], -v[48:49]
	v_add_f64 v[14:15], v[14:15], -v[112:113]
	v_add_f64 v[14:15], v[34:35], v[14:15]
	v_add_f64 v[48:49], v[34:35], v[48:49]
	;; [unrolled: 1-line block ×3, first 2 shown]
	v_rcp_f64_e32 v[112:113], v[34:35]
	v_add_f64 v[100:101], v[36:37], v[48:49]
	v_add_f64 v[36:37], v[100:101], -v[36:37]
	v_add_f64 v[36:37], v[48:49], -v[36:37]
	;; [unrolled: 1-line block ×4, first 2 shown]
	v_fma_f64 v[48:49], -v[34:35], v[112:113], 1.0
	v_fmac_f64_e32 v[112:113], v[48:49], v[112:113]
	v_fma_f64 v[48:49], -v[34:35], v[112:113], 1.0
	v_fmac_f64_e32 v[112:113], v[48:49], v[112:113]
	v_mul_f64 v[48:49], v[100:101], v[112:113]
	v_mul_f64 v[102:103], v[34:35], v[48:49]
	v_fma_f64 v[114:115], v[48:49], v[34:35], -v[102:103]
	v_fmac_f64_e32 v[114:115], v[48:49], v[14:15]
	v_add_f64 v[132:133], v[102:103], v[114:115]
	s_waitcnt lgkmcnt(0)
	v_add_f64 v[134:135], v[100:101], -v[132:133]
	v_add_f64 v[100:101], v[100:101], -v[134:135]
	;; [unrolled: 1-line block ×4, first 2 shown]
	v_add_f64 v[36:37], v[36:37], v[100:101]
	v_add_f64 v[100:101], v[102:103], -v[114:115]
	v_add_f64 v[36:37], v[100:101], v[36:37]
	v_add_f64 v[100:101], v[134:135], v[36:37]
	v_add_f64 v[102:103], v[134:135], -v[100:101]
	v_add_f64 v[36:37], v[36:37], v[102:103]
	v_mul_f64 v[102:103], v[112:113], v[100:101]
	v_mul_f64 v[114:115], v[34:35], v[102:103]
	v_fma_f64 v[34:35], v[102:103], v[34:35], -v[114:115]
	v_fmac_f64_e32 v[34:35], v[102:103], v[14:15]
	v_add_f64 v[14:15], v[114:115], v[34:35]
	v_add_f64 v[132:133], v[100:101], -v[14:15]
	v_add_f64 v[100:101], v[100:101], -v[132:133]
	;; [unrolled: 1-line block ×4, first 2 shown]
	v_add_f64 v[14:15], v[36:37], v[14:15]
	v_add_f64 v[34:35], v[114:115], -v[34:35]
	v_add_f64 v[14:15], v[34:35], v[14:15]
	v_add_f64 v[34:35], v[48:49], v[102:103]
	;; [unrolled: 1-line block ×3, first 2 shown]
	v_add_f64 v[36:37], v[34:35], -v[48:49]
	v_mul_f64 v[14:15], v[112:113], v[14:15]
	v_add_f64 v[36:37], v[102:103], -v[36:37]
	v_add_f64 v[14:15], v[36:37], v[14:15]
	v_add_f64 v[36:37], v[34:35], v[14:15]
	v_add_f64 v[34:35], v[36:37], -v[34:35]
	v_add_f64 v[14:15], v[14:15], -v[34:35]
	v_mul_f64 v[34:35], v[36:37], v[36:37]
	v_mov_b32_e32 v48, 0x6b47b09a
	v_mov_b32_e32 v49, 0x3fc38538
	v_fmac_f64_e32 v[48:49], s[2:3], v[34:35]
	v_mov_b32_e32 v100, 0xd7f4df2e
	v_mov_b32_e32 v101, 0x3fc7474d
	v_fmac_f64_e32 v[100:101], v[34:35], v[48:49]
	;; [unrolled: 3-line block ×6, first 2 shown]
	v_cvt_f64_i32_e32 v[48:49], v53
	s_mov_b32 s7, 0x3fe62e42
	v_mul_f64 v[102:103], v[48:49], s[6:7]
	v_fma_f64 v[112:113], v[48:49], s[6:7], -v[102:103]
	s_mov_b32 s9, 0x3c7abc9e
	v_fmac_f64_e32 v[112:113], s[8:9], v[48:49]
	v_add_f64 v[48:49], v[102:103], v[112:113]
	v_add_f64 v[102:103], v[48:49], -v[102:103]
	v_mul_f64 v[34:35], v[36:37], v[34:35]
	v_add_f64 v[102:103], v[112:113], -v[102:103]
	v_ldexp_f64 v[112:113], v[36:37], 1
	v_mul_f64 v[34:35], v[34:35], v[100:101]
	v_add_f64 v[36:37], v[112:113], v[34:35]
	v_add_f64 v[100:101], v[36:37], -v[112:113]
	v_ldexp_f64 v[14:15], v[14:15], 1
	v_add_f64 v[34:35], v[34:35], -v[100:101]
	v_add_f64 v[14:15], v[14:15], v[34:35]
	v_add_f64 v[34:35], v[36:37], v[14:15]
	v_add_f64 v[36:37], v[34:35], -v[36:37]
	v_add_f64 v[14:15], v[14:15], -v[36:37]
	v_add_f64 v[36:37], v[48:49], v[34:35]
	v_add_f64 v[100:101], v[36:37], -v[48:49]
	v_add_f64 v[112:113], v[36:37], -v[100:101]
	;; [unrolled: 1-line block ×4, first 2 shown]
	v_add_f64 v[34:35], v[34:35], v[48:49]
	v_add_f64 v[48:49], v[102:103], v[14:15]
	v_add_f64 v[100:101], v[48:49], -v[102:103]
	v_add_f64 v[34:35], v[48:49], v[34:35]
	v_add_f64 v[112:113], v[48:49], -v[100:101]
	;; [unrolled: 2-line block ×3, first 2 shown]
	v_add_f64 v[14:15], v[14:15], -v[100:101]
	v_add_f64 v[36:37], v[48:49], -v[36:37]
	v_add_f64 v[14:15], v[14:15], v[102:103]
	v_add_f64 v[34:35], v[34:35], -v[36:37]
	s_mov_b32 s2, 0
	v_add_f64 v[14:15], v[14:15], v[34:35]
	s_mov_b32 s3, 0x7ff00000
	v_add_f64 v[14:15], v[48:49], v[14:15]
	v_cmp_eq_f64_e32 vcc, s[2:3], v[10:11]
	v_mov_b32_e32 v34, 0x7ff80000
	s_nop 0
	v_cndmask_b32_e32 v14, v14, v10, vcc
	v_cndmask_b32_e32 v15, v15, v11, vcc
	v_cmp_ngt_f64_e32 vcc, -1.0, v[10:11]
	s_nop 1
	v_cndmask_b32_e32 v15, v34, v15, vcc
	v_cmp_nge_f64_e32 vcc, -1.0, v[10:11]
	v_mov_b32_e32 v34, 0xfff00000
	s_nop 0
	v_cndmask_b32_e32 v14, 0, v14, vcc
	v_cmp_neq_f64_e32 vcc, -1.0, v[10:11]
	s_nop 1
	v_cndmask_b32_e32 v15, v34, v15, vcc
	v_add_f64 v[10:11], v[12:13], v[14:15]
.LBB30_352:
	s_or_b64 exec, exec, s[4:5]
	v_max_f64 v[12:13], v[10:11], v[10:11]
	v_min_f64 v[14:15], v[12:13], v[16:17]
	v_cmp_u_f64_e32 vcc, v[10:11], v[10:11]
	v_max_f64 v[12:13], v[12:13], v[16:17]
	s_nop 0
	v_cndmask_b32_e32 v14, v14, v10, vcc
	v_cndmask_b32_e32 v15, v15, v11, vcc
	;; [unrolled: 1-line block ×4, first 2 shown]
	v_cndmask_b32_e64 v35, v15, v97, s[14:15]
	v_cndmask_b32_e64 v34, v14, v96, s[14:15]
	;; [unrolled: 1-line block ×4, first 2 shown]
	v_cmp_neq_f64_e32 vcc, v[34:35], v[14:15]
	v_cmp_class_f64_e64 s[2:3], v[34:35], s10
	s_or_b64 s[2:3], vcc, s[2:3]
	v_mov_b64_e32 v[12:13], v[10:11]
	s_and_saveexec_b64 s[4:5], s[2:3]
	s_cbranch_execz .LBB30_354
; %bb.353:
	s_mov_b32 s2, 0x652b82fe
	v_add_f64 v[12:13], v[34:35], -v[14:15]
	s_mov_b32 s3, 0x3ff71547
	v_mul_f64 v[16:17], v[12:13], s[2:3]
	v_rndne_f64_e32 v[16:17], v[16:17]
	s_mov_b32 s7, 0xbfe62e42
	s_mov_b32 s6, 0xfefa39ef
	v_fma_f64 v[34:35], s[6:7], v[16:17], v[12:13]
	s_mov_b32 s9, 0xbc7abc9e
	s_mov_b32 s8, 0x3b39803f
	;; [unrolled: 1-line block ×3, first 2 shown]
	v_fmac_f64_e32 v[34:35], s[8:9], v[16:17]
	v_mov_b32_e32 v36, 0xfca7ab0c
	v_mov_b32_e32 v37, 0x3e928af3
	s_mov_b32 s3, 0x3e5ade15
	v_fmac_f64_e32 v[36:37], s[2:3], v[34:35]
	v_mov_b32_e32 v48, 0x623fde64
	v_mov_b32_e32 v49, 0x3ec71dee
	v_fmac_f64_e32 v[48:49], v[34:35], v[36:37]
	v_mov_b32_e32 v36, 0x7c89e6b0
	v_mov_b32_e32 v37, 0x3efa0199
	;; [unrolled: 3-line block ×8, first 2 shown]
	s_mov_b32 s2, 0
	v_fmac_f64_e32 v[36:37], v[34:35], v[48:49]
	s_mov_b32 s3, 0x40900000
	v_fma_f64 v[36:37], v[34:35], v[36:37], 1.0
	v_cmp_nlt_f64_e32 vcc, s[2:3], v[12:13]
	s_mov_b32 s2, 0
	v_fma_f64 v[34:35], v[34:35], v[36:37], 1.0
	v_cvt_i32_f64_e32 v16, v[16:17]
	s_mov_b32 s3, 0xc090cc00
	v_ldexp_f64 v[16:17], v[34:35], v16
	v_mov_b32_e32 v34, 0x7ff00000
	v_cmp_ngt_f64_e64 s[2:3], s[2:3], v[12:13]
	v_cndmask_b32_e32 v17, v34, v17, vcc
	s_and_b64 vcc, s[2:3], vcc
	v_cndmask_b32_e64 v13, 0, v17, s[2:3]
	v_cndmask_b32_e32 v12, 0, v16, vcc
	v_add_f64 v[16:17], v[12:13], 1.0
	v_add_f64 v[34:35], v[16:17], -1.0
	v_add_f64 v[36:37], v[34:35], -v[16:17]
	v_add_f64 v[36:37], v[36:37], 1.0
	v_add_f64 v[34:35], v[12:13], -v[34:35]
	s_mov_b32 s2, 0x55555555
	v_add_f64 v[34:35], v[34:35], v[36:37]
	v_frexp_mant_f64_e32 v[36:37], v[16:17]
	s_mov_b32 s3, 0x3fe55555
	v_frexp_exp_i32_f64_e32 v48, v[16:17]
	v_cmp_gt_f64_e32 vcc, s[2:3], v[36:37]
	s_mov_b32 s2, 0xbf559e2b
	s_mov_b32 s3, 0x3fc3ab76
	v_subbrev_co_u32_e32 v53, vcc, 0, v48, vcc
	v_sub_u32_e32 v36, 0, v53
	v_ldexp_f64 v[16:17], v[16:17], v36
	v_ldexp_f64 v[34:35], v[34:35], v36
	v_add_f64 v[36:37], v[16:17], -1.0
	v_add_f64 v[100:101], v[16:17], 1.0
	v_add_f64 v[48:49], v[36:37], 1.0
	v_add_f64 v[102:103], v[100:101], -1.0
	v_add_f64 v[48:49], v[16:17], -v[48:49]
	v_add_f64 v[16:17], v[16:17], -v[102:103]
	v_add_f64 v[16:17], v[34:35], v[16:17]
	v_add_f64 v[48:49], v[34:35], v[48:49]
	;; [unrolled: 1-line block ×3, first 2 shown]
	v_rcp_f64_e32 v[102:103], v[34:35]
	v_add_f64 v[96:97], v[36:37], v[48:49]
	v_add_f64 v[36:37], v[96:97], -v[36:37]
	v_add_f64 v[36:37], v[48:49], -v[36:37]
	;; [unrolled: 1-line block ×4, first 2 shown]
	v_fma_f64 v[48:49], -v[34:35], v[102:103], 1.0
	v_fmac_f64_e32 v[102:103], v[48:49], v[102:103]
	v_fma_f64 v[48:49], -v[34:35], v[102:103], 1.0
	v_fmac_f64_e32 v[102:103], v[48:49], v[102:103]
	v_mul_f64 v[48:49], v[96:97], v[102:103]
	v_mul_f64 v[100:101], v[34:35], v[48:49]
	v_fma_f64 v[112:113], v[48:49], v[34:35], -v[100:101]
	v_fmac_f64_e32 v[112:113], v[48:49], v[16:17]
	v_add_f64 v[114:115], v[100:101], v[112:113]
	v_add_f64 v[132:133], v[96:97], -v[114:115]
	v_add_f64 v[96:97], v[96:97], -v[132:133]
	;; [unrolled: 1-line block ×4, first 2 shown]
	v_add_f64 v[36:37], v[36:37], v[96:97]
	v_add_f64 v[96:97], v[100:101], -v[112:113]
	v_add_f64 v[36:37], v[96:97], v[36:37]
	v_add_f64 v[96:97], v[132:133], v[36:37]
	v_add_f64 v[100:101], v[132:133], -v[96:97]
	v_add_f64 v[36:37], v[36:37], v[100:101]
	v_mul_f64 v[100:101], v[102:103], v[96:97]
	v_mul_f64 v[112:113], v[34:35], v[100:101]
	v_fma_f64 v[34:35], v[100:101], v[34:35], -v[112:113]
	v_fmac_f64_e32 v[34:35], v[100:101], v[16:17]
	v_add_f64 v[16:17], v[112:113], v[34:35]
	v_add_f64 v[114:115], v[96:97], -v[16:17]
	v_add_f64 v[96:97], v[96:97], -v[114:115]
	v_add_f64 v[112:113], v[16:17], -v[112:113]
	v_add_f64 v[16:17], v[96:97], -v[16:17]
	v_add_f64 v[16:17], v[36:37], v[16:17]
	v_add_f64 v[34:35], v[112:113], -v[34:35]
	v_add_f64 v[16:17], v[34:35], v[16:17]
	v_add_f64 v[34:35], v[48:49], v[100:101]
	;; [unrolled: 1-line block ×3, first 2 shown]
	v_add_f64 v[36:37], v[34:35], -v[48:49]
	v_mul_f64 v[16:17], v[102:103], v[16:17]
	v_add_f64 v[36:37], v[100:101], -v[36:37]
	v_add_f64 v[16:17], v[36:37], v[16:17]
	v_add_f64 v[36:37], v[34:35], v[16:17]
	v_add_f64 v[34:35], v[36:37], -v[34:35]
	v_add_f64 v[16:17], v[16:17], -v[34:35]
	v_mul_f64 v[34:35], v[36:37], v[36:37]
	v_mov_b32_e32 v48, 0x6b47b09a
	v_mov_b32_e32 v49, 0x3fc38538
	v_fmac_f64_e32 v[48:49], s[2:3], v[34:35]
	v_mov_b32_e32 v96, 0xd7f4df2e
	v_mov_b32_e32 v97, 0x3fc7474d
	v_fmac_f64_e32 v[96:97], v[34:35], v[48:49]
	;; [unrolled: 3-line block ×6, first 2 shown]
	v_cvt_f64_i32_e32 v[48:49], v53
	s_mov_b32 s7, 0x3fe62e42
	v_mul_f64 v[100:101], v[48:49], s[6:7]
	v_fma_f64 v[102:103], v[48:49], s[6:7], -v[100:101]
	s_mov_b32 s9, 0x3c7abc9e
	v_fmac_f64_e32 v[102:103], s[8:9], v[48:49]
	v_add_f64 v[48:49], v[100:101], v[102:103]
	v_add_f64 v[100:101], v[48:49], -v[100:101]
	v_mul_f64 v[34:35], v[36:37], v[34:35]
	v_add_f64 v[100:101], v[102:103], -v[100:101]
	v_ldexp_f64 v[102:103], v[36:37], 1
	v_mul_f64 v[34:35], v[34:35], v[96:97]
	v_add_f64 v[36:37], v[102:103], v[34:35]
	v_add_f64 v[96:97], v[36:37], -v[102:103]
	v_ldexp_f64 v[16:17], v[16:17], 1
	v_add_f64 v[34:35], v[34:35], -v[96:97]
	v_add_f64 v[16:17], v[16:17], v[34:35]
	v_add_f64 v[34:35], v[36:37], v[16:17]
	v_add_f64 v[36:37], v[34:35], -v[36:37]
	v_add_f64 v[16:17], v[16:17], -v[36:37]
	v_add_f64 v[36:37], v[48:49], v[34:35]
	v_add_f64 v[96:97], v[36:37], -v[48:49]
	v_add_f64 v[102:103], v[36:37], -v[96:97]
	;; [unrolled: 1-line block ×4, first 2 shown]
	v_add_f64 v[34:35], v[34:35], v[48:49]
	v_add_f64 v[48:49], v[100:101], v[16:17]
	v_add_f64 v[96:97], v[48:49], -v[100:101]
	v_add_f64 v[34:35], v[48:49], v[34:35]
	v_add_f64 v[102:103], v[48:49], -v[96:97]
	;; [unrolled: 2-line block ×3, first 2 shown]
	v_add_f64 v[16:17], v[16:17], -v[96:97]
	v_add_f64 v[36:37], v[48:49], -v[36:37]
	v_add_f64 v[16:17], v[16:17], v[100:101]
	v_add_f64 v[34:35], v[34:35], -v[36:37]
	s_mov_b32 s2, 0
	v_add_f64 v[16:17], v[16:17], v[34:35]
	s_mov_b32 s3, 0x7ff00000
	v_add_f64 v[16:17], v[48:49], v[16:17]
	v_cmp_eq_f64_e32 vcc, s[2:3], v[12:13]
	v_mov_b32_e32 v34, 0x7ff80000
	s_nop 0
	v_cndmask_b32_e32 v16, v16, v12, vcc
	v_cndmask_b32_e32 v17, v17, v13, vcc
	v_cmp_ngt_f64_e32 vcc, -1.0, v[12:13]
	s_nop 1
	v_cndmask_b32_e32 v17, v34, v17, vcc
	v_cmp_nge_f64_e32 vcc, -1.0, v[12:13]
	v_mov_b32_e32 v34, 0xfff00000
	s_nop 0
	v_cndmask_b32_e32 v16, 0, v16, vcc
	v_cmp_neq_f64_e32 vcc, -1.0, v[12:13]
	s_nop 1
	v_cndmask_b32_e32 v17, v34, v17, vcc
	v_add_f64 v[12:13], v[14:15], v[16:17]
.LBB30_354:
	s_or_b64 exec, exec, s[4:5]
	v_max_f64 v[14:15], v[12:13], v[12:13]
	v_min_f64 v[16:17], v[14:15], v[18:19]
	v_cmp_u_f64_e32 vcc, v[12:13], v[12:13]
	v_max_f64 v[14:15], v[14:15], v[18:19]
	s_nop 0
	v_cndmask_b32_e32 v16, v16, v12, vcc
	v_cndmask_b32_e32 v17, v17, v13, vcc
	;; [unrolled: 1-line block ×4, first 2 shown]
	v_cndmask_b32_e64 v35, v17, v99, s[16:17]
	v_cndmask_b32_e64 v34, v16, v98, s[16:17]
	;; [unrolled: 1-line block ×4, first 2 shown]
	v_cmp_neq_f64_e32 vcc, v[34:35], v[16:17]
	v_cmp_class_f64_e64 s[2:3], v[34:35], s10
	s_or_b64 s[2:3], vcc, s[2:3]
	v_mov_b64_e32 v[14:15], v[12:13]
	s_and_saveexec_b64 s[4:5], s[2:3]
	s_cbranch_execz .LBB30_356
; %bb.355:
	s_mov_b32 s2, 0x652b82fe
	v_add_f64 v[14:15], v[34:35], -v[16:17]
	s_mov_b32 s3, 0x3ff71547
	v_mul_f64 v[18:19], v[14:15], s[2:3]
	v_rndne_f64_e32 v[18:19], v[18:19]
	s_mov_b32 s7, 0xbfe62e42
	s_mov_b32 s6, 0xfefa39ef
	v_fma_f64 v[34:35], s[6:7], v[18:19], v[14:15]
	s_mov_b32 s9, 0xbc7abc9e
	s_mov_b32 s8, 0x3b39803f
	;; [unrolled: 1-line block ×3, first 2 shown]
	v_fmac_f64_e32 v[34:35], s[8:9], v[18:19]
	v_mov_b32_e32 v36, 0xfca7ab0c
	v_mov_b32_e32 v37, 0x3e928af3
	s_mov_b32 s3, 0x3e5ade15
	v_fmac_f64_e32 v[36:37], s[2:3], v[34:35]
	v_mov_b32_e32 v48, 0x623fde64
	v_mov_b32_e32 v49, 0x3ec71dee
	v_fmac_f64_e32 v[48:49], v[34:35], v[36:37]
	v_mov_b32_e32 v36, 0x7c89e6b0
	v_mov_b32_e32 v37, 0x3efa0199
	;; [unrolled: 3-line block ×8, first 2 shown]
	s_mov_b32 s2, 0
	v_fmac_f64_e32 v[36:37], v[34:35], v[48:49]
	s_mov_b32 s3, 0x40900000
	v_fma_f64 v[36:37], v[34:35], v[36:37], 1.0
	v_cmp_nlt_f64_e32 vcc, s[2:3], v[14:15]
	s_mov_b32 s2, 0
	v_fma_f64 v[34:35], v[34:35], v[36:37], 1.0
	v_cvt_i32_f64_e32 v18, v[18:19]
	s_mov_b32 s3, 0xc090cc00
	v_ldexp_f64 v[18:19], v[34:35], v18
	v_mov_b32_e32 v34, 0x7ff00000
	v_cmp_ngt_f64_e64 s[2:3], s[2:3], v[14:15]
	v_cndmask_b32_e32 v19, v34, v19, vcc
	s_and_b64 vcc, s[2:3], vcc
	v_cndmask_b32_e64 v15, 0, v19, s[2:3]
	v_cndmask_b32_e32 v14, 0, v18, vcc
	v_add_f64 v[18:19], v[14:15], 1.0
	v_add_f64 v[34:35], v[18:19], -1.0
	v_add_f64 v[36:37], v[34:35], -v[18:19]
	v_add_f64 v[36:37], v[36:37], 1.0
	v_add_f64 v[34:35], v[14:15], -v[34:35]
	s_mov_b32 s2, 0x55555555
	v_add_f64 v[34:35], v[34:35], v[36:37]
	v_frexp_mant_f64_e32 v[36:37], v[18:19]
	s_mov_b32 s3, 0x3fe55555
	v_frexp_exp_i32_f64_e32 v48, v[18:19]
	v_cmp_gt_f64_e32 vcc, s[2:3], v[36:37]
	s_mov_b32 s2, 0xbf559e2b
	s_mov_b32 s3, 0x3fc3ab76
	v_subbrev_co_u32_e32 v53, vcc, 0, v48, vcc
	v_sub_u32_e32 v36, 0, v53
	v_ldexp_f64 v[18:19], v[18:19], v36
	v_ldexp_f64 v[34:35], v[34:35], v36
	v_add_f64 v[36:37], v[18:19], -1.0
	v_add_f64 v[98:99], v[18:19], 1.0
	v_add_f64 v[48:49], v[36:37], 1.0
	v_add_f64 v[100:101], v[98:99], -1.0
	v_add_f64 v[48:49], v[18:19], -v[48:49]
	v_add_f64 v[18:19], v[18:19], -v[100:101]
	v_add_f64 v[18:19], v[34:35], v[18:19]
	v_add_f64 v[48:49], v[34:35], v[48:49]
	;; [unrolled: 1-line block ×3, first 2 shown]
	v_rcp_f64_e32 v[100:101], v[34:35]
	v_add_f64 v[96:97], v[36:37], v[48:49]
	v_add_f64 v[36:37], v[96:97], -v[36:37]
	v_add_f64 v[36:37], v[48:49], -v[36:37]
	;; [unrolled: 1-line block ×4, first 2 shown]
	v_fma_f64 v[48:49], -v[34:35], v[100:101], 1.0
	v_fmac_f64_e32 v[100:101], v[48:49], v[100:101]
	v_fma_f64 v[48:49], -v[34:35], v[100:101], 1.0
	v_fmac_f64_e32 v[100:101], v[48:49], v[100:101]
	v_mul_f64 v[48:49], v[96:97], v[100:101]
	v_mul_f64 v[98:99], v[34:35], v[48:49]
	v_fma_f64 v[102:103], v[48:49], v[34:35], -v[98:99]
	v_fmac_f64_e32 v[102:103], v[48:49], v[18:19]
	v_add_f64 v[112:113], v[98:99], v[102:103]
	v_add_f64 v[114:115], v[96:97], -v[112:113]
	v_add_f64 v[96:97], v[96:97], -v[114:115]
	;; [unrolled: 1-line block ×4, first 2 shown]
	v_add_f64 v[36:37], v[36:37], v[96:97]
	v_add_f64 v[96:97], v[98:99], -v[102:103]
	v_add_f64 v[36:37], v[96:97], v[36:37]
	v_add_f64 v[96:97], v[114:115], v[36:37]
	v_add_f64 v[98:99], v[114:115], -v[96:97]
	v_add_f64 v[36:37], v[36:37], v[98:99]
	v_mul_f64 v[98:99], v[100:101], v[96:97]
	v_mul_f64 v[102:103], v[34:35], v[98:99]
	v_fma_f64 v[34:35], v[98:99], v[34:35], -v[102:103]
	v_fmac_f64_e32 v[34:35], v[98:99], v[18:19]
	v_add_f64 v[18:19], v[102:103], v[34:35]
	v_add_f64 v[112:113], v[96:97], -v[18:19]
	v_add_f64 v[96:97], v[96:97], -v[112:113]
	;; [unrolled: 1-line block ×4, first 2 shown]
	v_add_f64 v[18:19], v[36:37], v[18:19]
	v_add_f64 v[34:35], v[102:103], -v[34:35]
	v_add_f64 v[18:19], v[34:35], v[18:19]
	v_add_f64 v[34:35], v[48:49], v[98:99]
	v_add_f64 v[18:19], v[112:113], v[18:19]
	v_add_f64 v[36:37], v[34:35], -v[48:49]
	v_mul_f64 v[18:19], v[100:101], v[18:19]
	v_add_f64 v[36:37], v[98:99], -v[36:37]
	v_add_f64 v[18:19], v[36:37], v[18:19]
	v_add_f64 v[36:37], v[34:35], v[18:19]
	v_add_f64 v[34:35], v[36:37], -v[34:35]
	v_add_f64 v[18:19], v[18:19], -v[34:35]
	v_mul_f64 v[34:35], v[36:37], v[36:37]
	v_mov_b32_e32 v48, 0x6b47b09a
	v_mov_b32_e32 v49, 0x3fc38538
	v_fmac_f64_e32 v[48:49], s[2:3], v[34:35]
	v_mov_b32_e32 v96, 0xd7f4df2e
	v_mov_b32_e32 v97, 0x3fc7474d
	v_fmac_f64_e32 v[96:97], v[34:35], v[48:49]
	;; [unrolled: 3-line block ×6, first 2 shown]
	v_cvt_f64_i32_e32 v[48:49], v53
	s_mov_b32 s7, 0x3fe62e42
	v_mul_f64 v[98:99], v[48:49], s[6:7]
	v_fma_f64 v[100:101], v[48:49], s[6:7], -v[98:99]
	s_mov_b32 s9, 0x3c7abc9e
	v_fmac_f64_e32 v[100:101], s[8:9], v[48:49]
	v_add_f64 v[48:49], v[98:99], v[100:101]
	v_add_f64 v[98:99], v[48:49], -v[98:99]
	v_mul_f64 v[34:35], v[36:37], v[34:35]
	v_add_f64 v[98:99], v[100:101], -v[98:99]
	v_ldexp_f64 v[100:101], v[36:37], 1
	v_mul_f64 v[34:35], v[34:35], v[96:97]
	v_add_f64 v[36:37], v[100:101], v[34:35]
	v_add_f64 v[96:97], v[36:37], -v[100:101]
	v_ldexp_f64 v[18:19], v[18:19], 1
	v_add_f64 v[34:35], v[34:35], -v[96:97]
	v_add_f64 v[18:19], v[18:19], v[34:35]
	v_add_f64 v[34:35], v[36:37], v[18:19]
	v_add_f64 v[36:37], v[34:35], -v[36:37]
	v_add_f64 v[18:19], v[18:19], -v[36:37]
	v_add_f64 v[36:37], v[48:49], v[34:35]
	v_add_f64 v[96:97], v[36:37], -v[48:49]
	v_add_f64 v[100:101], v[36:37], -v[96:97]
	;; [unrolled: 1-line block ×4, first 2 shown]
	v_add_f64 v[34:35], v[34:35], v[48:49]
	v_add_f64 v[48:49], v[98:99], v[18:19]
	v_add_f64 v[96:97], v[48:49], -v[98:99]
	v_add_f64 v[34:35], v[48:49], v[34:35]
	v_add_f64 v[100:101], v[48:49], -v[96:97]
	;; [unrolled: 2-line block ×3, first 2 shown]
	v_add_f64 v[18:19], v[18:19], -v[96:97]
	v_add_f64 v[36:37], v[48:49], -v[36:37]
	v_add_f64 v[18:19], v[18:19], v[98:99]
	v_add_f64 v[34:35], v[34:35], -v[36:37]
	s_mov_b32 s2, 0
	v_add_f64 v[18:19], v[18:19], v[34:35]
	s_mov_b32 s3, 0x7ff00000
	v_add_f64 v[18:19], v[48:49], v[18:19]
	v_cmp_eq_f64_e32 vcc, s[2:3], v[14:15]
	v_mov_b32_e32 v34, 0x7ff80000
	s_nop 0
	v_cndmask_b32_e32 v18, v18, v14, vcc
	v_cndmask_b32_e32 v19, v19, v15, vcc
	v_cmp_ngt_f64_e32 vcc, -1.0, v[14:15]
	s_nop 1
	v_cndmask_b32_e32 v19, v34, v19, vcc
	v_cmp_nge_f64_e32 vcc, -1.0, v[14:15]
	v_mov_b32_e32 v34, 0xfff00000
	s_nop 0
	v_cndmask_b32_e32 v18, 0, v18, vcc
	v_cmp_neq_f64_e32 vcc, -1.0, v[14:15]
	s_nop 1
	v_cndmask_b32_e32 v19, v34, v19, vcc
	v_add_f64 v[14:15], v[16:17], v[18:19]
.LBB30_356:
	s_or_b64 exec, exec, s[4:5]
	v_max_f64 v[16:17], v[14:15], v[14:15]
	v_min_f64 v[18:19], v[16:17], v[20:21]
	v_cmp_u_f64_e32 vcc, v[14:15], v[14:15]
	v_max_f64 v[16:17], v[16:17], v[20:21]
	s_nop 0
	v_cndmask_b32_e32 v18, v18, v14, vcc
	v_cndmask_b32_e32 v19, v19, v15, vcc
	;; [unrolled: 1-line block ×4, first 2 shown]
	v_cndmask_b32_e64 v35, v19, v85, s[18:19]
	v_cndmask_b32_e64 v34, v18, v84, s[18:19]
	;; [unrolled: 1-line block ×4, first 2 shown]
	v_cmp_neq_f64_e32 vcc, v[34:35], v[18:19]
	v_cmp_class_f64_e64 s[2:3], v[34:35], s10
	s_or_b64 s[2:3], vcc, s[2:3]
	v_mov_b64_e32 v[16:17], v[14:15]
	s_and_saveexec_b64 s[4:5], s[2:3]
	s_cbranch_execz .LBB30_358
; %bb.357:
	s_mov_b32 s2, 0x652b82fe
	v_add_f64 v[16:17], v[34:35], -v[18:19]
	s_mov_b32 s3, 0x3ff71547
	v_mul_f64 v[20:21], v[16:17], s[2:3]
	v_rndne_f64_e32 v[20:21], v[20:21]
	s_mov_b32 s7, 0xbfe62e42
	s_mov_b32 s6, 0xfefa39ef
	v_fma_f64 v[34:35], s[6:7], v[20:21], v[16:17]
	s_mov_b32 s9, 0xbc7abc9e
	s_mov_b32 s8, 0x3b39803f
	;; [unrolled: 1-line block ×3, first 2 shown]
	v_fmac_f64_e32 v[34:35], s[8:9], v[20:21]
	v_mov_b32_e32 v36, 0xfca7ab0c
	v_mov_b32_e32 v37, 0x3e928af3
	s_mov_b32 s3, 0x3e5ade15
	v_fmac_f64_e32 v[36:37], s[2:3], v[34:35]
	v_mov_b32_e32 v48, 0x623fde64
	v_mov_b32_e32 v49, 0x3ec71dee
	v_fmac_f64_e32 v[48:49], v[34:35], v[36:37]
	v_mov_b32_e32 v36, 0x7c89e6b0
	v_mov_b32_e32 v37, 0x3efa0199
	;; [unrolled: 3-line block ×8, first 2 shown]
	s_mov_b32 s2, 0
	v_fmac_f64_e32 v[36:37], v[34:35], v[48:49]
	s_mov_b32 s3, 0x40900000
	v_fma_f64 v[36:37], v[34:35], v[36:37], 1.0
	v_cmp_nlt_f64_e32 vcc, s[2:3], v[16:17]
	s_mov_b32 s2, 0
	v_fma_f64 v[34:35], v[34:35], v[36:37], 1.0
	v_cvt_i32_f64_e32 v20, v[20:21]
	s_mov_b32 s3, 0xc090cc00
	v_ldexp_f64 v[20:21], v[34:35], v20
	v_mov_b32_e32 v34, 0x7ff00000
	v_cmp_ngt_f64_e64 s[2:3], s[2:3], v[16:17]
	v_cndmask_b32_e32 v21, v34, v21, vcc
	s_and_b64 vcc, s[2:3], vcc
	v_cndmask_b32_e64 v17, 0, v21, s[2:3]
	v_cndmask_b32_e32 v16, 0, v20, vcc
	v_add_f64 v[20:21], v[16:17], 1.0
	v_add_f64 v[34:35], v[20:21], -1.0
	v_add_f64 v[36:37], v[34:35], -v[20:21]
	v_add_f64 v[36:37], v[36:37], 1.0
	v_add_f64 v[34:35], v[16:17], -v[34:35]
	s_mov_b32 s2, 0x55555555
	v_add_f64 v[34:35], v[34:35], v[36:37]
	v_frexp_mant_f64_e32 v[36:37], v[20:21]
	s_mov_b32 s3, 0x3fe55555
	v_frexp_exp_i32_f64_e32 v48, v[20:21]
	v_cmp_gt_f64_e32 vcc, s[2:3], v[36:37]
	s_mov_b32 s2, 0xbf559e2b
	s_mov_b32 s3, 0x3fc3ab76
	v_subbrev_co_u32_e32 v53, vcc, 0, v48, vcc
	v_sub_u32_e32 v36, 0, v53
	v_ldexp_f64 v[20:21], v[20:21], v36
	v_ldexp_f64 v[34:35], v[34:35], v36
	v_add_f64 v[36:37], v[20:21], -1.0
	v_add_f64 v[96:97], v[20:21], 1.0
	v_add_f64 v[48:49], v[36:37], 1.0
	v_add_f64 v[98:99], v[96:97], -1.0
	v_add_f64 v[48:49], v[20:21], -v[48:49]
	v_add_f64 v[20:21], v[20:21], -v[98:99]
	v_add_f64 v[20:21], v[34:35], v[20:21]
	v_add_f64 v[48:49], v[34:35], v[48:49]
	v_add_f64 v[34:35], v[96:97], v[20:21]
	v_rcp_f64_e32 v[98:99], v[34:35]
	v_add_f64 v[84:85], v[36:37], v[48:49]
	v_add_f64 v[36:37], v[84:85], -v[36:37]
	v_add_f64 v[36:37], v[48:49], -v[36:37]
	;; [unrolled: 1-line block ×4, first 2 shown]
	v_fma_f64 v[48:49], -v[34:35], v[98:99], 1.0
	v_fmac_f64_e32 v[98:99], v[48:49], v[98:99]
	v_fma_f64 v[48:49], -v[34:35], v[98:99], 1.0
	v_fmac_f64_e32 v[98:99], v[48:49], v[98:99]
	v_mul_f64 v[48:49], v[84:85], v[98:99]
	v_mul_f64 v[96:97], v[34:35], v[48:49]
	v_fma_f64 v[100:101], v[48:49], v[34:35], -v[96:97]
	v_fmac_f64_e32 v[100:101], v[48:49], v[20:21]
	v_add_f64 v[102:103], v[96:97], v[100:101]
	v_add_f64 v[112:113], v[84:85], -v[102:103]
	v_add_f64 v[84:85], v[84:85], -v[112:113]
	v_add_f64 v[96:97], v[102:103], -v[96:97]
	v_add_f64 v[84:85], v[84:85], -v[102:103]
	v_add_f64 v[36:37], v[36:37], v[84:85]
	v_add_f64 v[84:85], v[96:97], -v[100:101]
	v_add_f64 v[36:37], v[84:85], v[36:37]
	v_add_f64 v[84:85], v[112:113], v[36:37]
	v_add_f64 v[96:97], v[112:113], -v[84:85]
	v_add_f64 v[36:37], v[36:37], v[96:97]
	v_mul_f64 v[96:97], v[98:99], v[84:85]
	v_mul_f64 v[100:101], v[34:35], v[96:97]
	v_fma_f64 v[34:35], v[96:97], v[34:35], -v[100:101]
	v_fmac_f64_e32 v[34:35], v[96:97], v[20:21]
	v_add_f64 v[20:21], v[100:101], v[34:35]
	v_add_f64 v[102:103], v[84:85], -v[20:21]
	v_add_f64 v[84:85], v[84:85], -v[102:103]
	;; [unrolled: 1-line block ×4, first 2 shown]
	v_add_f64 v[20:21], v[36:37], v[20:21]
	v_add_f64 v[34:35], v[100:101], -v[34:35]
	v_add_f64 v[20:21], v[34:35], v[20:21]
	v_add_f64 v[34:35], v[48:49], v[96:97]
	;; [unrolled: 1-line block ×3, first 2 shown]
	v_add_f64 v[36:37], v[34:35], -v[48:49]
	v_mul_f64 v[20:21], v[98:99], v[20:21]
	v_add_f64 v[36:37], v[96:97], -v[36:37]
	v_add_f64 v[20:21], v[36:37], v[20:21]
	v_add_f64 v[36:37], v[34:35], v[20:21]
	v_add_f64 v[34:35], v[36:37], -v[34:35]
	v_add_f64 v[20:21], v[20:21], -v[34:35]
	v_mul_f64 v[34:35], v[36:37], v[36:37]
	v_mov_b32_e32 v48, 0x6b47b09a
	v_mov_b32_e32 v49, 0x3fc38538
	v_fmac_f64_e32 v[48:49], s[2:3], v[34:35]
	v_mov_b32_e32 v84, 0xd7f4df2e
	v_mov_b32_e32 v85, 0x3fc7474d
	v_fmac_f64_e32 v[84:85], v[34:35], v[48:49]
	;; [unrolled: 3-line block ×6, first 2 shown]
	v_cvt_f64_i32_e32 v[48:49], v53
	s_mov_b32 s7, 0x3fe62e42
	v_mul_f64 v[96:97], v[48:49], s[6:7]
	v_fma_f64 v[98:99], v[48:49], s[6:7], -v[96:97]
	s_mov_b32 s9, 0x3c7abc9e
	v_fmac_f64_e32 v[98:99], s[8:9], v[48:49]
	v_add_f64 v[48:49], v[96:97], v[98:99]
	v_add_f64 v[96:97], v[48:49], -v[96:97]
	v_mul_f64 v[34:35], v[36:37], v[34:35]
	v_add_f64 v[96:97], v[98:99], -v[96:97]
	v_ldexp_f64 v[98:99], v[36:37], 1
	v_mul_f64 v[34:35], v[34:35], v[84:85]
	v_add_f64 v[36:37], v[98:99], v[34:35]
	v_add_f64 v[84:85], v[36:37], -v[98:99]
	v_ldexp_f64 v[20:21], v[20:21], 1
	v_add_f64 v[34:35], v[34:35], -v[84:85]
	v_add_f64 v[20:21], v[20:21], v[34:35]
	v_add_f64 v[34:35], v[36:37], v[20:21]
	v_add_f64 v[36:37], v[34:35], -v[36:37]
	v_add_f64 v[20:21], v[20:21], -v[36:37]
	v_add_f64 v[36:37], v[48:49], v[34:35]
	v_add_f64 v[84:85], v[36:37], -v[48:49]
	v_add_f64 v[98:99], v[36:37], -v[84:85]
	v_add_f64 v[48:49], v[48:49], -v[98:99]
	v_add_f64 v[34:35], v[34:35], -v[84:85]
	v_add_f64 v[34:35], v[34:35], v[48:49]
	v_add_f64 v[48:49], v[96:97], v[20:21]
	v_add_f64 v[84:85], v[48:49], -v[96:97]
	v_add_f64 v[34:35], v[48:49], v[34:35]
	v_add_f64 v[98:99], v[48:49], -v[84:85]
	;; [unrolled: 2-line block ×3, first 2 shown]
	v_add_f64 v[20:21], v[20:21], -v[84:85]
	v_add_f64 v[36:37], v[48:49], -v[36:37]
	v_add_f64 v[20:21], v[20:21], v[96:97]
	v_add_f64 v[34:35], v[34:35], -v[36:37]
	s_mov_b32 s2, 0
	v_add_f64 v[20:21], v[20:21], v[34:35]
	s_mov_b32 s3, 0x7ff00000
	v_add_f64 v[20:21], v[48:49], v[20:21]
	v_cmp_eq_f64_e32 vcc, s[2:3], v[16:17]
	v_mov_b32_e32 v34, 0x7ff80000
	s_nop 0
	v_cndmask_b32_e32 v20, v20, v16, vcc
	v_cndmask_b32_e32 v21, v21, v17, vcc
	v_cmp_ngt_f64_e32 vcc, -1.0, v[16:17]
	s_nop 1
	v_cndmask_b32_e32 v21, v34, v21, vcc
	v_cmp_nge_f64_e32 vcc, -1.0, v[16:17]
	v_mov_b32_e32 v34, 0xfff00000
	s_nop 0
	v_cndmask_b32_e32 v20, 0, v20, vcc
	v_cmp_neq_f64_e32 vcc, -1.0, v[16:17]
	s_nop 1
	v_cndmask_b32_e32 v21, v34, v21, vcc
	v_add_f64 v[16:17], v[18:19], v[20:21]
.LBB30_358:
	s_or_b64 exec, exec, s[4:5]
	v_max_f64 v[18:19], v[16:17], v[16:17]
	v_min_f64 v[20:21], v[18:19], v[22:23]
	v_cmp_u_f64_e32 vcc, v[16:17], v[16:17]
	v_max_f64 v[18:19], v[18:19], v[22:23]
	s_nop 0
	v_cndmask_b32_e32 v20, v20, v16, vcc
	v_cndmask_b32_e32 v21, v21, v17, vcc
	;; [unrolled: 1-line block ×4, first 2 shown]
	v_cndmask_b32_e64 v35, v21, v87, s[20:21]
	v_cndmask_b32_e64 v34, v20, v86, s[20:21]
	;; [unrolled: 1-line block ×4, first 2 shown]
	v_cmp_neq_f64_e32 vcc, v[34:35], v[20:21]
	v_cmp_class_f64_e64 s[2:3], v[34:35], s10
	s_or_b64 s[2:3], vcc, s[2:3]
	v_mov_b64_e32 v[18:19], v[16:17]
	s_and_saveexec_b64 s[4:5], s[2:3]
	s_cbranch_execz .LBB30_360
; %bb.359:
	s_mov_b32 s2, 0x652b82fe
	v_add_f64 v[18:19], v[34:35], -v[20:21]
	s_mov_b32 s3, 0x3ff71547
	v_mul_f64 v[22:23], v[18:19], s[2:3]
	v_rndne_f64_e32 v[22:23], v[22:23]
	s_mov_b32 s7, 0xbfe62e42
	s_mov_b32 s6, 0xfefa39ef
	v_fma_f64 v[34:35], s[6:7], v[22:23], v[18:19]
	s_mov_b32 s9, 0xbc7abc9e
	s_mov_b32 s8, 0x3b39803f
	s_mov_b32 s2, 0x6a5dcb37
	v_fmac_f64_e32 v[34:35], s[8:9], v[22:23]
	v_mov_b32_e32 v36, 0xfca7ab0c
	v_mov_b32_e32 v37, 0x3e928af3
	s_mov_b32 s3, 0x3e5ade15
	v_fmac_f64_e32 v[36:37], s[2:3], v[34:35]
	v_mov_b32_e32 v48, 0x623fde64
	v_mov_b32_e32 v49, 0x3ec71dee
	v_fmac_f64_e32 v[48:49], v[34:35], v[36:37]
	v_mov_b32_e32 v36, 0x7c89e6b0
	v_mov_b32_e32 v37, 0x3efa0199
	;; [unrolled: 3-line block ×8, first 2 shown]
	s_mov_b32 s2, 0
	v_fmac_f64_e32 v[36:37], v[34:35], v[48:49]
	s_mov_b32 s3, 0x40900000
	v_fma_f64 v[36:37], v[34:35], v[36:37], 1.0
	v_cmp_nlt_f64_e32 vcc, s[2:3], v[18:19]
	s_mov_b32 s2, 0
	v_fma_f64 v[34:35], v[34:35], v[36:37], 1.0
	v_cvt_i32_f64_e32 v22, v[22:23]
	s_mov_b32 s3, 0xc090cc00
	v_ldexp_f64 v[22:23], v[34:35], v22
	v_mov_b32_e32 v34, 0x7ff00000
	v_cmp_ngt_f64_e64 s[2:3], s[2:3], v[18:19]
	v_cndmask_b32_e32 v23, v34, v23, vcc
	s_and_b64 vcc, s[2:3], vcc
	v_cndmask_b32_e64 v19, 0, v23, s[2:3]
	v_cndmask_b32_e32 v18, 0, v22, vcc
	v_add_f64 v[22:23], v[18:19], 1.0
	v_add_f64 v[34:35], v[22:23], -1.0
	v_add_f64 v[36:37], v[34:35], -v[22:23]
	v_add_f64 v[36:37], v[36:37], 1.0
	v_add_f64 v[34:35], v[18:19], -v[34:35]
	s_mov_b32 s2, 0x55555555
	v_add_f64 v[34:35], v[34:35], v[36:37]
	v_frexp_mant_f64_e32 v[36:37], v[22:23]
	s_mov_b32 s3, 0x3fe55555
	v_frexp_exp_i32_f64_e32 v48, v[22:23]
	v_cmp_gt_f64_e32 vcc, s[2:3], v[36:37]
	s_mov_b32 s2, 0xbf559e2b
	s_mov_b32 s3, 0x3fc3ab76
	v_subbrev_co_u32_e32 v53, vcc, 0, v48, vcc
	v_sub_u32_e32 v36, 0, v53
	v_ldexp_f64 v[22:23], v[22:23], v36
	v_ldexp_f64 v[34:35], v[34:35], v36
	v_add_f64 v[36:37], v[22:23], -1.0
	v_add_f64 v[86:87], v[22:23], 1.0
	v_add_f64 v[48:49], v[36:37], 1.0
	v_add_f64 v[96:97], v[86:87], -1.0
	v_add_f64 v[48:49], v[22:23], -v[48:49]
	v_add_f64 v[22:23], v[22:23], -v[96:97]
	v_add_f64 v[22:23], v[34:35], v[22:23]
	v_add_f64 v[48:49], v[34:35], v[48:49]
	;; [unrolled: 1-line block ×3, first 2 shown]
	v_rcp_f64_e32 v[96:97], v[34:35]
	v_add_f64 v[84:85], v[36:37], v[48:49]
	v_add_f64 v[36:37], v[84:85], -v[36:37]
	v_add_f64 v[36:37], v[48:49], -v[36:37]
	;; [unrolled: 1-line block ×4, first 2 shown]
	v_fma_f64 v[48:49], -v[34:35], v[96:97], 1.0
	v_fmac_f64_e32 v[96:97], v[48:49], v[96:97]
	v_fma_f64 v[48:49], -v[34:35], v[96:97], 1.0
	v_fmac_f64_e32 v[96:97], v[48:49], v[96:97]
	v_mul_f64 v[48:49], v[84:85], v[96:97]
	v_mul_f64 v[86:87], v[34:35], v[48:49]
	v_fma_f64 v[98:99], v[48:49], v[34:35], -v[86:87]
	v_fmac_f64_e32 v[98:99], v[48:49], v[22:23]
	v_add_f64 v[100:101], v[86:87], v[98:99]
	v_add_f64 v[102:103], v[84:85], -v[100:101]
	v_add_f64 v[84:85], v[84:85], -v[102:103]
	;; [unrolled: 1-line block ×4, first 2 shown]
	v_add_f64 v[36:37], v[36:37], v[84:85]
	v_add_f64 v[84:85], v[86:87], -v[98:99]
	v_add_f64 v[36:37], v[84:85], v[36:37]
	v_add_f64 v[84:85], v[102:103], v[36:37]
	v_add_f64 v[86:87], v[102:103], -v[84:85]
	v_add_f64 v[36:37], v[36:37], v[86:87]
	v_mul_f64 v[86:87], v[96:97], v[84:85]
	v_mul_f64 v[98:99], v[34:35], v[86:87]
	v_fma_f64 v[34:35], v[86:87], v[34:35], -v[98:99]
	v_fmac_f64_e32 v[34:35], v[86:87], v[22:23]
	v_add_f64 v[22:23], v[98:99], v[34:35]
	v_add_f64 v[100:101], v[84:85], -v[22:23]
	v_add_f64 v[84:85], v[84:85], -v[100:101]
	;; [unrolled: 1-line block ×4, first 2 shown]
	v_add_f64 v[22:23], v[36:37], v[22:23]
	v_add_f64 v[34:35], v[98:99], -v[34:35]
	v_add_f64 v[22:23], v[34:35], v[22:23]
	v_add_f64 v[34:35], v[48:49], v[86:87]
	;; [unrolled: 1-line block ×3, first 2 shown]
	v_add_f64 v[36:37], v[34:35], -v[48:49]
	v_mul_f64 v[22:23], v[96:97], v[22:23]
	v_add_f64 v[36:37], v[86:87], -v[36:37]
	v_add_f64 v[22:23], v[36:37], v[22:23]
	v_add_f64 v[36:37], v[34:35], v[22:23]
	v_add_f64 v[34:35], v[36:37], -v[34:35]
	v_add_f64 v[22:23], v[22:23], -v[34:35]
	v_mul_f64 v[34:35], v[36:37], v[36:37]
	v_mov_b32_e32 v48, 0x6b47b09a
	v_mov_b32_e32 v49, 0x3fc38538
	v_fmac_f64_e32 v[48:49], s[2:3], v[34:35]
	v_mov_b32_e32 v84, 0xd7f4df2e
	v_mov_b32_e32 v85, 0x3fc7474d
	v_fmac_f64_e32 v[84:85], v[34:35], v[48:49]
	;; [unrolled: 3-line block ×6, first 2 shown]
	v_cvt_f64_i32_e32 v[48:49], v53
	s_mov_b32 s7, 0x3fe62e42
	v_mul_f64 v[86:87], v[48:49], s[6:7]
	v_fma_f64 v[96:97], v[48:49], s[6:7], -v[86:87]
	s_mov_b32 s9, 0x3c7abc9e
	v_fmac_f64_e32 v[96:97], s[8:9], v[48:49]
	v_add_f64 v[48:49], v[86:87], v[96:97]
	v_add_f64 v[86:87], v[48:49], -v[86:87]
	v_mul_f64 v[34:35], v[36:37], v[34:35]
	v_add_f64 v[86:87], v[96:97], -v[86:87]
	v_ldexp_f64 v[96:97], v[36:37], 1
	v_mul_f64 v[34:35], v[34:35], v[84:85]
	v_add_f64 v[36:37], v[96:97], v[34:35]
	v_add_f64 v[84:85], v[36:37], -v[96:97]
	v_ldexp_f64 v[22:23], v[22:23], 1
	v_add_f64 v[34:35], v[34:35], -v[84:85]
	v_add_f64 v[22:23], v[22:23], v[34:35]
	v_add_f64 v[34:35], v[36:37], v[22:23]
	v_add_f64 v[36:37], v[34:35], -v[36:37]
	v_add_f64 v[22:23], v[22:23], -v[36:37]
	v_add_f64 v[36:37], v[48:49], v[34:35]
	v_add_f64 v[84:85], v[36:37], -v[48:49]
	v_add_f64 v[96:97], v[36:37], -v[84:85]
	;; [unrolled: 1-line block ×4, first 2 shown]
	v_add_f64 v[34:35], v[34:35], v[48:49]
	v_add_f64 v[48:49], v[86:87], v[22:23]
	v_add_f64 v[84:85], v[48:49], -v[86:87]
	v_add_f64 v[34:35], v[48:49], v[34:35]
	v_add_f64 v[96:97], v[48:49], -v[84:85]
	;; [unrolled: 2-line block ×3, first 2 shown]
	v_add_f64 v[22:23], v[22:23], -v[84:85]
	v_add_f64 v[36:37], v[48:49], -v[36:37]
	v_add_f64 v[22:23], v[22:23], v[86:87]
	v_add_f64 v[34:35], v[34:35], -v[36:37]
	s_mov_b32 s2, 0
	v_add_f64 v[22:23], v[22:23], v[34:35]
	s_mov_b32 s3, 0x7ff00000
	v_add_f64 v[22:23], v[48:49], v[22:23]
	v_cmp_eq_f64_e32 vcc, s[2:3], v[18:19]
	v_mov_b32_e32 v34, 0x7ff80000
	s_nop 0
	v_cndmask_b32_e32 v22, v22, v18, vcc
	v_cndmask_b32_e32 v23, v23, v19, vcc
	v_cmp_ngt_f64_e32 vcc, -1.0, v[18:19]
	s_nop 1
	v_cndmask_b32_e32 v23, v34, v23, vcc
	v_cmp_nge_f64_e32 vcc, -1.0, v[18:19]
	v_mov_b32_e32 v34, 0xfff00000
	s_nop 0
	v_cndmask_b32_e32 v22, 0, v22, vcc
	v_cmp_neq_f64_e32 vcc, -1.0, v[18:19]
	s_nop 1
	v_cndmask_b32_e32 v23, v34, v23, vcc
	v_add_f64 v[18:19], v[20:21], v[22:23]
.LBB30_360:
	s_or_b64 exec, exec, s[4:5]
	v_max_f64 v[20:21], v[18:19], v[18:19]
	v_min_f64 v[22:23], v[20:21], v[24:25]
	v_cmp_u_f64_e32 vcc, v[18:19], v[18:19]
	v_max_f64 v[20:21], v[20:21], v[24:25]
	s_nop 0
	v_cndmask_b32_e32 v22, v22, v18, vcc
	v_cndmask_b32_e32 v23, v23, v19, vcc
	;; [unrolled: 1-line block ×4, first 2 shown]
	v_cndmask_b32_e64 v35, v23, v81, s[22:23]
	v_cndmask_b32_e64 v34, v22, v80, s[22:23]
	;; [unrolled: 1-line block ×4, first 2 shown]
	v_cmp_neq_f64_e32 vcc, v[34:35], v[22:23]
	v_cmp_class_f64_e64 s[2:3], v[34:35], s10
	s_or_b64 s[2:3], vcc, s[2:3]
	v_mov_b64_e32 v[20:21], v[18:19]
	s_and_saveexec_b64 s[4:5], s[2:3]
	s_cbranch_execz .LBB30_362
; %bb.361:
	s_mov_b32 s2, 0x652b82fe
	v_add_f64 v[20:21], v[34:35], -v[22:23]
	s_mov_b32 s3, 0x3ff71547
	v_mul_f64 v[24:25], v[20:21], s[2:3]
	v_rndne_f64_e32 v[24:25], v[24:25]
	s_mov_b32 s7, 0xbfe62e42
	s_mov_b32 s6, 0xfefa39ef
	v_fma_f64 v[34:35], s[6:7], v[24:25], v[20:21]
	s_mov_b32 s9, 0xbc7abc9e
	s_mov_b32 s8, 0x3b39803f
	;; [unrolled: 1-line block ×3, first 2 shown]
	v_fmac_f64_e32 v[34:35], s[8:9], v[24:25]
	v_mov_b32_e32 v36, 0xfca7ab0c
	v_mov_b32_e32 v37, 0x3e928af3
	s_mov_b32 s3, 0x3e5ade15
	v_fmac_f64_e32 v[36:37], s[2:3], v[34:35]
	v_mov_b32_e32 v48, 0x623fde64
	v_mov_b32_e32 v49, 0x3ec71dee
	v_fmac_f64_e32 v[48:49], v[34:35], v[36:37]
	v_mov_b32_e32 v36, 0x7c89e6b0
	v_mov_b32_e32 v37, 0x3efa0199
	;; [unrolled: 3-line block ×8, first 2 shown]
	s_mov_b32 s2, 0
	v_fmac_f64_e32 v[36:37], v[34:35], v[48:49]
	s_mov_b32 s3, 0x40900000
	v_fma_f64 v[36:37], v[34:35], v[36:37], 1.0
	v_cmp_nlt_f64_e32 vcc, s[2:3], v[20:21]
	s_mov_b32 s2, 0
	v_fma_f64 v[34:35], v[34:35], v[36:37], 1.0
	v_cvt_i32_f64_e32 v24, v[24:25]
	s_mov_b32 s3, 0xc090cc00
	v_ldexp_f64 v[24:25], v[34:35], v24
	v_mov_b32_e32 v34, 0x7ff00000
	v_cmp_ngt_f64_e64 s[2:3], s[2:3], v[20:21]
	v_cndmask_b32_e32 v25, v34, v25, vcc
	s_and_b64 vcc, s[2:3], vcc
	v_cndmask_b32_e64 v21, 0, v25, s[2:3]
	v_cndmask_b32_e32 v20, 0, v24, vcc
	v_add_f64 v[24:25], v[20:21], 1.0
	v_add_f64 v[34:35], v[24:25], -1.0
	v_add_f64 v[36:37], v[34:35], -v[24:25]
	v_add_f64 v[36:37], v[36:37], 1.0
	v_add_f64 v[34:35], v[20:21], -v[34:35]
	s_mov_b32 s2, 0x55555555
	v_add_f64 v[34:35], v[34:35], v[36:37]
	v_frexp_mant_f64_e32 v[36:37], v[24:25]
	s_mov_b32 s3, 0x3fe55555
	v_frexp_exp_i32_f64_e32 v48, v[24:25]
	v_cmp_gt_f64_e32 vcc, s[2:3], v[36:37]
	s_mov_b32 s2, 0xbf559e2b
	s_mov_b32 s3, 0x3fc3ab76
	v_subbrev_co_u32_e32 v53, vcc, 0, v48, vcc
	v_sub_u32_e32 v36, 0, v53
	v_ldexp_f64 v[24:25], v[24:25], v36
	v_ldexp_f64 v[34:35], v[34:35], v36
	v_add_f64 v[36:37], v[24:25], -1.0
	v_add_f64 v[84:85], v[24:25], 1.0
	v_add_f64 v[48:49], v[36:37], 1.0
	v_add_f64 v[86:87], v[84:85], -1.0
	v_add_f64 v[48:49], v[24:25], -v[48:49]
	v_add_f64 v[24:25], v[24:25], -v[86:87]
	v_add_f64 v[24:25], v[34:35], v[24:25]
	v_add_f64 v[48:49], v[34:35], v[48:49]
	;; [unrolled: 1-line block ×3, first 2 shown]
	v_rcp_f64_e32 v[86:87], v[34:35]
	v_add_f64 v[80:81], v[36:37], v[48:49]
	v_add_f64 v[36:37], v[80:81], -v[36:37]
	v_add_f64 v[36:37], v[48:49], -v[36:37]
	;; [unrolled: 1-line block ×4, first 2 shown]
	v_fma_f64 v[48:49], -v[34:35], v[86:87], 1.0
	v_fmac_f64_e32 v[86:87], v[48:49], v[86:87]
	v_fma_f64 v[48:49], -v[34:35], v[86:87], 1.0
	v_fmac_f64_e32 v[86:87], v[48:49], v[86:87]
	v_mul_f64 v[48:49], v[80:81], v[86:87]
	v_mul_f64 v[84:85], v[34:35], v[48:49]
	v_fma_f64 v[96:97], v[48:49], v[34:35], -v[84:85]
	v_fmac_f64_e32 v[96:97], v[48:49], v[24:25]
	v_add_f64 v[98:99], v[84:85], v[96:97]
	v_add_f64 v[100:101], v[80:81], -v[98:99]
	v_add_f64 v[80:81], v[80:81], -v[100:101]
	;; [unrolled: 1-line block ×4, first 2 shown]
	v_add_f64 v[36:37], v[36:37], v[80:81]
	v_add_f64 v[80:81], v[84:85], -v[96:97]
	v_add_f64 v[36:37], v[80:81], v[36:37]
	v_add_f64 v[80:81], v[100:101], v[36:37]
	v_add_f64 v[84:85], v[100:101], -v[80:81]
	v_add_f64 v[36:37], v[36:37], v[84:85]
	v_mul_f64 v[84:85], v[86:87], v[80:81]
	v_mul_f64 v[96:97], v[34:35], v[84:85]
	v_fma_f64 v[34:35], v[84:85], v[34:35], -v[96:97]
	v_fmac_f64_e32 v[34:35], v[84:85], v[24:25]
	v_add_f64 v[24:25], v[96:97], v[34:35]
	v_add_f64 v[98:99], v[80:81], -v[24:25]
	v_add_f64 v[80:81], v[80:81], -v[98:99]
	;; [unrolled: 1-line block ×4, first 2 shown]
	v_add_f64 v[24:25], v[36:37], v[24:25]
	v_add_f64 v[34:35], v[96:97], -v[34:35]
	v_add_f64 v[24:25], v[34:35], v[24:25]
	v_add_f64 v[34:35], v[48:49], v[84:85]
	;; [unrolled: 1-line block ×3, first 2 shown]
	v_add_f64 v[36:37], v[34:35], -v[48:49]
	v_mul_f64 v[24:25], v[86:87], v[24:25]
	v_add_f64 v[36:37], v[84:85], -v[36:37]
	v_add_f64 v[24:25], v[36:37], v[24:25]
	v_add_f64 v[36:37], v[34:35], v[24:25]
	v_add_f64 v[34:35], v[36:37], -v[34:35]
	v_add_f64 v[24:25], v[24:25], -v[34:35]
	v_mul_f64 v[34:35], v[36:37], v[36:37]
	v_mov_b32_e32 v48, 0x6b47b09a
	v_mov_b32_e32 v49, 0x3fc38538
	v_fmac_f64_e32 v[48:49], s[2:3], v[34:35]
	v_mov_b32_e32 v80, 0xd7f4df2e
	v_mov_b32_e32 v81, 0x3fc7474d
	v_fmac_f64_e32 v[80:81], v[34:35], v[48:49]
	;; [unrolled: 3-line block ×6, first 2 shown]
	v_cvt_f64_i32_e32 v[48:49], v53
	s_mov_b32 s7, 0x3fe62e42
	v_mul_f64 v[84:85], v[48:49], s[6:7]
	v_fma_f64 v[86:87], v[48:49], s[6:7], -v[84:85]
	s_mov_b32 s9, 0x3c7abc9e
	v_fmac_f64_e32 v[86:87], s[8:9], v[48:49]
	v_add_f64 v[48:49], v[84:85], v[86:87]
	v_add_f64 v[84:85], v[48:49], -v[84:85]
	v_mul_f64 v[34:35], v[36:37], v[34:35]
	v_add_f64 v[84:85], v[86:87], -v[84:85]
	v_ldexp_f64 v[86:87], v[36:37], 1
	v_mul_f64 v[34:35], v[34:35], v[80:81]
	v_add_f64 v[36:37], v[86:87], v[34:35]
	v_add_f64 v[80:81], v[36:37], -v[86:87]
	v_ldexp_f64 v[24:25], v[24:25], 1
	v_add_f64 v[34:35], v[34:35], -v[80:81]
	v_add_f64 v[24:25], v[24:25], v[34:35]
	v_add_f64 v[34:35], v[36:37], v[24:25]
	v_add_f64 v[36:37], v[34:35], -v[36:37]
	v_add_f64 v[24:25], v[24:25], -v[36:37]
	v_add_f64 v[36:37], v[48:49], v[34:35]
	v_add_f64 v[80:81], v[36:37], -v[48:49]
	v_add_f64 v[86:87], v[36:37], -v[80:81]
	;; [unrolled: 1-line block ×4, first 2 shown]
	v_add_f64 v[34:35], v[34:35], v[48:49]
	v_add_f64 v[48:49], v[84:85], v[24:25]
	v_add_f64 v[80:81], v[48:49], -v[84:85]
	v_add_f64 v[34:35], v[48:49], v[34:35]
	v_add_f64 v[86:87], v[48:49], -v[80:81]
	;; [unrolled: 2-line block ×3, first 2 shown]
	v_add_f64 v[24:25], v[24:25], -v[80:81]
	v_add_f64 v[36:37], v[48:49], -v[36:37]
	v_add_f64 v[24:25], v[24:25], v[84:85]
	v_add_f64 v[34:35], v[34:35], -v[36:37]
	s_mov_b32 s2, 0
	v_add_f64 v[24:25], v[24:25], v[34:35]
	s_mov_b32 s3, 0x7ff00000
	v_add_f64 v[24:25], v[48:49], v[24:25]
	v_cmp_eq_f64_e32 vcc, s[2:3], v[20:21]
	v_mov_b32_e32 v34, 0x7ff80000
	s_nop 0
	v_cndmask_b32_e32 v24, v24, v20, vcc
	v_cndmask_b32_e32 v25, v25, v21, vcc
	v_cmp_ngt_f64_e32 vcc, -1.0, v[20:21]
	s_nop 1
	v_cndmask_b32_e32 v25, v34, v25, vcc
	v_cmp_nge_f64_e32 vcc, -1.0, v[20:21]
	v_mov_b32_e32 v34, 0xfff00000
	s_nop 0
	v_cndmask_b32_e32 v24, 0, v24, vcc
	v_cmp_neq_f64_e32 vcc, -1.0, v[20:21]
	s_nop 1
	v_cndmask_b32_e32 v25, v34, v25, vcc
	v_add_f64 v[20:21], v[22:23], v[24:25]
.LBB30_362:
	s_or_b64 exec, exec, s[4:5]
	v_max_f64 v[22:23], v[20:21], v[20:21]
	v_min_f64 v[24:25], v[22:23], v[26:27]
	v_cmp_u_f64_e32 vcc, v[20:21], v[20:21]
	v_max_f64 v[22:23], v[22:23], v[26:27]
	s_nop 0
	v_cndmask_b32_e32 v24, v24, v20, vcc
	v_cndmask_b32_e32 v25, v25, v21, vcc
	;; [unrolled: 1-line block ×4, first 2 shown]
	v_cndmask_b32_e64 v35, v25, v83, s[24:25]
	v_cndmask_b32_e64 v34, v24, v82, s[24:25]
	v_cndmask_b32_e64 v25, v23, v83, s[24:25]
	v_cndmask_b32_e64 v24, v22, v82, s[24:25]
	v_cmp_neq_f64_e32 vcc, v[34:35], v[24:25]
	v_cmp_class_f64_e64 s[2:3], v[34:35], s10
	s_or_b64 s[2:3], vcc, s[2:3]
	v_mov_b64_e32 v[22:23], v[20:21]
	s_and_saveexec_b64 s[4:5], s[2:3]
	s_cbranch_execz .LBB30_364
; %bb.363:
	s_mov_b32 s2, 0x652b82fe
	v_add_f64 v[22:23], v[34:35], -v[24:25]
	s_mov_b32 s3, 0x3ff71547
	v_mul_f64 v[26:27], v[22:23], s[2:3]
	v_rndne_f64_e32 v[26:27], v[26:27]
	s_mov_b32 s7, 0xbfe62e42
	s_mov_b32 s6, 0xfefa39ef
	v_fma_f64 v[34:35], s[6:7], v[26:27], v[22:23]
	s_mov_b32 s9, 0xbc7abc9e
	s_mov_b32 s8, 0x3b39803f
	;; [unrolled: 1-line block ×3, first 2 shown]
	v_fmac_f64_e32 v[34:35], s[8:9], v[26:27]
	v_mov_b32_e32 v36, 0xfca7ab0c
	v_mov_b32_e32 v37, 0x3e928af3
	s_mov_b32 s3, 0x3e5ade15
	v_fmac_f64_e32 v[36:37], s[2:3], v[34:35]
	v_mov_b32_e32 v48, 0x623fde64
	v_mov_b32_e32 v49, 0x3ec71dee
	v_fmac_f64_e32 v[48:49], v[34:35], v[36:37]
	v_mov_b32_e32 v36, 0x7c89e6b0
	v_mov_b32_e32 v37, 0x3efa0199
	;; [unrolled: 3-line block ×8, first 2 shown]
	s_mov_b32 s2, 0
	v_fmac_f64_e32 v[36:37], v[34:35], v[48:49]
	s_mov_b32 s3, 0x40900000
	v_fma_f64 v[36:37], v[34:35], v[36:37], 1.0
	v_cmp_nlt_f64_e32 vcc, s[2:3], v[22:23]
	s_mov_b32 s2, 0
	v_fma_f64 v[34:35], v[34:35], v[36:37], 1.0
	v_cvt_i32_f64_e32 v26, v[26:27]
	s_mov_b32 s3, 0xc090cc00
	v_ldexp_f64 v[26:27], v[34:35], v26
	v_mov_b32_e32 v34, 0x7ff00000
	v_cmp_ngt_f64_e64 s[2:3], s[2:3], v[22:23]
	v_cndmask_b32_e32 v27, v34, v27, vcc
	s_and_b64 vcc, s[2:3], vcc
	v_cndmask_b32_e64 v23, 0, v27, s[2:3]
	v_cndmask_b32_e32 v22, 0, v26, vcc
	v_add_f64 v[26:27], v[22:23], 1.0
	v_add_f64 v[34:35], v[26:27], -1.0
	v_add_f64 v[36:37], v[34:35], -v[26:27]
	v_add_f64 v[36:37], v[36:37], 1.0
	v_add_f64 v[34:35], v[22:23], -v[34:35]
	s_mov_b32 s2, 0x55555555
	v_add_f64 v[34:35], v[34:35], v[36:37]
	v_frexp_mant_f64_e32 v[36:37], v[26:27]
	s_mov_b32 s3, 0x3fe55555
	v_frexp_exp_i32_f64_e32 v48, v[26:27]
	v_cmp_gt_f64_e32 vcc, s[2:3], v[36:37]
	s_mov_b32 s2, 0xbf559e2b
	s_mov_b32 s3, 0x3fc3ab76
	v_subbrev_co_u32_e32 v53, vcc, 0, v48, vcc
	v_sub_u32_e32 v36, 0, v53
	v_ldexp_f64 v[26:27], v[26:27], v36
	v_ldexp_f64 v[34:35], v[34:35], v36
	v_add_f64 v[36:37], v[26:27], -1.0
	v_add_f64 v[82:83], v[26:27], 1.0
	v_add_f64 v[48:49], v[36:37], 1.0
	v_add_f64 v[84:85], v[82:83], -1.0
	v_add_f64 v[48:49], v[26:27], -v[48:49]
	v_add_f64 v[26:27], v[26:27], -v[84:85]
	v_add_f64 v[26:27], v[34:35], v[26:27]
	v_add_f64 v[48:49], v[34:35], v[48:49]
	;; [unrolled: 1-line block ×3, first 2 shown]
	v_rcp_f64_e32 v[84:85], v[34:35]
	v_add_f64 v[80:81], v[36:37], v[48:49]
	v_add_f64 v[36:37], v[80:81], -v[36:37]
	v_add_f64 v[36:37], v[48:49], -v[36:37]
	;; [unrolled: 1-line block ×4, first 2 shown]
	v_fma_f64 v[48:49], -v[34:35], v[84:85], 1.0
	v_fmac_f64_e32 v[84:85], v[48:49], v[84:85]
	v_fma_f64 v[48:49], -v[34:35], v[84:85], 1.0
	v_fmac_f64_e32 v[84:85], v[48:49], v[84:85]
	v_mul_f64 v[48:49], v[80:81], v[84:85]
	v_mul_f64 v[82:83], v[34:35], v[48:49]
	v_fma_f64 v[86:87], v[48:49], v[34:35], -v[82:83]
	v_fmac_f64_e32 v[86:87], v[48:49], v[26:27]
	v_add_f64 v[96:97], v[82:83], v[86:87]
	v_add_f64 v[98:99], v[80:81], -v[96:97]
	v_add_f64 v[80:81], v[80:81], -v[98:99]
	;; [unrolled: 1-line block ×4, first 2 shown]
	v_add_f64 v[36:37], v[36:37], v[80:81]
	v_add_f64 v[80:81], v[82:83], -v[86:87]
	v_add_f64 v[36:37], v[80:81], v[36:37]
	v_add_f64 v[80:81], v[98:99], v[36:37]
	v_add_f64 v[82:83], v[98:99], -v[80:81]
	v_add_f64 v[36:37], v[36:37], v[82:83]
	v_mul_f64 v[82:83], v[84:85], v[80:81]
	v_mul_f64 v[86:87], v[34:35], v[82:83]
	v_fma_f64 v[34:35], v[82:83], v[34:35], -v[86:87]
	v_fmac_f64_e32 v[34:35], v[82:83], v[26:27]
	v_add_f64 v[26:27], v[86:87], v[34:35]
	v_add_f64 v[96:97], v[80:81], -v[26:27]
	v_add_f64 v[80:81], v[80:81], -v[96:97]
	;; [unrolled: 1-line block ×4, first 2 shown]
	v_add_f64 v[26:27], v[36:37], v[26:27]
	v_add_f64 v[34:35], v[86:87], -v[34:35]
	v_add_f64 v[26:27], v[34:35], v[26:27]
	v_add_f64 v[34:35], v[48:49], v[82:83]
	;; [unrolled: 1-line block ×3, first 2 shown]
	v_add_f64 v[36:37], v[34:35], -v[48:49]
	v_mul_f64 v[26:27], v[84:85], v[26:27]
	v_add_f64 v[36:37], v[82:83], -v[36:37]
	v_add_f64 v[26:27], v[36:37], v[26:27]
	v_add_f64 v[36:37], v[34:35], v[26:27]
	v_add_f64 v[34:35], v[36:37], -v[34:35]
	v_add_f64 v[26:27], v[26:27], -v[34:35]
	v_mul_f64 v[34:35], v[36:37], v[36:37]
	v_mov_b32_e32 v48, 0x6b47b09a
	v_mov_b32_e32 v49, 0x3fc38538
	v_fmac_f64_e32 v[48:49], s[2:3], v[34:35]
	v_mov_b32_e32 v80, 0xd7f4df2e
	v_mov_b32_e32 v81, 0x3fc7474d
	v_fmac_f64_e32 v[80:81], v[34:35], v[48:49]
	;; [unrolled: 3-line block ×6, first 2 shown]
	v_cvt_f64_i32_e32 v[48:49], v53
	s_mov_b32 s7, 0x3fe62e42
	v_mul_f64 v[82:83], v[48:49], s[6:7]
	v_fma_f64 v[84:85], v[48:49], s[6:7], -v[82:83]
	s_mov_b32 s9, 0x3c7abc9e
	v_fmac_f64_e32 v[84:85], s[8:9], v[48:49]
	v_add_f64 v[48:49], v[82:83], v[84:85]
	v_add_f64 v[82:83], v[48:49], -v[82:83]
	v_mul_f64 v[34:35], v[36:37], v[34:35]
	v_add_f64 v[82:83], v[84:85], -v[82:83]
	v_ldexp_f64 v[84:85], v[36:37], 1
	v_mul_f64 v[34:35], v[34:35], v[80:81]
	v_add_f64 v[36:37], v[84:85], v[34:35]
	v_add_f64 v[80:81], v[36:37], -v[84:85]
	v_ldexp_f64 v[26:27], v[26:27], 1
	v_add_f64 v[34:35], v[34:35], -v[80:81]
	v_add_f64 v[26:27], v[26:27], v[34:35]
	v_add_f64 v[34:35], v[36:37], v[26:27]
	v_add_f64 v[36:37], v[34:35], -v[36:37]
	v_add_f64 v[26:27], v[26:27], -v[36:37]
	v_add_f64 v[36:37], v[48:49], v[34:35]
	v_add_f64 v[80:81], v[36:37], -v[48:49]
	v_add_f64 v[84:85], v[36:37], -v[80:81]
	;; [unrolled: 1-line block ×4, first 2 shown]
	v_add_f64 v[34:35], v[34:35], v[48:49]
	v_add_f64 v[48:49], v[82:83], v[26:27]
	v_add_f64 v[80:81], v[48:49], -v[82:83]
	v_add_f64 v[34:35], v[48:49], v[34:35]
	v_add_f64 v[84:85], v[48:49], -v[80:81]
	v_add_f64 v[48:49], v[36:37], v[34:35]
	v_add_f64 v[82:83], v[82:83], -v[84:85]
	v_add_f64 v[26:27], v[26:27], -v[80:81]
	v_add_f64 v[36:37], v[48:49], -v[36:37]
	v_add_f64 v[26:27], v[26:27], v[82:83]
	v_add_f64 v[34:35], v[34:35], -v[36:37]
	s_mov_b32 s2, 0
	v_add_f64 v[26:27], v[26:27], v[34:35]
	s_mov_b32 s3, 0x7ff00000
	v_add_f64 v[26:27], v[48:49], v[26:27]
	v_cmp_eq_f64_e32 vcc, s[2:3], v[22:23]
	v_mov_b32_e32 v34, 0x7ff80000
	s_nop 0
	v_cndmask_b32_e32 v26, v26, v22, vcc
	v_cndmask_b32_e32 v27, v27, v23, vcc
	v_cmp_ngt_f64_e32 vcc, -1.0, v[22:23]
	s_nop 1
	v_cndmask_b32_e32 v27, v34, v27, vcc
	v_cmp_nge_f64_e32 vcc, -1.0, v[22:23]
	v_mov_b32_e32 v34, 0xfff00000
	s_nop 0
	v_cndmask_b32_e32 v26, 0, v26, vcc
	v_cmp_neq_f64_e32 vcc, -1.0, v[22:23]
	s_nop 1
	v_cndmask_b32_e32 v27, v34, v27, vcc
	v_add_f64 v[22:23], v[24:25], v[26:27]
.LBB30_364:
	s_or_b64 exec, exec, s[4:5]
	v_max_f64 v[24:25], v[22:23], v[22:23]
	v_min_f64 v[26:27], v[24:25], v[28:29]
	v_cmp_u_f64_e32 vcc, v[22:23], v[22:23]
	v_max_f64 v[24:25], v[24:25], v[28:29]
	s_nop 0
	v_cndmask_b32_e32 v26, v26, v22, vcc
	v_cndmask_b32_e32 v27, v27, v23, vcc
	;; [unrolled: 1-line block ×4, first 2 shown]
	v_cndmask_b32_e64 v35, v27, v67, s[26:27]
	v_cndmask_b32_e64 v34, v26, v66, s[26:27]
	v_cndmask_b32_e64 v27, v25, v67, s[26:27]
	v_cndmask_b32_e64 v26, v24, v66, s[26:27]
	v_cmp_neq_f64_e32 vcc, v[34:35], v[26:27]
	v_cmp_class_f64_e64 s[2:3], v[34:35], s10
	s_or_b64 s[2:3], vcc, s[2:3]
	v_mov_b64_e32 v[24:25], v[22:23]
	s_and_saveexec_b64 s[4:5], s[2:3]
	s_cbranch_execz .LBB30_366
; %bb.365:
	s_mov_b32 s2, 0x652b82fe
	v_add_f64 v[24:25], v[34:35], -v[26:27]
	s_mov_b32 s3, 0x3ff71547
	v_mul_f64 v[28:29], v[24:25], s[2:3]
	v_rndne_f64_e32 v[28:29], v[28:29]
	s_mov_b32 s7, 0xbfe62e42
	s_mov_b32 s6, 0xfefa39ef
	v_fma_f64 v[34:35], s[6:7], v[28:29], v[24:25]
	s_mov_b32 s9, 0xbc7abc9e
	s_mov_b32 s8, 0x3b39803f
	;; [unrolled: 1-line block ×3, first 2 shown]
	v_fmac_f64_e32 v[34:35], s[8:9], v[28:29]
	v_mov_b32_e32 v36, 0xfca7ab0c
	v_mov_b32_e32 v37, 0x3e928af3
	s_mov_b32 s3, 0x3e5ade15
	v_fmac_f64_e32 v[36:37], s[2:3], v[34:35]
	v_mov_b32_e32 v48, 0x623fde64
	v_mov_b32_e32 v49, 0x3ec71dee
	v_fmac_f64_e32 v[48:49], v[34:35], v[36:37]
	v_mov_b32_e32 v36, 0x7c89e6b0
	v_mov_b32_e32 v37, 0x3efa0199
	;; [unrolled: 3-line block ×8, first 2 shown]
	s_mov_b32 s2, 0
	v_fmac_f64_e32 v[36:37], v[34:35], v[48:49]
	s_mov_b32 s3, 0x40900000
	v_fma_f64 v[36:37], v[34:35], v[36:37], 1.0
	v_cmp_nlt_f64_e32 vcc, s[2:3], v[24:25]
	s_mov_b32 s2, 0
	v_fma_f64 v[34:35], v[34:35], v[36:37], 1.0
	v_cvt_i32_f64_e32 v28, v[28:29]
	s_mov_b32 s3, 0xc090cc00
	v_ldexp_f64 v[28:29], v[34:35], v28
	v_mov_b32_e32 v34, 0x7ff00000
	v_cmp_ngt_f64_e64 s[2:3], s[2:3], v[24:25]
	v_cndmask_b32_e32 v29, v34, v29, vcc
	s_and_b64 vcc, s[2:3], vcc
	v_cndmask_b32_e64 v25, 0, v29, s[2:3]
	v_cndmask_b32_e32 v24, 0, v28, vcc
	v_add_f64 v[28:29], v[24:25], 1.0
	v_add_f64 v[34:35], v[28:29], -1.0
	v_add_f64 v[36:37], v[34:35], -v[28:29]
	v_add_f64 v[36:37], v[36:37], 1.0
	v_add_f64 v[34:35], v[24:25], -v[34:35]
	s_mov_b32 s2, 0x55555555
	v_add_f64 v[34:35], v[34:35], v[36:37]
	v_frexp_mant_f64_e32 v[36:37], v[28:29]
	s_mov_b32 s3, 0x3fe55555
	v_frexp_exp_i32_f64_e32 v48, v[28:29]
	v_cmp_gt_f64_e32 vcc, s[2:3], v[36:37]
	s_mov_b32 s2, 0xbf559e2b
	s_mov_b32 s3, 0x3fc3ab76
	v_subbrev_co_u32_e32 v53, vcc, 0, v48, vcc
	v_sub_u32_e32 v36, 0, v53
	v_ldexp_f64 v[28:29], v[28:29], v36
	v_ldexp_f64 v[34:35], v[34:35], v36
	v_add_f64 v[36:37], v[28:29], -1.0
	v_add_f64 v[80:81], v[28:29], 1.0
	v_add_f64 v[48:49], v[36:37], 1.0
	v_add_f64 v[82:83], v[80:81], -1.0
	v_add_f64 v[48:49], v[28:29], -v[48:49]
	v_add_f64 v[28:29], v[28:29], -v[82:83]
	v_add_f64 v[28:29], v[34:35], v[28:29]
	v_add_f64 v[48:49], v[34:35], v[48:49]
	;; [unrolled: 1-line block ×3, first 2 shown]
	v_rcp_f64_e32 v[82:83], v[34:35]
	v_add_f64 v[66:67], v[36:37], v[48:49]
	v_add_f64 v[36:37], v[66:67], -v[36:37]
	v_add_f64 v[36:37], v[48:49], -v[36:37]
	;; [unrolled: 1-line block ×4, first 2 shown]
	v_fma_f64 v[48:49], -v[34:35], v[82:83], 1.0
	v_fmac_f64_e32 v[82:83], v[48:49], v[82:83]
	v_fma_f64 v[48:49], -v[34:35], v[82:83], 1.0
	v_fmac_f64_e32 v[82:83], v[48:49], v[82:83]
	v_mul_f64 v[48:49], v[66:67], v[82:83]
	v_mul_f64 v[80:81], v[34:35], v[48:49]
	v_fma_f64 v[84:85], v[48:49], v[34:35], -v[80:81]
	v_fmac_f64_e32 v[84:85], v[48:49], v[28:29]
	v_add_f64 v[86:87], v[80:81], v[84:85]
	v_add_f64 v[96:97], v[66:67], -v[86:87]
	v_add_f64 v[66:67], v[66:67], -v[96:97]
	;; [unrolled: 1-line block ×4, first 2 shown]
	v_add_f64 v[36:37], v[36:37], v[66:67]
	v_add_f64 v[66:67], v[80:81], -v[84:85]
	v_add_f64 v[36:37], v[66:67], v[36:37]
	v_add_f64 v[66:67], v[96:97], v[36:37]
	v_add_f64 v[80:81], v[96:97], -v[66:67]
	v_add_f64 v[36:37], v[36:37], v[80:81]
	v_mul_f64 v[80:81], v[82:83], v[66:67]
	v_mul_f64 v[84:85], v[34:35], v[80:81]
	v_fma_f64 v[34:35], v[80:81], v[34:35], -v[84:85]
	v_fmac_f64_e32 v[34:35], v[80:81], v[28:29]
	v_add_f64 v[28:29], v[84:85], v[34:35]
	v_add_f64 v[86:87], v[66:67], -v[28:29]
	v_add_f64 v[66:67], v[66:67], -v[86:87]
	;; [unrolled: 1-line block ×4, first 2 shown]
	v_add_f64 v[28:29], v[36:37], v[28:29]
	v_add_f64 v[34:35], v[84:85], -v[34:35]
	v_add_f64 v[28:29], v[34:35], v[28:29]
	v_add_f64 v[34:35], v[48:49], v[80:81]
	;; [unrolled: 1-line block ×3, first 2 shown]
	v_add_f64 v[36:37], v[34:35], -v[48:49]
	v_mul_f64 v[28:29], v[82:83], v[28:29]
	v_add_f64 v[36:37], v[80:81], -v[36:37]
	v_add_f64 v[28:29], v[36:37], v[28:29]
	v_add_f64 v[36:37], v[34:35], v[28:29]
	v_add_f64 v[34:35], v[36:37], -v[34:35]
	v_add_f64 v[28:29], v[28:29], -v[34:35]
	v_mul_f64 v[34:35], v[36:37], v[36:37]
	v_mov_b32_e32 v48, 0x6b47b09a
	v_mov_b32_e32 v49, 0x3fc38538
	v_fmac_f64_e32 v[48:49], s[2:3], v[34:35]
	v_mov_b32_e32 v66, 0xd7f4df2e
	v_mov_b32_e32 v67, 0x3fc7474d
	v_fmac_f64_e32 v[66:67], v[34:35], v[48:49]
	;; [unrolled: 3-line block ×6, first 2 shown]
	v_cvt_f64_i32_e32 v[48:49], v53
	s_mov_b32 s7, 0x3fe62e42
	v_mul_f64 v[80:81], v[48:49], s[6:7]
	v_fma_f64 v[82:83], v[48:49], s[6:7], -v[80:81]
	s_mov_b32 s9, 0x3c7abc9e
	v_fmac_f64_e32 v[82:83], s[8:9], v[48:49]
	v_add_f64 v[48:49], v[80:81], v[82:83]
	v_add_f64 v[80:81], v[48:49], -v[80:81]
	v_mul_f64 v[34:35], v[36:37], v[34:35]
	v_add_f64 v[80:81], v[82:83], -v[80:81]
	v_ldexp_f64 v[82:83], v[36:37], 1
	v_mul_f64 v[34:35], v[34:35], v[66:67]
	v_add_f64 v[36:37], v[82:83], v[34:35]
	v_add_f64 v[66:67], v[36:37], -v[82:83]
	v_ldexp_f64 v[28:29], v[28:29], 1
	v_add_f64 v[34:35], v[34:35], -v[66:67]
	v_add_f64 v[28:29], v[28:29], v[34:35]
	v_add_f64 v[34:35], v[36:37], v[28:29]
	v_add_f64 v[36:37], v[34:35], -v[36:37]
	v_add_f64 v[28:29], v[28:29], -v[36:37]
	v_add_f64 v[36:37], v[48:49], v[34:35]
	v_add_f64 v[66:67], v[36:37], -v[48:49]
	v_add_f64 v[82:83], v[36:37], -v[66:67]
	;; [unrolled: 1-line block ×4, first 2 shown]
	v_add_f64 v[34:35], v[34:35], v[48:49]
	v_add_f64 v[48:49], v[80:81], v[28:29]
	v_add_f64 v[66:67], v[48:49], -v[80:81]
	v_add_f64 v[34:35], v[48:49], v[34:35]
	v_add_f64 v[82:83], v[48:49], -v[66:67]
	v_add_f64 v[48:49], v[36:37], v[34:35]
	v_add_f64 v[80:81], v[80:81], -v[82:83]
	v_add_f64 v[28:29], v[28:29], -v[66:67]
	v_add_f64 v[36:37], v[48:49], -v[36:37]
	v_add_f64 v[28:29], v[28:29], v[80:81]
	v_add_f64 v[34:35], v[34:35], -v[36:37]
	s_mov_b32 s2, 0
	v_add_f64 v[28:29], v[28:29], v[34:35]
	s_mov_b32 s3, 0x7ff00000
	v_add_f64 v[28:29], v[48:49], v[28:29]
	v_cmp_eq_f64_e32 vcc, s[2:3], v[24:25]
	v_mov_b32_e32 v34, 0x7ff80000
	s_nop 0
	v_cndmask_b32_e32 v28, v28, v24, vcc
	v_cndmask_b32_e32 v29, v29, v25, vcc
	v_cmp_ngt_f64_e32 vcc, -1.0, v[24:25]
	s_nop 1
	v_cndmask_b32_e32 v29, v34, v29, vcc
	v_cmp_nge_f64_e32 vcc, -1.0, v[24:25]
	v_mov_b32_e32 v34, 0xfff00000
	s_nop 0
	v_cndmask_b32_e32 v28, 0, v28, vcc
	v_cmp_neq_f64_e32 vcc, -1.0, v[24:25]
	s_nop 1
	v_cndmask_b32_e32 v29, v34, v29, vcc
	v_add_f64 v[24:25], v[26:27], v[28:29]
.LBB30_366:
	s_or_b64 exec, exec, s[4:5]
	v_max_f64 v[26:27], v[24:25], v[24:25]
	v_min_f64 v[28:29], v[26:27], v[30:31]
	v_cmp_u_f64_e32 vcc, v[24:25], v[24:25]
	v_max_f64 v[26:27], v[26:27], v[30:31]
	s_nop 0
	v_cndmask_b32_e32 v28, v28, v24, vcc
	v_cndmask_b32_e32 v29, v29, v25, vcc
	;; [unrolled: 1-line block ×4, first 2 shown]
	v_cndmask_b32_e64 v35, v29, v69, s[28:29]
	v_cndmask_b32_e64 v34, v28, v68, s[28:29]
	;; [unrolled: 1-line block ×4, first 2 shown]
	v_cmp_neq_f64_e32 vcc, v[34:35], v[28:29]
	v_cmp_class_f64_e64 s[2:3], v[34:35], s10
	s_or_b64 s[2:3], vcc, s[2:3]
	v_mov_b64_e32 v[26:27], v[24:25]
	s_and_saveexec_b64 s[4:5], s[2:3]
	s_cbranch_execz .LBB30_368
; %bb.367:
	s_mov_b32 s2, 0x652b82fe
	v_add_f64 v[26:27], v[34:35], -v[28:29]
	s_mov_b32 s3, 0x3ff71547
	v_mul_f64 v[30:31], v[26:27], s[2:3]
	v_rndne_f64_e32 v[30:31], v[30:31]
	s_mov_b32 s7, 0xbfe62e42
	s_mov_b32 s6, 0xfefa39ef
	v_fma_f64 v[34:35], s[6:7], v[30:31], v[26:27]
	s_mov_b32 s9, 0xbc7abc9e
	s_mov_b32 s8, 0x3b39803f
	;; [unrolled: 1-line block ×3, first 2 shown]
	v_fmac_f64_e32 v[34:35], s[8:9], v[30:31]
	v_mov_b32_e32 v36, 0xfca7ab0c
	v_mov_b32_e32 v37, 0x3e928af3
	s_mov_b32 s3, 0x3e5ade15
	v_fmac_f64_e32 v[36:37], s[2:3], v[34:35]
	v_mov_b32_e32 v48, 0x623fde64
	v_mov_b32_e32 v49, 0x3ec71dee
	v_fmac_f64_e32 v[48:49], v[34:35], v[36:37]
	v_mov_b32_e32 v36, 0x7c89e6b0
	v_mov_b32_e32 v37, 0x3efa0199
	;; [unrolled: 3-line block ×8, first 2 shown]
	s_mov_b32 s2, 0
	v_fmac_f64_e32 v[36:37], v[34:35], v[48:49]
	s_mov_b32 s3, 0x40900000
	v_fma_f64 v[36:37], v[34:35], v[36:37], 1.0
	v_cmp_nlt_f64_e32 vcc, s[2:3], v[26:27]
	s_mov_b32 s2, 0
	v_fma_f64 v[34:35], v[34:35], v[36:37], 1.0
	v_cvt_i32_f64_e32 v30, v[30:31]
	s_mov_b32 s3, 0xc090cc00
	v_ldexp_f64 v[30:31], v[34:35], v30
	v_mov_b32_e32 v34, 0x7ff00000
	v_cmp_ngt_f64_e64 s[2:3], s[2:3], v[26:27]
	v_cndmask_b32_e32 v31, v34, v31, vcc
	s_and_b64 vcc, s[2:3], vcc
	v_cndmask_b32_e64 v27, 0, v31, s[2:3]
	v_cndmask_b32_e32 v26, 0, v30, vcc
	v_add_f64 v[30:31], v[26:27], 1.0
	v_add_f64 v[34:35], v[30:31], -1.0
	v_add_f64 v[36:37], v[34:35], -v[30:31]
	v_add_f64 v[36:37], v[36:37], 1.0
	v_add_f64 v[34:35], v[26:27], -v[34:35]
	s_mov_b32 s2, 0x55555555
	v_add_f64 v[34:35], v[34:35], v[36:37]
	v_frexp_mant_f64_e32 v[36:37], v[30:31]
	s_mov_b32 s3, 0x3fe55555
	v_frexp_exp_i32_f64_e32 v48, v[30:31]
	v_cmp_gt_f64_e32 vcc, s[2:3], v[36:37]
	s_mov_b32 s2, 0xbf559e2b
	s_mov_b32 s3, 0x3fc3ab76
	v_subbrev_co_u32_e32 v53, vcc, 0, v48, vcc
	v_sub_u32_e32 v36, 0, v53
	v_ldexp_f64 v[30:31], v[30:31], v36
	v_ldexp_f64 v[34:35], v[34:35], v36
	v_add_f64 v[36:37], v[30:31], -1.0
	v_add_f64 v[68:69], v[30:31], 1.0
	v_add_f64 v[48:49], v[36:37], 1.0
	v_add_f64 v[80:81], v[68:69], -1.0
	v_add_f64 v[48:49], v[30:31], -v[48:49]
	v_add_f64 v[30:31], v[30:31], -v[80:81]
	v_add_f64 v[30:31], v[34:35], v[30:31]
	v_add_f64 v[48:49], v[34:35], v[48:49]
	;; [unrolled: 1-line block ×3, first 2 shown]
	v_rcp_f64_e32 v[80:81], v[34:35]
	v_add_f64 v[66:67], v[36:37], v[48:49]
	v_add_f64 v[36:37], v[66:67], -v[36:37]
	v_add_f64 v[36:37], v[48:49], -v[36:37]
	;; [unrolled: 1-line block ×4, first 2 shown]
	v_fma_f64 v[48:49], -v[34:35], v[80:81], 1.0
	v_fmac_f64_e32 v[80:81], v[48:49], v[80:81]
	v_fma_f64 v[48:49], -v[34:35], v[80:81], 1.0
	v_fmac_f64_e32 v[80:81], v[48:49], v[80:81]
	v_mul_f64 v[48:49], v[66:67], v[80:81]
	v_mul_f64 v[68:69], v[34:35], v[48:49]
	v_fma_f64 v[82:83], v[48:49], v[34:35], -v[68:69]
	v_fmac_f64_e32 v[82:83], v[48:49], v[30:31]
	v_add_f64 v[84:85], v[68:69], v[82:83]
	v_add_f64 v[86:87], v[66:67], -v[84:85]
	v_add_f64 v[66:67], v[66:67], -v[86:87]
	;; [unrolled: 1-line block ×4, first 2 shown]
	v_add_f64 v[36:37], v[36:37], v[66:67]
	v_add_f64 v[66:67], v[68:69], -v[82:83]
	v_add_f64 v[36:37], v[66:67], v[36:37]
	v_add_f64 v[66:67], v[86:87], v[36:37]
	v_add_f64 v[68:69], v[86:87], -v[66:67]
	v_add_f64 v[36:37], v[36:37], v[68:69]
	v_mul_f64 v[68:69], v[80:81], v[66:67]
	v_mul_f64 v[82:83], v[34:35], v[68:69]
	v_fma_f64 v[34:35], v[68:69], v[34:35], -v[82:83]
	v_fmac_f64_e32 v[34:35], v[68:69], v[30:31]
	v_add_f64 v[30:31], v[82:83], v[34:35]
	v_add_f64 v[84:85], v[66:67], -v[30:31]
	v_add_f64 v[66:67], v[66:67], -v[84:85]
	;; [unrolled: 1-line block ×4, first 2 shown]
	v_add_f64 v[30:31], v[36:37], v[30:31]
	v_add_f64 v[34:35], v[82:83], -v[34:35]
	v_add_f64 v[30:31], v[34:35], v[30:31]
	v_add_f64 v[34:35], v[48:49], v[68:69]
	;; [unrolled: 1-line block ×3, first 2 shown]
	v_add_f64 v[36:37], v[34:35], -v[48:49]
	v_mul_f64 v[30:31], v[80:81], v[30:31]
	v_add_f64 v[36:37], v[68:69], -v[36:37]
	v_add_f64 v[30:31], v[36:37], v[30:31]
	v_add_f64 v[36:37], v[34:35], v[30:31]
	v_add_f64 v[34:35], v[36:37], -v[34:35]
	v_add_f64 v[30:31], v[30:31], -v[34:35]
	v_mul_f64 v[34:35], v[36:37], v[36:37]
	v_mov_b32_e32 v48, 0x6b47b09a
	v_mov_b32_e32 v49, 0x3fc38538
	v_fmac_f64_e32 v[48:49], s[2:3], v[34:35]
	v_mov_b32_e32 v66, 0xd7f4df2e
	v_mov_b32_e32 v67, 0x3fc7474d
	v_fmac_f64_e32 v[66:67], v[34:35], v[48:49]
	v_mov_b32_e32 v48, 0x16291751
	v_mov_b32_e32 v49, 0x3fcc71c0
	v_fmac_f64_e32 v[48:49], v[34:35], v[66:67]
	v_mov_b32_e32 v66, 0x9b27acf1
	v_mov_b32_e32 v67, 0x3fd24924
	v_fmac_f64_e32 v[66:67], v[34:35], v[48:49]
	v_mov_b32_e32 v48, 0x998ef7b6
	v_mov_b32_e32 v49, 0x3fd99999
	v_fmac_f64_e32 v[48:49], v[34:35], v[66:67]
	v_mov_b32_e32 v66, 0x55555780
	v_mov_b32_e32 v67, 0x3fe55555
	v_fmac_f64_e32 v[66:67], v[34:35], v[48:49]
	v_cvt_f64_i32_e32 v[48:49], v53
	s_mov_b32 s7, 0x3fe62e42
	v_mul_f64 v[68:69], v[48:49], s[6:7]
	v_fma_f64 v[80:81], v[48:49], s[6:7], -v[68:69]
	s_mov_b32 s9, 0x3c7abc9e
	v_fmac_f64_e32 v[80:81], s[8:9], v[48:49]
	v_add_f64 v[48:49], v[68:69], v[80:81]
	v_add_f64 v[68:69], v[48:49], -v[68:69]
	v_mul_f64 v[34:35], v[36:37], v[34:35]
	v_add_f64 v[68:69], v[80:81], -v[68:69]
	v_ldexp_f64 v[80:81], v[36:37], 1
	v_mul_f64 v[34:35], v[34:35], v[66:67]
	v_add_f64 v[36:37], v[80:81], v[34:35]
	v_add_f64 v[66:67], v[36:37], -v[80:81]
	v_ldexp_f64 v[30:31], v[30:31], 1
	v_add_f64 v[34:35], v[34:35], -v[66:67]
	v_add_f64 v[30:31], v[30:31], v[34:35]
	v_add_f64 v[34:35], v[36:37], v[30:31]
	v_add_f64 v[36:37], v[34:35], -v[36:37]
	v_add_f64 v[30:31], v[30:31], -v[36:37]
	v_add_f64 v[36:37], v[48:49], v[34:35]
	v_add_f64 v[66:67], v[36:37], -v[48:49]
	v_add_f64 v[80:81], v[36:37], -v[66:67]
	;; [unrolled: 1-line block ×4, first 2 shown]
	v_add_f64 v[34:35], v[34:35], v[48:49]
	v_add_f64 v[48:49], v[68:69], v[30:31]
	v_add_f64 v[66:67], v[48:49], -v[68:69]
	v_add_f64 v[34:35], v[48:49], v[34:35]
	v_add_f64 v[80:81], v[48:49], -v[66:67]
	;; [unrolled: 2-line block ×3, first 2 shown]
	v_add_f64 v[30:31], v[30:31], -v[66:67]
	v_add_f64 v[36:37], v[48:49], -v[36:37]
	v_add_f64 v[30:31], v[30:31], v[68:69]
	v_add_f64 v[34:35], v[34:35], -v[36:37]
	s_mov_b32 s2, 0
	v_add_f64 v[30:31], v[30:31], v[34:35]
	s_mov_b32 s3, 0x7ff00000
	v_add_f64 v[30:31], v[48:49], v[30:31]
	v_cmp_eq_f64_e32 vcc, s[2:3], v[26:27]
	v_mov_b32_e32 v34, 0x7ff80000
	s_nop 0
	v_cndmask_b32_e32 v30, v30, v26, vcc
	v_cndmask_b32_e32 v31, v31, v27, vcc
	v_cmp_ngt_f64_e32 vcc, -1.0, v[26:27]
	s_nop 1
	v_cndmask_b32_e32 v31, v34, v31, vcc
	v_cmp_nge_f64_e32 vcc, -1.0, v[26:27]
	v_mov_b32_e32 v34, 0xfff00000
	s_nop 0
	v_cndmask_b32_e32 v30, 0, v30, vcc
	v_cmp_neq_f64_e32 vcc, -1.0, v[26:27]
	s_nop 1
	v_cndmask_b32_e32 v31, v34, v31, vcc
	v_add_f64 v[26:27], v[28:29], v[30:31]
.LBB30_368:
	s_or_b64 exec, exec, s[4:5]
	v_max_f64 v[28:29], v[26:27], v[26:27]
	v_min_f64 v[30:31], v[28:29], v[32:33]
	v_cmp_u_f64_e32 vcc, v[26:27], v[26:27]
	v_max_f64 v[28:29], v[28:29], v[32:33]
	s_nop 0
	v_cndmask_b32_e32 v30, v30, v26, vcc
	v_cndmask_b32_e32 v31, v31, v27, vcc
	;; [unrolled: 1-line block ×4, first 2 shown]
	v_cndmask_b32_e64 v35, v31, v131, s[30:31]
	v_cndmask_b32_e64 v34, v30, v130, s[30:31]
	;; [unrolled: 1-line block ×4, first 2 shown]
	v_cmp_neq_f64_e32 vcc, v[34:35], v[30:31]
	v_cmp_class_f64_e64 s[2:3], v[34:35], s10
	s_or_b64 s[2:3], vcc, s[2:3]
	v_mov_b64_e32 v[28:29], v[26:27]
	s_and_saveexec_b64 s[4:5], s[2:3]
	s_cbranch_execz .LBB30_370
; %bb.369:
	s_mov_b32 s2, 0x652b82fe
	v_add_f64 v[28:29], v[34:35], -v[30:31]
	s_mov_b32 s3, 0x3ff71547
	v_mul_f64 v[32:33], v[28:29], s[2:3]
	v_rndne_f64_e32 v[32:33], v[32:33]
	s_mov_b32 s7, 0xbfe62e42
	s_mov_b32 s6, 0xfefa39ef
	v_fma_f64 v[34:35], s[6:7], v[32:33], v[28:29]
	s_mov_b32 s9, 0xbc7abc9e
	s_mov_b32 s8, 0x3b39803f
	;; [unrolled: 1-line block ×3, first 2 shown]
	v_fmac_f64_e32 v[34:35], s[8:9], v[32:33]
	v_mov_b32_e32 v36, 0xfca7ab0c
	v_mov_b32_e32 v37, 0x3e928af3
	s_mov_b32 s3, 0x3e5ade15
	v_fmac_f64_e32 v[36:37], s[2:3], v[34:35]
	v_mov_b32_e32 v48, 0x623fde64
	v_mov_b32_e32 v49, 0x3ec71dee
	v_fmac_f64_e32 v[48:49], v[34:35], v[36:37]
	v_mov_b32_e32 v36, 0x7c89e6b0
	v_mov_b32_e32 v37, 0x3efa0199
	;; [unrolled: 3-line block ×8, first 2 shown]
	s_mov_b32 s2, 0
	v_fmac_f64_e32 v[36:37], v[34:35], v[48:49]
	s_mov_b32 s3, 0x40900000
	v_fma_f64 v[36:37], v[34:35], v[36:37], 1.0
	v_cmp_nlt_f64_e32 vcc, s[2:3], v[28:29]
	s_mov_b32 s2, 0
	v_fma_f64 v[34:35], v[34:35], v[36:37], 1.0
	v_cvt_i32_f64_e32 v32, v[32:33]
	s_mov_b32 s3, 0xc090cc00
	v_ldexp_f64 v[32:33], v[34:35], v32
	v_mov_b32_e32 v34, 0x7ff00000
	v_cmp_ngt_f64_e64 s[2:3], s[2:3], v[28:29]
	v_cndmask_b32_e32 v33, v34, v33, vcc
	s_and_b64 vcc, s[2:3], vcc
	v_cndmask_b32_e64 v29, 0, v33, s[2:3]
	v_cndmask_b32_e32 v28, 0, v32, vcc
	v_add_f64 v[32:33], v[28:29], 1.0
	v_add_f64 v[34:35], v[32:33], -1.0
	v_add_f64 v[36:37], v[34:35], -v[32:33]
	v_add_f64 v[36:37], v[36:37], 1.0
	v_add_f64 v[34:35], v[28:29], -v[34:35]
	s_mov_b32 s2, 0x55555555
	v_add_f64 v[34:35], v[34:35], v[36:37]
	v_frexp_mant_f64_e32 v[36:37], v[32:33]
	s_mov_b32 s3, 0x3fe55555
	v_frexp_exp_i32_f64_e32 v48, v[32:33]
	v_cmp_gt_f64_e32 vcc, s[2:3], v[36:37]
	s_mov_b32 s2, 0xbf559e2b
	s_mov_b32 s3, 0x3fc3ab76
	v_subbrev_co_u32_e32 v53, vcc, 0, v48, vcc
	v_sub_u32_e32 v36, 0, v53
	v_ldexp_f64 v[32:33], v[32:33], v36
	v_ldexp_f64 v[34:35], v[34:35], v36
	v_add_f64 v[36:37], v[32:33], -1.0
	v_add_f64 v[68:69], v[32:33], 1.0
	v_add_f64 v[48:49], v[36:37], 1.0
	v_add_f64 v[80:81], v[68:69], -1.0
	v_add_f64 v[48:49], v[32:33], -v[48:49]
	v_add_f64 v[32:33], v[32:33], -v[80:81]
	v_add_f64 v[32:33], v[34:35], v[32:33]
	v_add_f64 v[48:49], v[34:35], v[48:49]
	v_add_f64 v[34:35], v[68:69], v[32:33]
	v_rcp_f64_e32 v[80:81], v[34:35]
	v_add_f64 v[66:67], v[36:37], v[48:49]
	v_add_f64 v[36:37], v[66:67], -v[36:37]
	v_add_f64 v[36:37], v[48:49], -v[36:37]
	;; [unrolled: 1-line block ×4, first 2 shown]
	v_fma_f64 v[48:49], -v[34:35], v[80:81], 1.0
	v_fmac_f64_e32 v[80:81], v[48:49], v[80:81]
	v_fma_f64 v[48:49], -v[34:35], v[80:81], 1.0
	v_fmac_f64_e32 v[80:81], v[48:49], v[80:81]
	v_mul_f64 v[48:49], v[66:67], v[80:81]
	v_mul_f64 v[68:69], v[34:35], v[48:49]
	v_fma_f64 v[82:83], v[48:49], v[34:35], -v[68:69]
	v_fmac_f64_e32 v[82:83], v[48:49], v[32:33]
	v_add_f64 v[84:85], v[68:69], v[82:83]
	v_add_f64 v[86:87], v[66:67], -v[84:85]
	v_add_f64 v[66:67], v[66:67], -v[86:87]
	v_add_f64 v[68:69], v[84:85], -v[68:69]
	v_add_f64 v[66:67], v[66:67], -v[84:85]
	v_add_f64 v[36:37], v[36:37], v[66:67]
	v_add_f64 v[66:67], v[68:69], -v[82:83]
	v_add_f64 v[36:37], v[66:67], v[36:37]
	v_add_f64 v[66:67], v[86:87], v[36:37]
	v_add_f64 v[68:69], v[86:87], -v[66:67]
	v_add_f64 v[36:37], v[36:37], v[68:69]
	v_mul_f64 v[68:69], v[80:81], v[66:67]
	v_mul_f64 v[82:83], v[34:35], v[68:69]
	v_fma_f64 v[34:35], v[68:69], v[34:35], -v[82:83]
	v_fmac_f64_e32 v[34:35], v[68:69], v[32:33]
	v_add_f64 v[32:33], v[82:83], v[34:35]
	v_add_f64 v[84:85], v[66:67], -v[32:33]
	v_add_f64 v[66:67], v[66:67], -v[84:85]
	;; [unrolled: 1-line block ×4, first 2 shown]
	v_add_f64 v[32:33], v[36:37], v[32:33]
	v_add_f64 v[34:35], v[82:83], -v[34:35]
	v_add_f64 v[32:33], v[34:35], v[32:33]
	v_add_f64 v[34:35], v[48:49], v[68:69]
	v_add_f64 v[32:33], v[84:85], v[32:33]
	v_add_f64 v[36:37], v[34:35], -v[48:49]
	v_mul_f64 v[32:33], v[80:81], v[32:33]
	v_add_f64 v[36:37], v[68:69], -v[36:37]
	v_add_f64 v[32:33], v[36:37], v[32:33]
	v_add_f64 v[36:37], v[34:35], v[32:33]
	v_add_f64 v[34:35], v[36:37], -v[34:35]
	v_add_f64 v[32:33], v[32:33], -v[34:35]
	v_mul_f64 v[34:35], v[36:37], v[36:37]
	v_mov_b32_e32 v48, 0x6b47b09a
	v_mov_b32_e32 v49, 0x3fc38538
	v_fmac_f64_e32 v[48:49], s[2:3], v[34:35]
	v_mov_b32_e32 v66, 0xd7f4df2e
	v_mov_b32_e32 v67, 0x3fc7474d
	v_fmac_f64_e32 v[66:67], v[34:35], v[48:49]
	;; [unrolled: 3-line block ×6, first 2 shown]
	v_cvt_f64_i32_e32 v[48:49], v53
	s_mov_b32 s7, 0x3fe62e42
	v_mul_f64 v[68:69], v[48:49], s[6:7]
	v_fma_f64 v[80:81], v[48:49], s[6:7], -v[68:69]
	s_mov_b32 s9, 0x3c7abc9e
	v_fmac_f64_e32 v[80:81], s[8:9], v[48:49]
	v_add_f64 v[48:49], v[68:69], v[80:81]
	v_add_f64 v[68:69], v[48:49], -v[68:69]
	v_mul_f64 v[34:35], v[36:37], v[34:35]
	v_add_f64 v[68:69], v[80:81], -v[68:69]
	v_ldexp_f64 v[80:81], v[36:37], 1
	v_mul_f64 v[34:35], v[34:35], v[66:67]
	v_add_f64 v[36:37], v[80:81], v[34:35]
	v_add_f64 v[66:67], v[36:37], -v[80:81]
	v_ldexp_f64 v[32:33], v[32:33], 1
	v_add_f64 v[34:35], v[34:35], -v[66:67]
	v_add_f64 v[32:33], v[32:33], v[34:35]
	v_add_f64 v[34:35], v[36:37], v[32:33]
	v_add_f64 v[36:37], v[34:35], -v[36:37]
	v_add_f64 v[32:33], v[32:33], -v[36:37]
	v_add_f64 v[36:37], v[48:49], v[34:35]
	v_add_f64 v[66:67], v[36:37], -v[48:49]
	v_add_f64 v[80:81], v[36:37], -v[66:67]
	;; [unrolled: 1-line block ×4, first 2 shown]
	v_add_f64 v[34:35], v[34:35], v[48:49]
	v_add_f64 v[48:49], v[68:69], v[32:33]
	v_add_f64 v[66:67], v[48:49], -v[68:69]
	v_add_f64 v[34:35], v[48:49], v[34:35]
	v_add_f64 v[80:81], v[48:49], -v[66:67]
	;; [unrolled: 2-line block ×3, first 2 shown]
	v_add_f64 v[32:33], v[32:33], -v[66:67]
	v_add_f64 v[36:37], v[48:49], -v[36:37]
	v_add_f64 v[32:33], v[32:33], v[68:69]
	v_add_f64 v[34:35], v[34:35], -v[36:37]
	s_mov_b32 s2, 0
	v_add_f64 v[32:33], v[32:33], v[34:35]
	s_mov_b32 s3, 0x7ff00000
	v_add_f64 v[32:33], v[48:49], v[32:33]
	v_cmp_eq_f64_e32 vcc, s[2:3], v[28:29]
	v_mov_b32_e32 v34, 0x7ff80000
	s_nop 0
	v_cndmask_b32_e32 v32, v32, v28, vcc
	v_cndmask_b32_e32 v33, v33, v29, vcc
	v_cmp_ngt_f64_e32 vcc, -1.0, v[28:29]
	s_nop 1
	v_cndmask_b32_e32 v33, v34, v33, vcc
	v_cmp_nge_f64_e32 vcc, -1.0, v[28:29]
	v_mov_b32_e32 v34, 0xfff00000
	s_nop 0
	v_cndmask_b32_e32 v32, 0, v32, vcc
	v_cmp_neq_f64_e32 vcc, -1.0, v[28:29]
	s_nop 1
	v_cndmask_b32_e32 v33, v34, v33, vcc
	v_add_f64 v[28:29], v[30:31], v[32:33]
.LBB30_370:
	s_or_b64 exec, exec, s[4:5]
	s_movk_i32 s2, 0xff
	v_cmp_eq_u32_e32 vcc, s2, v70
	s_and_saveexec_b64 s[2:3], vcc
	s_cbranch_execz .LBB30_380
; %bb.371:
	s_mov_b64 s[4:5], 0x400
	v_lshl_add_u64 v[32:33], v[116:117], 0, s[4:5]
	s_mov_b64 s[4:5], src_shared_base
	v_cmp_ne_u32_e32 vcc, s5, v33
	s_and_saveexec_b64 s[4:5], vcc
	s_xor_b64 s[4:5], exec, s[4:5]
	s_cbranch_execz .LBB30_377
; %bb.372:
	s_mov_b64 s[6:7], src_private_base
	v_cmp_ne_u32_e32 vcc, s7, v33
	s_and_saveexec_b64 s[6:7], vcc
	s_xor_b64 s[6:7], exec, s[6:7]
	s_cbranch_execz .LBB30_374
; %bb.373:
	v_mov_b32_e32 v31, 0
	v_mov_b32_e32 v30, 2
	;;#ASMSTART
	global_store_dwordx4 v[32:33], v[28:31] off sc1	
s_waitcnt vmcnt(0)
	;;#ASMEND
                                        ; implicit-def: $vgpr32_vgpr33
.LBB30_374:
	s_andn2_saveexec_b64 s[6:7], s[6:7]
	s_cbranch_execz .LBB30_376
; %bb.375:
	v_mov_b32_e32 v31, 0
	v_mov_b32_e32 v30, 2
	;;#ASMSTART
	flat_store_dwordx4 v[32:33], v[28:31] sc1	
s_waitcnt vmcnt(0)
	;;#ASMEND
.LBB30_376:
	s_or_b64 exec, exec, s[6:7]
                                        ; implicit-def: $vgpr32_vgpr33
.LBB30_377:
	s_andn2_saveexec_b64 s[4:5], s[4:5]
	s_cbranch_execz .LBB30_379
; %bb.378:
	v_cmp_ne_u64_e32 vcc, 0, v[32:33]
	v_mov_b32_e32 v35, 0
	v_mov_b32_e32 v34, 2
	v_cndmask_b32_e32 v36, -1, v32, vcc
	v_mov_b32_e32 v32, v28
	v_mov_b32_e32 v33, v29
	;;#ASMSTART
	ds_write_b128 v36, v[32:35] 	
s_waitcnt lgkmcnt(0)
	;;#ASMEND
.LBB30_379:
	s_or_b64 exec, exec, s[4:5]
.LBB30_380:
	s_or_b64 exec, exec, s[2:3]
	v_mov_b64_e32 v[34:35], v[30:31]
	v_mov_b64_e32 v[32:33], v[28:29]
	;; [unrolled: 1-line block ×16, first 2 shown]
.LBB30_381:
	v_lshl_add_u64 v[0:1], v[54:55], 3, v[64:65]
	v_lshl_add_u64 v[34:35], v[128:129], 3, v[0:1]
	s_waitcnt lgkmcnt(0)
	s_barrier
	s_and_saveexec_b64 s[2:3], s[0:1]
	s_xor_b64 s[0:1], exec, s[2:3]
	s_cbranch_execz .LBB30_383
; %bb.382:
	v_mul_u32_u24_e32 v0, 0x78, v70
	s_movk_i32 s2, 0x78
	ds_write2_b64 v0, v[4:5], v[6:7] offset1:1
	ds_write2_b64 v0, v[8:9], v[10:11] offset0:2 offset1:3
	ds_write2_b64 v0, v[12:13], v[14:15] offset0:4 offset1:5
	;; [unrolled: 1-line block ×6, first 2 shown]
	ds_write_b64 v0, v[32:33] offset:112
	v_mul_i32_i24_e32 v0, 0xffffff90, v70
	v_mad_u32_u24 v28, v70, s2, v0
	v_mov_b32_e32 v53, 0
	s_waitcnt lgkmcnt(0)
	s_barrier
	ds_read2st64_b64 v[0:3], v28 offset1:4
	ds_read2st64_b64 v[4:7], v28 offset0:8 offset1:12
	ds_read2st64_b64 v[8:11], v28 offset0:16 offset1:20
	;; [unrolled: 1-line block ×6, first 2 shown]
	ds_read_b64 v[28:29], v28 offset:28672
	v_lshl_add_u64 v[30:31], v[34:35], 0, v[52:53]
	s_movk_i32 s2, 0x1000
	s_waitcnt lgkmcnt(7)
	flat_store_dwordx2 v[30:31], v[0:1]
	flat_store_dwordx2 v[30:31], v[2:3] offset:2048
	v_add_co_u32_e32 v0, vcc, s2, v30
	s_movk_i32 s2, 0x2000
	s_nop 0
	v_addc_co_u32_e32 v1, vcc, 0, v31, vcc
	s_waitcnt lgkmcnt(0)
	flat_store_dwordx2 v[0:1], v[4:5]
	flat_store_dwordx2 v[0:1], v[6:7] offset:2048
	v_add_co_u32_e32 v0, vcc, s2, v30
	s_movk_i32 s2, 0x3000
	s_nop 0
	v_addc_co_u32_e32 v1, vcc, 0, v31, vcc
	flat_store_dwordx2 v[0:1], v[8:9]
	flat_store_dwordx2 v[0:1], v[10:11] offset:2048
	v_add_co_u32_e32 v0, vcc, s2, v30
	s_movk_i32 s2, 0x4000
	s_nop 0
	v_addc_co_u32_e32 v1, vcc, 0, v31, vcc
	;; [unrolled: 6-line block ×3, first 2 shown]
	flat_store_dwordx2 v[0:1], v[16:17]
	flat_store_dwordx2 v[0:1], v[18:19] offset:2048
	v_add_co_u32_e32 v0, vcc, s2, v30
                                        ; implicit-def: $vgpr36_vgpr37_vgpr38_vgpr39
                                        ; implicit-def: $vgpr48_vgpr49_vgpr50_vgpr51
                                        ; implicit-def: $vgpr70
                                        ; implicit-def: $vgpr118_vgpr119
                                        ; implicit-def: $vgpr40
                                        ; implicit-def: $vgpr52
	s_nop 1
	v_addc_co_u32_e32 v1, vcc, 0, v31, vcc
	flat_store_dwordx2 v[0:1], v[20:21]
	flat_store_dwordx2 v[0:1], v[22:23] offset:2048
	v_add_co_u32_e32 v0, vcc, 0x6000, v30
	s_nop 1
	v_addc_co_u32_e32 v1, vcc, 0, v31, vcc
	flat_store_dwordx2 v[0:1], v[24:25]
	flat_store_dwordx2 v[0:1], v[26:27] offset:2048
	v_add_co_u32_e32 v0, vcc, 0x7000, v30
	s_nop 1
	v_addc_co_u32_e32 v1, vcc, 0, v31, vcc
	flat_store_dwordx2 v[0:1], v[28:29]
                                        ; implicit-def: $vgpr4_vgpr5_vgpr6_vgpr7_vgpr8_vgpr9_vgpr10_vgpr11_vgpr12_vgpr13_vgpr14_vgpr15_vgpr16_vgpr17_vgpr18_vgpr19_vgpr20_vgpr21_vgpr22_vgpr23_vgpr24_vgpr25_vgpr26_vgpr27_vgpr28_vgpr29_vgpr30_vgpr31_vgpr32_vgpr33_vgpr34_vgpr35
                                        ; implicit-def: $vgpr34_vgpr35
.LBB30_383:
	s_andn2_saveexec_b64 s[2:3], s[0:1]
	s_cbranch_execz .LBB30_470
; %bb.384:
	v_mul_u32_u24_e32 v0, 0x78, v70
	s_movk_i32 s0, 0x78
	ds_write2_b64 v0, v[4:5], v[6:7] offset1:1
	ds_write2_b64 v0, v[8:9], v[10:11] offset0:2 offset1:3
	ds_write2_b64 v0, v[12:13], v[14:15] offset0:4 offset1:5
	;; [unrolled: 1-line block ×6, first 2 shown]
	ds_write_b64 v0, v[32:33] offset:112
	v_mul_i32_i24_e32 v0, 0xffffff90, v70
	v_mad_u32_u24 v28, v70, s0, v0
	s_waitcnt lgkmcnt(0)
	s_barrier
	ds_read2st64_b64 v[4:7], v28 offset1:4
	ds_read2st64_b64 v[12:15], v28 offset0:8 offset1:12
	ds_read2st64_b64 v[8:11], v28 offset0:16 offset1:20
	;; [unrolled: 1-line block ×6, first 2 shown]
	ds_read_b64 v[28:29], v28 offset:28672
	v_mov_b32_e32 v53, 0
	v_lshl_add_u64 v[30:31], v[34:35], 0, v[52:53]
	v_cmp_lt_u32_e32 vcc, v70, v118
	s_and_saveexec_b64 s[0:1], vcc
	s_cbranch_execz .LBB30_386
; %bb.385:
	s_waitcnt lgkmcnt(0)
	flat_store_dwordx2 v[30:31], v[4:5]
.LBB30_386:
	s_or_b64 exec, exec, s[0:1]
	v_add_u32_e32 v32, 0x100, v70
	v_cmp_lt_u32_e32 vcc, v32, v118
	s_and_saveexec_b64 s[0:1], vcc
	s_cbranch_execz .LBB30_388
; %bb.387:
	s_waitcnt lgkmcnt(0)
	flat_store_dwordx2 v[30:31], v[6:7] offset:2048
.LBB30_388:
	s_or_b64 exec, exec, s[0:1]
	v_add_u32_e32 v32, 0x200, v70
	v_cmp_lt_u32_e32 vcc, v32, v118
	s_and_saveexec_b64 s[0:1], vcc
	s_cbranch_execz .LBB30_390
; %bb.389:
	v_add_co_u32_e32 v32, vcc, 0x1000, v30
	s_nop 1
	v_addc_co_u32_e32 v33, vcc, 0, v31, vcc
	s_waitcnt lgkmcnt(0)
	flat_store_dwordx2 v[32:33], v[12:13]
.LBB30_390:
	s_or_b64 exec, exec, s[0:1]
	v_add_u32_e32 v32, 0x300, v70
	v_cmp_lt_u32_e32 vcc, v32, v118
	s_and_saveexec_b64 s[0:1], vcc
	s_cbranch_execz .LBB30_392
; %bb.391:
	v_add_co_u32_e32 v32, vcc, 0x1000, v30
	s_nop 1
	v_addc_co_u32_e32 v33, vcc, 0, v31, vcc
	s_waitcnt lgkmcnt(0)
	flat_store_dwordx2 v[32:33], v[14:15] offset:2048
.LBB30_392:
	s_or_b64 exec, exec, s[0:1]
	v_or_b32_e32 v32, 0x400, v70
	v_cmp_lt_u32_e32 vcc, v32, v118
	s_and_saveexec_b64 s[0:1], vcc
	s_cbranch_execz .LBB30_394
; %bb.393:
	v_add_co_u32_e32 v32, vcc, 0x2000, v30
	s_nop 1
	v_addc_co_u32_e32 v33, vcc, 0, v31, vcc
	s_waitcnt lgkmcnt(0)
	flat_store_dwordx2 v[32:33], v[8:9]
.LBB30_394:
	s_or_b64 exec, exec, s[0:1]
	v_add_u32_e32 v32, 0x500, v70
	v_cmp_lt_u32_e32 vcc, v32, v118
	s_and_saveexec_b64 s[0:1], vcc
	s_cbranch_execz .LBB30_396
; %bb.395:
	v_add_co_u32_e32 v32, vcc, 0x2000, v30
	s_nop 1
	v_addc_co_u32_e32 v33, vcc, 0, v31, vcc
	s_waitcnt lgkmcnt(0)
	flat_store_dwordx2 v[32:33], v[10:11] offset:2048
.LBB30_396:
	s_or_b64 exec, exec, s[0:1]
	v_add_u32_e32 v32, 0x600, v70
	v_cmp_lt_u32_e32 vcc, v32, v118
	s_and_saveexec_b64 s[0:1], vcc
	s_cbranch_execz .LBB30_398
; %bb.397:
	v_add_co_u32_e32 v32, vcc, 0x3000, v30
	s_nop 1
	v_addc_co_u32_e32 v33, vcc, 0, v31, vcc
	s_waitcnt lgkmcnt(0)
	flat_store_dwordx2 v[32:33], v[24:25]
.LBB30_398:
	s_or_b64 exec, exec, s[0:1]
	v_add_u32_e32 v32, 0x700, v70
	v_cmp_lt_u32_e32 vcc, v32, v118
	s_and_saveexec_b64 s[0:1], vcc
	s_cbranch_execz .LBB30_400
; %bb.399:
	v_add_co_u32_e32 v32, vcc, 0x3000, v30
	s_nop 1
	v_addc_co_u32_e32 v33, vcc, 0, v31, vcc
	s_waitcnt lgkmcnt(0)
	flat_store_dwordx2 v[32:33], v[26:27] offset:2048
.LBB30_400:
	s_or_b64 exec, exec, s[0:1]
	v_or_b32_e32 v32, 0x800, v70
	v_cmp_lt_u32_e32 vcc, v32, v118
	s_and_saveexec_b64 s[0:1], vcc
	s_cbranch_execz .LBB30_402
; %bb.401:
	v_add_co_u32_e32 v32, vcc, 0x4000, v30
	s_nop 1
	v_addc_co_u32_e32 v33, vcc, 0, v31, vcc
	s_waitcnt lgkmcnt(0)
	flat_store_dwordx2 v[32:33], v[16:17]
.LBB30_402:
	s_or_b64 exec, exec, s[0:1]
	v_add_u32_e32 v32, 0x900, v70
	v_cmp_lt_u32_e32 vcc, v32, v118
	s_and_saveexec_b64 s[0:1], vcc
	s_cbranch_execz .LBB30_404
; %bb.403:
	v_add_co_u32_e32 v32, vcc, 0x4000, v30
	s_nop 1
	v_addc_co_u32_e32 v33, vcc, 0, v31, vcc
	s_waitcnt lgkmcnt(0)
	flat_store_dwordx2 v[32:33], v[18:19] offset:2048
.LBB30_404:
	;; [unrolled: 48-line block ×3, first 2 shown]
	s_or_b64 exec, exec, s[0:1]
	v_add_u32_e32 v32, 0xe00, v70
	v_cmp_lt_u32_e32 vcc, v32, v118
	s_and_saveexec_b64 s[0:1], vcc
	s_cbranch_execz .LBB30_414
; %bb.413:
	v_add_co_u32_e32 v30, vcc, 0x7000, v30
	s_nop 1
	v_addc_co_u32_e32 v31, vcc, 0, v31, vcc
	s_waitcnt lgkmcnt(0)
	flat_store_dwordx2 v[30:31], v[28:29]
.LBB30_414:
	s_or_b64 exec, exec, s[0:1]
	v_cmp_lt_u64_e32 vcc, 1, v[50:51]
	s_and_saveexec_b64 s[4:5], vcc
	s_cbranch_execz .LBB30_469
; %bb.415:
	s_add_u32 s0, 0, 0x11108400
	s_addc_u32 s1, 0, 49
	s_add_i32 s1, s1, 0x111110e0
	s_mul_hi_u32 s9, s0, -15
	s_sub_i32 s9, s9, s0
	s_mul_i32 s10, s1, -15
	s_mul_i32 s6, s0, -15
	s_add_i32 s9, s9, s10
	s_mul_hi_u32 s7, s1, s6
	s_mul_i32 s8, s1, s6
	s_mul_i32 s11, s0, s9
	s_mul_hi_u32 s6, s0, s6
	s_mul_hi_u32 s10, s0, s9
	s_add_u32 s6, s6, s11
	s_addc_u32 s10, 0, s10
	s_add_u32 s6, s6, s8
	s_mul_hi_u32 s11, s1, s9
	s_addc_u32 s6, s10, s7
	s_addc_u32 s7, s11, 0
	s_mul_i32 s8, s1, s9
	s_add_u32 s6, s6, s8
	v_mov_b32_e32 v32, s6
	s_addc_u32 s7, 0, s7
	v_add_co_u32_e32 v48, vcc, s0, v32
	s_cmp_lg_u64 vcc, 0
	v_lshl_add_u64 v[30:31], v[118:119], 0, -1
	s_addc_u32 s6, s1, s7
	v_mad_u64_u32 v[32:33], s[0:1], v30, s6, 0
	v_mul_hi_u32 v34, v30, v48
	v_mov_b32_e32 v35, 0
	v_lshl_add_u64 v[32:33], v[34:35], 0, v[32:33]
	v_mad_u64_u32 v[48:49], s[0:1], v31, v48, 0
	v_add_co_u32_e32 v32, vcc, v32, v48
	v_mad_u64_u32 v[36:37], s[0:1], v31, s6, 0
	s_nop 0
	v_addc_co_u32_e32 v34, vcc, v33, v49, vcc
	v_mov_b32_e32 v71, v53
	s_nop 0
	v_addc_co_u32_e32 v37, vcc, 0, v37, vcc
	v_lshl_add_u64 v[32:33], v[34:35], 0, v[36:37]
	v_mad_u64_u32 v[34:35], s[0:1], v32, 15, 0
	v_mov_b32_e32 v36, v35
	v_mad_u64_u32 v[36:37], s[0:1], v33, 15, v[36:37]
	v_sub_co_u32_e32 v48, vcc, v30, v34
	v_cmp_lt_u32_e64 s[0:1], 14, v48
	s_nop 0
	v_subb_co_u32_e32 v49, vcc, v31, v36, vcc
	v_subrev_co_u32_e32 v34, vcc, 15, v48
	v_lshl_add_u64 v[36:37], v[32:33], 0, 1
	s_nop 0
	v_subbrev_co_u32_e32 v35, vcc, 0, v49, vcc
	v_cmp_lt_u32_e32 vcc, 14, v34
	s_nop 1
	v_cndmask_b32_e64 v34, 0, -1, vcc
	v_cmp_eq_u32_e32 vcc, 0, v35
	s_nop 1
	v_cndmask_b32_e32 v50, -1, v34, vcc
	v_lshl_add_u64 v[34:35], v[32:33], 0, 2
	v_cmp_ne_u32_e32 vcc, 0, v50
	s_nop 1
	v_cndmask_b32_e32 v35, v37, v35, vcc
	v_cndmask_b32_e64 v37, 0, -1, s[0:1]
	v_cmp_eq_u32_e64 s[0:1], 0, v49
	v_cndmask_b32_e32 v34, v36, v34, vcc
	s_nop 0
	v_cndmask_b32_e64 v37, -1, v37, s[0:1]
	v_cmp_ne_u32_e64 s[0:1], 0, v37
	s_nop 1
	v_cndmask_b32_e64 v33, v33, v35, s[0:1]
	v_cndmask_b32_e64 v32, v32, v34, s[0:1]
	v_cmp_eq_u64_e32 vcc, v[32:33], v[70:71]
	s_and_b64 exec, exec, vcc
	s_cbranch_execz .LBB30_469
; %bb.416:
	v_mul_hi_u32_u24_e32 v32, 15, v70
	v_sub_co_u32_e32 v30, vcc, v30, v40
	s_nop 1
	v_subb_co_u32_e32 v31, vcc, v31, v32, vcc
	v_cmp_lt_i64_e32 vcc, 7, v[30:31]
	s_and_saveexec_b64 s[0:1], vcc
	s_xor_b64 s[0:1], exec, s[0:1]
	s_cbranch_execz .LBB30_442
; %bb.417:
	v_cmp_lt_i64_e32 vcc, 10, v[30:31]
	s_and_saveexec_b64 s[6:7], vcc
	s_xor_b64 s[6:7], exec, s[6:7]
	s_cbranch_execz .LBB30_431
; %bb.418:
	;; [unrolled: 5-line block ×4, first 2 shown]
	s_waitcnt lgkmcnt(0)
	flat_store_dwordx2 v[38:39], v[28:29]
                                        ; implicit-def: $vgpr38_vgpr39
                                        ; implicit-def: $vgpr20_vgpr21_vgpr22_vgpr23
.LBB30_421:
	s_andn2_saveexec_b64 s[10:11], s[10:11]
	s_cbranch_execz .LBB30_423
; %bb.422:
	s_waitcnt lgkmcnt(0)
	flat_store_dwordx2 v[38:39], v[22:23]
.LBB30_423:
	s_or_b64 exec, exec, s[10:11]
                                        ; implicit-def: $vgpr38_vgpr39
                                        ; implicit-def: $vgpr0_vgpr1_vgpr2_vgpr3
                                        ; implicit-def: $vgpr30_vgpr31
                                        ; implicit-def: $vgpr20_vgpr21_vgpr22_vgpr23
.LBB30_424:
	s_andn2_saveexec_b64 s[8:9], s[8:9]
	s_cbranch_execz .LBB30_430
; %bb.425:
	v_cmp_lt_i64_e32 vcc, 11, v[30:31]
	s_and_saveexec_b64 s[10:11], vcc
	s_xor_b64 s[10:11], exec, s[10:11]
	s_cbranch_execz .LBB30_427
; %bb.426:
	s_waitcnt lgkmcnt(0)
	flat_store_dwordx2 v[38:39], v[20:21]
                                        ; implicit-def: $vgpr38_vgpr39
                                        ; implicit-def: $vgpr0_vgpr1_vgpr2_vgpr3
.LBB30_427:
	s_andn2_saveexec_b64 s[10:11], s[10:11]
	s_cbranch_execz .LBB30_429
; %bb.428:
	s_waitcnt lgkmcnt(0)
	flat_store_dwordx2 v[38:39], v[2:3]
.LBB30_429:
	s_or_b64 exec, exec, s[10:11]
.LBB30_430:
	s_or_b64 exec, exec, s[8:9]
                                        ; implicit-def: $vgpr38_vgpr39
                                        ; implicit-def: $vgpr16_vgpr17_vgpr18_vgpr19
                                        ; implicit-def: $vgpr30_vgpr31
                                        ; implicit-def: $vgpr0_vgpr1_vgpr2_vgpr3
.LBB30_431:
	s_andn2_saveexec_b64 s[6:7], s[6:7]
	s_cbranch_execz .LBB30_441
; %bb.432:
	v_cmp_lt_i64_e32 vcc, 8, v[30:31]
	s_and_saveexec_b64 s[8:9], vcc
	s_xor_b64 s[8:9], exec, s[8:9]
	s_cbranch_execz .LBB30_438
; %bb.433:
	v_cmp_lt_i64_e32 vcc, 9, v[30:31]
	s_and_saveexec_b64 s[10:11], vcc
	s_xor_b64 s[10:11], exec, s[10:11]
	s_cbranch_execz .LBB30_435
; %bb.434:
	s_waitcnt lgkmcnt(0)
	flat_store_dwordx2 v[38:39], v[0:1]
                                        ; implicit-def: $vgpr38_vgpr39
                                        ; implicit-def: $vgpr16_vgpr17_vgpr18_vgpr19
.LBB30_435:
	s_andn2_saveexec_b64 s[10:11], s[10:11]
	s_cbranch_execz .LBB30_437
; %bb.436:
	s_waitcnt lgkmcnt(0)
	flat_store_dwordx2 v[38:39], v[18:19]
.LBB30_437:
	s_or_b64 exec, exec, s[10:11]
                                        ; implicit-def: $vgpr38_vgpr39
                                        ; implicit-def: $vgpr16_vgpr17_vgpr18_vgpr19
.LBB30_438:
	s_andn2_saveexec_b64 s[8:9], s[8:9]
	s_cbranch_execz .LBB30_440
; %bb.439:
	s_waitcnt lgkmcnt(0)
	flat_store_dwordx2 v[38:39], v[16:17]
.LBB30_440:
	s_or_b64 exec, exec, s[8:9]
.LBB30_441:
	s_or_b64 exec, exec, s[6:7]
                                        ; implicit-def: $vgpr30_vgpr31
                                        ; implicit-def: $vgpr38_vgpr39
                                        ; implicit-def: $vgpr4_vgpr5_vgpr6_vgpr7
                                        ; implicit-def: $vgpr8_vgpr9_vgpr10_vgpr11
                                        ; implicit-def: $vgpr12_vgpr13_vgpr14_vgpr15
                                        ; implicit-def: $vgpr24_vgpr25_vgpr26_vgpr27
.LBB30_442:
	s_andn2_saveexec_b64 s[0:1], s[0:1]
	s_cbranch_execz .LBB30_469
; %bb.443:
	v_cmp_lt_i64_e32 vcc, 3, v[30:31]
	s_and_saveexec_b64 s[0:1], vcc
	s_xor_b64 s[0:1], exec, s[0:1]
	s_cbranch_execz .LBB30_457
; %bb.444:
	v_cmp_lt_i64_e32 vcc, 5, v[30:31]
	s_and_saveexec_b64 s[6:7], vcc
	s_xor_b64 s[6:7], exec, s[6:7]
	;; [unrolled: 5-line block ×3, first 2 shown]
	s_cbranch_execz .LBB30_447
; %bb.446:
	s_waitcnt lgkmcnt(0)
	flat_store_dwordx2 v[38:39], v[26:27]
                                        ; implicit-def: $vgpr38_vgpr39
                                        ; implicit-def: $vgpr24_vgpr25_vgpr26_vgpr27
.LBB30_447:
	s_andn2_saveexec_b64 s[8:9], s[8:9]
	s_cbranch_execz .LBB30_449
; %bb.448:
	s_waitcnt lgkmcnt(0)
	flat_store_dwordx2 v[38:39], v[24:25]
.LBB30_449:
	s_or_b64 exec, exec, s[8:9]
                                        ; implicit-def: $vgpr38_vgpr39
                                        ; implicit-def: $vgpr8_vgpr9_vgpr10_vgpr11
                                        ; implicit-def: $vgpr30_vgpr31
.LBB30_450:
	s_andn2_saveexec_b64 s[6:7], s[6:7]
	s_cbranch_execz .LBB30_456
; %bb.451:
	v_cmp_lt_i64_e32 vcc, 4, v[30:31]
	s_and_saveexec_b64 s[8:9], vcc
	s_xor_b64 s[8:9], exec, s[8:9]
	s_cbranch_execz .LBB30_453
; %bb.452:
	s_waitcnt lgkmcnt(0)
	flat_store_dwordx2 v[38:39], v[10:11]
                                        ; implicit-def: $vgpr38_vgpr39
                                        ; implicit-def: $vgpr8_vgpr9_vgpr10_vgpr11
.LBB30_453:
	s_andn2_saveexec_b64 s[8:9], s[8:9]
	s_cbranch_execz .LBB30_455
; %bb.454:
	s_waitcnt lgkmcnt(0)
	flat_store_dwordx2 v[38:39], v[8:9]
.LBB30_455:
	s_or_b64 exec, exec, s[8:9]
.LBB30_456:
	s_or_b64 exec, exec, s[6:7]
                                        ; implicit-def: $vgpr30_vgpr31
                                        ; implicit-def: $vgpr38_vgpr39
                                        ; implicit-def: $vgpr4_vgpr5_vgpr6_vgpr7
                                        ; implicit-def: $vgpr12_vgpr13_vgpr14_vgpr15
.LBB30_457:
	s_andn2_saveexec_b64 s[0:1], s[0:1]
	s_cbranch_execz .LBB30_469
; %bb.458:
	v_cmp_lt_i64_e32 vcc, 1, v[30:31]
	s_and_saveexec_b64 s[0:1], vcc
	s_xor_b64 s[0:1], exec, s[0:1]
	s_cbranch_execz .LBB30_464
; %bb.459:
	v_cmp_lt_i64_e32 vcc, 2, v[30:31]
	s_and_saveexec_b64 s[6:7], vcc
	s_xor_b64 s[6:7], exec, s[6:7]
	s_cbranch_execz .LBB30_461
; %bb.460:
	s_waitcnt lgkmcnt(0)
	flat_store_dwordx2 v[38:39], v[14:15]
                                        ; implicit-def: $vgpr38_vgpr39
                                        ; implicit-def: $vgpr12_vgpr13_vgpr14_vgpr15
.LBB30_461:
	s_andn2_saveexec_b64 s[6:7], s[6:7]
	s_cbranch_execz .LBB30_463
; %bb.462:
	s_waitcnt lgkmcnt(0)
	flat_store_dwordx2 v[38:39], v[12:13]
.LBB30_463:
	s_or_b64 exec, exec, s[6:7]
                                        ; implicit-def: $vgpr38_vgpr39
                                        ; implicit-def: $vgpr4_vgpr5_vgpr6_vgpr7
                                        ; implicit-def: $vgpr30_vgpr31
.LBB30_464:
	s_andn2_saveexec_b64 s[0:1], s[0:1]
	s_cbranch_execz .LBB30_469
; %bb.465:
	v_cmp_ne_u64_e32 vcc, 1, v[30:31]
	s_and_saveexec_b64 s[0:1], vcc
	s_xor_b64 s[0:1], exec, s[0:1]
	s_cbranch_execz .LBB30_467
; %bb.466:
	s_waitcnt lgkmcnt(0)
	flat_store_dwordx2 v[38:39], v[4:5]
                                        ; implicit-def: $vgpr38_vgpr39
                                        ; implicit-def: $vgpr4_vgpr5_vgpr6_vgpr7
.LBB30_467:
	s_andn2_saveexec_b64 s[0:1], s[0:1]
	s_cbranch_execz .LBB30_469
; %bb.468:
	s_waitcnt lgkmcnt(0)
	flat_store_dwordx2 v[38:39], v[6:7]
.LBB30_469:
	s_or_b64 exec, exec, s[4:5]
.LBB30_470:
	s_or_b64 exec, exec, s[2:3]
	v_readlane_b32 s30, v77, 0
	v_readlane_b32 s31, v77, 1
	s_or_saveexec_b64 s[0:1], -1
	scratch_load_dword v77, off, s32        ; 4-byte Folded Reload
	s_mov_b64 exec, s[0:1]
	s_waitcnt vmcnt(0) lgkmcnt(0)
	s_setpc_b64 s[30:31]
.Lfunc_end30:
	.size	_ZZZN7rocprim17ROCPRIM_400000_NS6detail9scan_implILNS1_25lookback_scan_determinismE0ELb0ELb0ENS0_14default_configEPKdPddZZZN2at6native31launch_logcumsumexp_cuda_kernelERKNS8_10TensorBaseESC_lENKUlvE_clEvENKUlvE_clEvEUlddE_dEEDaPvRmT3_T4_T5_mT6_P12ihipStream_tbENKUlT_T0_E_clISt17integral_constantIbLb1EEST_EEDaSO_SP_ENKUlSO_E_clINS1_13target_configIS4_NS1_20scan_config_selectorIdEENS1_11comp_targetILNS1_3genE5ELNS1_11target_archE942ELNS1_3gpuE9ELNS1_3repE0EEELNS0_4arch9wavefront6targetE1EEEEEDaSO_, .Lfunc_end30-_ZZZN7rocprim17ROCPRIM_400000_NS6detail9scan_implILNS1_25lookback_scan_determinismE0ELb0ELb0ENS0_14default_configEPKdPddZZZN2at6native31launch_logcumsumexp_cuda_kernelERKNS8_10TensorBaseESC_lENKUlvE_clEvENKUlvE_clEvEUlddE_dEEDaPvRmT3_T4_T5_mT6_P12ihipStream_tbENKUlT_T0_E_clISt17integral_constantIbLb1EEST_EEDaSO_SP_ENKUlSO_E_clINS1_13target_configIS4_NS1_20scan_config_selectorIdEENS1_11comp_targetILNS1_3genE5ELNS1_11target_archE942ELNS1_3gpuE9ELNS1_3repE0EEELNS0_4arch9wavefront6targetE1EEEEEDaSO_
                                        ; -- End function
	.section	.AMDGPU.csdata,"",@progbits
; Function info:
; codeLenInByte = 164008
; NumSgprs: 84
; NumVgprs: 248
; NumAgprs: 0
; TotalNumVgprs: 248
; ScratchSize: 8
; MemoryBound: 0
	.section	.text._ZN7rocprim17ROCPRIM_400000_NS6detail17trampoline_kernelINS0_14default_configENS1_20scan_config_selectorIdEEZZNS1_9scan_implILNS1_25lookback_scan_determinismE0ELb0ELb0ES3_PKdPddZZZN2at6native31launch_logcumsumexp_cuda_kernelERKNSB_10TensorBaseESF_lENKUlvE_clEvENKUlvE_clEvEUlddE_dEEDaPvRmT3_T4_T5_mT6_P12ihipStream_tbENKUlT_T0_E_clISt17integral_constantIbLb1EESW_EEDaSR_SS_EUlSR_E_NS1_11comp_targetILNS1_3genE5ELNS1_11target_archE942ELNS1_3gpuE9ELNS1_3repE0EEENS1_30default_config_static_selectorELNS0_4arch9wavefront6targetE1EEEvT1_,"axG",@progbits,_ZN7rocprim17ROCPRIM_400000_NS6detail17trampoline_kernelINS0_14default_configENS1_20scan_config_selectorIdEEZZNS1_9scan_implILNS1_25lookback_scan_determinismE0ELb0ELb0ES3_PKdPddZZZN2at6native31launch_logcumsumexp_cuda_kernelERKNSB_10TensorBaseESF_lENKUlvE_clEvENKUlvE_clEvEUlddE_dEEDaPvRmT3_T4_T5_mT6_P12ihipStream_tbENKUlT_T0_E_clISt17integral_constantIbLb1EESW_EEDaSR_SS_EUlSR_E_NS1_11comp_targetILNS1_3genE5ELNS1_11target_archE942ELNS1_3gpuE9ELNS1_3repE0EEENS1_30default_config_static_selectorELNS0_4arch9wavefront6targetE1EEEvT1_,comdat
	.globl	_ZN7rocprim17ROCPRIM_400000_NS6detail17trampoline_kernelINS0_14default_configENS1_20scan_config_selectorIdEEZZNS1_9scan_implILNS1_25lookback_scan_determinismE0ELb0ELb0ES3_PKdPddZZZN2at6native31launch_logcumsumexp_cuda_kernelERKNSB_10TensorBaseESF_lENKUlvE_clEvENKUlvE_clEvEUlddE_dEEDaPvRmT3_T4_T5_mT6_P12ihipStream_tbENKUlT_T0_E_clISt17integral_constantIbLb1EESW_EEDaSR_SS_EUlSR_E_NS1_11comp_targetILNS1_3genE5ELNS1_11target_archE942ELNS1_3gpuE9ELNS1_3repE0EEENS1_30default_config_static_selectorELNS0_4arch9wavefront6targetE1EEEvT1_ ; -- Begin function _ZN7rocprim17ROCPRIM_400000_NS6detail17trampoline_kernelINS0_14default_configENS1_20scan_config_selectorIdEEZZNS1_9scan_implILNS1_25lookback_scan_determinismE0ELb0ELb0ES3_PKdPddZZZN2at6native31launch_logcumsumexp_cuda_kernelERKNSB_10TensorBaseESF_lENKUlvE_clEvENKUlvE_clEvEUlddE_dEEDaPvRmT3_T4_T5_mT6_P12ihipStream_tbENKUlT_T0_E_clISt17integral_constantIbLb1EESW_EEDaSR_SS_EUlSR_E_NS1_11comp_targetILNS1_3genE5ELNS1_11target_archE942ELNS1_3gpuE9ELNS1_3repE0EEENS1_30default_config_static_selectorELNS0_4arch9wavefront6targetE1EEEvT1_
	.p2align	8
	.type	_ZN7rocprim17ROCPRIM_400000_NS6detail17trampoline_kernelINS0_14default_configENS1_20scan_config_selectorIdEEZZNS1_9scan_implILNS1_25lookback_scan_determinismE0ELb0ELb0ES3_PKdPddZZZN2at6native31launch_logcumsumexp_cuda_kernelERKNSB_10TensorBaseESF_lENKUlvE_clEvENKUlvE_clEvEUlddE_dEEDaPvRmT3_T4_T5_mT6_P12ihipStream_tbENKUlT_T0_E_clISt17integral_constantIbLb1EESW_EEDaSR_SS_EUlSR_E_NS1_11comp_targetILNS1_3genE5ELNS1_11target_archE942ELNS1_3gpuE9ELNS1_3repE0EEENS1_30default_config_static_selectorELNS0_4arch9wavefront6targetE1EEEvT1_,@function
_ZN7rocprim17ROCPRIM_400000_NS6detail17trampoline_kernelINS0_14default_configENS1_20scan_config_selectorIdEEZZNS1_9scan_implILNS1_25lookback_scan_determinismE0ELb0ELb0ES3_PKdPddZZZN2at6native31launch_logcumsumexp_cuda_kernelERKNSB_10TensorBaseESF_lENKUlvE_clEvENKUlvE_clEvEUlddE_dEEDaPvRmT3_T4_T5_mT6_P12ihipStream_tbENKUlT_T0_E_clISt17integral_constantIbLb1EESW_EEDaSR_SS_EUlSR_E_NS1_11comp_targetILNS1_3genE5ELNS1_11target_archE942ELNS1_3gpuE9ELNS1_3repE0EEENS1_30default_config_static_selectorELNS0_4arch9wavefront6targetE1EEEvT1_: ; @_ZN7rocprim17ROCPRIM_400000_NS6detail17trampoline_kernelINS0_14default_configENS1_20scan_config_selectorIdEEZZNS1_9scan_implILNS1_25lookback_scan_determinismE0ELb0ELb0ES3_PKdPddZZZN2at6native31launch_logcumsumexp_cuda_kernelERKNSB_10TensorBaseESF_lENKUlvE_clEvENKUlvE_clEvEUlddE_dEEDaPvRmT3_T4_T5_mT6_P12ihipStream_tbENKUlT_T0_E_clISt17integral_constantIbLb1EESW_EEDaSR_SS_EUlSR_E_NS1_11comp_targetILNS1_3genE5ELNS1_11target_archE942ELNS1_3gpuE9ELNS1_3repE0EEENS1_30default_config_static_selectorELNS0_4arch9wavefront6targetE1EEEvT1_
; %bb.0:
	s_load_dwordx8 s[4:11], s[0:1], 0x0
	s_load_dwordx8 s[12:19], s[0:1], 0x20
	s_mov_b64 s[2:3], src_private_base
	v_mov_b32_e32 v31, v0
	v_mov_b32_e32 v0, 0
	s_waitcnt lgkmcnt(0)
	v_mov_b64_e32 v[2:3], s[4:5]
	v_mov_b64_e32 v[6:7], s[8:9]
	;; [unrolled: 1-line block ×4, first 2 shown]
	s_load_dwordx8 s[4:11], s[0:1], 0x40
	scratch_store_dwordx4 off, v[2:5], off
	scratch_store_dwordx4 off, v[6:9], off offset:16
	v_mov_b32_e32 v1, s3
	v_mov_b64_e32 v[2:3], s[12:13]
	v_mov_b64_e32 v[4:5], s[14:15]
	scratch_store_dwordx4 off, v[2:5], off offset:32
	s_load_dwordx2 s[12:13], s[0:1], 0x60
	s_movk_i32 s32, 0x70
	v_mov_b64_e32 v[2:3], s[16:17]
	v_mov_b64_e32 v[4:5], s[18:19]
	scratch_store_dwordx4 off, v[2:5], off offset:48
	s_waitcnt lgkmcnt(0)
	s_nop 0
	v_mov_b64_e32 v[2:3], s[4:5]
	v_mov_b64_e32 v[4:5], s[6:7]
	scratch_store_dwordx4 off, v[2:5], off offset:64
	s_nop 1
	v_mov_b64_e32 v[2:3], s[8:9]
	v_mov_b64_e32 v[4:5], s[10:11]
	s_add_u32 s8, s0, 0x68
	scratch_store_dwordx4 off, v[2:5], off offset:80
	s_addc_u32 s9, s1, 0
	s_getpc_b64 s[0:1]
	s_add_u32 s0, s0, _ZZZN7rocprim17ROCPRIM_400000_NS6detail9scan_implILNS1_25lookback_scan_determinismE0ELb0ELb0ENS0_14default_configEPKdPddZZZN2at6native31launch_logcumsumexp_cuda_kernelERKNS8_10TensorBaseESC_lENKUlvE_clEvENKUlvE_clEvEUlddE_dEEDaPvRmT3_T4_T5_mT6_P12ihipStream_tbENKUlT_T0_E_clISt17integral_constantIbLb1EEST_EEDaSO_SP_ENKUlSO_E_clINS1_13target_configIS4_NS1_20scan_config_selectorIdEENS1_11comp_targetILNS1_3genE5ELNS1_11target_archE942ELNS1_3gpuE9ELNS1_3repE0EEELNS0_4arch9wavefront6targetE1EEEEEDaSO_@rel32@lo+4
	s_addc_u32 s1, s1, _ZZZN7rocprim17ROCPRIM_400000_NS6detail9scan_implILNS1_25lookback_scan_determinismE0ELb0ELb0ENS0_14default_configEPKdPddZZZN2at6native31launch_logcumsumexp_cuda_kernelERKNS8_10TensorBaseESC_lENKUlvE_clEvENKUlvE_clEvEUlddE_dEEDaPvRmT3_T4_T5_mT6_P12ihipStream_tbENKUlT_T0_E_clISt17integral_constantIbLb1EEST_EEDaSO_SP_ENKUlSO_E_clINS1_13target_configIS4_NS1_20scan_config_selectorIdEENS1_11comp_targetILNS1_3genE5ELNS1_11target_archE942ELNS1_3gpuE9ELNS1_3repE0EEELNS0_4arch9wavefront6targetE1EEEEEDaSO_@rel32@hi+12
	v_mov_b64_e32 v[2:3], s[12:13]
	scratch_store_dwordx2 off, v[2:3], off offset:96
	s_swappc_b64 s[30:31], s[0:1]
	s_endpgm
	.section	.rodata,"a",@progbits
	.p2align	6, 0x0
	.amdhsa_kernel _ZN7rocprim17ROCPRIM_400000_NS6detail17trampoline_kernelINS0_14default_configENS1_20scan_config_selectorIdEEZZNS1_9scan_implILNS1_25lookback_scan_determinismE0ELb0ELb0ES3_PKdPddZZZN2at6native31launch_logcumsumexp_cuda_kernelERKNSB_10TensorBaseESF_lENKUlvE_clEvENKUlvE_clEvEUlddE_dEEDaPvRmT3_T4_T5_mT6_P12ihipStream_tbENKUlT_T0_E_clISt17integral_constantIbLb1EESW_EEDaSR_SS_EUlSR_E_NS1_11comp_targetILNS1_3genE5ELNS1_11target_archE942ELNS1_3gpuE9ELNS1_3repE0EEENS1_30default_config_static_selectorELNS0_4arch9wavefront6targetE1EEEvT1_
		.amdhsa_group_segment_fixed_size 30720
		.amdhsa_private_segment_fixed_size 120
		.amdhsa_kernarg_size 360
		.amdhsa_user_sgpr_count 2
		.amdhsa_user_sgpr_dispatch_ptr 0
		.amdhsa_user_sgpr_queue_ptr 0
		.amdhsa_user_sgpr_kernarg_segment_ptr 1
		.amdhsa_user_sgpr_dispatch_id 0
		.amdhsa_user_sgpr_kernarg_preload_length 0
		.amdhsa_user_sgpr_kernarg_preload_offset 0
		.amdhsa_user_sgpr_private_segment_size 0
		.amdhsa_uses_dynamic_stack 0
		.amdhsa_enable_private_segment 1
		.amdhsa_system_sgpr_workgroup_id_x 1
		.amdhsa_system_sgpr_workgroup_id_y 0
		.amdhsa_system_sgpr_workgroup_id_z 0
		.amdhsa_system_sgpr_workgroup_info 0
		.amdhsa_system_vgpr_workitem_id 0
		.amdhsa_next_free_vgpr 248
		.amdhsa_next_free_sgpr 78
		.amdhsa_accum_offset 248
		.amdhsa_reserve_vcc 1
		.amdhsa_float_round_mode_32 0
		.amdhsa_float_round_mode_16_64 0
		.amdhsa_float_denorm_mode_32 3
		.amdhsa_float_denorm_mode_16_64 3
		.amdhsa_dx10_clamp 1
		.amdhsa_ieee_mode 1
		.amdhsa_fp16_overflow 0
		.amdhsa_tg_split 0
		.amdhsa_exception_fp_ieee_invalid_op 0
		.amdhsa_exception_fp_denorm_src 0
		.amdhsa_exception_fp_ieee_div_zero 0
		.amdhsa_exception_fp_ieee_overflow 0
		.amdhsa_exception_fp_ieee_underflow 0
		.amdhsa_exception_fp_ieee_inexact 0
		.amdhsa_exception_int_div_zero 0
	.end_amdhsa_kernel
	.section	.text._ZN7rocprim17ROCPRIM_400000_NS6detail17trampoline_kernelINS0_14default_configENS1_20scan_config_selectorIdEEZZNS1_9scan_implILNS1_25lookback_scan_determinismE0ELb0ELb0ES3_PKdPddZZZN2at6native31launch_logcumsumexp_cuda_kernelERKNSB_10TensorBaseESF_lENKUlvE_clEvENKUlvE_clEvEUlddE_dEEDaPvRmT3_T4_T5_mT6_P12ihipStream_tbENKUlT_T0_E_clISt17integral_constantIbLb1EESW_EEDaSR_SS_EUlSR_E_NS1_11comp_targetILNS1_3genE5ELNS1_11target_archE942ELNS1_3gpuE9ELNS1_3repE0EEENS1_30default_config_static_selectorELNS0_4arch9wavefront6targetE1EEEvT1_,"axG",@progbits,_ZN7rocprim17ROCPRIM_400000_NS6detail17trampoline_kernelINS0_14default_configENS1_20scan_config_selectorIdEEZZNS1_9scan_implILNS1_25lookback_scan_determinismE0ELb0ELb0ES3_PKdPddZZZN2at6native31launch_logcumsumexp_cuda_kernelERKNSB_10TensorBaseESF_lENKUlvE_clEvENKUlvE_clEvEUlddE_dEEDaPvRmT3_T4_T5_mT6_P12ihipStream_tbENKUlT_T0_E_clISt17integral_constantIbLb1EESW_EEDaSR_SS_EUlSR_E_NS1_11comp_targetILNS1_3genE5ELNS1_11target_archE942ELNS1_3gpuE9ELNS1_3repE0EEENS1_30default_config_static_selectorELNS0_4arch9wavefront6targetE1EEEvT1_,comdat
.Lfunc_end31:
	.size	_ZN7rocprim17ROCPRIM_400000_NS6detail17trampoline_kernelINS0_14default_configENS1_20scan_config_selectorIdEEZZNS1_9scan_implILNS1_25lookback_scan_determinismE0ELb0ELb0ES3_PKdPddZZZN2at6native31launch_logcumsumexp_cuda_kernelERKNSB_10TensorBaseESF_lENKUlvE_clEvENKUlvE_clEvEUlddE_dEEDaPvRmT3_T4_T5_mT6_P12ihipStream_tbENKUlT_T0_E_clISt17integral_constantIbLb1EESW_EEDaSR_SS_EUlSR_E_NS1_11comp_targetILNS1_3genE5ELNS1_11target_archE942ELNS1_3gpuE9ELNS1_3repE0EEENS1_30default_config_static_selectorELNS0_4arch9wavefront6targetE1EEEvT1_, .Lfunc_end31-_ZN7rocprim17ROCPRIM_400000_NS6detail17trampoline_kernelINS0_14default_configENS1_20scan_config_selectorIdEEZZNS1_9scan_implILNS1_25lookback_scan_determinismE0ELb0ELb0ES3_PKdPddZZZN2at6native31launch_logcumsumexp_cuda_kernelERKNSB_10TensorBaseESF_lENKUlvE_clEvENKUlvE_clEvEUlddE_dEEDaPvRmT3_T4_T5_mT6_P12ihipStream_tbENKUlT_T0_E_clISt17integral_constantIbLb1EESW_EEDaSR_SS_EUlSR_E_NS1_11comp_targetILNS1_3genE5ELNS1_11target_archE942ELNS1_3gpuE9ELNS1_3repE0EEENS1_30default_config_static_selectorELNS0_4arch9wavefront6targetE1EEEvT1_
                                        ; -- End function
	.section	.AMDGPU.csdata,"",@progbits
; Kernel info:
; codeLenInByte = 216
; NumSgprs: 84
; NumVgprs: 248
; NumAgprs: 0
; TotalNumVgprs: 248
; ScratchSize: 120
; MemoryBound: 0
; FloatMode: 240
; IeeeMode: 1
; LDSByteSize: 30720 bytes/workgroup (compile time only)
; SGPRBlocks: 10
; VGPRBlocks: 30
; NumSGPRsForWavesPerEU: 84
; NumVGPRsForWavesPerEU: 248
; AccumOffset: 248
; Occupancy: 2
; WaveLimiterHint : 1
; COMPUTE_PGM_RSRC2:SCRATCH_EN: 1
; COMPUTE_PGM_RSRC2:USER_SGPR: 2
; COMPUTE_PGM_RSRC2:TRAP_HANDLER: 0
; COMPUTE_PGM_RSRC2:TGID_X_EN: 1
; COMPUTE_PGM_RSRC2:TGID_Y_EN: 0
; COMPUTE_PGM_RSRC2:TGID_Z_EN: 0
; COMPUTE_PGM_RSRC2:TIDIG_COMP_CNT: 0
; COMPUTE_PGM_RSRC3_GFX90A:ACCUM_OFFSET: 61
; COMPUTE_PGM_RSRC3_GFX90A:TG_SPLIT: 0
	.section	.text._ZN7rocprim17ROCPRIM_400000_NS6detail17trampoline_kernelINS0_14default_configENS1_20scan_config_selectorIdEEZZNS1_9scan_implILNS1_25lookback_scan_determinismE0ELb0ELb0ES3_PKdPddZZZN2at6native31launch_logcumsumexp_cuda_kernelERKNSB_10TensorBaseESF_lENKUlvE_clEvENKUlvE_clEvEUlddE_dEEDaPvRmT3_T4_T5_mT6_P12ihipStream_tbENKUlT_T0_E_clISt17integral_constantIbLb1EESW_EEDaSR_SS_EUlSR_E_NS1_11comp_targetILNS1_3genE4ELNS1_11target_archE910ELNS1_3gpuE8ELNS1_3repE0EEENS1_30default_config_static_selectorELNS0_4arch9wavefront6targetE1EEEvT1_,"axG",@progbits,_ZN7rocprim17ROCPRIM_400000_NS6detail17trampoline_kernelINS0_14default_configENS1_20scan_config_selectorIdEEZZNS1_9scan_implILNS1_25lookback_scan_determinismE0ELb0ELb0ES3_PKdPddZZZN2at6native31launch_logcumsumexp_cuda_kernelERKNSB_10TensorBaseESF_lENKUlvE_clEvENKUlvE_clEvEUlddE_dEEDaPvRmT3_T4_T5_mT6_P12ihipStream_tbENKUlT_T0_E_clISt17integral_constantIbLb1EESW_EEDaSR_SS_EUlSR_E_NS1_11comp_targetILNS1_3genE4ELNS1_11target_archE910ELNS1_3gpuE8ELNS1_3repE0EEENS1_30default_config_static_selectorELNS0_4arch9wavefront6targetE1EEEvT1_,comdat
	.globl	_ZN7rocprim17ROCPRIM_400000_NS6detail17trampoline_kernelINS0_14default_configENS1_20scan_config_selectorIdEEZZNS1_9scan_implILNS1_25lookback_scan_determinismE0ELb0ELb0ES3_PKdPddZZZN2at6native31launch_logcumsumexp_cuda_kernelERKNSB_10TensorBaseESF_lENKUlvE_clEvENKUlvE_clEvEUlddE_dEEDaPvRmT3_T4_T5_mT6_P12ihipStream_tbENKUlT_T0_E_clISt17integral_constantIbLb1EESW_EEDaSR_SS_EUlSR_E_NS1_11comp_targetILNS1_3genE4ELNS1_11target_archE910ELNS1_3gpuE8ELNS1_3repE0EEENS1_30default_config_static_selectorELNS0_4arch9wavefront6targetE1EEEvT1_ ; -- Begin function _ZN7rocprim17ROCPRIM_400000_NS6detail17trampoline_kernelINS0_14default_configENS1_20scan_config_selectorIdEEZZNS1_9scan_implILNS1_25lookback_scan_determinismE0ELb0ELb0ES3_PKdPddZZZN2at6native31launch_logcumsumexp_cuda_kernelERKNSB_10TensorBaseESF_lENKUlvE_clEvENKUlvE_clEvEUlddE_dEEDaPvRmT3_T4_T5_mT6_P12ihipStream_tbENKUlT_T0_E_clISt17integral_constantIbLb1EESW_EEDaSR_SS_EUlSR_E_NS1_11comp_targetILNS1_3genE4ELNS1_11target_archE910ELNS1_3gpuE8ELNS1_3repE0EEENS1_30default_config_static_selectorELNS0_4arch9wavefront6targetE1EEEvT1_
	.p2align	8
	.type	_ZN7rocprim17ROCPRIM_400000_NS6detail17trampoline_kernelINS0_14default_configENS1_20scan_config_selectorIdEEZZNS1_9scan_implILNS1_25lookback_scan_determinismE0ELb0ELb0ES3_PKdPddZZZN2at6native31launch_logcumsumexp_cuda_kernelERKNSB_10TensorBaseESF_lENKUlvE_clEvENKUlvE_clEvEUlddE_dEEDaPvRmT3_T4_T5_mT6_P12ihipStream_tbENKUlT_T0_E_clISt17integral_constantIbLb1EESW_EEDaSR_SS_EUlSR_E_NS1_11comp_targetILNS1_3genE4ELNS1_11target_archE910ELNS1_3gpuE8ELNS1_3repE0EEENS1_30default_config_static_selectorELNS0_4arch9wavefront6targetE1EEEvT1_,@function
_ZN7rocprim17ROCPRIM_400000_NS6detail17trampoline_kernelINS0_14default_configENS1_20scan_config_selectorIdEEZZNS1_9scan_implILNS1_25lookback_scan_determinismE0ELb0ELb0ES3_PKdPddZZZN2at6native31launch_logcumsumexp_cuda_kernelERKNSB_10TensorBaseESF_lENKUlvE_clEvENKUlvE_clEvEUlddE_dEEDaPvRmT3_T4_T5_mT6_P12ihipStream_tbENKUlT_T0_E_clISt17integral_constantIbLb1EESW_EEDaSR_SS_EUlSR_E_NS1_11comp_targetILNS1_3genE4ELNS1_11target_archE910ELNS1_3gpuE8ELNS1_3repE0EEENS1_30default_config_static_selectorELNS0_4arch9wavefront6targetE1EEEvT1_: ; @_ZN7rocprim17ROCPRIM_400000_NS6detail17trampoline_kernelINS0_14default_configENS1_20scan_config_selectorIdEEZZNS1_9scan_implILNS1_25lookback_scan_determinismE0ELb0ELb0ES3_PKdPddZZZN2at6native31launch_logcumsumexp_cuda_kernelERKNSB_10TensorBaseESF_lENKUlvE_clEvENKUlvE_clEvEUlddE_dEEDaPvRmT3_T4_T5_mT6_P12ihipStream_tbENKUlT_T0_E_clISt17integral_constantIbLb1EESW_EEDaSR_SS_EUlSR_E_NS1_11comp_targetILNS1_3genE4ELNS1_11target_archE910ELNS1_3gpuE8ELNS1_3repE0EEENS1_30default_config_static_selectorELNS0_4arch9wavefront6targetE1EEEvT1_
; %bb.0:
	.section	.rodata,"a",@progbits
	.p2align	6, 0x0
	.amdhsa_kernel _ZN7rocprim17ROCPRIM_400000_NS6detail17trampoline_kernelINS0_14default_configENS1_20scan_config_selectorIdEEZZNS1_9scan_implILNS1_25lookback_scan_determinismE0ELb0ELb0ES3_PKdPddZZZN2at6native31launch_logcumsumexp_cuda_kernelERKNSB_10TensorBaseESF_lENKUlvE_clEvENKUlvE_clEvEUlddE_dEEDaPvRmT3_T4_T5_mT6_P12ihipStream_tbENKUlT_T0_E_clISt17integral_constantIbLb1EESW_EEDaSR_SS_EUlSR_E_NS1_11comp_targetILNS1_3genE4ELNS1_11target_archE910ELNS1_3gpuE8ELNS1_3repE0EEENS1_30default_config_static_selectorELNS0_4arch9wavefront6targetE1EEEvT1_
		.amdhsa_group_segment_fixed_size 0
		.amdhsa_private_segment_fixed_size 0
		.amdhsa_kernarg_size 104
		.amdhsa_user_sgpr_count 2
		.amdhsa_user_sgpr_dispatch_ptr 0
		.amdhsa_user_sgpr_queue_ptr 0
		.amdhsa_user_sgpr_kernarg_segment_ptr 1
		.amdhsa_user_sgpr_dispatch_id 0
		.amdhsa_user_sgpr_kernarg_preload_length 0
		.amdhsa_user_sgpr_kernarg_preload_offset 0
		.amdhsa_user_sgpr_private_segment_size 0
		.amdhsa_uses_dynamic_stack 0
		.amdhsa_enable_private_segment 0
		.amdhsa_system_sgpr_workgroup_id_x 1
		.amdhsa_system_sgpr_workgroup_id_y 0
		.amdhsa_system_sgpr_workgroup_id_z 0
		.amdhsa_system_sgpr_workgroup_info 0
		.amdhsa_system_vgpr_workitem_id 0
		.amdhsa_next_free_vgpr 1
		.amdhsa_next_free_sgpr 0
		.amdhsa_accum_offset 4
		.amdhsa_reserve_vcc 0
		.amdhsa_float_round_mode_32 0
		.amdhsa_float_round_mode_16_64 0
		.amdhsa_float_denorm_mode_32 3
		.amdhsa_float_denorm_mode_16_64 3
		.amdhsa_dx10_clamp 1
		.amdhsa_ieee_mode 1
		.amdhsa_fp16_overflow 0
		.amdhsa_tg_split 0
		.amdhsa_exception_fp_ieee_invalid_op 0
		.amdhsa_exception_fp_denorm_src 0
		.amdhsa_exception_fp_ieee_div_zero 0
		.amdhsa_exception_fp_ieee_overflow 0
		.amdhsa_exception_fp_ieee_underflow 0
		.amdhsa_exception_fp_ieee_inexact 0
		.amdhsa_exception_int_div_zero 0
	.end_amdhsa_kernel
	.section	.text._ZN7rocprim17ROCPRIM_400000_NS6detail17trampoline_kernelINS0_14default_configENS1_20scan_config_selectorIdEEZZNS1_9scan_implILNS1_25lookback_scan_determinismE0ELb0ELb0ES3_PKdPddZZZN2at6native31launch_logcumsumexp_cuda_kernelERKNSB_10TensorBaseESF_lENKUlvE_clEvENKUlvE_clEvEUlddE_dEEDaPvRmT3_T4_T5_mT6_P12ihipStream_tbENKUlT_T0_E_clISt17integral_constantIbLb1EESW_EEDaSR_SS_EUlSR_E_NS1_11comp_targetILNS1_3genE4ELNS1_11target_archE910ELNS1_3gpuE8ELNS1_3repE0EEENS1_30default_config_static_selectorELNS0_4arch9wavefront6targetE1EEEvT1_,"axG",@progbits,_ZN7rocprim17ROCPRIM_400000_NS6detail17trampoline_kernelINS0_14default_configENS1_20scan_config_selectorIdEEZZNS1_9scan_implILNS1_25lookback_scan_determinismE0ELb0ELb0ES3_PKdPddZZZN2at6native31launch_logcumsumexp_cuda_kernelERKNSB_10TensorBaseESF_lENKUlvE_clEvENKUlvE_clEvEUlddE_dEEDaPvRmT3_T4_T5_mT6_P12ihipStream_tbENKUlT_T0_E_clISt17integral_constantIbLb1EESW_EEDaSR_SS_EUlSR_E_NS1_11comp_targetILNS1_3genE4ELNS1_11target_archE910ELNS1_3gpuE8ELNS1_3repE0EEENS1_30default_config_static_selectorELNS0_4arch9wavefront6targetE1EEEvT1_,comdat
.Lfunc_end32:
	.size	_ZN7rocprim17ROCPRIM_400000_NS6detail17trampoline_kernelINS0_14default_configENS1_20scan_config_selectorIdEEZZNS1_9scan_implILNS1_25lookback_scan_determinismE0ELb0ELb0ES3_PKdPddZZZN2at6native31launch_logcumsumexp_cuda_kernelERKNSB_10TensorBaseESF_lENKUlvE_clEvENKUlvE_clEvEUlddE_dEEDaPvRmT3_T4_T5_mT6_P12ihipStream_tbENKUlT_T0_E_clISt17integral_constantIbLb1EESW_EEDaSR_SS_EUlSR_E_NS1_11comp_targetILNS1_3genE4ELNS1_11target_archE910ELNS1_3gpuE8ELNS1_3repE0EEENS1_30default_config_static_selectorELNS0_4arch9wavefront6targetE1EEEvT1_, .Lfunc_end32-_ZN7rocprim17ROCPRIM_400000_NS6detail17trampoline_kernelINS0_14default_configENS1_20scan_config_selectorIdEEZZNS1_9scan_implILNS1_25lookback_scan_determinismE0ELb0ELb0ES3_PKdPddZZZN2at6native31launch_logcumsumexp_cuda_kernelERKNSB_10TensorBaseESF_lENKUlvE_clEvENKUlvE_clEvEUlddE_dEEDaPvRmT3_T4_T5_mT6_P12ihipStream_tbENKUlT_T0_E_clISt17integral_constantIbLb1EESW_EEDaSR_SS_EUlSR_E_NS1_11comp_targetILNS1_3genE4ELNS1_11target_archE910ELNS1_3gpuE8ELNS1_3repE0EEENS1_30default_config_static_selectorELNS0_4arch9wavefront6targetE1EEEvT1_
                                        ; -- End function
	.section	.AMDGPU.csdata,"",@progbits
; Kernel info:
; codeLenInByte = 0
; NumSgprs: 6
; NumVgprs: 0
; NumAgprs: 0
; TotalNumVgprs: 0
; ScratchSize: 0
; MemoryBound: 0
; FloatMode: 240
; IeeeMode: 1
; LDSByteSize: 0 bytes/workgroup (compile time only)
; SGPRBlocks: 0
; VGPRBlocks: 0
; NumSGPRsForWavesPerEU: 6
; NumVGPRsForWavesPerEU: 1
; AccumOffset: 4
; Occupancy: 8
; WaveLimiterHint : 0
; COMPUTE_PGM_RSRC2:SCRATCH_EN: 0
; COMPUTE_PGM_RSRC2:USER_SGPR: 2
; COMPUTE_PGM_RSRC2:TRAP_HANDLER: 0
; COMPUTE_PGM_RSRC2:TGID_X_EN: 1
; COMPUTE_PGM_RSRC2:TGID_Y_EN: 0
; COMPUTE_PGM_RSRC2:TGID_Z_EN: 0
; COMPUTE_PGM_RSRC2:TIDIG_COMP_CNT: 0
; COMPUTE_PGM_RSRC3_GFX90A:ACCUM_OFFSET: 0
; COMPUTE_PGM_RSRC3_GFX90A:TG_SPLIT: 0
	.section	.text._ZN7rocprim17ROCPRIM_400000_NS6detail17trampoline_kernelINS0_14default_configENS1_20scan_config_selectorIdEEZZNS1_9scan_implILNS1_25lookback_scan_determinismE0ELb0ELb0ES3_PKdPddZZZN2at6native31launch_logcumsumexp_cuda_kernelERKNSB_10TensorBaseESF_lENKUlvE_clEvENKUlvE_clEvEUlddE_dEEDaPvRmT3_T4_T5_mT6_P12ihipStream_tbENKUlT_T0_E_clISt17integral_constantIbLb1EESW_EEDaSR_SS_EUlSR_E_NS1_11comp_targetILNS1_3genE3ELNS1_11target_archE908ELNS1_3gpuE7ELNS1_3repE0EEENS1_30default_config_static_selectorELNS0_4arch9wavefront6targetE1EEEvT1_,"axG",@progbits,_ZN7rocprim17ROCPRIM_400000_NS6detail17trampoline_kernelINS0_14default_configENS1_20scan_config_selectorIdEEZZNS1_9scan_implILNS1_25lookback_scan_determinismE0ELb0ELb0ES3_PKdPddZZZN2at6native31launch_logcumsumexp_cuda_kernelERKNSB_10TensorBaseESF_lENKUlvE_clEvENKUlvE_clEvEUlddE_dEEDaPvRmT3_T4_T5_mT6_P12ihipStream_tbENKUlT_T0_E_clISt17integral_constantIbLb1EESW_EEDaSR_SS_EUlSR_E_NS1_11comp_targetILNS1_3genE3ELNS1_11target_archE908ELNS1_3gpuE7ELNS1_3repE0EEENS1_30default_config_static_selectorELNS0_4arch9wavefront6targetE1EEEvT1_,comdat
	.globl	_ZN7rocprim17ROCPRIM_400000_NS6detail17trampoline_kernelINS0_14default_configENS1_20scan_config_selectorIdEEZZNS1_9scan_implILNS1_25lookback_scan_determinismE0ELb0ELb0ES3_PKdPddZZZN2at6native31launch_logcumsumexp_cuda_kernelERKNSB_10TensorBaseESF_lENKUlvE_clEvENKUlvE_clEvEUlddE_dEEDaPvRmT3_T4_T5_mT6_P12ihipStream_tbENKUlT_T0_E_clISt17integral_constantIbLb1EESW_EEDaSR_SS_EUlSR_E_NS1_11comp_targetILNS1_3genE3ELNS1_11target_archE908ELNS1_3gpuE7ELNS1_3repE0EEENS1_30default_config_static_selectorELNS0_4arch9wavefront6targetE1EEEvT1_ ; -- Begin function _ZN7rocprim17ROCPRIM_400000_NS6detail17trampoline_kernelINS0_14default_configENS1_20scan_config_selectorIdEEZZNS1_9scan_implILNS1_25lookback_scan_determinismE0ELb0ELb0ES3_PKdPddZZZN2at6native31launch_logcumsumexp_cuda_kernelERKNSB_10TensorBaseESF_lENKUlvE_clEvENKUlvE_clEvEUlddE_dEEDaPvRmT3_T4_T5_mT6_P12ihipStream_tbENKUlT_T0_E_clISt17integral_constantIbLb1EESW_EEDaSR_SS_EUlSR_E_NS1_11comp_targetILNS1_3genE3ELNS1_11target_archE908ELNS1_3gpuE7ELNS1_3repE0EEENS1_30default_config_static_selectorELNS0_4arch9wavefront6targetE1EEEvT1_
	.p2align	8
	.type	_ZN7rocprim17ROCPRIM_400000_NS6detail17trampoline_kernelINS0_14default_configENS1_20scan_config_selectorIdEEZZNS1_9scan_implILNS1_25lookback_scan_determinismE0ELb0ELb0ES3_PKdPddZZZN2at6native31launch_logcumsumexp_cuda_kernelERKNSB_10TensorBaseESF_lENKUlvE_clEvENKUlvE_clEvEUlddE_dEEDaPvRmT3_T4_T5_mT6_P12ihipStream_tbENKUlT_T0_E_clISt17integral_constantIbLb1EESW_EEDaSR_SS_EUlSR_E_NS1_11comp_targetILNS1_3genE3ELNS1_11target_archE908ELNS1_3gpuE7ELNS1_3repE0EEENS1_30default_config_static_selectorELNS0_4arch9wavefront6targetE1EEEvT1_,@function
_ZN7rocprim17ROCPRIM_400000_NS6detail17trampoline_kernelINS0_14default_configENS1_20scan_config_selectorIdEEZZNS1_9scan_implILNS1_25lookback_scan_determinismE0ELb0ELb0ES3_PKdPddZZZN2at6native31launch_logcumsumexp_cuda_kernelERKNSB_10TensorBaseESF_lENKUlvE_clEvENKUlvE_clEvEUlddE_dEEDaPvRmT3_T4_T5_mT6_P12ihipStream_tbENKUlT_T0_E_clISt17integral_constantIbLb1EESW_EEDaSR_SS_EUlSR_E_NS1_11comp_targetILNS1_3genE3ELNS1_11target_archE908ELNS1_3gpuE7ELNS1_3repE0EEENS1_30default_config_static_selectorELNS0_4arch9wavefront6targetE1EEEvT1_: ; @_ZN7rocprim17ROCPRIM_400000_NS6detail17trampoline_kernelINS0_14default_configENS1_20scan_config_selectorIdEEZZNS1_9scan_implILNS1_25lookback_scan_determinismE0ELb0ELb0ES3_PKdPddZZZN2at6native31launch_logcumsumexp_cuda_kernelERKNSB_10TensorBaseESF_lENKUlvE_clEvENKUlvE_clEvEUlddE_dEEDaPvRmT3_T4_T5_mT6_P12ihipStream_tbENKUlT_T0_E_clISt17integral_constantIbLb1EESW_EEDaSR_SS_EUlSR_E_NS1_11comp_targetILNS1_3genE3ELNS1_11target_archE908ELNS1_3gpuE7ELNS1_3repE0EEENS1_30default_config_static_selectorELNS0_4arch9wavefront6targetE1EEEvT1_
; %bb.0:
	.section	.rodata,"a",@progbits
	.p2align	6, 0x0
	.amdhsa_kernel _ZN7rocprim17ROCPRIM_400000_NS6detail17trampoline_kernelINS0_14default_configENS1_20scan_config_selectorIdEEZZNS1_9scan_implILNS1_25lookback_scan_determinismE0ELb0ELb0ES3_PKdPddZZZN2at6native31launch_logcumsumexp_cuda_kernelERKNSB_10TensorBaseESF_lENKUlvE_clEvENKUlvE_clEvEUlddE_dEEDaPvRmT3_T4_T5_mT6_P12ihipStream_tbENKUlT_T0_E_clISt17integral_constantIbLb1EESW_EEDaSR_SS_EUlSR_E_NS1_11comp_targetILNS1_3genE3ELNS1_11target_archE908ELNS1_3gpuE7ELNS1_3repE0EEENS1_30default_config_static_selectorELNS0_4arch9wavefront6targetE1EEEvT1_
		.amdhsa_group_segment_fixed_size 0
		.amdhsa_private_segment_fixed_size 0
		.amdhsa_kernarg_size 104
		.amdhsa_user_sgpr_count 2
		.amdhsa_user_sgpr_dispatch_ptr 0
		.amdhsa_user_sgpr_queue_ptr 0
		.amdhsa_user_sgpr_kernarg_segment_ptr 1
		.amdhsa_user_sgpr_dispatch_id 0
		.amdhsa_user_sgpr_kernarg_preload_length 0
		.amdhsa_user_sgpr_kernarg_preload_offset 0
		.amdhsa_user_sgpr_private_segment_size 0
		.amdhsa_uses_dynamic_stack 0
		.amdhsa_enable_private_segment 0
		.amdhsa_system_sgpr_workgroup_id_x 1
		.amdhsa_system_sgpr_workgroup_id_y 0
		.amdhsa_system_sgpr_workgroup_id_z 0
		.amdhsa_system_sgpr_workgroup_info 0
		.amdhsa_system_vgpr_workitem_id 0
		.amdhsa_next_free_vgpr 1
		.amdhsa_next_free_sgpr 0
		.amdhsa_accum_offset 4
		.amdhsa_reserve_vcc 0
		.amdhsa_float_round_mode_32 0
		.amdhsa_float_round_mode_16_64 0
		.amdhsa_float_denorm_mode_32 3
		.amdhsa_float_denorm_mode_16_64 3
		.amdhsa_dx10_clamp 1
		.amdhsa_ieee_mode 1
		.amdhsa_fp16_overflow 0
		.amdhsa_tg_split 0
		.amdhsa_exception_fp_ieee_invalid_op 0
		.amdhsa_exception_fp_denorm_src 0
		.amdhsa_exception_fp_ieee_div_zero 0
		.amdhsa_exception_fp_ieee_overflow 0
		.amdhsa_exception_fp_ieee_underflow 0
		.amdhsa_exception_fp_ieee_inexact 0
		.amdhsa_exception_int_div_zero 0
	.end_amdhsa_kernel
	.section	.text._ZN7rocprim17ROCPRIM_400000_NS6detail17trampoline_kernelINS0_14default_configENS1_20scan_config_selectorIdEEZZNS1_9scan_implILNS1_25lookback_scan_determinismE0ELb0ELb0ES3_PKdPddZZZN2at6native31launch_logcumsumexp_cuda_kernelERKNSB_10TensorBaseESF_lENKUlvE_clEvENKUlvE_clEvEUlddE_dEEDaPvRmT3_T4_T5_mT6_P12ihipStream_tbENKUlT_T0_E_clISt17integral_constantIbLb1EESW_EEDaSR_SS_EUlSR_E_NS1_11comp_targetILNS1_3genE3ELNS1_11target_archE908ELNS1_3gpuE7ELNS1_3repE0EEENS1_30default_config_static_selectorELNS0_4arch9wavefront6targetE1EEEvT1_,"axG",@progbits,_ZN7rocprim17ROCPRIM_400000_NS6detail17trampoline_kernelINS0_14default_configENS1_20scan_config_selectorIdEEZZNS1_9scan_implILNS1_25lookback_scan_determinismE0ELb0ELb0ES3_PKdPddZZZN2at6native31launch_logcumsumexp_cuda_kernelERKNSB_10TensorBaseESF_lENKUlvE_clEvENKUlvE_clEvEUlddE_dEEDaPvRmT3_T4_T5_mT6_P12ihipStream_tbENKUlT_T0_E_clISt17integral_constantIbLb1EESW_EEDaSR_SS_EUlSR_E_NS1_11comp_targetILNS1_3genE3ELNS1_11target_archE908ELNS1_3gpuE7ELNS1_3repE0EEENS1_30default_config_static_selectorELNS0_4arch9wavefront6targetE1EEEvT1_,comdat
.Lfunc_end33:
	.size	_ZN7rocprim17ROCPRIM_400000_NS6detail17trampoline_kernelINS0_14default_configENS1_20scan_config_selectorIdEEZZNS1_9scan_implILNS1_25lookback_scan_determinismE0ELb0ELb0ES3_PKdPddZZZN2at6native31launch_logcumsumexp_cuda_kernelERKNSB_10TensorBaseESF_lENKUlvE_clEvENKUlvE_clEvEUlddE_dEEDaPvRmT3_T4_T5_mT6_P12ihipStream_tbENKUlT_T0_E_clISt17integral_constantIbLb1EESW_EEDaSR_SS_EUlSR_E_NS1_11comp_targetILNS1_3genE3ELNS1_11target_archE908ELNS1_3gpuE7ELNS1_3repE0EEENS1_30default_config_static_selectorELNS0_4arch9wavefront6targetE1EEEvT1_, .Lfunc_end33-_ZN7rocprim17ROCPRIM_400000_NS6detail17trampoline_kernelINS0_14default_configENS1_20scan_config_selectorIdEEZZNS1_9scan_implILNS1_25lookback_scan_determinismE0ELb0ELb0ES3_PKdPddZZZN2at6native31launch_logcumsumexp_cuda_kernelERKNSB_10TensorBaseESF_lENKUlvE_clEvENKUlvE_clEvEUlddE_dEEDaPvRmT3_T4_T5_mT6_P12ihipStream_tbENKUlT_T0_E_clISt17integral_constantIbLb1EESW_EEDaSR_SS_EUlSR_E_NS1_11comp_targetILNS1_3genE3ELNS1_11target_archE908ELNS1_3gpuE7ELNS1_3repE0EEENS1_30default_config_static_selectorELNS0_4arch9wavefront6targetE1EEEvT1_
                                        ; -- End function
	.section	.AMDGPU.csdata,"",@progbits
; Kernel info:
; codeLenInByte = 0
; NumSgprs: 6
; NumVgprs: 0
; NumAgprs: 0
; TotalNumVgprs: 0
; ScratchSize: 0
; MemoryBound: 0
; FloatMode: 240
; IeeeMode: 1
; LDSByteSize: 0 bytes/workgroup (compile time only)
; SGPRBlocks: 0
; VGPRBlocks: 0
; NumSGPRsForWavesPerEU: 6
; NumVGPRsForWavesPerEU: 1
; AccumOffset: 4
; Occupancy: 8
; WaveLimiterHint : 0
; COMPUTE_PGM_RSRC2:SCRATCH_EN: 0
; COMPUTE_PGM_RSRC2:USER_SGPR: 2
; COMPUTE_PGM_RSRC2:TRAP_HANDLER: 0
; COMPUTE_PGM_RSRC2:TGID_X_EN: 1
; COMPUTE_PGM_RSRC2:TGID_Y_EN: 0
; COMPUTE_PGM_RSRC2:TGID_Z_EN: 0
; COMPUTE_PGM_RSRC2:TIDIG_COMP_CNT: 0
; COMPUTE_PGM_RSRC3_GFX90A:ACCUM_OFFSET: 0
; COMPUTE_PGM_RSRC3_GFX90A:TG_SPLIT: 0
	.section	.text._ZN7rocprim17ROCPRIM_400000_NS6detail17trampoline_kernelINS0_14default_configENS1_20scan_config_selectorIdEEZZNS1_9scan_implILNS1_25lookback_scan_determinismE0ELb0ELb0ES3_PKdPddZZZN2at6native31launch_logcumsumexp_cuda_kernelERKNSB_10TensorBaseESF_lENKUlvE_clEvENKUlvE_clEvEUlddE_dEEDaPvRmT3_T4_T5_mT6_P12ihipStream_tbENKUlT_T0_E_clISt17integral_constantIbLb1EESW_EEDaSR_SS_EUlSR_E_NS1_11comp_targetILNS1_3genE2ELNS1_11target_archE906ELNS1_3gpuE6ELNS1_3repE0EEENS1_30default_config_static_selectorELNS0_4arch9wavefront6targetE1EEEvT1_,"axG",@progbits,_ZN7rocprim17ROCPRIM_400000_NS6detail17trampoline_kernelINS0_14default_configENS1_20scan_config_selectorIdEEZZNS1_9scan_implILNS1_25lookback_scan_determinismE0ELb0ELb0ES3_PKdPddZZZN2at6native31launch_logcumsumexp_cuda_kernelERKNSB_10TensorBaseESF_lENKUlvE_clEvENKUlvE_clEvEUlddE_dEEDaPvRmT3_T4_T5_mT6_P12ihipStream_tbENKUlT_T0_E_clISt17integral_constantIbLb1EESW_EEDaSR_SS_EUlSR_E_NS1_11comp_targetILNS1_3genE2ELNS1_11target_archE906ELNS1_3gpuE6ELNS1_3repE0EEENS1_30default_config_static_selectorELNS0_4arch9wavefront6targetE1EEEvT1_,comdat
	.globl	_ZN7rocprim17ROCPRIM_400000_NS6detail17trampoline_kernelINS0_14default_configENS1_20scan_config_selectorIdEEZZNS1_9scan_implILNS1_25lookback_scan_determinismE0ELb0ELb0ES3_PKdPddZZZN2at6native31launch_logcumsumexp_cuda_kernelERKNSB_10TensorBaseESF_lENKUlvE_clEvENKUlvE_clEvEUlddE_dEEDaPvRmT3_T4_T5_mT6_P12ihipStream_tbENKUlT_T0_E_clISt17integral_constantIbLb1EESW_EEDaSR_SS_EUlSR_E_NS1_11comp_targetILNS1_3genE2ELNS1_11target_archE906ELNS1_3gpuE6ELNS1_3repE0EEENS1_30default_config_static_selectorELNS0_4arch9wavefront6targetE1EEEvT1_ ; -- Begin function _ZN7rocprim17ROCPRIM_400000_NS6detail17trampoline_kernelINS0_14default_configENS1_20scan_config_selectorIdEEZZNS1_9scan_implILNS1_25lookback_scan_determinismE0ELb0ELb0ES3_PKdPddZZZN2at6native31launch_logcumsumexp_cuda_kernelERKNSB_10TensorBaseESF_lENKUlvE_clEvENKUlvE_clEvEUlddE_dEEDaPvRmT3_T4_T5_mT6_P12ihipStream_tbENKUlT_T0_E_clISt17integral_constantIbLb1EESW_EEDaSR_SS_EUlSR_E_NS1_11comp_targetILNS1_3genE2ELNS1_11target_archE906ELNS1_3gpuE6ELNS1_3repE0EEENS1_30default_config_static_selectorELNS0_4arch9wavefront6targetE1EEEvT1_
	.p2align	8
	.type	_ZN7rocprim17ROCPRIM_400000_NS6detail17trampoline_kernelINS0_14default_configENS1_20scan_config_selectorIdEEZZNS1_9scan_implILNS1_25lookback_scan_determinismE0ELb0ELb0ES3_PKdPddZZZN2at6native31launch_logcumsumexp_cuda_kernelERKNSB_10TensorBaseESF_lENKUlvE_clEvENKUlvE_clEvEUlddE_dEEDaPvRmT3_T4_T5_mT6_P12ihipStream_tbENKUlT_T0_E_clISt17integral_constantIbLb1EESW_EEDaSR_SS_EUlSR_E_NS1_11comp_targetILNS1_3genE2ELNS1_11target_archE906ELNS1_3gpuE6ELNS1_3repE0EEENS1_30default_config_static_selectorELNS0_4arch9wavefront6targetE1EEEvT1_,@function
_ZN7rocprim17ROCPRIM_400000_NS6detail17trampoline_kernelINS0_14default_configENS1_20scan_config_selectorIdEEZZNS1_9scan_implILNS1_25lookback_scan_determinismE0ELb0ELb0ES3_PKdPddZZZN2at6native31launch_logcumsumexp_cuda_kernelERKNSB_10TensorBaseESF_lENKUlvE_clEvENKUlvE_clEvEUlddE_dEEDaPvRmT3_T4_T5_mT6_P12ihipStream_tbENKUlT_T0_E_clISt17integral_constantIbLb1EESW_EEDaSR_SS_EUlSR_E_NS1_11comp_targetILNS1_3genE2ELNS1_11target_archE906ELNS1_3gpuE6ELNS1_3repE0EEENS1_30default_config_static_selectorELNS0_4arch9wavefront6targetE1EEEvT1_: ; @_ZN7rocprim17ROCPRIM_400000_NS6detail17trampoline_kernelINS0_14default_configENS1_20scan_config_selectorIdEEZZNS1_9scan_implILNS1_25lookback_scan_determinismE0ELb0ELb0ES3_PKdPddZZZN2at6native31launch_logcumsumexp_cuda_kernelERKNSB_10TensorBaseESF_lENKUlvE_clEvENKUlvE_clEvEUlddE_dEEDaPvRmT3_T4_T5_mT6_P12ihipStream_tbENKUlT_T0_E_clISt17integral_constantIbLb1EESW_EEDaSR_SS_EUlSR_E_NS1_11comp_targetILNS1_3genE2ELNS1_11target_archE906ELNS1_3gpuE6ELNS1_3repE0EEENS1_30default_config_static_selectorELNS0_4arch9wavefront6targetE1EEEvT1_
; %bb.0:
	.section	.rodata,"a",@progbits
	.p2align	6, 0x0
	.amdhsa_kernel _ZN7rocprim17ROCPRIM_400000_NS6detail17trampoline_kernelINS0_14default_configENS1_20scan_config_selectorIdEEZZNS1_9scan_implILNS1_25lookback_scan_determinismE0ELb0ELb0ES3_PKdPddZZZN2at6native31launch_logcumsumexp_cuda_kernelERKNSB_10TensorBaseESF_lENKUlvE_clEvENKUlvE_clEvEUlddE_dEEDaPvRmT3_T4_T5_mT6_P12ihipStream_tbENKUlT_T0_E_clISt17integral_constantIbLb1EESW_EEDaSR_SS_EUlSR_E_NS1_11comp_targetILNS1_3genE2ELNS1_11target_archE906ELNS1_3gpuE6ELNS1_3repE0EEENS1_30default_config_static_selectorELNS0_4arch9wavefront6targetE1EEEvT1_
		.amdhsa_group_segment_fixed_size 0
		.amdhsa_private_segment_fixed_size 0
		.amdhsa_kernarg_size 104
		.amdhsa_user_sgpr_count 2
		.amdhsa_user_sgpr_dispatch_ptr 0
		.amdhsa_user_sgpr_queue_ptr 0
		.amdhsa_user_sgpr_kernarg_segment_ptr 1
		.amdhsa_user_sgpr_dispatch_id 0
		.amdhsa_user_sgpr_kernarg_preload_length 0
		.amdhsa_user_sgpr_kernarg_preload_offset 0
		.amdhsa_user_sgpr_private_segment_size 0
		.amdhsa_uses_dynamic_stack 0
		.amdhsa_enable_private_segment 0
		.amdhsa_system_sgpr_workgroup_id_x 1
		.amdhsa_system_sgpr_workgroup_id_y 0
		.amdhsa_system_sgpr_workgroup_id_z 0
		.amdhsa_system_sgpr_workgroup_info 0
		.amdhsa_system_vgpr_workitem_id 0
		.amdhsa_next_free_vgpr 1
		.amdhsa_next_free_sgpr 0
		.amdhsa_accum_offset 4
		.amdhsa_reserve_vcc 0
		.amdhsa_float_round_mode_32 0
		.amdhsa_float_round_mode_16_64 0
		.amdhsa_float_denorm_mode_32 3
		.amdhsa_float_denorm_mode_16_64 3
		.amdhsa_dx10_clamp 1
		.amdhsa_ieee_mode 1
		.amdhsa_fp16_overflow 0
		.amdhsa_tg_split 0
		.amdhsa_exception_fp_ieee_invalid_op 0
		.amdhsa_exception_fp_denorm_src 0
		.amdhsa_exception_fp_ieee_div_zero 0
		.amdhsa_exception_fp_ieee_overflow 0
		.amdhsa_exception_fp_ieee_underflow 0
		.amdhsa_exception_fp_ieee_inexact 0
		.amdhsa_exception_int_div_zero 0
	.end_amdhsa_kernel
	.section	.text._ZN7rocprim17ROCPRIM_400000_NS6detail17trampoline_kernelINS0_14default_configENS1_20scan_config_selectorIdEEZZNS1_9scan_implILNS1_25lookback_scan_determinismE0ELb0ELb0ES3_PKdPddZZZN2at6native31launch_logcumsumexp_cuda_kernelERKNSB_10TensorBaseESF_lENKUlvE_clEvENKUlvE_clEvEUlddE_dEEDaPvRmT3_T4_T5_mT6_P12ihipStream_tbENKUlT_T0_E_clISt17integral_constantIbLb1EESW_EEDaSR_SS_EUlSR_E_NS1_11comp_targetILNS1_3genE2ELNS1_11target_archE906ELNS1_3gpuE6ELNS1_3repE0EEENS1_30default_config_static_selectorELNS0_4arch9wavefront6targetE1EEEvT1_,"axG",@progbits,_ZN7rocprim17ROCPRIM_400000_NS6detail17trampoline_kernelINS0_14default_configENS1_20scan_config_selectorIdEEZZNS1_9scan_implILNS1_25lookback_scan_determinismE0ELb0ELb0ES3_PKdPddZZZN2at6native31launch_logcumsumexp_cuda_kernelERKNSB_10TensorBaseESF_lENKUlvE_clEvENKUlvE_clEvEUlddE_dEEDaPvRmT3_T4_T5_mT6_P12ihipStream_tbENKUlT_T0_E_clISt17integral_constantIbLb1EESW_EEDaSR_SS_EUlSR_E_NS1_11comp_targetILNS1_3genE2ELNS1_11target_archE906ELNS1_3gpuE6ELNS1_3repE0EEENS1_30default_config_static_selectorELNS0_4arch9wavefront6targetE1EEEvT1_,comdat
.Lfunc_end34:
	.size	_ZN7rocprim17ROCPRIM_400000_NS6detail17trampoline_kernelINS0_14default_configENS1_20scan_config_selectorIdEEZZNS1_9scan_implILNS1_25lookback_scan_determinismE0ELb0ELb0ES3_PKdPddZZZN2at6native31launch_logcumsumexp_cuda_kernelERKNSB_10TensorBaseESF_lENKUlvE_clEvENKUlvE_clEvEUlddE_dEEDaPvRmT3_T4_T5_mT6_P12ihipStream_tbENKUlT_T0_E_clISt17integral_constantIbLb1EESW_EEDaSR_SS_EUlSR_E_NS1_11comp_targetILNS1_3genE2ELNS1_11target_archE906ELNS1_3gpuE6ELNS1_3repE0EEENS1_30default_config_static_selectorELNS0_4arch9wavefront6targetE1EEEvT1_, .Lfunc_end34-_ZN7rocprim17ROCPRIM_400000_NS6detail17trampoline_kernelINS0_14default_configENS1_20scan_config_selectorIdEEZZNS1_9scan_implILNS1_25lookback_scan_determinismE0ELb0ELb0ES3_PKdPddZZZN2at6native31launch_logcumsumexp_cuda_kernelERKNSB_10TensorBaseESF_lENKUlvE_clEvENKUlvE_clEvEUlddE_dEEDaPvRmT3_T4_T5_mT6_P12ihipStream_tbENKUlT_T0_E_clISt17integral_constantIbLb1EESW_EEDaSR_SS_EUlSR_E_NS1_11comp_targetILNS1_3genE2ELNS1_11target_archE906ELNS1_3gpuE6ELNS1_3repE0EEENS1_30default_config_static_selectorELNS0_4arch9wavefront6targetE1EEEvT1_
                                        ; -- End function
	.section	.AMDGPU.csdata,"",@progbits
; Kernel info:
; codeLenInByte = 0
; NumSgprs: 6
; NumVgprs: 0
; NumAgprs: 0
; TotalNumVgprs: 0
; ScratchSize: 0
; MemoryBound: 0
; FloatMode: 240
; IeeeMode: 1
; LDSByteSize: 0 bytes/workgroup (compile time only)
; SGPRBlocks: 0
; VGPRBlocks: 0
; NumSGPRsForWavesPerEU: 6
; NumVGPRsForWavesPerEU: 1
; AccumOffset: 4
; Occupancy: 8
; WaveLimiterHint : 0
; COMPUTE_PGM_RSRC2:SCRATCH_EN: 0
; COMPUTE_PGM_RSRC2:USER_SGPR: 2
; COMPUTE_PGM_RSRC2:TRAP_HANDLER: 0
; COMPUTE_PGM_RSRC2:TGID_X_EN: 1
; COMPUTE_PGM_RSRC2:TGID_Y_EN: 0
; COMPUTE_PGM_RSRC2:TGID_Z_EN: 0
; COMPUTE_PGM_RSRC2:TIDIG_COMP_CNT: 0
; COMPUTE_PGM_RSRC3_GFX90A:ACCUM_OFFSET: 0
; COMPUTE_PGM_RSRC3_GFX90A:TG_SPLIT: 0
	.section	.text._ZN7rocprim17ROCPRIM_400000_NS6detail17trampoline_kernelINS0_14default_configENS1_20scan_config_selectorIdEEZZNS1_9scan_implILNS1_25lookback_scan_determinismE0ELb0ELb0ES3_PKdPddZZZN2at6native31launch_logcumsumexp_cuda_kernelERKNSB_10TensorBaseESF_lENKUlvE_clEvENKUlvE_clEvEUlddE_dEEDaPvRmT3_T4_T5_mT6_P12ihipStream_tbENKUlT_T0_E_clISt17integral_constantIbLb1EESW_EEDaSR_SS_EUlSR_E_NS1_11comp_targetILNS1_3genE10ELNS1_11target_archE1201ELNS1_3gpuE5ELNS1_3repE0EEENS1_30default_config_static_selectorELNS0_4arch9wavefront6targetE1EEEvT1_,"axG",@progbits,_ZN7rocprim17ROCPRIM_400000_NS6detail17trampoline_kernelINS0_14default_configENS1_20scan_config_selectorIdEEZZNS1_9scan_implILNS1_25lookback_scan_determinismE0ELb0ELb0ES3_PKdPddZZZN2at6native31launch_logcumsumexp_cuda_kernelERKNSB_10TensorBaseESF_lENKUlvE_clEvENKUlvE_clEvEUlddE_dEEDaPvRmT3_T4_T5_mT6_P12ihipStream_tbENKUlT_T0_E_clISt17integral_constantIbLb1EESW_EEDaSR_SS_EUlSR_E_NS1_11comp_targetILNS1_3genE10ELNS1_11target_archE1201ELNS1_3gpuE5ELNS1_3repE0EEENS1_30default_config_static_selectorELNS0_4arch9wavefront6targetE1EEEvT1_,comdat
	.globl	_ZN7rocprim17ROCPRIM_400000_NS6detail17trampoline_kernelINS0_14default_configENS1_20scan_config_selectorIdEEZZNS1_9scan_implILNS1_25lookback_scan_determinismE0ELb0ELb0ES3_PKdPddZZZN2at6native31launch_logcumsumexp_cuda_kernelERKNSB_10TensorBaseESF_lENKUlvE_clEvENKUlvE_clEvEUlddE_dEEDaPvRmT3_T4_T5_mT6_P12ihipStream_tbENKUlT_T0_E_clISt17integral_constantIbLb1EESW_EEDaSR_SS_EUlSR_E_NS1_11comp_targetILNS1_3genE10ELNS1_11target_archE1201ELNS1_3gpuE5ELNS1_3repE0EEENS1_30default_config_static_selectorELNS0_4arch9wavefront6targetE1EEEvT1_ ; -- Begin function _ZN7rocprim17ROCPRIM_400000_NS6detail17trampoline_kernelINS0_14default_configENS1_20scan_config_selectorIdEEZZNS1_9scan_implILNS1_25lookback_scan_determinismE0ELb0ELb0ES3_PKdPddZZZN2at6native31launch_logcumsumexp_cuda_kernelERKNSB_10TensorBaseESF_lENKUlvE_clEvENKUlvE_clEvEUlddE_dEEDaPvRmT3_T4_T5_mT6_P12ihipStream_tbENKUlT_T0_E_clISt17integral_constantIbLb1EESW_EEDaSR_SS_EUlSR_E_NS1_11comp_targetILNS1_3genE10ELNS1_11target_archE1201ELNS1_3gpuE5ELNS1_3repE0EEENS1_30default_config_static_selectorELNS0_4arch9wavefront6targetE1EEEvT1_
	.p2align	8
	.type	_ZN7rocprim17ROCPRIM_400000_NS6detail17trampoline_kernelINS0_14default_configENS1_20scan_config_selectorIdEEZZNS1_9scan_implILNS1_25lookback_scan_determinismE0ELb0ELb0ES3_PKdPddZZZN2at6native31launch_logcumsumexp_cuda_kernelERKNSB_10TensorBaseESF_lENKUlvE_clEvENKUlvE_clEvEUlddE_dEEDaPvRmT3_T4_T5_mT6_P12ihipStream_tbENKUlT_T0_E_clISt17integral_constantIbLb1EESW_EEDaSR_SS_EUlSR_E_NS1_11comp_targetILNS1_3genE10ELNS1_11target_archE1201ELNS1_3gpuE5ELNS1_3repE0EEENS1_30default_config_static_selectorELNS0_4arch9wavefront6targetE1EEEvT1_,@function
_ZN7rocprim17ROCPRIM_400000_NS6detail17trampoline_kernelINS0_14default_configENS1_20scan_config_selectorIdEEZZNS1_9scan_implILNS1_25lookback_scan_determinismE0ELb0ELb0ES3_PKdPddZZZN2at6native31launch_logcumsumexp_cuda_kernelERKNSB_10TensorBaseESF_lENKUlvE_clEvENKUlvE_clEvEUlddE_dEEDaPvRmT3_T4_T5_mT6_P12ihipStream_tbENKUlT_T0_E_clISt17integral_constantIbLb1EESW_EEDaSR_SS_EUlSR_E_NS1_11comp_targetILNS1_3genE10ELNS1_11target_archE1201ELNS1_3gpuE5ELNS1_3repE0EEENS1_30default_config_static_selectorELNS0_4arch9wavefront6targetE1EEEvT1_: ; @_ZN7rocprim17ROCPRIM_400000_NS6detail17trampoline_kernelINS0_14default_configENS1_20scan_config_selectorIdEEZZNS1_9scan_implILNS1_25lookback_scan_determinismE0ELb0ELb0ES3_PKdPddZZZN2at6native31launch_logcumsumexp_cuda_kernelERKNSB_10TensorBaseESF_lENKUlvE_clEvENKUlvE_clEvEUlddE_dEEDaPvRmT3_T4_T5_mT6_P12ihipStream_tbENKUlT_T0_E_clISt17integral_constantIbLb1EESW_EEDaSR_SS_EUlSR_E_NS1_11comp_targetILNS1_3genE10ELNS1_11target_archE1201ELNS1_3gpuE5ELNS1_3repE0EEENS1_30default_config_static_selectorELNS0_4arch9wavefront6targetE1EEEvT1_
; %bb.0:
	.section	.rodata,"a",@progbits
	.p2align	6, 0x0
	.amdhsa_kernel _ZN7rocprim17ROCPRIM_400000_NS6detail17trampoline_kernelINS0_14default_configENS1_20scan_config_selectorIdEEZZNS1_9scan_implILNS1_25lookback_scan_determinismE0ELb0ELb0ES3_PKdPddZZZN2at6native31launch_logcumsumexp_cuda_kernelERKNSB_10TensorBaseESF_lENKUlvE_clEvENKUlvE_clEvEUlddE_dEEDaPvRmT3_T4_T5_mT6_P12ihipStream_tbENKUlT_T0_E_clISt17integral_constantIbLb1EESW_EEDaSR_SS_EUlSR_E_NS1_11comp_targetILNS1_3genE10ELNS1_11target_archE1201ELNS1_3gpuE5ELNS1_3repE0EEENS1_30default_config_static_selectorELNS0_4arch9wavefront6targetE1EEEvT1_
		.amdhsa_group_segment_fixed_size 0
		.amdhsa_private_segment_fixed_size 0
		.amdhsa_kernarg_size 104
		.amdhsa_user_sgpr_count 2
		.amdhsa_user_sgpr_dispatch_ptr 0
		.amdhsa_user_sgpr_queue_ptr 0
		.amdhsa_user_sgpr_kernarg_segment_ptr 1
		.amdhsa_user_sgpr_dispatch_id 0
		.amdhsa_user_sgpr_kernarg_preload_length 0
		.amdhsa_user_sgpr_kernarg_preload_offset 0
		.amdhsa_user_sgpr_private_segment_size 0
		.amdhsa_uses_dynamic_stack 0
		.amdhsa_enable_private_segment 0
		.amdhsa_system_sgpr_workgroup_id_x 1
		.amdhsa_system_sgpr_workgroup_id_y 0
		.amdhsa_system_sgpr_workgroup_id_z 0
		.amdhsa_system_sgpr_workgroup_info 0
		.amdhsa_system_vgpr_workitem_id 0
		.amdhsa_next_free_vgpr 1
		.amdhsa_next_free_sgpr 0
		.amdhsa_accum_offset 4
		.amdhsa_reserve_vcc 0
		.amdhsa_float_round_mode_32 0
		.amdhsa_float_round_mode_16_64 0
		.amdhsa_float_denorm_mode_32 3
		.amdhsa_float_denorm_mode_16_64 3
		.amdhsa_dx10_clamp 1
		.amdhsa_ieee_mode 1
		.amdhsa_fp16_overflow 0
		.amdhsa_tg_split 0
		.amdhsa_exception_fp_ieee_invalid_op 0
		.amdhsa_exception_fp_denorm_src 0
		.amdhsa_exception_fp_ieee_div_zero 0
		.amdhsa_exception_fp_ieee_overflow 0
		.amdhsa_exception_fp_ieee_underflow 0
		.amdhsa_exception_fp_ieee_inexact 0
		.amdhsa_exception_int_div_zero 0
	.end_amdhsa_kernel
	.section	.text._ZN7rocprim17ROCPRIM_400000_NS6detail17trampoline_kernelINS0_14default_configENS1_20scan_config_selectorIdEEZZNS1_9scan_implILNS1_25lookback_scan_determinismE0ELb0ELb0ES3_PKdPddZZZN2at6native31launch_logcumsumexp_cuda_kernelERKNSB_10TensorBaseESF_lENKUlvE_clEvENKUlvE_clEvEUlddE_dEEDaPvRmT3_T4_T5_mT6_P12ihipStream_tbENKUlT_T0_E_clISt17integral_constantIbLb1EESW_EEDaSR_SS_EUlSR_E_NS1_11comp_targetILNS1_3genE10ELNS1_11target_archE1201ELNS1_3gpuE5ELNS1_3repE0EEENS1_30default_config_static_selectorELNS0_4arch9wavefront6targetE1EEEvT1_,"axG",@progbits,_ZN7rocprim17ROCPRIM_400000_NS6detail17trampoline_kernelINS0_14default_configENS1_20scan_config_selectorIdEEZZNS1_9scan_implILNS1_25lookback_scan_determinismE0ELb0ELb0ES3_PKdPddZZZN2at6native31launch_logcumsumexp_cuda_kernelERKNSB_10TensorBaseESF_lENKUlvE_clEvENKUlvE_clEvEUlddE_dEEDaPvRmT3_T4_T5_mT6_P12ihipStream_tbENKUlT_T0_E_clISt17integral_constantIbLb1EESW_EEDaSR_SS_EUlSR_E_NS1_11comp_targetILNS1_3genE10ELNS1_11target_archE1201ELNS1_3gpuE5ELNS1_3repE0EEENS1_30default_config_static_selectorELNS0_4arch9wavefront6targetE1EEEvT1_,comdat
.Lfunc_end35:
	.size	_ZN7rocprim17ROCPRIM_400000_NS6detail17trampoline_kernelINS0_14default_configENS1_20scan_config_selectorIdEEZZNS1_9scan_implILNS1_25lookback_scan_determinismE0ELb0ELb0ES3_PKdPddZZZN2at6native31launch_logcumsumexp_cuda_kernelERKNSB_10TensorBaseESF_lENKUlvE_clEvENKUlvE_clEvEUlddE_dEEDaPvRmT3_T4_T5_mT6_P12ihipStream_tbENKUlT_T0_E_clISt17integral_constantIbLb1EESW_EEDaSR_SS_EUlSR_E_NS1_11comp_targetILNS1_3genE10ELNS1_11target_archE1201ELNS1_3gpuE5ELNS1_3repE0EEENS1_30default_config_static_selectorELNS0_4arch9wavefront6targetE1EEEvT1_, .Lfunc_end35-_ZN7rocprim17ROCPRIM_400000_NS6detail17trampoline_kernelINS0_14default_configENS1_20scan_config_selectorIdEEZZNS1_9scan_implILNS1_25lookback_scan_determinismE0ELb0ELb0ES3_PKdPddZZZN2at6native31launch_logcumsumexp_cuda_kernelERKNSB_10TensorBaseESF_lENKUlvE_clEvENKUlvE_clEvEUlddE_dEEDaPvRmT3_T4_T5_mT6_P12ihipStream_tbENKUlT_T0_E_clISt17integral_constantIbLb1EESW_EEDaSR_SS_EUlSR_E_NS1_11comp_targetILNS1_3genE10ELNS1_11target_archE1201ELNS1_3gpuE5ELNS1_3repE0EEENS1_30default_config_static_selectorELNS0_4arch9wavefront6targetE1EEEvT1_
                                        ; -- End function
	.section	.AMDGPU.csdata,"",@progbits
; Kernel info:
; codeLenInByte = 0
; NumSgprs: 6
; NumVgprs: 0
; NumAgprs: 0
; TotalNumVgprs: 0
; ScratchSize: 0
; MemoryBound: 0
; FloatMode: 240
; IeeeMode: 1
; LDSByteSize: 0 bytes/workgroup (compile time only)
; SGPRBlocks: 0
; VGPRBlocks: 0
; NumSGPRsForWavesPerEU: 6
; NumVGPRsForWavesPerEU: 1
; AccumOffset: 4
; Occupancy: 8
; WaveLimiterHint : 0
; COMPUTE_PGM_RSRC2:SCRATCH_EN: 0
; COMPUTE_PGM_RSRC2:USER_SGPR: 2
; COMPUTE_PGM_RSRC2:TRAP_HANDLER: 0
; COMPUTE_PGM_RSRC2:TGID_X_EN: 1
; COMPUTE_PGM_RSRC2:TGID_Y_EN: 0
; COMPUTE_PGM_RSRC2:TGID_Z_EN: 0
; COMPUTE_PGM_RSRC2:TIDIG_COMP_CNT: 0
; COMPUTE_PGM_RSRC3_GFX90A:ACCUM_OFFSET: 0
; COMPUTE_PGM_RSRC3_GFX90A:TG_SPLIT: 0
	.section	.text._ZN7rocprim17ROCPRIM_400000_NS6detail17trampoline_kernelINS0_14default_configENS1_20scan_config_selectorIdEEZZNS1_9scan_implILNS1_25lookback_scan_determinismE0ELb0ELb0ES3_PKdPddZZZN2at6native31launch_logcumsumexp_cuda_kernelERKNSB_10TensorBaseESF_lENKUlvE_clEvENKUlvE_clEvEUlddE_dEEDaPvRmT3_T4_T5_mT6_P12ihipStream_tbENKUlT_T0_E_clISt17integral_constantIbLb1EESW_EEDaSR_SS_EUlSR_E_NS1_11comp_targetILNS1_3genE10ELNS1_11target_archE1200ELNS1_3gpuE4ELNS1_3repE0EEENS1_30default_config_static_selectorELNS0_4arch9wavefront6targetE1EEEvT1_,"axG",@progbits,_ZN7rocprim17ROCPRIM_400000_NS6detail17trampoline_kernelINS0_14default_configENS1_20scan_config_selectorIdEEZZNS1_9scan_implILNS1_25lookback_scan_determinismE0ELb0ELb0ES3_PKdPddZZZN2at6native31launch_logcumsumexp_cuda_kernelERKNSB_10TensorBaseESF_lENKUlvE_clEvENKUlvE_clEvEUlddE_dEEDaPvRmT3_T4_T5_mT6_P12ihipStream_tbENKUlT_T0_E_clISt17integral_constantIbLb1EESW_EEDaSR_SS_EUlSR_E_NS1_11comp_targetILNS1_3genE10ELNS1_11target_archE1200ELNS1_3gpuE4ELNS1_3repE0EEENS1_30default_config_static_selectorELNS0_4arch9wavefront6targetE1EEEvT1_,comdat
	.globl	_ZN7rocprim17ROCPRIM_400000_NS6detail17trampoline_kernelINS0_14default_configENS1_20scan_config_selectorIdEEZZNS1_9scan_implILNS1_25lookback_scan_determinismE0ELb0ELb0ES3_PKdPddZZZN2at6native31launch_logcumsumexp_cuda_kernelERKNSB_10TensorBaseESF_lENKUlvE_clEvENKUlvE_clEvEUlddE_dEEDaPvRmT3_T4_T5_mT6_P12ihipStream_tbENKUlT_T0_E_clISt17integral_constantIbLb1EESW_EEDaSR_SS_EUlSR_E_NS1_11comp_targetILNS1_3genE10ELNS1_11target_archE1200ELNS1_3gpuE4ELNS1_3repE0EEENS1_30default_config_static_selectorELNS0_4arch9wavefront6targetE1EEEvT1_ ; -- Begin function _ZN7rocprim17ROCPRIM_400000_NS6detail17trampoline_kernelINS0_14default_configENS1_20scan_config_selectorIdEEZZNS1_9scan_implILNS1_25lookback_scan_determinismE0ELb0ELb0ES3_PKdPddZZZN2at6native31launch_logcumsumexp_cuda_kernelERKNSB_10TensorBaseESF_lENKUlvE_clEvENKUlvE_clEvEUlddE_dEEDaPvRmT3_T4_T5_mT6_P12ihipStream_tbENKUlT_T0_E_clISt17integral_constantIbLb1EESW_EEDaSR_SS_EUlSR_E_NS1_11comp_targetILNS1_3genE10ELNS1_11target_archE1200ELNS1_3gpuE4ELNS1_3repE0EEENS1_30default_config_static_selectorELNS0_4arch9wavefront6targetE1EEEvT1_
	.p2align	8
	.type	_ZN7rocprim17ROCPRIM_400000_NS6detail17trampoline_kernelINS0_14default_configENS1_20scan_config_selectorIdEEZZNS1_9scan_implILNS1_25lookback_scan_determinismE0ELb0ELb0ES3_PKdPddZZZN2at6native31launch_logcumsumexp_cuda_kernelERKNSB_10TensorBaseESF_lENKUlvE_clEvENKUlvE_clEvEUlddE_dEEDaPvRmT3_T4_T5_mT6_P12ihipStream_tbENKUlT_T0_E_clISt17integral_constantIbLb1EESW_EEDaSR_SS_EUlSR_E_NS1_11comp_targetILNS1_3genE10ELNS1_11target_archE1200ELNS1_3gpuE4ELNS1_3repE0EEENS1_30default_config_static_selectorELNS0_4arch9wavefront6targetE1EEEvT1_,@function
_ZN7rocprim17ROCPRIM_400000_NS6detail17trampoline_kernelINS0_14default_configENS1_20scan_config_selectorIdEEZZNS1_9scan_implILNS1_25lookback_scan_determinismE0ELb0ELb0ES3_PKdPddZZZN2at6native31launch_logcumsumexp_cuda_kernelERKNSB_10TensorBaseESF_lENKUlvE_clEvENKUlvE_clEvEUlddE_dEEDaPvRmT3_T4_T5_mT6_P12ihipStream_tbENKUlT_T0_E_clISt17integral_constantIbLb1EESW_EEDaSR_SS_EUlSR_E_NS1_11comp_targetILNS1_3genE10ELNS1_11target_archE1200ELNS1_3gpuE4ELNS1_3repE0EEENS1_30default_config_static_selectorELNS0_4arch9wavefront6targetE1EEEvT1_: ; @_ZN7rocprim17ROCPRIM_400000_NS6detail17trampoline_kernelINS0_14default_configENS1_20scan_config_selectorIdEEZZNS1_9scan_implILNS1_25lookback_scan_determinismE0ELb0ELb0ES3_PKdPddZZZN2at6native31launch_logcumsumexp_cuda_kernelERKNSB_10TensorBaseESF_lENKUlvE_clEvENKUlvE_clEvEUlddE_dEEDaPvRmT3_T4_T5_mT6_P12ihipStream_tbENKUlT_T0_E_clISt17integral_constantIbLb1EESW_EEDaSR_SS_EUlSR_E_NS1_11comp_targetILNS1_3genE10ELNS1_11target_archE1200ELNS1_3gpuE4ELNS1_3repE0EEENS1_30default_config_static_selectorELNS0_4arch9wavefront6targetE1EEEvT1_
; %bb.0:
	.section	.rodata,"a",@progbits
	.p2align	6, 0x0
	.amdhsa_kernel _ZN7rocprim17ROCPRIM_400000_NS6detail17trampoline_kernelINS0_14default_configENS1_20scan_config_selectorIdEEZZNS1_9scan_implILNS1_25lookback_scan_determinismE0ELb0ELb0ES3_PKdPddZZZN2at6native31launch_logcumsumexp_cuda_kernelERKNSB_10TensorBaseESF_lENKUlvE_clEvENKUlvE_clEvEUlddE_dEEDaPvRmT3_T4_T5_mT6_P12ihipStream_tbENKUlT_T0_E_clISt17integral_constantIbLb1EESW_EEDaSR_SS_EUlSR_E_NS1_11comp_targetILNS1_3genE10ELNS1_11target_archE1200ELNS1_3gpuE4ELNS1_3repE0EEENS1_30default_config_static_selectorELNS0_4arch9wavefront6targetE1EEEvT1_
		.amdhsa_group_segment_fixed_size 0
		.amdhsa_private_segment_fixed_size 0
		.amdhsa_kernarg_size 104
		.amdhsa_user_sgpr_count 2
		.amdhsa_user_sgpr_dispatch_ptr 0
		.amdhsa_user_sgpr_queue_ptr 0
		.amdhsa_user_sgpr_kernarg_segment_ptr 1
		.amdhsa_user_sgpr_dispatch_id 0
		.amdhsa_user_sgpr_kernarg_preload_length 0
		.amdhsa_user_sgpr_kernarg_preload_offset 0
		.amdhsa_user_sgpr_private_segment_size 0
		.amdhsa_uses_dynamic_stack 0
		.amdhsa_enable_private_segment 0
		.amdhsa_system_sgpr_workgroup_id_x 1
		.amdhsa_system_sgpr_workgroup_id_y 0
		.amdhsa_system_sgpr_workgroup_id_z 0
		.amdhsa_system_sgpr_workgroup_info 0
		.amdhsa_system_vgpr_workitem_id 0
		.amdhsa_next_free_vgpr 1
		.amdhsa_next_free_sgpr 0
		.amdhsa_accum_offset 4
		.amdhsa_reserve_vcc 0
		.amdhsa_float_round_mode_32 0
		.amdhsa_float_round_mode_16_64 0
		.amdhsa_float_denorm_mode_32 3
		.amdhsa_float_denorm_mode_16_64 3
		.amdhsa_dx10_clamp 1
		.amdhsa_ieee_mode 1
		.amdhsa_fp16_overflow 0
		.amdhsa_tg_split 0
		.amdhsa_exception_fp_ieee_invalid_op 0
		.amdhsa_exception_fp_denorm_src 0
		.amdhsa_exception_fp_ieee_div_zero 0
		.amdhsa_exception_fp_ieee_overflow 0
		.amdhsa_exception_fp_ieee_underflow 0
		.amdhsa_exception_fp_ieee_inexact 0
		.amdhsa_exception_int_div_zero 0
	.end_amdhsa_kernel
	.section	.text._ZN7rocprim17ROCPRIM_400000_NS6detail17trampoline_kernelINS0_14default_configENS1_20scan_config_selectorIdEEZZNS1_9scan_implILNS1_25lookback_scan_determinismE0ELb0ELb0ES3_PKdPddZZZN2at6native31launch_logcumsumexp_cuda_kernelERKNSB_10TensorBaseESF_lENKUlvE_clEvENKUlvE_clEvEUlddE_dEEDaPvRmT3_T4_T5_mT6_P12ihipStream_tbENKUlT_T0_E_clISt17integral_constantIbLb1EESW_EEDaSR_SS_EUlSR_E_NS1_11comp_targetILNS1_3genE10ELNS1_11target_archE1200ELNS1_3gpuE4ELNS1_3repE0EEENS1_30default_config_static_selectorELNS0_4arch9wavefront6targetE1EEEvT1_,"axG",@progbits,_ZN7rocprim17ROCPRIM_400000_NS6detail17trampoline_kernelINS0_14default_configENS1_20scan_config_selectorIdEEZZNS1_9scan_implILNS1_25lookback_scan_determinismE0ELb0ELb0ES3_PKdPddZZZN2at6native31launch_logcumsumexp_cuda_kernelERKNSB_10TensorBaseESF_lENKUlvE_clEvENKUlvE_clEvEUlddE_dEEDaPvRmT3_T4_T5_mT6_P12ihipStream_tbENKUlT_T0_E_clISt17integral_constantIbLb1EESW_EEDaSR_SS_EUlSR_E_NS1_11comp_targetILNS1_3genE10ELNS1_11target_archE1200ELNS1_3gpuE4ELNS1_3repE0EEENS1_30default_config_static_selectorELNS0_4arch9wavefront6targetE1EEEvT1_,comdat
.Lfunc_end36:
	.size	_ZN7rocprim17ROCPRIM_400000_NS6detail17trampoline_kernelINS0_14default_configENS1_20scan_config_selectorIdEEZZNS1_9scan_implILNS1_25lookback_scan_determinismE0ELb0ELb0ES3_PKdPddZZZN2at6native31launch_logcumsumexp_cuda_kernelERKNSB_10TensorBaseESF_lENKUlvE_clEvENKUlvE_clEvEUlddE_dEEDaPvRmT3_T4_T5_mT6_P12ihipStream_tbENKUlT_T0_E_clISt17integral_constantIbLb1EESW_EEDaSR_SS_EUlSR_E_NS1_11comp_targetILNS1_3genE10ELNS1_11target_archE1200ELNS1_3gpuE4ELNS1_3repE0EEENS1_30default_config_static_selectorELNS0_4arch9wavefront6targetE1EEEvT1_, .Lfunc_end36-_ZN7rocprim17ROCPRIM_400000_NS6detail17trampoline_kernelINS0_14default_configENS1_20scan_config_selectorIdEEZZNS1_9scan_implILNS1_25lookback_scan_determinismE0ELb0ELb0ES3_PKdPddZZZN2at6native31launch_logcumsumexp_cuda_kernelERKNSB_10TensorBaseESF_lENKUlvE_clEvENKUlvE_clEvEUlddE_dEEDaPvRmT3_T4_T5_mT6_P12ihipStream_tbENKUlT_T0_E_clISt17integral_constantIbLb1EESW_EEDaSR_SS_EUlSR_E_NS1_11comp_targetILNS1_3genE10ELNS1_11target_archE1200ELNS1_3gpuE4ELNS1_3repE0EEENS1_30default_config_static_selectorELNS0_4arch9wavefront6targetE1EEEvT1_
                                        ; -- End function
	.section	.AMDGPU.csdata,"",@progbits
; Kernel info:
; codeLenInByte = 0
; NumSgprs: 6
; NumVgprs: 0
; NumAgprs: 0
; TotalNumVgprs: 0
; ScratchSize: 0
; MemoryBound: 0
; FloatMode: 240
; IeeeMode: 1
; LDSByteSize: 0 bytes/workgroup (compile time only)
; SGPRBlocks: 0
; VGPRBlocks: 0
; NumSGPRsForWavesPerEU: 6
; NumVGPRsForWavesPerEU: 1
; AccumOffset: 4
; Occupancy: 8
; WaveLimiterHint : 0
; COMPUTE_PGM_RSRC2:SCRATCH_EN: 0
; COMPUTE_PGM_RSRC2:USER_SGPR: 2
; COMPUTE_PGM_RSRC2:TRAP_HANDLER: 0
; COMPUTE_PGM_RSRC2:TGID_X_EN: 1
; COMPUTE_PGM_RSRC2:TGID_Y_EN: 0
; COMPUTE_PGM_RSRC2:TGID_Z_EN: 0
; COMPUTE_PGM_RSRC2:TIDIG_COMP_CNT: 0
; COMPUTE_PGM_RSRC3_GFX90A:ACCUM_OFFSET: 0
; COMPUTE_PGM_RSRC3_GFX90A:TG_SPLIT: 0
	.section	.text._ZN7rocprim17ROCPRIM_400000_NS6detail17trampoline_kernelINS0_14default_configENS1_20scan_config_selectorIdEEZZNS1_9scan_implILNS1_25lookback_scan_determinismE0ELb0ELb0ES3_PKdPddZZZN2at6native31launch_logcumsumexp_cuda_kernelERKNSB_10TensorBaseESF_lENKUlvE_clEvENKUlvE_clEvEUlddE_dEEDaPvRmT3_T4_T5_mT6_P12ihipStream_tbENKUlT_T0_E_clISt17integral_constantIbLb1EESW_EEDaSR_SS_EUlSR_E_NS1_11comp_targetILNS1_3genE9ELNS1_11target_archE1100ELNS1_3gpuE3ELNS1_3repE0EEENS1_30default_config_static_selectorELNS0_4arch9wavefront6targetE1EEEvT1_,"axG",@progbits,_ZN7rocprim17ROCPRIM_400000_NS6detail17trampoline_kernelINS0_14default_configENS1_20scan_config_selectorIdEEZZNS1_9scan_implILNS1_25lookback_scan_determinismE0ELb0ELb0ES3_PKdPddZZZN2at6native31launch_logcumsumexp_cuda_kernelERKNSB_10TensorBaseESF_lENKUlvE_clEvENKUlvE_clEvEUlddE_dEEDaPvRmT3_T4_T5_mT6_P12ihipStream_tbENKUlT_T0_E_clISt17integral_constantIbLb1EESW_EEDaSR_SS_EUlSR_E_NS1_11comp_targetILNS1_3genE9ELNS1_11target_archE1100ELNS1_3gpuE3ELNS1_3repE0EEENS1_30default_config_static_selectorELNS0_4arch9wavefront6targetE1EEEvT1_,comdat
	.globl	_ZN7rocprim17ROCPRIM_400000_NS6detail17trampoline_kernelINS0_14default_configENS1_20scan_config_selectorIdEEZZNS1_9scan_implILNS1_25lookback_scan_determinismE0ELb0ELb0ES3_PKdPddZZZN2at6native31launch_logcumsumexp_cuda_kernelERKNSB_10TensorBaseESF_lENKUlvE_clEvENKUlvE_clEvEUlddE_dEEDaPvRmT3_T4_T5_mT6_P12ihipStream_tbENKUlT_T0_E_clISt17integral_constantIbLb1EESW_EEDaSR_SS_EUlSR_E_NS1_11comp_targetILNS1_3genE9ELNS1_11target_archE1100ELNS1_3gpuE3ELNS1_3repE0EEENS1_30default_config_static_selectorELNS0_4arch9wavefront6targetE1EEEvT1_ ; -- Begin function _ZN7rocprim17ROCPRIM_400000_NS6detail17trampoline_kernelINS0_14default_configENS1_20scan_config_selectorIdEEZZNS1_9scan_implILNS1_25lookback_scan_determinismE0ELb0ELb0ES3_PKdPddZZZN2at6native31launch_logcumsumexp_cuda_kernelERKNSB_10TensorBaseESF_lENKUlvE_clEvENKUlvE_clEvEUlddE_dEEDaPvRmT3_T4_T5_mT6_P12ihipStream_tbENKUlT_T0_E_clISt17integral_constantIbLb1EESW_EEDaSR_SS_EUlSR_E_NS1_11comp_targetILNS1_3genE9ELNS1_11target_archE1100ELNS1_3gpuE3ELNS1_3repE0EEENS1_30default_config_static_selectorELNS0_4arch9wavefront6targetE1EEEvT1_
	.p2align	8
	.type	_ZN7rocprim17ROCPRIM_400000_NS6detail17trampoline_kernelINS0_14default_configENS1_20scan_config_selectorIdEEZZNS1_9scan_implILNS1_25lookback_scan_determinismE0ELb0ELb0ES3_PKdPddZZZN2at6native31launch_logcumsumexp_cuda_kernelERKNSB_10TensorBaseESF_lENKUlvE_clEvENKUlvE_clEvEUlddE_dEEDaPvRmT3_T4_T5_mT6_P12ihipStream_tbENKUlT_T0_E_clISt17integral_constantIbLb1EESW_EEDaSR_SS_EUlSR_E_NS1_11comp_targetILNS1_3genE9ELNS1_11target_archE1100ELNS1_3gpuE3ELNS1_3repE0EEENS1_30default_config_static_selectorELNS0_4arch9wavefront6targetE1EEEvT1_,@function
_ZN7rocprim17ROCPRIM_400000_NS6detail17trampoline_kernelINS0_14default_configENS1_20scan_config_selectorIdEEZZNS1_9scan_implILNS1_25lookback_scan_determinismE0ELb0ELb0ES3_PKdPddZZZN2at6native31launch_logcumsumexp_cuda_kernelERKNSB_10TensorBaseESF_lENKUlvE_clEvENKUlvE_clEvEUlddE_dEEDaPvRmT3_T4_T5_mT6_P12ihipStream_tbENKUlT_T0_E_clISt17integral_constantIbLb1EESW_EEDaSR_SS_EUlSR_E_NS1_11comp_targetILNS1_3genE9ELNS1_11target_archE1100ELNS1_3gpuE3ELNS1_3repE0EEENS1_30default_config_static_selectorELNS0_4arch9wavefront6targetE1EEEvT1_: ; @_ZN7rocprim17ROCPRIM_400000_NS6detail17trampoline_kernelINS0_14default_configENS1_20scan_config_selectorIdEEZZNS1_9scan_implILNS1_25lookback_scan_determinismE0ELb0ELb0ES3_PKdPddZZZN2at6native31launch_logcumsumexp_cuda_kernelERKNSB_10TensorBaseESF_lENKUlvE_clEvENKUlvE_clEvEUlddE_dEEDaPvRmT3_T4_T5_mT6_P12ihipStream_tbENKUlT_T0_E_clISt17integral_constantIbLb1EESW_EEDaSR_SS_EUlSR_E_NS1_11comp_targetILNS1_3genE9ELNS1_11target_archE1100ELNS1_3gpuE3ELNS1_3repE0EEENS1_30default_config_static_selectorELNS0_4arch9wavefront6targetE1EEEvT1_
; %bb.0:
	.section	.rodata,"a",@progbits
	.p2align	6, 0x0
	.amdhsa_kernel _ZN7rocprim17ROCPRIM_400000_NS6detail17trampoline_kernelINS0_14default_configENS1_20scan_config_selectorIdEEZZNS1_9scan_implILNS1_25lookback_scan_determinismE0ELb0ELb0ES3_PKdPddZZZN2at6native31launch_logcumsumexp_cuda_kernelERKNSB_10TensorBaseESF_lENKUlvE_clEvENKUlvE_clEvEUlddE_dEEDaPvRmT3_T4_T5_mT6_P12ihipStream_tbENKUlT_T0_E_clISt17integral_constantIbLb1EESW_EEDaSR_SS_EUlSR_E_NS1_11comp_targetILNS1_3genE9ELNS1_11target_archE1100ELNS1_3gpuE3ELNS1_3repE0EEENS1_30default_config_static_selectorELNS0_4arch9wavefront6targetE1EEEvT1_
		.amdhsa_group_segment_fixed_size 0
		.amdhsa_private_segment_fixed_size 0
		.amdhsa_kernarg_size 104
		.amdhsa_user_sgpr_count 2
		.amdhsa_user_sgpr_dispatch_ptr 0
		.amdhsa_user_sgpr_queue_ptr 0
		.amdhsa_user_sgpr_kernarg_segment_ptr 1
		.amdhsa_user_sgpr_dispatch_id 0
		.amdhsa_user_sgpr_kernarg_preload_length 0
		.amdhsa_user_sgpr_kernarg_preload_offset 0
		.amdhsa_user_sgpr_private_segment_size 0
		.amdhsa_uses_dynamic_stack 0
		.amdhsa_enable_private_segment 0
		.amdhsa_system_sgpr_workgroup_id_x 1
		.amdhsa_system_sgpr_workgroup_id_y 0
		.amdhsa_system_sgpr_workgroup_id_z 0
		.amdhsa_system_sgpr_workgroup_info 0
		.amdhsa_system_vgpr_workitem_id 0
		.amdhsa_next_free_vgpr 1
		.amdhsa_next_free_sgpr 0
		.amdhsa_accum_offset 4
		.amdhsa_reserve_vcc 0
		.amdhsa_float_round_mode_32 0
		.amdhsa_float_round_mode_16_64 0
		.amdhsa_float_denorm_mode_32 3
		.amdhsa_float_denorm_mode_16_64 3
		.amdhsa_dx10_clamp 1
		.amdhsa_ieee_mode 1
		.amdhsa_fp16_overflow 0
		.amdhsa_tg_split 0
		.amdhsa_exception_fp_ieee_invalid_op 0
		.amdhsa_exception_fp_denorm_src 0
		.amdhsa_exception_fp_ieee_div_zero 0
		.amdhsa_exception_fp_ieee_overflow 0
		.amdhsa_exception_fp_ieee_underflow 0
		.amdhsa_exception_fp_ieee_inexact 0
		.amdhsa_exception_int_div_zero 0
	.end_amdhsa_kernel
	.section	.text._ZN7rocprim17ROCPRIM_400000_NS6detail17trampoline_kernelINS0_14default_configENS1_20scan_config_selectorIdEEZZNS1_9scan_implILNS1_25lookback_scan_determinismE0ELb0ELb0ES3_PKdPddZZZN2at6native31launch_logcumsumexp_cuda_kernelERKNSB_10TensorBaseESF_lENKUlvE_clEvENKUlvE_clEvEUlddE_dEEDaPvRmT3_T4_T5_mT6_P12ihipStream_tbENKUlT_T0_E_clISt17integral_constantIbLb1EESW_EEDaSR_SS_EUlSR_E_NS1_11comp_targetILNS1_3genE9ELNS1_11target_archE1100ELNS1_3gpuE3ELNS1_3repE0EEENS1_30default_config_static_selectorELNS0_4arch9wavefront6targetE1EEEvT1_,"axG",@progbits,_ZN7rocprim17ROCPRIM_400000_NS6detail17trampoline_kernelINS0_14default_configENS1_20scan_config_selectorIdEEZZNS1_9scan_implILNS1_25lookback_scan_determinismE0ELb0ELb0ES3_PKdPddZZZN2at6native31launch_logcumsumexp_cuda_kernelERKNSB_10TensorBaseESF_lENKUlvE_clEvENKUlvE_clEvEUlddE_dEEDaPvRmT3_T4_T5_mT6_P12ihipStream_tbENKUlT_T0_E_clISt17integral_constantIbLb1EESW_EEDaSR_SS_EUlSR_E_NS1_11comp_targetILNS1_3genE9ELNS1_11target_archE1100ELNS1_3gpuE3ELNS1_3repE0EEENS1_30default_config_static_selectorELNS0_4arch9wavefront6targetE1EEEvT1_,comdat
.Lfunc_end37:
	.size	_ZN7rocprim17ROCPRIM_400000_NS6detail17trampoline_kernelINS0_14default_configENS1_20scan_config_selectorIdEEZZNS1_9scan_implILNS1_25lookback_scan_determinismE0ELb0ELb0ES3_PKdPddZZZN2at6native31launch_logcumsumexp_cuda_kernelERKNSB_10TensorBaseESF_lENKUlvE_clEvENKUlvE_clEvEUlddE_dEEDaPvRmT3_T4_T5_mT6_P12ihipStream_tbENKUlT_T0_E_clISt17integral_constantIbLb1EESW_EEDaSR_SS_EUlSR_E_NS1_11comp_targetILNS1_3genE9ELNS1_11target_archE1100ELNS1_3gpuE3ELNS1_3repE0EEENS1_30default_config_static_selectorELNS0_4arch9wavefront6targetE1EEEvT1_, .Lfunc_end37-_ZN7rocprim17ROCPRIM_400000_NS6detail17trampoline_kernelINS0_14default_configENS1_20scan_config_selectorIdEEZZNS1_9scan_implILNS1_25lookback_scan_determinismE0ELb0ELb0ES3_PKdPddZZZN2at6native31launch_logcumsumexp_cuda_kernelERKNSB_10TensorBaseESF_lENKUlvE_clEvENKUlvE_clEvEUlddE_dEEDaPvRmT3_T4_T5_mT6_P12ihipStream_tbENKUlT_T0_E_clISt17integral_constantIbLb1EESW_EEDaSR_SS_EUlSR_E_NS1_11comp_targetILNS1_3genE9ELNS1_11target_archE1100ELNS1_3gpuE3ELNS1_3repE0EEENS1_30default_config_static_selectorELNS0_4arch9wavefront6targetE1EEEvT1_
                                        ; -- End function
	.section	.AMDGPU.csdata,"",@progbits
; Kernel info:
; codeLenInByte = 0
; NumSgprs: 6
; NumVgprs: 0
; NumAgprs: 0
; TotalNumVgprs: 0
; ScratchSize: 0
; MemoryBound: 0
; FloatMode: 240
; IeeeMode: 1
; LDSByteSize: 0 bytes/workgroup (compile time only)
; SGPRBlocks: 0
; VGPRBlocks: 0
; NumSGPRsForWavesPerEU: 6
; NumVGPRsForWavesPerEU: 1
; AccumOffset: 4
; Occupancy: 8
; WaveLimiterHint : 0
; COMPUTE_PGM_RSRC2:SCRATCH_EN: 0
; COMPUTE_PGM_RSRC2:USER_SGPR: 2
; COMPUTE_PGM_RSRC2:TRAP_HANDLER: 0
; COMPUTE_PGM_RSRC2:TGID_X_EN: 1
; COMPUTE_PGM_RSRC2:TGID_Y_EN: 0
; COMPUTE_PGM_RSRC2:TGID_Z_EN: 0
; COMPUTE_PGM_RSRC2:TIDIG_COMP_CNT: 0
; COMPUTE_PGM_RSRC3_GFX90A:ACCUM_OFFSET: 0
; COMPUTE_PGM_RSRC3_GFX90A:TG_SPLIT: 0
	.section	.text._ZN7rocprim17ROCPRIM_400000_NS6detail17trampoline_kernelINS0_14default_configENS1_20scan_config_selectorIdEEZZNS1_9scan_implILNS1_25lookback_scan_determinismE0ELb0ELb0ES3_PKdPddZZZN2at6native31launch_logcumsumexp_cuda_kernelERKNSB_10TensorBaseESF_lENKUlvE_clEvENKUlvE_clEvEUlddE_dEEDaPvRmT3_T4_T5_mT6_P12ihipStream_tbENKUlT_T0_E_clISt17integral_constantIbLb1EESW_EEDaSR_SS_EUlSR_E_NS1_11comp_targetILNS1_3genE8ELNS1_11target_archE1030ELNS1_3gpuE2ELNS1_3repE0EEENS1_30default_config_static_selectorELNS0_4arch9wavefront6targetE1EEEvT1_,"axG",@progbits,_ZN7rocprim17ROCPRIM_400000_NS6detail17trampoline_kernelINS0_14default_configENS1_20scan_config_selectorIdEEZZNS1_9scan_implILNS1_25lookback_scan_determinismE0ELb0ELb0ES3_PKdPddZZZN2at6native31launch_logcumsumexp_cuda_kernelERKNSB_10TensorBaseESF_lENKUlvE_clEvENKUlvE_clEvEUlddE_dEEDaPvRmT3_T4_T5_mT6_P12ihipStream_tbENKUlT_T0_E_clISt17integral_constantIbLb1EESW_EEDaSR_SS_EUlSR_E_NS1_11comp_targetILNS1_3genE8ELNS1_11target_archE1030ELNS1_3gpuE2ELNS1_3repE0EEENS1_30default_config_static_selectorELNS0_4arch9wavefront6targetE1EEEvT1_,comdat
	.globl	_ZN7rocprim17ROCPRIM_400000_NS6detail17trampoline_kernelINS0_14default_configENS1_20scan_config_selectorIdEEZZNS1_9scan_implILNS1_25lookback_scan_determinismE0ELb0ELb0ES3_PKdPddZZZN2at6native31launch_logcumsumexp_cuda_kernelERKNSB_10TensorBaseESF_lENKUlvE_clEvENKUlvE_clEvEUlddE_dEEDaPvRmT3_T4_T5_mT6_P12ihipStream_tbENKUlT_T0_E_clISt17integral_constantIbLb1EESW_EEDaSR_SS_EUlSR_E_NS1_11comp_targetILNS1_3genE8ELNS1_11target_archE1030ELNS1_3gpuE2ELNS1_3repE0EEENS1_30default_config_static_selectorELNS0_4arch9wavefront6targetE1EEEvT1_ ; -- Begin function _ZN7rocprim17ROCPRIM_400000_NS6detail17trampoline_kernelINS0_14default_configENS1_20scan_config_selectorIdEEZZNS1_9scan_implILNS1_25lookback_scan_determinismE0ELb0ELb0ES3_PKdPddZZZN2at6native31launch_logcumsumexp_cuda_kernelERKNSB_10TensorBaseESF_lENKUlvE_clEvENKUlvE_clEvEUlddE_dEEDaPvRmT3_T4_T5_mT6_P12ihipStream_tbENKUlT_T0_E_clISt17integral_constantIbLb1EESW_EEDaSR_SS_EUlSR_E_NS1_11comp_targetILNS1_3genE8ELNS1_11target_archE1030ELNS1_3gpuE2ELNS1_3repE0EEENS1_30default_config_static_selectorELNS0_4arch9wavefront6targetE1EEEvT1_
	.p2align	8
	.type	_ZN7rocprim17ROCPRIM_400000_NS6detail17trampoline_kernelINS0_14default_configENS1_20scan_config_selectorIdEEZZNS1_9scan_implILNS1_25lookback_scan_determinismE0ELb0ELb0ES3_PKdPddZZZN2at6native31launch_logcumsumexp_cuda_kernelERKNSB_10TensorBaseESF_lENKUlvE_clEvENKUlvE_clEvEUlddE_dEEDaPvRmT3_T4_T5_mT6_P12ihipStream_tbENKUlT_T0_E_clISt17integral_constantIbLb1EESW_EEDaSR_SS_EUlSR_E_NS1_11comp_targetILNS1_3genE8ELNS1_11target_archE1030ELNS1_3gpuE2ELNS1_3repE0EEENS1_30default_config_static_selectorELNS0_4arch9wavefront6targetE1EEEvT1_,@function
_ZN7rocprim17ROCPRIM_400000_NS6detail17trampoline_kernelINS0_14default_configENS1_20scan_config_selectorIdEEZZNS1_9scan_implILNS1_25lookback_scan_determinismE0ELb0ELb0ES3_PKdPddZZZN2at6native31launch_logcumsumexp_cuda_kernelERKNSB_10TensorBaseESF_lENKUlvE_clEvENKUlvE_clEvEUlddE_dEEDaPvRmT3_T4_T5_mT6_P12ihipStream_tbENKUlT_T0_E_clISt17integral_constantIbLb1EESW_EEDaSR_SS_EUlSR_E_NS1_11comp_targetILNS1_3genE8ELNS1_11target_archE1030ELNS1_3gpuE2ELNS1_3repE0EEENS1_30default_config_static_selectorELNS0_4arch9wavefront6targetE1EEEvT1_: ; @_ZN7rocprim17ROCPRIM_400000_NS6detail17trampoline_kernelINS0_14default_configENS1_20scan_config_selectorIdEEZZNS1_9scan_implILNS1_25lookback_scan_determinismE0ELb0ELb0ES3_PKdPddZZZN2at6native31launch_logcumsumexp_cuda_kernelERKNSB_10TensorBaseESF_lENKUlvE_clEvENKUlvE_clEvEUlddE_dEEDaPvRmT3_T4_T5_mT6_P12ihipStream_tbENKUlT_T0_E_clISt17integral_constantIbLb1EESW_EEDaSR_SS_EUlSR_E_NS1_11comp_targetILNS1_3genE8ELNS1_11target_archE1030ELNS1_3gpuE2ELNS1_3repE0EEENS1_30default_config_static_selectorELNS0_4arch9wavefront6targetE1EEEvT1_
; %bb.0:
	.section	.rodata,"a",@progbits
	.p2align	6, 0x0
	.amdhsa_kernel _ZN7rocprim17ROCPRIM_400000_NS6detail17trampoline_kernelINS0_14default_configENS1_20scan_config_selectorIdEEZZNS1_9scan_implILNS1_25lookback_scan_determinismE0ELb0ELb0ES3_PKdPddZZZN2at6native31launch_logcumsumexp_cuda_kernelERKNSB_10TensorBaseESF_lENKUlvE_clEvENKUlvE_clEvEUlddE_dEEDaPvRmT3_T4_T5_mT6_P12ihipStream_tbENKUlT_T0_E_clISt17integral_constantIbLb1EESW_EEDaSR_SS_EUlSR_E_NS1_11comp_targetILNS1_3genE8ELNS1_11target_archE1030ELNS1_3gpuE2ELNS1_3repE0EEENS1_30default_config_static_selectorELNS0_4arch9wavefront6targetE1EEEvT1_
		.amdhsa_group_segment_fixed_size 0
		.amdhsa_private_segment_fixed_size 0
		.amdhsa_kernarg_size 104
		.amdhsa_user_sgpr_count 2
		.amdhsa_user_sgpr_dispatch_ptr 0
		.amdhsa_user_sgpr_queue_ptr 0
		.amdhsa_user_sgpr_kernarg_segment_ptr 1
		.amdhsa_user_sgpr_dispatch_id 0
		.amdhsa_user_sgpr_kernarg_preload_length 0
		.amdhsa_user_sgpr_kernarg_preload_offset 0
		.amdhsa_user_sgpr_private_segment_size 0
		.amdhsa_uses_dynamic_stack 0
		.amdhsa_enable_private_segment 0
		.amdhsa_system_sgpr_workgroup_id_x 1
		.amdhsa_system_sgpr_workgroup_id_y 0
		.amdhsa_system_sgpr_workgroup_id_z 0
		.amdhsa_system_sgpr_workgroup_info 0
		.amdhsa_system_vgpr_workitem_id 0
		.amdhsa_next_free_vgpr 1
		.amdhsa_next_free_sgpr 0
		.amdhsa_accum_offset 4
		.amdhsa_reserve_vcc 0
		.amdhsa_float_round_mode_32 0
		.amdhsa_float_round_mode_16_64 0
		.amdhsa_float_denorm_mode_32 3
		.amdhsa_float_denorm_mode_16_64 3
		.amdhsa_dx10_clamp 1
		.amdhsa_ieee_mode 1
		.amdhsa_fp16_overflow 0
		.amdhsa_tg_split 0
		.amdhsa_exception_fp_ieee_invalid_op 0
		.amdhsa_exception_fp_denorm_src 0
		.amdhsa_exception_fp_ieee_div_zero 0
		.amdhsa_exception_fp_ieee_overflow 0
		.amdhsa_exception_fp_ieee_underflow 0
		.amdhsa_exception_fp_ieee_inexact 0
		.amdhsa_exception_int_div_zero 0
	.end_amdhsa_kernel
	.section	.text._ZN7rocprim17ROCPRIM_400000_NS6detail17trampoline_kernelINS0_14default_configENS1_20scan_config_selectorIdEEZZNS1_9scan_implILNS1_25lookback_scan_determinismE0ELb0ELb0ES3_PKdPddZZZN2at6native31launch_logcumsumexp_cuda_kernelERKNSB_10TensorBaseESF_lENKUlvE_clEvENKUlvE_clEvEUlddE_dEEDaPvRmT3_T4_T5_mT6_P12ihipStream_tbENKUlT_T0_E_clISt17integral_constantIbLb1EESW_EEDaSR_SS_EUlSR_E_NS1_11comp_targetILNS1_3genE8ELNS1_11target_archE1030ELNS1_3gpuE2ELNS1_3repE0EEENS1_30default_config_static_selectorELNS0_4arch9wavefront6targetE1EEEvT1_,"axG",@progbits,_ZN7rocprim17ROCPRIM_400000_NS6detail17trampoline_kernelINS0_14default_configENS1_20scan_config_selectorIdEEZZNS1_9scan_implILNS1_25lookback_scan_determinismE0ELb0ELb0ES3_PKdPddZZZN2at6native31launch_logcumsumexp_cuda_kernelERKNSB_10TensorBaseESF_lENKUlvE_clEvENKUlvE_clEvEUlddE_dEEDaPvRmT3_T4_T5_mT6_P12ihipStream_tbENKUlT_T0_E_clISt17integral_constantIbLb1EESW_EEDaSR_SS_EUlSR_E_NS1_11comp_targetILNS1_3genE8ELNS1_11target_archE1030ELNS1_3gpuE2ELNS1_3repE0EEENS1_30default_config_static_selectorELNS0_4arch9wavefront6targetE1EEEvT1_,comdat
.Lfunc_end38:
	.size	_ZN7rocprim17ROCPRIM_400000_NS6detail17trampoline_kernelINS0_14default_configENS1_20scan_config_selectorIdEEZZNS1_9scan_implILNS1_25lookback_scan_determinismE0ELb0ELb0ES3_PKdPddZZZN2at6native31launch_logcumsumexp_cuda_kernelERKNSB_10TensorBaseESF_lENKUlvE_clEvENKUlvE_clEvEUlddE_dEEDaPvRmT3_T4_T5_mT6_P12ihipStream_tbENKUlT_T0_E_clISt17integral_constantIbLb1EESW_EEDaSR_SS_EUlSR_E_NS1_11comp_targetILNS1_3genE8ELNS1_11target_archE1030ELNS1_3gpuE2ELNS1_3repE0EEENS1_30default_config_static_selectorELNS0_4arch9wavefront6targetE1EEEvT1_, .Lfunc_end38-_ZN7rocprim17ROCPRIM_400000_NS6detail17trampoline_kernelINS0_14default_configENS1_20scan_config_selectorIdEEZZNS1_9scan_implILNS1_25lookback_scan_determinismE0ELb0ELb0ES3_PKdPddZZZN2at6native31launch_logcumsumexp_cuda_kernelERKNSB_10TensorBaseESF_lENKUlvE_clEvENKUlvE_clEvEUlddE_dEEDaPvRmT3_T4_T5_mT6_P12ihipStream_tbENKUlT_T0_E_clISt17integral_constantIbLb1EESW_EEDaSR_SS_EUlSR_E_NS1_11comp_targetILNS1_3genE8ELNS1_11target_archE1030ELNS1_3gpuE2ELNS1_3repE0EEENS1_30default_config_static_selectorELNS0_4arch9wavefront6targetE1EEEvT1_
                                        ; -- End function
	.section	.AMDGPU.csdata,"",@progbits
; Kernel info:
; codeLenInByte = 0
; NumSgprs: 6
; NumVgprs: 0
; NumAgprs: 0
; TotalNumVgprs: 0
; ScratchSize: 0
; MemoryBound: 0
; FloatMode: 240
; IeeeMode: 1
; LDSByteSize: 0 bytes/workgroup (compile time only)
; SGPRBlocks: 0
; VGPRBlocks: 0
; NumSGPRsForWavesPerEU: 6
; NumVGPRsForWavesPerEU: 1
; AccumOffset: 4
; Occupancy: 8
; WaveLimiterHint : 0
; COMPUTE_PGM_RSRC2:SCRATCH_EN: 0
; COMPUTE_PGM_RSRC2:USER_SGPR: 2
; COMPUTE_PGM_RSRC2:TRAP_HANDLER: 0
; COMPUTE_PGM_RSRC2:TGID_X_EN: 1
; COMPUTE_PGM_RSRC2:TGID_Y_EN: 0
; COMPUTE_PGM_RSRC2:TGID_Z_EN: 0
; COMPUTE_PGM_RSRC2:TIDIG_COMP_CNT: 0
; COMPUTE_PGM_RSRC3_GFX90A:ACCUM_OFFSET: 0
; COMPUTE_PGM_RSRC3_GFX90A:TG_SPLIT: 0
	.section	.text._ZN7rocprim17ROCPRIM_400000_NS6detail17trampoline_kernelINS0_14default_configENS1_20scan_config_selectorIdEEZZNS1_9scan_implILNS1_25lookback_scan_determinismE0ELb0ELb0ES3_PKdPddZZZN2at6native31launch_logcumsumexp_cuda_kernelERKNSB_10TensorBaseESF_lENKUlvE_clEvENKUlvE_clEvEUlddE_dEEDaPvRmT3_T4_T5_mT6_P12ihipStream_tbENKUlT_T0_E_clISt17integral_constantIbLb1EESW_EEDaSR_SS_EUlSR_E0_NS1_11comp_targetILNS1_3genE0ELNS1_11target_archE4294967295ELNS1_3gpuE0ELNS1_3repE0EEENS1_30default_config_static_selectorELNS0_4arch9wavefront6targetE1EEEvT1_,"axG",@progbits,_ZN7rocprim17ROCPRIM_400000_NS6detail17trampoline_kernelINS0_14default_configENS1_20scan_config_selectorIdEEZZNS1_9scan_implILNS1_25lookback_scan_determinismE0ELb0ELb0ES3_PKdPddZZZN2at6native31launch_logcumsumexp_cuda_kernelERKNSB_10TensorBaseESF_lENKUlvE_clEvENKUlvE_clEvEUlddE_dEEDaPvRmT3_T4_T5_mT6_P12ihipStream_tbENKUlT_T0_E_clISt17integral_constantIbLb1EESW_EEDaSR_SS_EUlSR_E0_NS1_11comp_targetILNS1_3genE0ELNS1_11target_archE4294967295ELNS1_3gpuE0ELNS1_3repE0EEENS1_30default_config_static_selectorELNS0_4arch9wavefront6targetE1EEEvT1_,comdat
	.globl	_ZN7rocprim17ROCPRIM_400000_NS6detail17trampoline_kernelINS0_14default_configENS1_20scan_config_selectorIdEEZZNS1_9scan_implILNS1_25lookback_scan_determinismE0ELb0ELb0ES3_PKdPddZZZN2at6native31launch_logcumsumexp_cuda_kernelERKNSB_10TensorBaseESF_lENKUlvE_clEvENKUlvE_clEvEUlddE_dEEDaPvRmT3_T4_T5_mT6_P12ihipStream_tbENKUlT_T0_E_clISt17integral_constantIbLb1EESW_EEDaSR_SS_EUlSR_E0_NS1_11comp_targetILNS1_3genE0ELNS1_11target_archE4294967295ELNS1_3gpuE0ELNS1_3repE0EEENS1_30default_config_static_selectorELNS0_4arch9wavefront6targetE1EEEvT1_ ; -- Begin function _ZN7rocprim17ROCPRIM_400000_NS6detail17trampoline_kernelINS0_14default_configENS1_20scan_config_selectorIdEEZZNS1_9scan_implILNS1_25lookback_scan_determinismE0ELb0ELb0ES3_PKdPddZZZN2at6native31launch_logcumsumexp_cuda_kernelERKNSB_10TensorBaseESF_lENKUlvE_clEvENKUlvE_clEvEUlddE_dEEDaPvRmT3_T4_T5_mT6_P12ihipStream_tbENKUlT_T0_E_clISt17integral_constantIbLb1EESW_EEDaSR_SS_EUlSR_E0_NS1_11comp_targetILNS1_3genE0ELNS1_11target_archE4294967295ELNS1_3gpuE0ELNS1_3repE0EEENS1_30default_config_static_selectorELNS0_4arch9wavefront6targetE1EEEvT1_
	.p2align	8
	.type	_ZN7rocprim17ROCPRIM_400000_NS6detail17trampoline_kernelINS0_14default_configENS1_20scan_config_selectorIdEEZZNS1_9scan_implILNS1_25lookback_scan_determinismE0ELb0ELb0ES3_PKdPddZZZN2at6native31launch_logcumsumexp_cuda_kernelERKNSB_10TensorBaseESF_lENKUlvE_clEvENKUlvE_clEvEUlddE_dEEDaPvRmT3_T4_T5_mT6_P12ihipStream_tbENKUlT_T0_E_clISt17integral_constantIbLb1EESW_EEDaSR_SS_EUlSR_E0_NS1_11comp_targetILNS1_3genE0ELNS1_11target_archE4294967295ELNS1_3gpuE0ELNS1_3repE0EEENS1_30default_config_static_selectorELNS0_4arch9wavefront6targetE1EEEvT1_,@function
_ZN7rocprim17ROCPRIM_400000_NS6detail17trampoline_kernelINS0_14default_configENS1_20scan_config_selectorIdEEZZNS1_9scan_implILNS1_25lookback_scan_determinismE0ELb0ELb0ES3_PKdPddZZZN2at6native31launch_logcumsumexp_cuda_kernelERKNSB_10TensorBaseESF_lENKUlvE_clEvENKUlvE_clEvEUlddE_dEEDaPvRmT3_T4_T5_mT6_P12ihipStream_tbENKUlT_T0_E_clISt17integral_constantIbLb1EESW_EEDaSR_SS_EUlSR_E0_NS1_11comp_targetILNS1_3genE0ELNS1_11target_archE4294967295ELNS1_3gpuE0ELNS1_3repE0EEENS1_30default_config_static_selectorELNS0_4arch9wavefront6targetE1EEEvT1_: ; @_ZN7rocprim17ROCPRIM_400000_NS6detail17trampoline_kernelINS0_14default_configENS1_20scan_config_selectorIdEEZZNS1_9scan_implILNS1_25lookback_scan_determinismE0ELb0ELb0ES3_PKdPddZZZN2at6native31launch_logcumsumexp_cuda_kernelERKNSB_10TensorBaseESF_lENKUlvE_clEvENKUlvE_clEvEUlddE_dEEDaPvRmT3_T4_T5_mT6_P12ihipStream_tbENKUlT_T0_E_clISt17integral_constantIbLb1EESW_EEDaSR_SS_EUlSR_E0_NS1_11comp_targetILNS1_3genE0ELNS1_11target_archE4294967295ELNS1_3gpuE0ELNS1_3repE0EEENS1_30default_config_static_selectorELNS0_4arch9wavefront6targetE1EEEvT1_
; %bb.0:
	.section	.rodata,"a",@progbits
	.p2align	6, 0x0
	.amdhsa_kernel _ZN7rocprim17ROCPRIM_400000_NS6detail17trampoline_kernelINS0_14default_configENS1_20scan_config_selectorIdEEZZNS1_9scan_implILNS1_25lookback_scan_determinismE0ELb0ELb0ES3_PKdPddZZZN2at6native31launch_logcumsumexp_cuda_kernelERKNSB_10TensorBaseESF_lENKUlvE_clEvENKUlvE_clEvEUlddE_dEEDaPvRmT3_T4_T5_mT6_P12ihipStream_tbENKUlT_T0_E_clISt17integral_constantIbLb1EESW_EEDaSR_SS_EUlSR_E0_NS1_11comp_targetILNS1_3genE0ELNS1_11target_archE4294967295ELNS1_3gpuE0ELNS1_3repE0EEENS1_30default_config_static_selectorELNS0_4arch9wavefront6targetE1EEEvT1_
		.amdhsa_group_segment_fixed_size 0
		.amdhsa_private_segment_fixed_size 0
		.amdhsa_kernarg_size 40
		.amdhsa_user_sgpr_count 2
		.amdhsa_user_sgpr_dispatch_ptr 0
		.amdhsa_user_sgpr_queue_ptr 0
		.amdhsa_user_sgpr_kernarg_segment_ptr 1
		.amdhsa_user_sgpr_dispatch_id 0
		.amdhsa_user_sgpr_kernarg_preload_length 0
		.amdhsa_user_sgpr_kernarg_preload_offset 0
		.amdhsa_user_sgpr_private_segment_size 0
		.amdhsa_uses_dynamic_stack 0
		.amdhsa_enable_private_segment 0
		.amdhsa_system_sgpr_workgroup_id_x 1
		.amdhsa_system_sgpr_workgroup_id_y 0
		.amdhsa_system_sgpr_workgroup_id_z 0
		.amdhsa_system_sgpr_workgroup_info 0
		.amdhsa_system_vgpr_workitem_id 0
		.amdhsa_next_free_vgpr 1
		.amdhsa_next_free_sgpr 0
		.amdhsa_accum_offset 4
		.amdhsa_reserve_vcc 0
		.amdhsa_float_round_mode_32 0
		.amdhsa_float_round_mode_16_64 0
		.amdhsa_float_denorm_mode_32 3
		.amdhsa_float_denorm_mode_16_64 3
		.amdhsa_dx10_clamp 1
		.amdhsa_ieee_mode 1
		.amdhsa_fp16_overflow 0
		.amdhsa_tg_split 0
		.amdhsa_exception_fp_ieee_invalid_op 0
		.amdhsa_exception_fp_denorm_src 0
		.amdhsa_exception_fp_ieee_div_zero 0
		.amdhsa_exception_fp_ieee_overflow 0
		.amdhsa_exception_fp_ieee_underflow 0
		.amdhsa_exception_fp_ieee_inexact 0
		.amdhsa_exception_int_div_zero 0
	.end_amdhsa_kernel
	.section	.text._ZN7rocprim17ROCPRIM_400000_NS6detail17trampoline_kernelINS0_14default_configENS1_20scan_config_selectorIdEEZZNS1_9scan_implILNS1_25lookback_scan_determinismE0ELb0ELb0ES3_PKdPddZZZN2at6native31launch_logcumsumexp_cuda_kernelERKNSB_10TensorBaseESF_lENKUlvE_clEvENKUlvE_clEvEUlddE_dEEDaPvRmT3_T4_T5_mT6_P12ihipStream_tbENKUlT_T0_E_clISt17integral_constantIbLb1EESW_EEDaSR_SS_EUlSR_E0_NS1_11comp_targetILNS1_3genE0ELNS1_11target_archE4294967295ELNS1_3gpuE0ELNS1_3repE0EEENS1_30default_config_static_selectorELNS0_4arch9wavefront6targetE1EEEvT1_,"axG",@progbits,_ZN7rocprim17ROCPRIM_400000_NS6detail17trampoline_kernelINS0_14default_configENS1_20scan_config_selectorIdEEZZNS1_9scan_implILNS1_25lookback_scan_determinismE0ELb0ELb0ES3_PKdPddZZZN2at6native31launch_logcumsumexp_cuda_kernelERKNSB_10TensorBaseESF_lENKUlvE_clEvENKUlvE_clEvEUlddE_dEEDaPvRmT3_T4_T5_mT6_P12ihipStream_tbENKUlT_T0_E_clISt17integral_constantIbLb1EESW_EEDaSR_SS_EUlSR_E0_NS1_11comp_targetILNS1_3genE0ELNS1_11target_archE4294967295ELNS1_3gpuE0ELNS1_3repE0EEENS1_30default_config_static_selectorELNS0_4arch9wavefront6targetE1EEEvT1_,comdat
.Lfunc_end39:
	.size	_ZN7rocprim17ROCPRIM_400000_NS6detail17trampoline_kernelINS0_14default_configENS1_20scan_config_selectorIdEEZZNS1_9scan_implILNS1_25lookback_scan_determinismE0ELb0ELb0ES3_PKdPddZZZN2at6native31launch_logcumsumexp_cuda_kernelERKNSB_10TensorBaseESF_lENKUlvE_clEvENKUlvE_clEvEUlddE_dEEDaPvRmT3_T4_T5_mT6_P12ihipStream_tbENKUlT_T0_E_clISt17integral_constantIbLb1EESW_EEDaSR_SS_EUlSR_E0_NS1_11comp_targetILNS1_3genE0ELNS1_11target_archE4294967295ELNS1_3gpuE0ELNS1_3repE0EEENS1_30default_config_static_selectorELNS0_4arch9wavefront6targetE1EEEvT1_, .Lfunc_end39-_ZN7rocprim17ROCPRIM_400000_NS6detail17trampoline_kernelINS0_14default_configENS1_20scan_config_selectorIdEEZZNS1_9scan_implILNS1_25lookback_scan_determinismE0ELb0ELb0ES3_PKdPddZZZN2at6native31launch_logcumsumexp_cuda_kernelERKNSB_10TensorBaseESF_lENKUlvE_clEvENKUlvE_clEvEUlddE_dEEDaPvRmT3_T4_T5_mT6_P12ihipStream_tbENKUlT_T0_E_clISt17integral_constantIbLb1EESW_EEDaSR_SS_EUlSR_E0_NS1_11comp_targetILNS1_3genE0ELNS1_11target_archE4294967295ELNS1_3gpuE0ELNS1_3repE0EEENS1_30default_config_static_selectorELNS0_4arch9wavefront6targetE1EEEvT1_
                                        ; -- End function
	.section	.AMDGPU.csdata,"",@progbits
; Kernel info:
; codeLenInByte = 0
; NumSgprs: 6
; NumVgprs: 0
; NumAgprs: 0
; TotalNumVgprs: 0
; ScratchSize: 0
; MemoryBound: 0
; FloatMode: 240
; IeeeMode: 1
; LDSByteSize: 0 bytes/workgroup (compile time only)
; SGPRBlocks: 0
; VGPRBlocks: 0
; NumSGPRsForWavesPerEU: 6
; NumVGPRsForWavesPerEU: 1
; AccumOffset: 4
; Occupancy: 8
; WaveLimiterHint : 0
; COMPUTE_PGM_RSRC2:SCRATCH_EN: 0
; COMPUTE_PGM_RSRC2:USER_SGPR: 2
; COMPUTE_PGM_RSRC2:TRAP_HANDLER: 0
; COMPUTE_PGM_RSRC2:TGID_X_EN: 1
; COMPUTE_PGM_RSRC2:TGID_Y_EN: 0
; COMPUTE_PGM_RSRC2:TGID_Z_EN: 0
; COMPUTE_PGM_RSRC2:TIDIG_COMP_CNT: 0
; COMPUTE_PGM_RSRC3_GFX90A:ACCUM_OFFSET: 0
; COMPUTE_PGM_RSRC3_GFX90A:TG_SPLIT: 0
	.section	.text._ZN7rocprim17ROCPRIM_400000_NS6detail17trampoline_kernelINS0_14default_configENS1_20scan_config_selectorIdEEZZNS1_9scan_implILNS1_25lookback_scan_determinismE0ELb0ELb0ES3_PKdPddZZZN2at6native31launch_logcumsumexp_cuda_kernelERKNSB_10TensorBaseESF_lENKUlvE_clEvENKUlvE_clEvEUlddE_dEEDaPvRmT3_T4_T5_mT6_P12ihipStream_tbENKUlT_T0_E_clISt17integral_constantIbLb1EESW_EEDaSR_SS_EUlSR_E0_NS1_11comp_targetILNS1_3genE5ELNS1_11target_archE942ELNS1_3gpuE9ELNS1_3repE0EEENS1_30default_config_static_selectorELNS0_4arch9wavefront6targetE1EEEvT1_,"axG",@progbits,_ZN7rocprim17ROCPRIM_400000_NS6detail17trampoline_kernelINS0_14default_configENS1_20scan_config_selectorIdEEZZNS1_9scan_implILNS1_25lookback_scan_determinismE0ELb0ELb0ES3_PKdPddZZZN2at6native31launch_logcumsumexp_cuda_kernelERKNSB_10TensorBaseESF_lENKUlvE_clEvENKUlvE_clEvEUlddE_dEEDaPvRmT3_T4_T5_mT6_P12ihipStream_tbENKUlT_T0_E_clISt17integral_constantIbLb1EESW_EEDaSR_SS_EUlSR_E0_NS1_11comp_targetILNS1_3genE5ELNS1_11target_archE942ELNS1_3gpuE9ELNS1_3repE0EEENS1_30default_config_static_selectorELNS0_4arch9wavefront6targetE1EEEvT1_,comdat
	.globl	_ZN7rocprim17ROCPRIM_400000_NS6detail17trampoline_kernelINS0_14default_configENS1_20scan_config_selectorIdEEZZNS1_9scan_implILNS1_25lookback_scan_determinismE0ELb0ELb0ES3_PKdPddZZZN2at6native31launch_logcumsumexp_cuda_kernelERKNSB_10TensorBaseESF_lENKUlvE_clEvENKUlvE_clEvEUlddE_dEEDaPvRmT3_T4_T5_mT6_P12ihipStream_tbENKUlT_T0_E_clISt17integral_constantIbLb1EESW_EEDaSR_SS_EUlSR_E0_NS1_11comp_targetILNS1_3genE5ELNS1_11target_archE942ELNS1_3gpuE9ELNS1_3repE0EEENS1_30default_config_static_selectorELNS0_4arch9wavefront6targetE1EEEvT1_ ; -- Begin function _ZN7rocprim17ROCPRIM_400000_NS6detail17trampoline_kernelINS0_14default_configENS1_20scan_config_selectorIdEEZZNS1_9scan_implILNS1_25lookback_scan_determinismE0ELb0ELb0ES3_PKdPddZZZN2at6native31launch_logcumsumexp_cuda_kernelERKNSB_10TensorBaseESF_lENKUlvE_clEvENKUlvE_clEvEUlddE_dEEDaPvRmT3_T4_T5_mT6_P12ihipStream_tbENKUlT_T0_E_clISt17integral_constantIbLb1EESW_EEDaSR_SS_EUlSR_E0_NS1_11comp_targetILNS1_3genE5ELNS1_11target_archE942ELNS1_3gpuE9ELNS1_3repE0EEENS1_30default_config_static_selectorELNS0_4arch9wavefront6targetE1EEEvT1_
	.p2align	8
	.type	_ZN7rocprim17ROCPRIM_400000_NS6detail17trampoline_kernelINS0_14default_configENS1_20scan_config_selectorIdEEZZNS1_9scan_implILNS1_25lookback_scan_determinismE0ELb0ELb0ES3_PKdPddZZZN2at6native31launch_logcumsumexp_cuda_kernelERKNSB_10TensorBaseESF_lENKUlvE_clEvENKUlvE_clEvEUlddE_dEEDaPvRmT3_T4_T5_mT6_P12ihipStream_tbENKUlT_T0_E_clISt17integral_constantIbLb1EESW_EEDaSR_SS_EUlSR_E0_NS1_11comp_targetILNS1_3genE5ELNS1_11target_archE942ELNS1_3gpuE9ELNS1_3repE0EEENS1_30default_config_static_selectorELNS0_4arch9wavefront6targetE1EEEvT1_,@function
_ZN7rocprim17ROCPRIM_400000_NS6detail17trampoline_kernelINS0_14default_configENS1_20scan_config_selectorIdEEZZNS1_9scan_implILNS1_25lookback_scan_determinismE0ELb0ELb0ES3_PKdPddZZZN2at6native31launch_logcumsumexp_cuda_kernelERKNSB_10TensorBaseESF_lENKUlvE_clEvENKUlvE_clEvEUlddE_dEEDaPvRmT3_T4_T5_mT6_P12ihipStream_tbENKUlT_T0_E_clISt17integral_constantIbLb1EESW_EEDaSR_SS_EUlSR_E0_NS1_11comp_targetILNS1_3genE5ELNS1_11target_archE942ELNS1_3gpuE9ELNS1_3repE0EEENS1_30default_config_static_selectorELNS0_4arch9wavefront6targetE1EEEvT1_: ; @_ZN7rocprim17ROCPRIM_400000_NS6detail17trampoline_kernelINS0_14default_configENS1_20scan_config_selectorIdEEZZNS1_9scan_implILNS1_25lookback_scan_determinismE0ELb0ELb0ES3_PKdPddZZZN2at6native31launch_logcumsumexp_cuda_kernelERKNSB_10TensorBaseESF_lENKUlvE_clEvENKUlvE_clEvEUlddE_dEEDaPvRmT3_T4_T5_mT6_P12ihipStream_tbENKUlT_T0_E_clISt17integral_constantIbLb1EESW_EEDaSR_SS_EUlSR_E0_NS1_11comp_targetILNS1_3genE5ELNS1_11target_archE942ELNS1_3gpuE9ELNS1_3repE0EEENS1_30default_config_static_selectorELNS0_4arch9wavefront6targetE1EEEvT1_
; %bb.0:
	s_load_dwordx4 s[28:31], s[0:1], 0x0
	v_lshlrev_b32_e32 v34, 3, v0
	s_waitcnt lgkmcnt(0)
	s_load_dwordx2 s[34:35], s[28:29], 0x0
	v_cmp_gt_u32_e32 vcc, s30, v0
	s_waitcnt lgkmcnt(0)
	v_mov_b64_e32 v[2:3], s[34:35]
	s_and_saveexec_b64 s[2:3], vcc
	s_cbranch_execz .LBB40_2
; %bb.1:
	global_load_dwordx2 v[2:3], v34, s[28:29]
.LBB40_2:
	s_or_b64 exec, exec, s[2:3]
	v_or_b32_e32 v1, 0x100, v0
	v_cmp_gt_u32_e64 s[58:59], s30, v1
	v_mov_b64_e32 v[4:5], s[34:35]
	s_and_saveexec_b64 s[2:3], s[58:59]
	s_cbranch_execz .LBB40_4
; %bb.3:
	global_load_dwordx2 v[4:5], v34, s[28:29] offset:2048
.LBB40_4:
	s_or_b64 exec, exec, s[2:3]
	v_or_b32_e32 v1, 0x200, v0
	v_cmp_gt_u32_e64 s[2:3], s30, v1
	v_mov_b64_e32 v[6:7], s[34:35]
	s_and_saveexec_b64 s[4:5], s[2:3]
	s_cbranch_execz .LBB40_6
; %bb.5:
	v_lshlrev_b32_e32 v1, 3, v1
	global_load_dwordx2 v[6:7], v1, s[28:29]
.LBB40_6:
	s_or_b64 exec, exec, s[4:5]
	v_or_b32_e32 v1, 0x300, v0
	v_cmp_gt_u32_e64 s[4:5], s30, v1
	v_mov_b64_e32 v[8:9], s[34:35]
	s_and_saveexec_b64 s[6:7], s[4:5]
	s_cbranch_execz .LBB40_8
; %bb.7:
	v_lshlrev_b32_e32 v1, 3, v1
	global_load_dwordx2 v[8:9], v1, s[28:29]
.LBB40_8:
	;; [unrolled: 10-line block ×13, first 2 shown]
	s_or_b64 exec, exec, s[30:31]
	s_movk_i32 s28, 0x70
	v_mad_u32_u24 v1, v0, s28, v34
	s_waitcnt vmcnt(0)
	ds_write2st64_b64 v34, v[2:3], v[4:5] offset1:4
	ds_write2st64_b64 v34, v[6:7], v[8:9] offset0:8 offset1:12
	ds_write2st64_b64 v34, v[10:11], v[12:13] offset0:16 offset1:20
	;; [unrolled: 1-line block ×6, first 2 shown]
	ds_write_b64 v34, v[30:31] offset:28672
	s_waitcnt lgkmcnt(0)
	s_barrier
	ds_read2_b64 v[2:5], v1 offset1:1
	ds_read2_b64 v[26:29], v1 offset0:2 offset1:3
	ds_read2_b64 v[22:25], v1 offset0:4 offset1:5
	;; [unrolled: 1-line block ×6, first 2 shown]
	ds_read_b64 v[36:37], v1 offset:112
	s_waitcnt lgkmcnt(7)
	v_max_f64 v[42:43], v[4:5], v[4:5]
	v_max_f64 v[68:69], v[2:3], v[2:3]
	v_min_f64 v[66:67], v[68:69], v[42:43]
	v_cmp_u_f64_e64 s[60:61], v[2:3], v[2:3]
	v_cmp_u_f64_e64 s[28:29], v[4:5], v[4:5]
	v_max_f64 v[70:71], v[68:69], v[42:43]
	v_cndmask_b32_e64 v1, v66, v2, s[60:61]
	v_cndmask_b32_e64 v30, v67, v3, s[60:61]
	;; [unrolled: 1-line block ×8, first 2 shown]
	s_movk_i32 s33, 0x1f8
	v_cmp_neq_f64_e64 s[30:31], v[32:33], v[30:31]
	v_cmp_class_f64_e64 s[34:35], v[32:33], s33
	s_or_b64 s[30:31], s[30:31], s[34:35]
	v_mov_b64_e32 v[72:73], v[2:3]
	s_waitcnt lgkmcnt(0)
	s_barrier
	s_and_saveexec_b64 s[36:37], s[30:31]
	s_cbranch_execz .LBB40_32
; %bb.31:
	s_mov_b32 s30, 0x652b82fe
	v_add_f64 v[32:33], v[32:33], -v[30:31]
	s_mov_b32 s31, 0x3ff71547
	v_mul_f64 v[38:39], v[32:33], s[30:31]
	v_rndne_f64_e32 v[38:39], v[38:39]
	s_mov_b32 s39, 0xbfe62e42
	s_mov_b32 s38, 0xfefa39ef
	v_fma_f64 v[40:41], s[38:39], v[38:39], v[32:33]
	s_mov_b32 s41, 0xbc7abc9e
	s_mov_b32 s40, 0x3b39803f
	s_mov_b32 s30, 0x6a5dcb37
	v_fmac_f64_e32 v[40:41], s[40:41], v[38:39]
	v_mov_b32_e32 v44, 0xfca7ab0c
	v_mov_b32_e32 v45, 0x3e928af3
	s_mov_b32 s31, 0x3e5ade15
	v_fmac_f64_e32 v[44:45], s[30:31], v[40:41]
	v_mov_b32_e32 v46, 0x623fde64
	v_mov_b32_e32 v47, 0x3ec71dee
	v_fmac_f64_e32 v[46:47], v[40:41], v[44:45]
	v_mov_b32_e32 v44, 0x7c89e6b0
	v_mov_b32_e32 v45, 0x3efa0199
	v_fmac_f64_e32 v[44:45], v[40:41], v[46:47]
	v_mov_b32_e32 v46, 0x14761f6e
	v_mov_b32_e32 v47, 0x3f2a01a0
	v_fmac_f64_e32 v[46:47], v[40:41], v[44:45]
	v_mov_b32_e32 v44, 0x1852b7b0
	v_mov_b32_e32 v45, 0x3f56c16c
	v_fmac_f64_e32 v[44:45], v[40:41], v[46:47]
	v_mov_b32_e32 v46, 0x11122322
	v_mov_b32_e32 v47, 0x3f811111
	v_fmac_f64_e32 v[46:47], v[40:41], v[44:45]
	v_mov_b32_e32 v44, 0x555502a1
	v_mov_b32_e32 v45, 0x3fa55555
	v_fmac_f64_e32 v[44:45], v[40:41], v[46:47]
	v_mov_b32_e32 v46, 0x55555511
	v_mov_b32_e32 v47, 0x3fc55555
	v_fmac_f64_e32 v[46:47], v[40:41], v[44:45]
	v_mov_b32_e32 v44, 11
	v_mov_b32_e32 v45, 0x3fe00000
	v_fmac_f64_e32 v[44:45], v[40:41], v[46:47]
	v_fma_f64 v[44:45], v[40:41], v[44:45], 1.0
	s_mov_b32 s30, 0
	s_mov_b32 s34, 0
	v_fma_f64 v[40:41], v[40:41], v[44:45], 1.0
	v_cvt_i32_f64_e32 v1, v[38:39]
	s_mov_b32 s31, 0x40900000
	s_mov_b32 s35, 0xc090cc00
	v_ldexp_f64 v[38:39], v[40:41], v1
	v_mov_b32_e32 v1, 0x7ff00000
	v_cmp_nlt_f64_e64 s[30:31], s[30:31], v[32:33]
	v_cmp_ngt_f64_e64 s[34:35], s[34:35], v[32:33]
	s_mov_b32 s39, 0x3fe62e42
	v_cndmask_b32_e64 v1, v1, v39, s[30:31]
	s_and_b64 s[30:31], s[34:35], s[30:31]
	v_cndmask_b32_e64 v33, 0, v1, s[34:35]
	v_cndmask_b32_e64 v32, 0, v38, s[30:31]
	v_add_f64 v[38:39], v[32:33], 1.0
	v_add_f64 v[40:41], v[38:39], -1.0
	v_add_f64 v[44:45], v[40:41], -v[38:39]
	v_add_f64 v[44:45], v[44:45], 1.0
	v_add_f64 v[40:41], v[32:33], -v[40:41]
	s_mov_b32 s30, 0x55555555
	v_add_f64 v[40:41], v[40:41], v[44:45]
	v_frexp_mant_f64_e32 v[44:45], v[38:39]
	s_mov_b32 s31, 0x3fe55555
	v_frexp_exp_i32_f64_e32 v1, v[38:39]
	v_cmp_gt_f64_e64 s[30:31], s[30:31], v[44:45]
	s_mov_b32 s41, 0x3c7abc9e
	s_nop 0
	v_subbrev_co_u32_e64 v1, s[30:31], 0, v1, s[30:31]
	v_sub_u32_e32 v35, 0, v1
	v_ldexp_f64 v[38:39], v[38:39], v35
	v_add_f64 v[44:45], v[38:39], -1.0
	v_add_f64 v[50:51], v[38:39], 1.0
	v_add_f64 v[46:47], v[44:45], 1.0
	v_add_f64 v[52:53], v[50:51], -1.0
	v_ldexp_f64 v[40:41], v[40:41], v35
	v_add_f64 v[46:47], v[38:39], -v[46:47]
	v_add_f64 v[38:39], v[38:39], -v[52:53]
	v_add_f64 v[38:39], v[40:41], v[38:39]
	v_add_f64 v[46:47], v[40:41], v[46:47]
	;; [unrolled: 1-line block ×3, first 2 shown]
	v_rcp_f64_e32 v[52:53], v[40:41]
	v_add_f64 v[48:49], v[44:45], v[46:47]
	v_add_f64 v[44:45], v[48:49], -v[44:45]
	v_add_f64 v[44:45], v[46:47], -v[44:45]
	;; [unrolled: 1-line block ×4, first 2 shown]
	v_fma_f64 v[46:47], -v[40:41], v[52:53], 1.0
	v_fmac_f64_e32 v[52:53], v[46:47], v[52:53]
	v_fma_f64 v[46:47], -v[40:41], v[52:53], 1.0
	v_fmac_f64_e32 v[52:53], v[46:47], v[52:53]
	v_mul_f64 v[46:47], v[48:49], v[52:53]
	v_mul_f64 v[50:51], v[40:41], v[46:47]
	v_fma_f64 v[54:55], v[46:47], v[40:41], -v[50:51]
	v_fmac_f64_e32 v[54:55], v[46:47], v[38:39]
	v_add_f64 v[56:57], v[50:51], v[54:55]
	v_add_f64 v[58:59], v[48:49], -v[56:57]
	v_add_f64 v[48:49], v[48:49], -v[58:59]
	;; [unrolled: 1-line block ×4, first 2 shown]
	v_add_f64 v[44:45], v[44:45], v[48:49]
	v_add_f64 v[48:49], v[50:51], -v[54:55]
	v_add_f64 v[44:45], v[48:49], v[44:45]
	v_add_f64 v[48:49], v[58:59], v[44:45]
	v_add_f64 v[50:51], v[58:59], -v[48:49]
	v_add_f64 v[44:45], v[44:45], v[50:51]
	v_mul_f64 v[50:51], v[52:53], v[48:49]
	v_mul_f64 v[54:55], v[40:41], v[50:51]
	v_fma_f64 v[40:41], v[50:51], v[40:41], -v[54:55]
	v_fmac_f64_e32 v[40:41], v[50:51], v[38:39]
	v_add_f64 v[38:39], v[54:55], v[40:41]
	v_add_f64 v[56:57], v[48:49], -v[38:39]
	v_add_f64 v[48:49], v[48:49], -v[56:57]
	;; [unrolled: 1-line block ×4, first 2 shown]
	v_add_f64 v[38:39], v[44:45], v[38:39]
	v_add_f64 v[40:41], v[54:55], -v[40:41]
	v_add_f64 v[38:39], v[40:41], v[38:39]
	v_add_f64 v[40:41], v[46:47], v[50:51]
	;; [unrolled: 1-line block ×3, first 2 shown]
	v_add_f64 v[44:45], v[40:41], -v[46:47]
	v_mul_f64 v[38:39], v[52:53], v[38:39]
	v_add_f64 v[44:45], v[50:51], -v[44:45]
	v_add_f64 v[38:39], v[44:45], v[38:39]
	v_add_f64 v[44:45], v[40:41], v[38:39]
	v_add_f64 v[40:41], v[44:45], -v[40:41]
	s_mov_b32 s30, 0xbf559e2b
	v_add_f64 v[38:39], v[38:39], -v[40:41]
	v_mul_f64 v[40:41], v[44:45], v[44:45]
	v_mov_b32_e32 v46, 0x6b47b09a
	v_mov_b32_e32 v47, 0x3fc38538
	s_mov_b32 s31, 0x3fc3ab76
	v_fmac_f64_e32 v[46:47], s[30:31], v[40:41]
	v_mov_b32_e32 v48, 0xd7f4df2e
	v_mov_b32_e32 v49, 0x3fc7474d
	v_fmac_f64_e32 v[48:49], v[40:41], v[46:47]
	v_mov_b32_e32 v46, 0x16291751
	v_mov_b32_e32 v47, 0x3fcc71c0
	;; [unrolled: 3-line block ×5, first 2 shown]
	v_fmac_f64_e32 v[48:49], v[40:41], v[46:47]
	v_cvt_f64_i32_e32 v[46:47], v1
	v_mul_f64 v[50:51], v[46:47], s[38:39]
	v_fma_f64 v[52:53], v[46:47], s[38:39], -v[50:51]
	v_fmac_f64_e32 v[52:53], s[40:41], v[46:47]
	v_add_f64 v[46:47], v[50:51], v[52:53]
	v_add_f64 v[50:51], v[46:47], -v[50:51]
	v_mul_f64 v[40:41], v[44:45], v[40:41]
	v_add_f64 v[50:51], v[52:53], -v[50:51]
	v_ldexp_f64 v[52:53], v[44:45], 1
	v_mul_f64 v[40:41], v[40:41], v[48:49]
	v_add_f64 v[44:45], v[52:53], v[40:41]
	v_add_f64 v[48:49], v[44:45], -v[52:53]
	v_ldexp_f64 v[38:39], v[38:39], 1
	v_add_f64 v[40:41], v[40:41], -v[48:49]
	v_add_f64 v[38:39], v[38:39], v[40:41]
	v_add_f64 v[40:41], v[44:45], v[38:39]
	v_add_f64 v[44:45], v[40:41], -v[44:45]
	v_add_f64 v[38:39], v[38:39], -v[44:45]
	v_add_f64 v[44:45], v[46:47], v[40:41]
	v_add_f64 v[48:49], v[44:45], -v[46:47]
	v_add_f64 v[52:53], v[44:45], -v[48:49]
	v_add_f64 v[46:47], v[46:47], -v[52:53]
	v_add_f64 v[40:41], v[40:41], -v[48:49]
	v_add_f64 v[40:41], v[40:41], v[46:47]
	v_add_f64 v[46:47], v[50:51], v[38:39]
	v_add_f64 v[48:49], v[46:47], -v[50:51]
	v_add_f64 v[40:41], v[46:47], v[40:41]
	v_add_f64 v[52:53], v[46:47], -v[48:49]
	;; [unrolled: 2-line block ×3, first 2 shown]
	v_add_f64 v[38:39], v[38:39], -v[48:49]
	v_add_f64 v[44:45], v[46:47], -v[44:45]
	v_add_f64 v[38:39], v[38:39], v[50:51]
	v_add_f64 v[40:41], v[40:41], -v[44:45]
	s_mov_b32 s30, 0
	v_add_f64 v[38:39], v[38:39], v[40:41]
	s_mov_b32 s31, 0x7ff00000
	v_add_f64 v[38:39], v[46:47], v[38:39]
	v_cmp_eq_f64_e64 s[30:31], s[30:31], v[32:33]
	s_nop 1
	v_cndmask_b32_e64 v1, v38, v32, s[30:31]
	v_cndmask_b32_e64 v35, v39, v33, s[30:31]
	v_mov_b32_e32 v38, 0x7ff80000
	v_cmp_ngt_f64_e64 s[30:31], -1.0, v[32:33]
	s_nop 1
	v_cndmask_b32_e64 v35, v38, v35, s[30:31]
	v_cmp_nge_f64_e64 s[30:31], -1.0, v[32:33]
	s_nop 1
	v_cndmask_b32_e64 v38, 0, v1, s[30:31]
	v_mov_b32_e32 v1, 0xfff00000
	v_cmp_neq_f64_e64 s[30:31], -1.0, v[32:33]
	s_nop 1
	v_cndmask_b32_e64 v39, v1, v35, s[30:31]
	v_add_f64 v[72:73], v[30:31], v[38:39]
.LBB40_32:
	s_or_b64 exec, exec, s[36:37]
	v_max_f64 v[38:39], v[26:27], v[26:27]
	v_max_f64 v[30:31], v[72:73], v[72:73]
	v_min_f64 v[32:33], v[30:31], v[38:39]
	v_cmp_u_f64_e64 s[34:35], v[72:73], v[72:73]
	v_cmp_u_f64_e64 s[30:31], v[26:27], v[26:27]
	v_max_f64 v[30:31], v[30:31], v[38:39]
	v_cndmask_b32_e64 v1, v32, v72, s[34:35]
	v_cndmask_b32_e64 v32, v33, v73, s[34:35]
	;; [unrolled: 1-line block ×8, first 2 shown]
	v_cmp_neq_f64_e64 s[34:35], v[32:33], v[30:31]
	v_cmp_class_f64_e64 s[36:37], v[32:33], s33
	s_or_b64 s[34:35], s[34:35], s[36:37]
	s_and_saveexec_b64 s[38:39], s[34:35]
	s_cbranch_execz .LBB40_34
; %bb.33:
	s_mov_b32 s34, 0x652b82fe
	v_add_f64 v[32:33], v[32:33], -v[30:31]
	s_mov_b32 s35, 0x3ff71547
	v_mul_f64 v[40:41], v[32:33], s[34:35]
	v_rndne_f64_e32 v[40:41], v[40:41]
	s_mov_b32 s41, 0xbfe62e42
	s_mov_b32 s40, 0xfefa39ef
	v_fma_f64 v[44:45], s[40:41], v[40:41], v[32:33]
	s_mov_b32 s43, 0xbc7abc9e
	s_mov_b32 s42, 0x3b39803f
	;; [unrolled: 1-line block ×3, first 2 shown]
	v_fmac_f64_e32 v[44:45], s[42:43], v[40:41]
	v_mov_b32_e32 v46, 0xfca7ab0c
	v_mov_b32_e32 v47, 0x3e928af3
	s_mov_b32 s35, 0x3e5ade15
	v_fmac_f64_e32 v[46:47], s[34:35], v[44:45]
	v_mov_b32_e32 v48, 0x623fde64
	v_mov_b32_e32 v49, 0x3ec71dee
	v_fmac_f64_e32 v[48:49], v[44:45], v[46:47]
	v_mov_b32_e32 v46, 0x7c89e6b0
	v_mov_b32_e32 v47, 0x3efa0199
	;; [unrolled: 3-line block ×8, first 2 shown]
	v_fmac_f64_e32 v[46:47], v[44:45], v[48:49]
	v_fma_f64 v[46:47], v[44:45], v[46:47], 1.0
	s_mov_b32 s34, 0
	s_mov_b32 s36, 0
	v_fma_f64 v[44:45], v[44:45], v[46:47], 1.0
	v_cvt_i32_f64_e32 v1, v[40:41]
	s_mov_b32 s35, 0x40900000
	s_mov_b32 s37, 0xc090cc00
	v_ldexp_f64 v[40:41], v[44:45], v1
	v_mov_b32_e32 v1, 0x7ff00000
	v_cmp_nlt_f64_e64 s[34:35], s[34:35], v[32:33]
	v_cmp_ngt_f64_e64 s[36:37], s[36:37], v[32:33]
	s_mov_b32 s41, 0x3fe62e42
	v_cndmask_b32_e64 v1, v1, v41, s[34:35]
	s_and_b64 s[34:35], s[36:37], s[34:35]
	v_cndmask_b32_e64 v33, 0, v1, s[36:37]
	v_cndmask_b32_e64 v32, 0, v40, s[34:35]
	v_add_f64 v[40:41], v[32:33], 1.0
	v_add_f64 v[44:45], v[40:41], -1.0
	v_add_f64 v[46:47], v[44:45], -v[40:41]
	v_add_f64 v[46:47], v[46:47], 1.0
	v_add_f64 v[44:45], v[32:33], -v[44:45]
	s_mov_b32 s34, 0x55555555
	v_add_f64 v[44:45], v[44:45], v[46:47]
	v_frexp_mant_f64_e32 v[46:47], v[40:41]
	s_mov_b32 s35, 0x3fe55555
	v_frexp_exp_i32_f64_e32 v1, v[40:41]
	v_cmp_gt_f64_e64 s[34:35], s[34:35], v[46:47]
	s_mov_b32 s43, 0x3c7abc9e
	s_nop 0
	v_subbrev_co_u32_e64 v1, s[34:35], 0, v1, s[34:35]
	v_sub_u32_e32 v35, 0, v1
	v_ldexp_f64 v[40:41], v[40:41], v35
	v_add_f64 v[46:47], v[40:41], -1.0
	v_add_f64 v[52:53], v[40:41], 1.0
	v_add_f64 v[48:49], v[46:47], 1.0
	v_add_f64 v[54:55], v[52:53], -1.0
	v_ldexp_f64 v[44:45], v[44:45], v35
	v_add_f64 v[48:49], v[40:41], -v[48:49]
	v_add_f64 v[40:41], v[40:41], -v[54:55]
	v_add_f64 v[40:41], v[44:45], v[40:41]
	v_add_f64 v[48:49], v[44:45], v[48:49]
	v_add_f64 v[44:45], v[52:53], v[40:41]
	v_rcp_f64_e32 v[54:55], v[44:45]
	v_add_f64 v[50:51], v[46:47], v[48:49]
	v_add_f64 v[46:47], v[50:51], -v[46:47]
	v_add_f64 v[46:47], v[48:49], -v[46:47]
	;; [unrolled: 1-line block ×4, first 2 shown]
	v_fma_f64 v[48:49], -v[44:45], v[54:55], 1.0
	v_fmac_f64_e32 v[54:55], v[48:49], v[54:55]
	v_fma_f64 v[48:49], -v[44:45], v[54:55], 1.0
	v_fmac_f64_e32 v[54:55], v[48:49], v[54:55]
	v_mul_f64 v[48:49], v[50:51], v[54:55]
	v_mul_f64 v[52:53], v[44:45], v[48:49]
	v_fma_f64 v[56:57], v[48:49], v[44:45], -v[52:53]
	v_fmac_f64_e32 v[56:57], v[48:49], v[40:41]
	v_add_f64 v[58:59], v[52:53], v[56:57]
	v_add_f64 v[60:61], v[50:51], -v[58:59]
	v_add_f64 v[50:51], v[50:51], -v[60:61]
	;; [unrolled: 1-line block ×4, first 2 shown]
	v_add_f64 v[46:47], v[46:47], v[50:51]
	v_add_f64 v[50:51], v[52:53], -v[56:57]
	v_add_f64 v[46:47], v[50:51], v[46:47]
	v_add_f64 v[50:51], v[60:61], v[46:47]
	v_add_f64 v[52:53], v[60:61], -v[50:51]
	v_add_f64 v[46:47], v[46:47], v[52:53]
	v_mul_f64 v[52:53], v[54:55], v[50:51]
	v_mul_f64 v[56:57], v[44:45], v[52:53]
	v_fma_f64 v[44:45], v[52:53], v[44:45], -v[56:57]
	v_fmac_f64_e32 v[44:45], v[52:53], v[40:41]
	v_add_f64 v[40:41], v[56:57], v[44:45]
	v_add_f64 v[58:59], v[50:51], -v[40:41]
	v_add_f64 v[50:51], v[50:51], -v[58:59]
	;; [unrolled: 1-line block ×4, first 2 shown]
	v_add_f64 v[40:41], v[46:47], v[40:41]
	v_add_f64 v[44:45], v[56:57], -v[44:45]
	v_add_f64 v[40:41], v[44:45], v[40:41]
	v_add_f64 v[44:45], v[48:49], v[52:53]
	;; [unrolled: 1-line block ×3, first 2 shown]
	v_add_f64 v[46:47], v[44:45], -v[48:49]
	v_mul_f64 v[40:41], v[54:55], v[40:41]
	v_add_f64 v[46:47], v[52:53], -v[46:47]
	v_add_f64 v[40:41], v[46:47], v[40:41]
	v_add_f64 v[46:47], v[44:45], v[40:41]
	v_add_f64 v[44:45], v[46:47], -v[44:45]
	s_mov_b32 s34, 0xbf559e2b
	v_add_f64 v[40:41], v[40:41], -v[44:45]
	v_mul_f64 v[44:45], v[46:47], v[46:47]
	v_mov_b32_e32 v48, 0x6b47b09a
	v_mov_b32_e32 v49, 0x3fc38538
	s_mov_b32 s35, 0x3fc3ab76
	v_fmac_f64_e32 v[48:49], s[34:35], v[44:45]
	v_mov_b32_e32 v50, 0xd7f4df2e
	v_mov_b32_e32 v51, 0x3fc7474d
	v_fmac_f64_e32 v[50:51], v[44:45], v[48:49]
	v_mov_b32_e32 v48, 0x16291751
	v_mov_b32_e32 v49, 0x3fcc71c0
	;; [unrolled: 3-line block ×5, first 2 shown]
	v_fmac_f64_e32 v[50:51], v[44:45], v[48:49]
	v_cvt_f64_i32_e32 v[48:49], v1
	v_mul_f64 v[52:53], v[48:49], s[40:41]
	v_fma_f64 v[54:55], v[48:49], s[40:41], -v[52:53]
	v_fmac_f64_e32 v[54:55], s[42:43], v[48:49]
	v_add_f64 v[48:49], v[52:53], v[54:55]
	v_add_f64 v[52:53], v[48:49], -v[52:53]
	v_mul_f64 v[44:45], v[46:47], v[44:45]
	v_add_f64 v[52:53], v[54:55], -v[52:53]
	v_ldexp_f64 v[54:55], v[46:47], 1
	v_mul_f64 v[44:45], v[44:45], v[50:51]
	v_add_f64 v[46:47], v[54:55], v[44:45]
	v_add_f64 v[50:51], v[46:47], -v[54:55]
	v_ldexp_f64 v[40:41], v[40:41], 1
	v_add_f64 v[44:45], v[44:45], -v[50:51]
	v_add_f64 v[40:41], v[40:41], v[44:45]
	v_add_f64 v[44:45], v[46:47], v[40:41]
	v_add_f64 v[46:47], v[44:45], -v[46:47]
	v_add_f64 v[40:41], v[40:41], -v[46:47]
	v_add_f64 v[46:47], v[48:49], v[44:45]
	v_add_f64 v[50:51], v[46:47], -v[48:49]
	v_add_f64 v[54:55], v[46:47], -v[50:51]
	;; [unrolled: 1-line block ×4, first 2 shown]
	v_add_f64 v[44:45], v[44:45], v[48:49]
	v_add_f64 v[48:49], v[52:53], v[40:41]
	v_add_f64 v[50:51], v[48:49], -v[52:53]
	v_add_f64 v[44:45], v[48:49], v[44:45]
	v_add_f64 v[54:55], v[48:49], -v[50:51]
	;; [unrolled: 2-line block ×3, first 2 shown]
	v_add_f64 v[40:41], v[40:41], -v[50:51]
	v_add_f64 v[46:47], v[48:49], -v[46:47]
	v_add_f64 v[40:41], v[40:41], v[52:53]
	v_add_f64 v[44:45], v[44:45], -v[46:47]
	s_mov_b32 s34, 0
	v_add_f64 v[40:41], v[40:41], v[44:45]
	s_mov_b32 s35, 0x7ff00000
	v_add_f64 v[40:41], v[48:49], v[40:41]
	v_cmp_eq_f64_e64 s[34:35], s[34:35], v[32:33]
	s_nop 1
	v_cndmask_b32_e64 v1, v40, v32, s[34:35]
	v_cndmask_b32_e64 v35, v41, v33, s[34:35]
	v_mov_b32_e32 v40, 0x7ff80000
	v_cmp_ngt_f64_e64 s[34:35], -1.0, v[32:33]
	s_nop 1
	v_cndmask_b32_e64 v35, v40, v35, s[34:35]
	v_cmp_nge_f64_e64 s[34:35], -1.0, v[32:33]
	s_nop 1
	v_cndmask_b32_e64 v40, 0, v1, s[34:35]
	v_mov_b32_e32 v1, 0xfff00000
	v_cmp_neq_f64_e64 s[34:35], -1.0, v[32:33]
	s_nop 1
	v_cndmask_b32_e64 v41, v1, v35, s[34:35]
	v_add_f64 v[72:73], v[30:31], v[40:41]
.LBB40_34:
	s_or_b64 exec, exec, s[38:39]
	v_max_f64 v[40:41], v[28:29], v[28:29]
	v_max_f64 v[30:31], v[72:73], v[72:73]
	v_min_f64 v[32:33], v[30:31], v[40:41]
	v_cmp_u_f64_e64 s[36:37], v[72:73], v[72:73]
	v_cmp_u_f64_e64 s[34:35], v[28:29], v[28:29]
	v_max_f64 v[30:31], v[30:31], v[40:41]
	v_cndmask_b32_e64 v1, v32, v72, s[36:37]
	v_cndmask_b32_e64 v32, v33, v73, s[36:37]
	;; [unrolled: 1-line block ×8, first 2 shown]
	v_cmp_neq_f64_e64 s[36:37], v[32:33], v[30:31]
	v_cmp_class_f64_e64 s[38:39], v[32:33], s33
	s_or_b64 s[36:37], s[36:37], s[38:39]
	s_and_saveexec_b64 s[40:41], s[36:37]
	s_cbranch_execz .LBB40_36
; %bb.35:
	s_mov_b32 s36, 0x652b82fe
	v_add_f64 v[32:33], v[32:33], -v[30:31]
	s_mov_b32 s37, 0x3ff71547
	v_mul_f64 v[44:45], v[32:33], s[36:37]
	v_rndne_f64_e32 v[44:45], v[44:45]
	s_mov_b32 s43, 0xbfe62e42
	s_mov_b32 s42, 0xfefa39ef
	v_fma_f64 v[46:47], s[42:43], v[44:45], v[32:33]
	s_mov_b32 s45, 0xbc7abc9e
	s_mov_b32 s44, 0x3b39803f
	s_mov_b32 s36, 0x6a5dcb37
	v_fmac_f64_e32 v[46:47], s[44:45], v[44:45]
	v_mov_b32_e32 v48, 0xfca7ab0c
	v_mov_b32_e32 v49, 0x3e928af3
	s_mov_b32 s37, 0x3e5ade15
	v_fmac_f64_e32 v[48:49], s[36:37], v[46:47]
	v_mov_b32_e32 v50, 0x623fde64
	v_mov_b32_e32 v51, 0x3ec71dee
	v_fmac_f64_e32 v[50:51], v[46:47], v[48:49]
	v_mov_b32_e32 v48, 0x7c89e6b0
	v_mov_b32_e32 v49, 0x3efa0199
	v_fmac_f64_e32 v[48:49], v[46:47], v[50:51]
	v_mov_b32_e32 v50, 0x14761f6e
	v_mov_b32_e32 v51, 0x3f2a01a0
	v_fmac_f64_e32 v[50:51], v[46:47], v[48:49]
	v_mov_b32_e32 v48, 0x1852b7b0
	v_mov_b32_e32 v49, 0x3f56c16c
	v_fmac_f64_e32 v[48:49], v[46:47], v[50:51]
	v_mov_b32_e32 v50, 0x11122322
	v_mov_b32_e32 v51, 0x3f811111
	v_fmac_f64_e32 v[50:51], v[46:47], v[48:49]
	v_mov_b32_e32 v48, 0x555502a1
	v_mov_b32_e32 v49, 0x3fa55555
	v_fmac_f64_e32 v[48:49], v[46:47], v[50:51]
	v_mov_b32_e32 v50, 0x55555511
	v_mov_b32_e32 v51, 0x3fc55555
	v_fmac_f64_e32 v[50:51], v[46:47], v[48:49]
	v_mov_b32_e32 v48, 11
	v_mov_b32_e32 v49, 0x3fe00000
	v_fmac_f64_e32 v[48:49], v[46:47], v[50:51]
	v_fma_f64 v[48:49], v[46:47], v[48:49], 1.0
	s_mov_b32 s36, 0
	s_mov_b32 s38, 0
	v_fma_f64 v[46:47], v[46:47], v[48:49], 1.0
	v_cvt_i32_f64_e32 v1, v[44:45]
	s_mov_b32 s37, 0x40900000
	s_mov_b32 s39, 0xc090cc00
	v_ldexp_f64 v[44:45], v[46:47], v1
	v_mov_b32_e32 v1, 0x7ff00000
	v_cmp_nlt_f64_e64 s[36:37], s[36:37], v[32:33]
	v_cmp_ngt_f64_e64 s[38:39], s[38:39], v[32:33]
	s_mov_b32 s43, 0x3fe62e42
	v_cndmask_b32_e64 v1, v1, v45, s[36:37]
	s_and_b64 s[36:37], s[38:39], s[36:37]
	v_cndmask_b32_e64 v33, 0, v1, s[38:39]
	v_cndmask_b32_e64 v32, 0, v44, s[36:37]
	v_add_f64 v[44:45], v[32:33], 1.0
	v_add_f64 v[46:47], v[44:45], -1.0
	v_add_f64 v[48:49], v[46:47], -v[44:45]
	v_add_f64 v[48:49], v[48:49], 1.0
	v_add_f64 v[46:47], v[32:33], -v[46:47]
	s_mov_b32 s36, 0x55555555
	v_add_f64 v[46:47], v[46:47], v[48:49]
	v_frexp_mant_f64_e32 v[48:49], v[44:45]
	s_mov_b32 s37, 0x3fe55555
	v_frexp_exp_i32_f64_e32 v1, v[44:45]
	v_cmp_gt_f64_e64 s[36:37], s[36:37], v[48:49]
	s_mov_b32 s45, 0x3c7abc9e
	s_nop 0
	v_subbrev_co_u32_e64 v1, s[36:37], 0, v1, s[36:37]
	v_sub_u32_e32 v35, 0, v1
	v_ldexp_f64 v[44:45], v[44:45], v35
	v_add_f64 v[48:49], v[44:45], -1.0
	v_add_f64 v[54:55], v[44:45], 1.0
	v_add_f64 v[50:51], v[48:49], 1.0
	v_add_f64 v[56:57], v[54:55], -1.0
	v_ldexp_f64 v[46:47], v[46:47], v35
	v_add_f64 v[50:51], v[44:45], -v[50:51]
	v_add_f64 v[44:45], v[44:45], -v[56:57]
	v_add_f64 v[44:45], v[46:47], v[44:45]
	v_add_f64 v[50:51], v[46:47], v[50:51]
	;; [unrolled: 1-line block ×3, first 2 shown]
	v_rcp_f64_e32 v[56:57], v[46:47]
	v_add_f64 v[52:53], v[48:49], v[50:51]
	v_add_f64 v[48:49], v[52:53], -v[48:49]
	v_add_f64 v[48:49], v[50:51], -v[48:49]
	;; [unrolled: 1-line block ×4, first 2 shown]
	v_fma_f64 v[50:51], -v[46:47], v[56:57], 1.0
	v_fmac_f64_e32 v[56:57], v[50:51], v[56:57]
	v_fma_f64 v[50:51], -v[46:47], v[56:57], 1.0
	v_fmac_f64_e32 v[56:57], v[50:51], v[56:57]
	v_mul_f64 v[50:51], v[52:53], v[56:57]
	v_mul_f64 v[54:55], v[46:47], v[50:51]
	v_fma_f64 v[58:59], v[50:51], v[46:47], -v[54:55]
	v_fmac_f64_e32 v[58:59], v[50:51], v[44:45]
	v_add_f64 v[60:61], v[54:55], v[58:59]
	v_add_f64 v[62:63], v[52:53], -v[60:61]
	v_add_f64 v[52:53], v[52:53], -v[62:63]
	;; [unrolled: 1-line block ×4, first 2 shown]
	v_add_f64 v[48:49], v[48:49], v[52:53]
	v_add_f64 v[52:53], v[54:55], -v[58:59]
	v_add_f64 v[48:49], v[52:53], v[48:49]
	v_add_f64 v[52:53], v[62:63], v[48:49]
	v_add_f64 v[54:55], v[62:63], -v[52:53]
	v_add_f64 v[48:49], v[48:49], v[54:55]
	v_mul_f64 v[54:55], v[56:57], v[52:53]
	v_mul_f64 v[58:59], v[46:47], v[54:55]
	v_fma_f64 v[46:47], v[54:55], v[46:47], -v[58:59]
	v_fmac_f64_e32 v[46:47], v[54:55], v[44:45]
	v_add_f64 v[44:45], v[58:59], v[46:47]
	v_add_f64 v[60:61], v[52:53], -v[44:45]
	v_add_f64 v[52:53], v[52:53], -v[60:61]
	;; [unrolled: 1-line block ×4, first 2 shown]
	v_add_f64 v[44:45], v[48:49], v[44:45]
	v_add_f64 v[46:47], v[58:59], -v[46:47]
	v_add_f64 v[44:45], v[46:47], v[44:45]
	v_add_f64 v[46:47], v[50:51], v[54:55]
	;; [unrolled: 1-line block ×3, first 2 shown]
	v_add_f64 v[48:49], v[46:47], -v[50:51]
	v_mul_f64 v[44:45], v[56:57], v[44:45]
	v_add_f64 v[48:49], v[54:55], -v[48:49]
	v_add_f64 v[44:45], v[48:49], v[44:45]
	v_add_f64 v[48:49], v[46:47], v[44:45]
	v_add_f64 v[46:47], v[48:49], -v[46:47]
	s_mov_b32 s36, 0xbf559e2b
	v_add_f64 v[44:45], v[44:45], -v[46:47]
	v_mul_f64 v[46:47], v[48:49], v[48:49]
	v_mov_b32_e32 v50, 0x6b47b09a
	v_mov_b32_e32 v51, 0x3fc38538
	s_mov_b32 s37, 0x3fc3ab76
	v_fmac_f64_e32 v[50:51], s[36:37], v[46:47]
	v_mov_b32_e32 v52, 0xd7f4df2e
	v_mov_b32_e32 v53, 0x3fc7474d
	v_fmac_f64_e32 v[52:53], v[46:47], v[50:51]
	v_mov_b32_e32 v50, 0x16291751
	v_mov_b32_e32 v51, 0x3fcc71c0
	;; [unrolled: 3-line block ×5, first 2 shown]
	v_fmac_f64_e32 v[52:53], v[46:47], v[50:51]
	v_cvt_f64_i32_e32 v[50:51], v1
	v_mul_f64 v[54:55], v[50:51], s[42:43]
	v_fma_f64 v[56:57], v[50:51], s[42:43], -v[54:55]
	v_fmac_f64_e32 v[56:57], s[44:45], v[50:51]
	v_add_f64 v[50:51], v[54:55], v[56:57]
	v_add_f64 v[54:55], v[50:51], -v[54:55]
	v_mul_f64 v[46:47], v[48:49], v[46:47]
	v_add_f64 v[54:55], v[56:57], -v[54:55]
	v_ldexp_f64 v[56:57], v[48:49], 1
	v_mul_f64 v[46:47], v[46:47], v[52:53]
	v_add_f64 v[48:49], v[56:57], v[46:47]
	v_add_f64 v[52:53], v[48:49], -v[56:57]
	v_ldexp_f64 v[44:45], v[44:45], 1
	v_add_f64 v[46:47], v[46:47], -v[52:53]
	v_add_f64 v[44:45], v[44:45], v[46:47]
	v_add_f64 v[46:47], v[48:49], v[44:45]
	v_add_f64 v[48:49], v[46:47], -v[48:49]
	v_add_f64 v[44:45], v[44:45], -v[48:49]
	v_add_f64 v[48:49], v[50:51], v[46:47]
	v_add_f64 v[52:53], v[48:49], -v[50:51]
	v_add_f64 v[56:57], v[48:49], -v[52:53]
	;; [unrolled: 1-line block ×4, first 2 shown]
	v_add_f64 v[46:47], v[46:47], v[50:51]
	v_add_f64 v[50:51], v[54:55], v[44:45]
	v_add_f64 v[52:53], v[50:51], -v[54:55]
	v_add_f64 v[46:47], v[50:51], v[46:47]
	v_add_f64 v[56:57], v[50:51], -v[52:53]
	;; [unrolled: 2-line block ×3, first 2 shown]
	v_add_f64 v[44:45], v[44:45], -v[52:53]
	v_add_f64 v[48:49], v[50:51], -v[48:49]
	v_add_f64 v[44:45], v[44:45], v[54:55]
	v_add_f64 v[46:47], v[46:47], -v[48:49]
	s_mov_b32 s36, 0
	v_add_f64 v[44:45], v[44:45], v[46:47]
	s_mov_b32 s37, 0x7ff00000
	v_add_f64 v[44:45], v[50:51], v[44:45]
	v_cmp_eq_f64_e64 s[36:37], s[36:37], v[32:33]
	s_nop 1
	v_cndmask_b32_e64 v1, v44, v32, s[36:37]
	v_cndmask_b32_e64 v35, v45, v33, s[36:37]
	v_mov_b32_e32 v44, 0x7ff80000
	v_cmp_ngt_f64_e64 s[36:37], -1.0, v[32:33]
	s_nop 1
	v_cndmask_b32_e64 v35, v44, v35, s[36:37]
	v_cmp_nge_f64_e64 s[36:37], -1.0, v[32:33]
	s_nop 1
	v_cndmask_b32_e64 v44, 0, v1, s[36:37]
	v_mov_b32_e32 v1, 0xfff00000
	v_cmp_neq_f64_e64 s[36:37], -1.0, v[32:33]
	s_nop 1
	v_cndmask_b32_e64 v45, v1, v35, s[36:37]
	v_add_f64 v[72:73], v[30:31], v[44:45]
.LBB40_36:
	s_or_b64 exec, exec, s[40:41]
	v_max_f64 v[44:45], v[22:23], v[22:23]
	v_max_f64 v[30:31], v[72:73], v[72:73]
	v_min_f64 v[32:33], v[30:31], v[44:45]
	v_cmp_u_f64_e64 s[38:39], v[72:73], v[72:73]
	v_cmp_u_f64_e64 s[36:37], v[22:23], v[22:23]
	v_max_f64 v[30:31], v[30:31], v[44:45]
	v_cndmask_b32_e64 v1, v32, v72, s[38:39]
	v_cndmask_b32_e64 v32, v33, v73, s[38:39]
	;; [unrolled: 1-line block ×8, first 2 shown]
	v_cmp_neq_f64_e64 s[38:39], v[32:33], v[30:31]
	v_cmp_class_f64_e64 s[40:41], v[32:33], s33
	s_or_b64 s[38:39], s[38:39], s[40:41]
	s_and_saveexec_b64 s[42:43], s[38:39]
	s_cbranch_execz .LBB40_38
; %bb.37:
	s_mov_b32 s38, 0x652b82fe
	v_add_f64 v[32:33], v[32:33], -v[30:31]
	s_mov_b32 s39, 0x3ff71547
	v_mul_f64 v[46:47], v[32:33], s[38:39]
	v_rndne_f64_e32 v[46:47], v[46:47]
	s_mov_b32 s45, 0xbfe62e42
	s_mov_b32 s44, 0xfefa39ef
	v_fma_f64 v[48:49], s[44:45], v[46:47], v[32:33]
	s_mov_b32 s47, 0xbc7abc9e
	s_mov_b32 s46, 0x3b39803f
	;; [unrolled: 1-line block ×3, first 2 shown]
	v_fmac_f64_e32 v[48:49], s[46:47], v[46:47]
	v_mov_b32_e32 v50, 0xfca7ab0c
	v_mov_b32_e32 v51, 0x3e928af3
	s_mov_b32 s39, 0x3e5ade15
	v_fmac_f64_e32 v[50:51], s[38:39], v[48:49]
	v_mov_b32_e32 v52, 0x623fde64
	v_mov_b32_e32 v53, 0x3ec71dee
	v_fmac_f64_e32 v[52:53], v[48:49], v[50:51]
	v_mov_b32_e32 v50, 0x7c89e6b0
	v_mov_b32_e32 v51, 0x3efa0199
	;; [unrolled: 3-line block ×8, first 2 shown]
	v_fmac_f64_e32 v[50:51], v[48:49], v[52:53]
	v_fma_f64 v[50:51], v[48:49], v[50:51], 1.0
	s_mov_b32 s38, 0
	s_mov_b32 s40, 0
	v_fma_f64 v[48:49], v[48:49], v[50:51], 1.0
	v_cvt_i32_f64_e32 v1, v[46:47]
	s_mov_b32 s39, 0x40900000
	s_mov_b32 s41, 0xc090cc00
	v_ldexp_f64 v[46:47], v[48:49], v1
	v_mov_b32_e32 v1, 0x7ff00000
	v_cmp_nlt_f64_e64 s[38:39], s[38:39], v[32:33]
	v_cmp_ngt_f64_e64 s[40:41], s[40:41], v[32:33]
	s_mov_b32 s45, 0x3fe62e42
	v_cndmask_b32_e64 v1, v1, v47, s[38:39]
	s_and_b64 s[38:39], s[40:41], s[38:39]
	v_cndmask_b32_e64 v33, 0, v1, s[40:41]
	v_cndmask_b32_e64 v32, 0, v46, s[38:39]
	v_add_f64 v[46:47], v[32:33], 1.0
	v_add_f64 v[48:49], v[46:47], -1.0
	v_add_f64 v[50:51], v[48:49], -v[46:47]
	v_add_f64 v[50:51], v[50:51], 1.0
	v_add_f64 v[48:49], v[32:33], -v[48:49]
	s_mov_b32 s38, 0x55555555
	v_add_f64 v[48:49], v[48:49], v[50:51]
	v_frexp_mant_f64_e32 v[50:51], v[46:47]
	s_mov_b32 s39, 0x3fe55555
	v_frexp_exp_i32_f64_e32 v1, v[46:47]
	v_cmp_gt_f64_e64 s[38:39], s[38:39], v[50:51]
	s_mov_b32 s47, 0x3c7abc9e
	s_nop 0
	v_subbrev_co_u32_e64 v1, s[38:39], 0, v1, s[38:39]
	v_sub_u32_e32 v35, 0, v1
	v_ldexp_f64 v[46:47], v[46:47], v35
	v_add_f64 v[50:51], v[46:47], -1.0
	v_add_f64 v[56:57], v[46:47], 1.0
	v_add_f64 v[52:53], v[50:51], 1.0
	v_add_f64 v[58:59], v[56:57], -1.0
	v_ldexp_f64 v[48:49], v[48:49], v35
	v_add_f64 v[52:53], v[46:47], -v[52:53]
	v_add_f64 v[46:47], v[46:47], -v[58:59]
	v_add_f64 v[46:47], v[48:49], v[46:47]
	v_add_f64 v[52:53], v[48:49], v[52:53]
	;; [unrolled: 1-line block ×3, first 2 shown]
	v_rcp_f64_e32 v[58:59], v[48:49]
	v_add_f64 v[54:55], v[50:51], v[52:53]
	v_add_f64 v[50:51], v[54:55], -v[50:51]
	v_add_f64 v[50:51], v[52:53], -v[50:51]
	;; [unrolled: 1-line block ×4, first 2 shown]
	v_fma_f64 v[52:53], -v[48:49], v[58:59], 1.0
	v_fmac_f64_e32 v[58:59], v[52:53], v[58:59]
	v_fma_f64 v[52:53], -v[48:49], v[58:59], 1.0
	v_fmac_f64_e32 v[58:59], v[52:53], v[58:59]
	v_mul_f64 v[52:53], v[54:55], v[58:59]
	v_mul_f64 v[56:57], v[48:49], v[52:53]
	v_fma_f64 v[60:61], v[52:53], v[48:49], -v[56:57]
	v_fmac_f64_e32 v[60:61], v[52:53], v[46:47]
	v_add_f64 v[62:63], v[56:57], v[60:61]
	v_add_f64 v[64:65], v[54:55], -v[62:63]
	v_add_f64 v[54:55], v[54:55], -v[64:65]
	;; [unrolled: 1-line block ×4, first 2 shown]
	v_add_f64 v[50:51], v[50:51], v[54:55]
	v_add_f64 v[54:55], v[56:57], -v[60:61]
	v_add_f64 v[50:51], v[54:55], v[50:51]
	v_add_f64 v[54:55], v[64:65], v[50:51]
	v_add_f64 v[56:57], v[64:65], -v[54:55]
	v_add_f64 v[50:51], v[50:51], v[56:57]
	v_mul_f64 v[56:57], v[58:59], v[54:55]
	v_mul_f64 v[60:61], v[48:49], v[56:57]
	v_fma_f64 v[48:49], v[56:57], v[48:49], -v[60:61]
	v_fmac_f64_e32 v[48:49], v[56:57], v[46:47]
	v_add_f64 v[46:47], v[60:61], v[48:49]
	v_add_f64 v[62:63], v[54:55], -v[46:47]
	v_add_f64 v[54:55], v[54:55], -v[62:63]
	;; [unrolled: 1-line block ×4, first 2 shown]
	v_add_f64 v[46:47], v[50:51], v[46:47]
	v_add_f64 v[48:49], v[60:61], -v[48:49]
	v_add_f64 v[46:47], v[48:49], v[46:47]
	v_add_f64 v[48:49], v[52:53], v[56:57]
	;; [unrolled: 1-line block ×3, first 2 shown]
	v_add_f64 v[50:51], v[48:49], -v[52:53]
	v_mul_f64 v[46:47], v[58:59], v[46:47]
	v_add_f64 v[50:51], v[56:57], -v[50:51]
	v_add_f64 v[46:47], v[50:51], v[46:47]
	v_add_f64 v[50:51], v[48:49], v[46:47]
	v_add_f64 v[48:49], v[50:51], -v[48:49]
	s_mov_b32 s38, 0xbf559e2b
	v_add_f64 v[46:47], v[46:47], -v[48:49]
	v_mul_f64 v[48:49], v[50:51], v[50:51]
	v_mov_b32_e32 v52, 0x6b47b09a
	v_mov_b32_e32 v53, 0x3fc38538
	s_mov_b32 s39, 0x3fc3ab76
	v_fmac_f64_e32 v[52:53], s[38:39], v[48:49]
	v_mov_b32_e32 v54, 0xd7f4df2e
	v_mov_b32_e32 v55, 0x3fc7474d
	v_fmac_f64_e32 v[54:55], v[48:49], v[52:53]
	v_mov_b32_e32 v52, 0x16291751
	v_mov_b32_e32 v53, 0x3fcc71c0
	;; [unrolled: 3-line block ×5, first 2 shown]
	v_fmac_f64_e32 v[54:55], v[48:49], v[52:53]
	v_cvt_f64_i32_e32 v[52:53], v1
	v_mul_f64 v[56:57], v[52:53], s[44:45]
	v_fma_f64 v[58:59], v[52:53], s[44:45], -v[56:57]
	v_fmac_f64_e32 v[58:59], s[46:47], v[52:53]
	v_add_f64 v[52:53], v[56:57], v[58:59]
	v_add_f64 v[56:57], v[52:53], -v[56:57]
	v_mul_f64 v[48:49], v[50:51], v[48:49]
	v_add_f64 v[56:57], v[58:59], -v[56:57]
	v_ldexp_f64 v[58:59], v[50:51], 1
	v_mul_f64 v[48:49], v[48:49], v[54:55]
	v_add_f64 v[50:51], v[58:59], v[48:49]
	v_add_f64 v[54:55], v[50:51], -v[58:59]
	v_ldexp_f64 v[46:47], v[46:47], 1
	v_add_f64 v[48:49], v[48:49], -v[54:55]
	v_add_f64 v[46:47], v[46:47], v[48:49]
	v_add_f64 v[48:49], v[50:51], v[46:47]
	v_add_f64 v[50:51], v[48:49], -v[50:51]
	v_add_f64 v[46:47], v[46:47], -v[50:51]
	v_add_f64 v[50:51], v[52:53], v[48:49]
	v_add_f64 v[54:55], v[50:51], -v[52:53]
	v_add_f64 v[58:59], v[50:51], -v[54:55]
	;; [unrolled: 1-line block ×4, first 2 shown]
	v_add_f64 v[48:49], v[48:49], v[52:53]
	v_add_f64 v[52:53], v[56:57], v[46:47]
	v_add_f64 v[54:55], v[52:53], -v[56:57]
	v_add_f64 v[48:49], v[52:53], v[48:49]
	v_add_f64 v[58:59], v[52:53], -v[54:55]
	;; [unrolled: 2-line block ×3, first 2 shown]
	v_add_f64 v[46:47], v[46:47], -v[54:55]
	v_add_f64 v[50:51], v[52:53], -v[50:51]
	v_add_f64 v[46:47], v[46:47], v[56:57]
	v_add_f64 v[48:49], v[48:49], -v[50:51]
	s_mov_b32 s38, 0
	v_add_f64 v[46:47], v[46:47], v[48:49]
	s_mov_b32 s39, 0x7ff00000
	v_add_f64 v[46:47], v[52:53], v[46:47]
	v_cmp_eq_f64_e64 s[38:39], s[38:39], v[32:33]
	s_nop 1
	v_cndmask_b32_e64 v1, v46, v32, s[38:39]
	v_cndmask_b32_e64 v35, v47, v33, s[38:39]
	v_mov_b32_e32 v46, 0x7ff80000
	v_cmp_ngt_f64_e64 s[38:39], -1.0, v[32:33]
	s_nop 1
	v_cndmask_b32_e64 v35, v46, v35, s[38:39]
	v_cmp_nge_f64_e64 s[38:39], -1.0, v[32:33]
	s_nop 1
	v_cndmask_b32_e64 v46, 0, v1, s[38:39]
	v_mov_b32_e32 v1, 0xfff00000
	v_cmp_neq_f64_e64 s[38:39], -1.0, v[32:33]
	s_nop 1
	v_cndmask_b32_e64 v47, v1, v35, s[38:39]
	v_add_f64 v[72:73], v[30:31], v[46:47]
.LBB40_38:
	s_or_b64 exec, exec, s[42:43]
	v_max_f64 v[46:47], v[24:25], v[24:25]
	v_max_f64 v[30:31], v[72:73], v[72:73]
	v_min_f64 v[32:33], v[30:31], v[46:47]
	v_cmp_u_f64_e64 s[40:41], v[72:73], v[72:73]
	v_cmp_u_f64_e64 s[38:39], v[24:25], v[24:25]
	v_max_f64 v[30:31], v[30:31], v[46:47]
	v_cndmask_b32_e64 v1, v32, v72, s[40:41]
	v_cndmask_b32_e64 v32, v33, v73, s[40:41]
	;; [unrolled: 1-line block ×8, first 2 shown]
	v_cmp_neq_f64_e64 s[40:41], v[32:33], v[30:31]
	v_cmp_class_f64_e64 s[42:43], v[32:33], s33
	s_or_b64 s[40:41], s[40:41], s[42:43]
	s_and_saveexec_b64 s[44:45], s[40:41]
	s_cbranch_execz .LBB40_40
; %bb.39:
	s_mov_b32 s40, 0x652b82fe
	v_add_f64 v[32:33], v[32:33], -v[30:31]
	s_mov_b32 s41, 0x3ff71547
	v_mul_f64 v[48:49], v[32:33], s[40:41]
	v_rndne_f64_e32 v[48:49], v[48:49]
	s_mov_b32 s47, 0xbfe62e42
	s_mov_b32 s46, 0xfefa39ef
	v_fma_f64 v[50:51], s[46:47], v[48:49], v[32:33]
	s_mov_b32 s49, 0xbc7abc9e
	s_mov_b32 s48, 0x3b39803f
	;; [unrolled: 1-line block ×3, first 2 shown]
	v_fmac_f64_e32 v[50:51], s[48:49], v[48:49]
	v_mov_b32_e32 v52, 0xfca7ab0c
	v_mov_b32_e32 v53, 0x3e928af3
	s_mov_b32 s41, 0x3e5ade15
	v_fmac_f64_e32 v[52:53], s[40:41], v[50:51]
	v_mov_b32_e32 v54, 0x623fde64
	v_mov_b32_e32 v55, 0x3ec71dee
	v_fmac_f64_e32 v[54:55], v[50:51], v[52:53]
	v_mov_b32_e32 v52, 0x7c89e6b0
	v_mov_b32_e32 v53, 0x3efa0199
	;; [unrolled: 3-line block ×8, first 2 shown]
	v_fmac_f64_e32 v[52:53], v[50:51], v[54:55]
	v_fma_f64 v[52:53], v[50:51], v[52:53], 1.0
	s_mov_b32 s40, 0
	s_mov_b32 s42, 0
	v_fma_f64 v[50:51], v[50:51], v[52:53], 1.0
	v_cvt_i32_f64_e32 v1, v[48:49]
	s_mov_b32 s41, 0x40900000
	s_mov_b32 s43, 0xc090cc00
	v_ldexp_f64 v[48:49], v[50:51], v1
	v_mov_b32_e32 v1, 0x7ff00000
	v_cmp_nlt_f64_e64 s[40:41], s[40:41], v[32:33]
	v_cmp_ngt_f64_e64 s[42:43], s[42:43], v[32:33]
	s_mov_b32 s47, 0x3fe62e42
	v_cndmask_b32_e64 v1, v1, v49, s[40:41]
	s_and_b64 s[40:41], s[42:43], s[40:41]
	v_cndmask_b32_e64 v33, 0, v1, s[42:43]
	v_cndmask_b32_e64 v32, 0, v48, s[40:41]
	v_add_f64 v[48:49], v[32:33], 1.0
	v_add_f64 v[50:51], v[48:49], -1.0
	v_add_f64 v[52:53], v[50:51], -v[48:49]
	v_add_f64 v[52:53], v[52:53], 1.0
	v_add_f64 v[50:51], v[32:33], -v[50:51]
	s_mov_b32 s40, 0x55555555
	v_add_f64 v[50:51], v[50:51], v[52:53]
	v_frexp_mant_f64_e32 v[52:53], v[48:49]
	s_mov_b32 s41, 0x3fe55555
	v_frexp_exp_i32_f64_e32 v1, v[48:49]
	v_cmp_gt_f64_e64 s[40:41], s[40:41], v[52:53]
	s_mov_b32 s49, 0x3c7abc9e
	s_nop 0
	v_subbrev_co_u32_e64 v1, s[40:41], 0, v1, s[40:41]
	v_sub_u32_e32 v35, 0, v1
	v_ldexp_f64 v[48:49], v[48:49], v35
	v_add_f64 v[52:53], v[48:49], -1.0
	v_add_f64 v[58:59], v[48:49], 1.0
	v_add_f64 v[54:55], v[52:53], 1.0
	v_add_f64 v[60:61], v[58:59], -1.0
	v_ldexp_f64 v[50:51], v[50:51], v35
	v_add_f64 v[54:55], v[48:49], -v[54:55]
	v_add_f64 v[48:49], v[48:49], -v[60:61]
	v_add_f64 v[48:49], v[50:51], v[48:49]
	v_add_f64 v[54:55], v[50:51], v[54:55]
	;; [unrolled: 1-line block ×3, first 2 shown]
	v_rcp_f64_e32 v[60:61], v[50:51]
	v_add_f64 v[56:57], v[52:53], v[54:55]
	v_add_f64 v[52:53], v[56:57], -v[52:53]
	v_add_f64 v[52:53], v[54:55], -v[52:53]
	;; [unrolled: 1-line block ×4, first 2 shown]
	v_fma_f64 v[54:55], -v[50:51], v[60:61], 1.0
	v_fmac_f64_e32 v[60:61], v[54:55], v[60:61]
	v_fma_f64 v[54:55], -v[50:51], v[60:61], 1.0
	v_fmac_f64_e32 v[60:61], v[54:55], v[60:61]
	v_mul_f64 v[54:55], v[56:57], v[60:61]
	v_mul_f64 v[58:59], v[50:51], v[54:55]
	v_fma_f64 v[62:63], v[54:55], v[50:51], -v[58:59]
	v_fmac_f64_e32 v[62:63], v[54:55], v[48:49]
	v_add_f64 v[64:65], v[58:59], v[62:63]
	v_add_f64 v[72:73], v[56:57], -v[64:65]
	v_add_f64 v[56:57], v[56:57], -v[72:73]
	;; [unrolled: 1-line block ×4, first 2 shown]
	v_add_f64 v[52:53], v[52:53], v[56:57]
	v_add_f64 v[56:57], v[58:59], -v[62:63]
	v_add_f64 v[52:53], v[56:57], v[52:53]
	v_add_f64 v[56:57], v[72:73], v[52:53]
	v_add_f64 v[58:59], v[72:73], -v[56:57]
	v_add_f64 v[52:53], v[52:53], v[58:59]
	v_mul_f64 v[58:59], v[60:61], v[56:57]
	v_mul_f64 v[62:63], v[50:51], v[58:59]
	v_fma_f64 v[50:51], v[58:59], v[50:51], -v[62:63]
	v_fmac_f64_e32 v[50:51], v[58:59], v[48:49]
	v_add_f64 v[48:49], v[62:63], v[50:51]
	v_add_f64 v[64:65], v[56:57], -v[48:49]
	v_add_f64 v[56:57], v[56:57], -v[64:65]
	;; [unrolled: 1-line block ×4, first 2 shown]
	v_add_f64 v[48:49], v[52:53], v[48:49]
	v_add_f64 v[50:51], v[62:63], -v[50:51]
	v_add_f64 v[48:49], v[50:51], v[48:49]
	v_add_f64 v[50:51], v[54:55], v[58:59]
	v_add_f64 v[48:49], v[64:65], v[48:49]
	v_add_f64 v[52:53], v[50:51], -v[54:55]
	v_mul_f64 v[48:49], v[60:61], v[48:49]
	v_add_f64 v[52:53], v[58:59], -v[52:53]
	v_add_f64 v[48:49], v[52:53], v[48:49]
	v_add_f64 v[52:53], v[50:51], v[48:49]
	v_add_f64 v[50:51], v[52:53], -v[50:51]
	s_mov_b32 s40, 0xbf559e2b
	v_add_f64 v[48:49], v[48:49], -v[50:51]
	v_mul_f64 v[50:51], v[52:53], v[52:53]
	v_mov_b32_e32 v54, 0x6b47b09a
	v_mov_b32_e32 v55, 0x3fc38538
	s_mov_b32 s41, 0x3fc3ab76
	v_fmac_f64_e32 v[54:55], s[40:41], v[50:51]
	v_mov_b32_e32 v56, 0xd7f4df2e
	v_mov_b32_e32 v57, 0x3fc7474d
	v_fmac_f64_e32 v[56:57], v[50:51], v[54:55]
	v_mov_b32_e32 v54, 0x16291751
	v_mov_b32_e32 v55, 0x3fcc71c0
	;; [unrolled: 3-line block ×5, first 2 shown]
	v_fmac_f64_e32 v[56:57], v[50:51], v[54:55]
	v_cvt_f64_i32_e32 v[54:55], v1
	v_mul_f64 v[58:59], v[54:55], s[46:47]
	v_fma_f64 v[60:61], v[54:55], s[46:47], -v[58:59]
	v_fmac_f64_e32 v[60:61], s[48:49], v[54:55]
	v_add_f64 v[54:55], v[58:59], v[60:61]
	v_add_f64 v[58:59], v[54:55], -v[58:59]
	v_mul_f64 v[50:51], v[52:53], v[50:51]
	v_add_f64 v[58:59], v[60:61], -v[58:59]
	v_ldexp_f64 v[60:61], v[52:53], 1
	v_mul_f64 v[50:51], v[50:51], v[56:57]
	v_add_f64 v[52:53], v[60:61], v[50:51]
	v_add_f64 v[56:57], v[52:53], -v[60:61]
	v_ldexp_f64 v[48:49], v[48:49], 1
	v_add_f64 v[50:51], v[50:51], -v[56:57]
	v_add_f64 v[48:49], v[48:49], v[50:51]
	v_add_f64 v[50:51], v[52:53], v[48:49]
	v_add_f64 v[52:53], v[50:51], -v[52:53]
	v_add_f64 v[48:49], v[48:49], -v[52:53]
	v_add_f64 v[52:53], v[54:55], v[50:51]
	v_add_f64 v[56:57], v[52:53], -v[54:55]
	v_add_f64 v[60:61], v[52:53], -v[56:57]
	;; [unrolled: 1-line block ×4, first 2 shown]
	v_add_f64 v[50:51], v[50:51], v[54:55]
	v_add_f64 v[54:55], v[58:59], v[48:49]
	v_add_f64 v[56:57], v[54:55], -v[58:59]
	v_add_f64 v[50:51], v[54:55], v[50:51]
	v_add_f64 v[60:61], v[54:55], -v[56:57]
	;; [unrolled: 2-line block ×3, first 2 shown]
	v_add_f64 v[48:49], v[48:49], -v[56:57]
	v_add_f64 v[52:53], v[54:55], -v[52:53]
	v_add_f64 v[48:49], v[48:49], v[58:59]
	v_add_f64 v[50:51], v[50:51], -v[52:53]
	s_mov_b32 s40, 0
	v_add_f64 v[48:49], v[48:49], v[50:51]
	s_mov_b32 s41, 0x7ff00000
	v_add_f64 v[48:49], v[54:55], v[48:49]
	v_cmp_eq_f64_e64 s[40:41], s[40:41], v[32:33]
	s_nop 1
	v_cndmask_b32_e64 v1, v48, v32, s[40:41]
	v_cndmask_b32_e64 v35, v49, v33, s[40:41]
	v_mov_b32_e32 v48, 0x7ff80000
	v_cmp_ngt_f64_e64 s[40:41], -1.0, v[32:33]
	s_nop 1
	v_cndmask_b32_e64 v35, v48, v35, s[40:41]
	v_cmp_nge_f64_e64 s[40:41], -1.0, v[32:33]
	s_nop 1
	v_cndmask_b32_e64 v48, 0, v1, s[40:41]
	v_mov_b32_e32 v1, 0xfff00000
	v_cmp_neq_f64_e64 s[40:41], -1.0, v[32:33]
	s_nop 1
	v_cndmask_b32_e64 v49, v1, v35, s[40:41]
	v_add_f64 v[72:73], v[30:31], v[48:49]
.LBB40_40:
	s_or_b64 exec, exec, s[44:45]
	v_max_f64 v[48:49], v[18:19], v[18:19]
	v_max_f64 v[30:31], v[72:73], v[72:73]
	v_min_f64 v[32:33], v[30:31], v[48:49]
	v_cmp_u_f64_e64 s[42:43], v[72:73], v[72:73]
	v_cmp_u_f64_e64 s[40:41], v[18:19], v[18:19]
	v_max_f64 v[30:31], v[30:31], v[48:49]
	v_cndmask_b32_e64 v1, v32, v72, s[42:43]
	v_cndmask_b32_e64 v32, v33, v73, s[42:43]
	v_cndmask_b32_e64 v33, v32, v19, s[40:41]
	v_cndmask_b32_e64 v32, v1, v18, s[40:41]
	v_cndmask_b32_e64 v1, v30, v72, s[42:43]
	v_cndmask_b32_e64 v30, v31, v73, s[42:43]
	v_cndmask_b32_e64 v31, v30, v19, s[40:41]
	v_cndmask_b32_e64 v30, v1, v18, s[40:41]
	v_cmp_neq_f64_e64 s[42:43], v[32:33], v[30:31]
	v_cmp_class_f64_e64 s[44:45], v[32:33], s33
	s_or_b64 s[42:43], s[42:43], s[44:45]
	s_and_saveexec_b64 s[46:47], s[42:43]
	s_cbranch_execz .LBB40_42
; %bb.41:
	s_mov_b32 s42, 0x652b82fe
	v_add_f64 v[32:33], v[32:33], -v[30:31]
	s_mov_b32 s43, 0x3ff71547
	v_mul_f64 v[50:51], v[32:33], s[42:43]
	v_rndne_f64_e32 v[50:51], v[50:51]
	s_mov_b32 s49, 0xbfe62e42
	s_mov_b32 s48, 0xfefa39ef
	v_fma_f64 v[52:53], s[48:49], v[50:51], v[32:33]
	s_mov_b32 s51, 0xbc7abc9e
	s_mov_b32 s50, 0x3b39803f
	s_mov_b32 s42, 0x6a5dcb37
	v_fmac_f64_e32 v[52:53], s[50:51], v[50:51]
	v_mov_b32_e32 v54, 0xfca7ab0c
	v_mov_b32_e32 v55, 0x3e928af3
	s_mov_b32 s43, 0x3e5ade15
	v_fmac_f64_e32 v[54:55], s[42:43], v[52:53]
	v_mov_b32_e32 v56, 0x623fde64
	v_mov_b32_e32 v57, 0x3ec71dee
	v_fmac_f64_e32 v[56:57], v[52:53], v[54:55]
	v_mov_b32_e32 v54, 0x7c89e6b0
	v_mov_b32_e32 v55, 0x3efa0199
	;; [unrolled: 3-line block ×8, first 2 shown]
	v_fmac_f64_e32 v[54:55], v[52:53], v[56:57]
	v_fma_f64 v[54:55], v[52:53], v[54:55], 1.0
	s_mov_b32 s42, 0
	s_mov_b32 s44, 0
	v_fma_f64 v[52:53], v[52:53], v[54:55], 1.0
	v_cvt_i32_f64_e32 v1, v[50:51]
	s_mov_b32 s43, 0x40900000
	s_mov_b32 s45, 0xc090cc00
	v_ldexp_f64 v[50:51], v[52:53], v1
	v_mov_b32_e32 v1, 0x7ff00000
	v_cmp_nlt_f64_e64 s[42:43], s[42:43], v[32:33]
	v_cmp_ngt_f64_e64 s[44:45], s[44:45], v[32:33]
	s_mov_b32 s49, 0x3fe62e42
	v_cndmask_b32_e64 v1, v1, v51, s[42:43]
	s_and_b64 s[42:43], s[44:45], s[42:43]
	v_cndmask_b32_e64 v33, 0, v1, s[44:45]
	v_cndmask_b32_e64 v32, 0, v50, s[42:43]
	v_add_f64 v[50:51], v[32:33], 1.0
	v_add_f64 v[52:53], v[50:51], -1.0
	v_add_f64 v[54:55], v[52:53], -v[50:51]
	v_add_f64 v[54:55], v[54:55], 1.0
	v_add_f64 v[52:53], v[32:33], -v[52:53]
	s_mov_b32 s42, 0x55555555
	v_add_f64 v[52:53], v[52:53], v[54:55]
	v_frexp_mant_f64_e32 v[54:55], v[50:51]
	s_mov_b32 s43, 0x3fe55555
	v_frexp_exp_i32_f64_e32 v1, v[50:51]
	v_cmp_gt_f64_e64 s[42:43], s[42:43], v[54:55]
	s_mov_b32 s51, 0x3c7abc9e
	s_nop 0
	v_subbrev_co_u32_e64 v1, s[42:43], 0, v1, s[42:43]
	v_sub_u32_e32 v35, 0, v1
	v_ldexp_f64 v[50:51], v[50:51], v35
	v_add_f64 v[54:55], v[50:51], -1.0
	v_add_f64 v[60:61], v[50:51], 1.0
	v_add_f64 v[56:57], v[54:55], 1.0
	v_add_f64 v[62:63], v[60:61], -1.0
	v_ldexp_f64 v[52:53], v[52:53], v35
	v_add_f64 v[56:57], v[50:51], -v[56:57]
	v_add_f64 v[50:51], v[50:51], -v[62:63]
	v_add_f64 v[50:51], v[52:53], v[50:51]
	v_add_f64 v[56:57], v[52:53], v[56:57]
	;; [unrolled: 1-line block ×3, first 2 shown]
	v_rcp_f64_e32 v[62:63], v[52:53]
	v_add_f64 v[58:59], v[54:55], v[56:57]
	v_add_f64 v[54:55], v[58:59], -v[54:55]
	v_add_f64 v[54:55], v[56:57], -v[54:55]
	;; [unrolled: 1-line block ×4, first 2 shown]
	v_fma_f64 v[56:57], -v[52:53], v[62:63], 1.0
	v_fmac_f64_e32 v[62:63], v[56:57], v[62:63]
	v_fma_f64 v[56:57], -v[52:53], v[62:63], 1.0
	v_fmac_f64_e32 v[62:63], v[56:57], v[62:63]
	v_mul_f64 v[56:57], v[58:59], v[62:63]
	v_mul_f64 v[60:61], v[52:53], v[56:57]
	v_fma_f64 v[64:65], v[56:57], v[52:53], -v[60:61]
	v_fmac_f64_e32 v[64:65], v[56:57], v[50:51]
	v_add_f64 v[72:73], v[60:61], v[64:65]
	v_add_f64 v[74:75], v[58:59], -v[72:73]
	v_add_f64 v[58:59], v[58:59], -v[74:75]
	;; [unrolled: 1-line block ×4, first 2 shown]
	v_add_f64 v[54:55], v[54:55], v[58:59]
	v_add_f64 v[58:59], v[60:61], -v[64:65]
	v_add_f64 v[54:55], v[58:59], v[54:55]
	v_add_f64 v[58:59], v[74:75], v[54:55]
	v_add_f64 v[60:61], v[74:75], -v[58:59]
	v_add_f64 v[54:55], v[54:55], v[60:61]
	v_mul_f64 v[60:61], v[62:63], v[58:59]
	v_mul_f64 v[64:65], v[52:53], v[60:61]
	v_fma_f64 v[52:53], v[60:61], v[52:53], -v[64:65]
	v_fmac_f64_e32 v[52:53], v[60:61], v[50:51]
	v_add_f64 v[50:51], v[64:65], v[52:53]
	v_add_f64 v[72:73], v[58:59], -v[50:51]
	v_add_f64 v[58:59], v[58:59], -v[72:73]
	;; [unrolled: 1-line block ×4, first 2 shown]
	v_add_f64 v[50:51], v[54:55], v[50:51]
	v_add_f64 v[52:53], v[64:65], -v[52:53]
	v_add_f64 v[50:51], v[52:53], v[50:51]
	v_add_f64 v[52:53], v[56:57], v[60:61]
	;; [unrolled: 1-line block ×3, first 2 shown]
	v_add_f64 v[54:55], v[52:53], -v[56:57]
	v_mul_f64 v[50:51], v[62:63], v[50:51]
	v_add_f64 v[54:55], v[60:61], -v[54:55]
	v_add_f64 v[50:51], v[54:55], v[50:51]
	v_add_f64 v[54:55], v[52:53], v[50:51]
	v_add_f64 v[52:53], v[54:55], -v[52:53]
	s_mov_b32 s42, 0xbf559e2b
	v_add_f64 v[50:51], v[50:51], -v[52:53]
	v_mul_f64 v[52:53], v[54:55], v[54:55]
	v_mov_b32_e32 v56, 0x6b47b09a
	v_mov_b32_e32 v57, 0x3fc38538
	s_mov_b32 s43, 0x3fc3ab76
	v_fmac_f64_e32 v[56:57], s[42:43], v[52:53]
	v_mov_b32_e32 v58, 0xd7f4df2e
	v_mov_b32_e32 v59, 0x3fc7474d
	v_fmac_f64_e32 v[58:59], v[52:53], v[56:57]
	v_mov_b32_e32 v56, 0x16291751
	v_mov_b32_e32 v57, 0x3fcc71c0
	;; [unrolled: 3-line block ×5, first 2 shown]
	v_fmac_f64_e32 v[58:59], v[52:53], v[56:57]
	v_cvt_f64_i32_e32 v[56:57], v1
	v_mul_f64 v[60:61], v[56:57], s[48:49]
	v_fma_f64 v[62:63], v[56:57], s[48:49], -v[60:61]
	v_fmac_f64_e32 v[62:63], s[50:51], v[56:57]
	v_add_f64 v[56:57], v[60:61], v[62:63]
	v_add_f64 v[60:61], v[56:57], -v[60:61]
	v_mul_f64 v[52:53], v[54:55], v[52:53]
	v_add_f64 v[60:61], v[62:63], -v[60:61]
	v_ldexp_f64 v[62:63], v[54:55], 1
	v_mul_f64 v[52:53], v[52:53], v[58:59]
	v_add_f64 v[54:55], v[62:63], v[52:53]
	v_add_f64 v[58:59], v[54:55], -v[62:63]
	v_ldexp_f64 v[50:51], v[50:51], 1
	v_add_f64 v[52:53], v[52:53], -v[58:59]
	v_add_f64 v[50:51], v[50:51], v[52:53]
	v_add_f64 v[52:53], v[54:55], v[50:51]
	v_add_f64 v[54:55], v[52:53], -v[54:55]
	v_add_f64 v[50:51], v[50:51], -v[54:55]
	v_add_f64 v[54:55], v[56:57], v[52:53]
	v_add_f64 v[58:59], v[54:55], -v[56:57]
	v_add_f64 v[62:63], v[54:55], -v[58:59]
	;; [unrolled: 1-line block ×4, first 2 shown]
	v_add_f64 v[52:53], v[52:53], v[56:57]
	v_add_f64 v[56:57], v[60:61], v[50:51]
	v_add_f64 v[58:59], v[56:57], -v[60:61]
	v_add_f64 v[52:53], v[56:57], v[52:53]
	v_add_f64 v[62:63], v[56:57], -v[58:59]
	;; [unrolled: 2-line block ×3, first 2 shown]
	v_add_f64 v[50:51], v[50:51], -v[58:59]
	v_add_f64 v[54:55], v[56:57], -v[54:55]
	v_add_f64 v[50:51], v[50:51], v[60:61]
	v_add_f64 v[52:53], v[52:53], -v[54:55]
	s_mov_b32 s42, 0
	v_add_f64 v[50:51], v[50:51], v[52:53]
	s_mov_b32 s43, 0x7ff00000
	v_add_f64 v[50:51], v[56:57], v[50:51]
	v_cmp_eq_f64_e64 s[42:43], s[42:43], v[32:33]
	s_nop 1
	v_cndmask_b32_e64 v1, v50, v32, s[42:43]
	v_cndmask_b32_e64 v35, v51, v33, s[42:43]
	v_mov_b32_e32 v50, 0x7ff80000
	v_cmp_ngt_f64_e64 s[42:43], -1.0, v[32:33]
	s_nop 1
	v_cndmask_b32_e64 v35, v50, v35, s[42:43]
	v_cmp_nge_f64_e64 s[42:43], -1.0, v[32:33]
	s_nop 1
	v_cndmask_b32_e64 v50, 0, v1, s[42:43]
	v_mov_b32_e32 v1, 0xfff00000
	v_cmp_neq_f64_e64 s[42:43], -1.0, v[32:33]
	s_nop 1
	v_cndmask_b32_e64 v51, v1, v35, s[42:43]
	v_add_f64 v[72:73], v[30:31], v[50:51]
.LBB40_42:
	s_or_b64 exec, exec, s[46:47]
	v_max_f64 v[50:51], v[20:21], v[20:21]
	v_max_f64 v[30:31], v[72:73], v[72:73]
	v_min_f64 v[32:33], v[30:31], v[50:51]
	v_cmp_u_f64_e64 s[44:45], v[72:73], v[72:73]
	v_cmp_u_f64_e64 s[42:43], v[20:21], v[20:21]
	v_max_f64 v[30:31], v[30:31], v[50:51]
	v_cndmask_b32_e64 v1, v32, v72, s[44:45]
	v_cndmask_b32_e64 v32, v33, v73, s[44:45]
	;; [unrolled: 1-line block ×8, first 2 shown]
	v_cmp_neq_f64_e64 s[44:45], v[32:33], v[30:31]
	v_cmp_class_f64_e64 s[46:47], v[32:33], s33
	s_or_b64 s[44:45], s[44:45], s[46:47]
	s_and_saveexec_b64 s[48:49], s[44:45]
	s_cbranch_execz .LBB40_44
; %bb.43:
	s_mov_b32 s44, 0x652b82fe
	v_add_f64 v[32:33], v[32:33], -v[30:31]
	s_mov_b32 s45, 0x3ff71547
	v_mul_f64 v[52:53], v[32:33], s[44:45]
	v_rndne_f64_e32 v[52:53], v[52:53]
	s_mov_b32 s51, 0xbfe62e42
	s_mov_b32 s50, 0xfefa39ef
	v_fma_f64 v[54:55], s[50:51], v[52:53], v[32:33]
	s_mov_b32 s53, 0xbc7abc9e
	s_mov_b32 s52, 0x3b39803f
	;; [unrolled: 1-line block ×3, first 2 shown]
	v_fmac_f64_e32 v[54:55], s[52:53], v[52:53]
	v_mov_b32_e32 v56, 0xfca7ab0c
	v_mov_b32_e32 v57, 0x3e928af3
	s_mov_b32 s45, 0x3e5ade15
	v_fmac_f64_e32 v[56:57], s[44:45], v[54:55]
	v_mov_b32_e32 v58, 0x623fde64
	v_mov_b32_e32 v59, 0x3ec71dee
	v_fmac_f64_e32 v[58:59], v[54:55], v[56:57]
	v_mov_b32_e32 v56, 0x7c89e6b0
	v_mov_b32_e32 v57, 0x3efa0199
	;; [unrolled: 3-line block ×8, first 2 shown]
	v_fmac_f64_e32 v[56:57], v[54:55], v[58:59]
	v_fma_f64 v[56:57], v[54:55], v[56:57], 1.0
	s_mov_b32 s44, 0
	s_mov_b32 s46, 0
	v_fma_f64 v[54:55], v[54:55], v[56:57], 1.0
	v_cvt_i32_f64_e32 v1, v[52:53]
	s_mov_b32 s45, 0x40900000
	s_mov_b32 s47, 0xc090cc00
	v_ldexp_f64 v[52:53], v[54:55], v1
	v_mov_b32_e32 v1, 0x7ff00000
	v_cmp_nlt_f64_e64 s[44:45], s[44:45], v[32:33]
	v_cmp_ngt_f64_e64 s[46:47], s[46:47], v[32:33]
	s_mov_b32 s51, 0x3fe62e42
	v_cndmask_b32_e64 v1, v1, v53, s[44:45]
	s_and_b64 s[44:45], s[46:47], s[44:45]
	v_cndmask_b32_e64 v33, 0, v1, s[46:47]
	v_cndmask_b32_e64 v32, 0, v52, s[44:45]
	v_add_f64 v[52:53], v[32:33], 1.0
	v_add_f64 v[54:55], v[52:53], -1.0
	v_add_f64 v[56:57], v[54:55], -v[52:53]
	v_add_f64 v[56:57], v[56:57], 1.0
	v_add_f64 v[54:55], v[32:33], -v[54:55]
	s_mov_b32 s44, 0x55555555
	v_add_f64 v[54:55], v[54:55], v[56:57]
	v_frexp_mant_f64_e32 v[56:57], v[52:53]
	s_mov_b32 s45, 0x3fe55555
	v_frexp_exp_i32_f64_e32 v1, v[52:53]
	v_cmp_gt_f64_e64 s[44:45], s[44:45], v[56:57]
	s_mov_b32 s53, 0x3c7abc9e
	s_nop 0
	v_subbrev_co_u32_e64 v1, s[44:45], 0, v1, s[44:45]
	v_sub_u32_e32 v35, 0, v1
	v_ldexp_f64 v[52:53], v[52:53], v35
	v_add_f64 v[56:57], v[52:53], -1.0
	v_add_f64 v[62:63], v[52:53], 1.0
	v_add_f64 v[58:59], v[56:57], 1.0
	v_add_f64 v[64:65], v[62:63], -1.0
	v_ldexp_f64 v[54:55], v[54:55], v35
	v_add_f64 v[58:59], v[52:53], -v[58:59]
	v_add_f64 v[52:53], v[52:53], -v[64:65]
	v_add_f64 v[52:53], v[54:55], v[52:53]
	v_add_f64 v[58:59], v[54:55], v[58:59]
	;; [unrolled: 1-line block ×3, first 2 shown]
	v_rcp_f64_e32 v[64:65], v[54:55]
	v_add_f64 v[60:61], v[56:57], v[58:59]
	v_add_f64 v[56:57], v[60:61], -v[56:57]
	v_add_f64 v[56:57], v[58:59], -v[56:57]
	;; [unrolled: 1-line block ×4, first 2 shown]
	v_fma_f64 v[58:59], -v[54:55], v[64:65], 1.0
	v_fmac_f64_e32 v[64:65], v[58:59], v[64:65]
	v_fma_f64 v[58:59], -v[54:55], v[64:65], 1.0
	v_fmac_f64_e32 v[64:65], v[58:59], v[64:65]
	v_mul_f64 v[58:59], v[60:61], v[64:65]
	v_mul_f64 v[62:63], v[54:55], v[58:59]
	v_fma_f64 v[72:73], v[58:59], v[54:55], -v[62:63]
	v_fmac_f64_e32 v[72:73], v[58:59], v[52:53]
	v_add_f64 v[74:75], v[62:63], v[72:73]
	v_add_f64 v[76:77], v[60:61], -v[74:75]
	v_add_f64 v[60:61], v[60:61], -v[76:77]
	;; [unrolled: 1-line block ×4, first 2 shown]
	v_add_f64 v[56:57], v[56:57], v[60:61]
	v_add_f64 v[60:61], v[62:63], -v[72:73]
	v_add_f64 v[56:57], v[60:61], v[56:57]
	v_add_f64 v[60:61], v[76:77], v[56:57]
	v_add_f64 v[62:63], v[76:77], -v[60:61]
	v_add_f64 v[56:57], v[56:57], v[62:63]
	v_mul_f64 v[62:63], v[64:65], v[60:61]
	v_mul_f64 v[72:73], v[54:55], v[62:63]
	v_fma_f64 v[54:55], v[62:63], v[54:55], -v[72:73]
	v_fmac_f64_e32 v[54:55], v[62:63], v[52:53]
	v_add_f64 v[52:53], v[72:73], v[54:55]
	v_add_f64 v[74:75], v[60:61], -v[52:53]
	v_add_f64 v[60:61], v[60:61], -v[74:75]
	v_add_f64 v[72:73], v[52:53], -v[72:73]
	v_add_f64 v[52:53], v[60:61], -v[52:53]
	v_add_f64 v[52:53], v[56:57], v[52:53]
	v_add_f64 v[54:55], v[72:73], -v[54:55]
	v_add_f64 v[52:53], v[54:55], v[52:53]
	v_add_f64 v[54:55], v[58:59], v[62:63]
	;; [unrolled: 1-line block ×3, first 2 shown]
	v_add_f64 v[56:57], v[54:55], -v[58:59]
	v_mul_f64 v[52:53], v[64:65], v[52:53]
	v_add_f64 v[56:57], v[62:63], -v[56:57]
	v_add_f64 v[52:53], v[56:57], v[52:53]
	v_add_f64 v[56:57], v[54:55], v[52:53]
	v_add_f64 v[54:55], v[56:57], -v[54:55]
	s_mov_b32 s44, 0xbf559e2b
	v_add_f64 v[52:53], v[52:53], -v[54:55]
	v_mul_f64 v[54:55], v[56:57], v[56:57]
	v_mov_b32_e32 v58, 0x6b47b09a
	v_mov_b32_e32 v59, 0x3fc38538
	s_mov_b32 s45, 0x3fc3ab76
	v_fmac_f64_e32 v[58:59], s[44:45], v[54:55]
	v_mov_b32_e32 v60, 0xd7f4df2e
	v_mov_b32_e32 v61, 0x3fc7474d
	v_fmac_f64_e32 v[60:61], v[54:55], v[58:59]
	v_mov_b32_e32 v58, 0x16291751
	v_mov_b32_e32 v59, 0x3fcc71c0
	;; [unrolled: 3-line block ×5, first 2 shown]
	v_fmac_f64_e32 v[60:61], v[54:55], v[58:59]
	v_cvt_f64_i32_e32 v[58:59], v1
	v_mul_f64 v[62:63], v[58:59], s[50:51]
	v_fma_f64 v[64:65], v[58:59], s[50:51], -v[62:63]
	v_fmac_f64_e32 v[64:65], s[52:53], v[58:59]
	v_add_f64 v[58:59], v[62:63], v[64:65]
	v_add_f64 v[62:63], v[58:59], -v[62:63]
	v_mul_f64 v[54:55], v[56:57], v[54:55]
	v_add_f64 v[62:63], v[64:65], -v[62:63]
	v_ldexp_f64 v[64:65], v[56:57], 1
	v_mul_f64 v[54:55], v[54:55], v[60:61]
	v_add_f64 v[56:57], v[64:65], v[54:55]
	v_add_f64 v[60:61], v[56:57], -v[64:65]
	v_ldexp_f64 v[52:53], v[52:53], 1
	v_add_f64 v[54:55], v[54:55], -v[60:61]
	v_add_f64 v[52:53], v[52:53], v[54:55]
	v_add_f64 v[54:55], v[56:57], v[52:53]
	v_add_f64 v[56:57], v[54:55], -v[56:57]
	v_add_f64 v[52:53], v[52:53], -v[56:57]
	v_add_f64 v[56:57], v[58:59], v[54:55]
	v_add_f64 v[60:61], v[56:57], -v[58:59]
	v_add_f64 v[64:65], v[56:57], -v[60:61]
	;; [unrolled: 1-line block ×4, first 2 shown]
	v_add_f64 v[54:55], v[54:55], v[58:59]
	v_add_f64 v[58:59], v[62:63], v[52:53]
	v_add_f64 v[60:61], v[58:59], -v[62:63]
	v_add_f64 v[54:55], v[58:59], v[54:55]
	v_add_f64 v[64:65], v[58:59], -v[60:61]
	;; [unrolled: 2-line block ×3, first 2 shown]
	v_add_f64 v[52:53], v[52:53], -v[60:61]
	v_add_f64 v[56:57], v[58:59], -v[56:57]
	v_add_f64 v[52:53], v[52:53], v[62:63]
	v_add_f64 v[54:55], v[54:55], -v[56:57]
	s_mov_b32 s44, 0
	v_add_f64 v[52:53], v[52:53], v[54:55]
	s_mov_b32 s45, 0x7ff00000
	v_add_f64 v[52:53], v[58:59], v[52:53]
	v_cmp_eq_f64_e64 s[44:45], s[44:45], v[32:33]
	s_nop 1
	v_cndmask_b32_e64 v1, v52, v32, s[44:45]
	v_cndmask_b32_e64 v35, v53, v33, s[44:45]
	v_mov_b32_e32 v52, 0x7ff80000
	v_cmp_ngt_f64_e64 s[44:45], -1.0, v[32:33]
	s_nop 1
	v_cndmask_b32_e64 v35, v52, v35, s[44:45]
	v_cmp_nge_f64_e64 s[44:45], -1.0, v[32:33]
	s_nop 1
	v_cndmask_b32_e64 v52, 0, v1, s[44:45]
	v_mov_b32_e32 v1, 0xfff00000
	v_cmp_neq_f64_e64 s[44:45], -1.0, v[32:33]
	s_nop 1
	v_cndmask_b32_e64 v53, v1, v35, s[44:45]
	v_add_f64 v[72:73], v[30:31], v[52:53]
.LBB40_44:
	s_or_b64 exec, exec, s[48:49]
	v_max_f64 v[52:53], v[14:15], v[14:15]
	v_max_f64 v[30:31], v[72:73], v[72:73]
	v_min_f64 v[32:33], v[30:31], v[52:53]
	v_cmp_u_f64_e64 s[46:47], v[72:73], v[72:73]
	v_cmp_u_f64_e64 s[44:45], v[14:15], v[14:15]
	v_max_f64 v[30:31], v[30:31], v[52:53]
	v_cndmask_b32_e64 v1, v32, v72, s[46:47]
	v_cndmask_b32_e64 v32, v33, v73, s[46:47]
	;; [unrolled: 1-line block ×8, first 2 shown]
	v_cmp_neq_f64_e64 s[46:47], v[32:33], v[30:31]
	v_cmp_class_f64_e64 s[48:49], v[32:33], s33
	s_or_b64 s[46:47], s[46:47], s[48:49]
	s_and_saveexec_b64 s[50:51], s[46:47]
	s_cbranch_execz .LBB40_46
; %bb.45:
	s_mov_b32 s46, 0x652b82fe
	v_add_f64 v[32:33], v[32:33], -v[30:31]
	s_mov_b32 s47, 0x3ff71547
	v_mul_f64 v[54:55], v[32:33], s[46:47]
	v_rndne_f64_e32 v[54:55], v[54:55]
	s_mov_b32 s53, 0xbfe62e42
	s_mov_b32 s52, 0xfefa39ef
	v_fma_f64 v[56:57], s[52:53], v[54:55], v[32:33]
	s_mov_b32 s55, 0xbc7abc9e
	s_mov_b32 s54, 0x3b39803f
	;; [unrolled: 1-line block ×3, first 2 shown]
	v_fmac_f64_e32 v[56:57], s[54:55], v[54:55]
	v_mov_b32_e32 v58, 0xfca7ab0c
	v_mov_b32_e32 v59, 0x3e928af3
	s_mov_b32 s47, 0x3e5ade15
	v_fmac_f64_e32 v[58:59], s[46:47], v[56:57]
	v_mov_b32_e32 v60, 0x623fde64
	v_mov_b32_e32 v61, 0x3ec71dee
	v_fmac_f64_e32 v[60:61], v[56:57], v[58:59]
	v_mov_b32_e32 v58, 0x7c89e6b0
	v_mov_b32_e32 v59, 0x3efa0199
	;; [unrolled: 3-line block ×8, first 2 shown]
	v_fmac_f64_e32 v[58:59], v[56:57], v[60:61]
	v_fma_f64 v[58:59], v[56:57], v[58:59], 1.0
	s_mov_b32 s46, 0
	s_mov_b32 s48, 0
	v_fma_f64 v[56:57], v[56:57], v[58:59], 1.0
	v_cvt_i32_f64_e32 v1, v[54:55]
	s_mov_b32 s47, 0x40900000
	s_mov_b32 s49, 0xc090cc00
	v_ldexp_f64 v[54:55], v[56:57], v1
	v_mov_b32_e32 v1, 0x7ff00000
	v_cmp_nlt_f64_e64 s[46:47], s[46:47], v[32:33]
	v_cmp_ngt_f64_e64 s[48:49], s[48:49], v[32:33]
	s_mov_b32 s53, 0x3fe62e42
	v_cndmask_b32_e64 v1, v1, v55, s[46:47]
	s_and_b64 s[46:47], s[48:49], s[46:47]
	v_cndmask_b32_e64 v33, 0, v1, s[48:49]
	v_cndmask_b32_e64 v32, 0, v54, s[46:47]
	v_add_f64 v[54:55], v[32:33], 1.0
	v_add_f64 v[56:57], v[54:55], -1.0
	v_add_f64 v[58:59], v[56:57], -v[54:55]
	v_add_f64 v[58:59], v[58:59], 1.0
	v_add_f64 v[56:57], v[32:33], -v[56:57]
	s_mov_b32 s46, 0x55555555
	v_add_f64 v[56:57], v[56:57], v[58:59]
	v_frexp_mant_f64_e32 v[58:59], v[54:55]
	s_mov_b32 s47, 0x3fe55555
	v_frexp_exp_i32_f64_e32 v1, v[54:55]
	v_cmp_gt_f64_e64 s[46:47], s[46:47], v[58:59]
	s_mov_b32 s55, 0x3c7abc9e
	s_nop 0
	v_subbrev_co_u32_e64 v1, s[46:47], 0, v1, s[46:47]
	v_sub_u32_e32 v35, 0, v1
	v_ldexp_f64 v[54:55], v[54:55], v35
	v_add_f64 v[58:59], v[54:55], -1.0
	v_add_f64 v[64:65], v[54:55], 1.0
	v_add_f64 v[60:61], v[58:59], 1.0
	v_add_f64 v[72:73], v[64:65], -1.0
	v_ldexp_f64 v[56:57], v[56:57], v35
	v_add_f64 v[60:61], v[54:55], -v[60:61]
	v_add_f64 v[54:55], v[54:55], -v[72:73]
	v_add_f64 v[54:55], v[56:57], v[54:55]
	v_add_f64 v[60:61], v[56:57], v[60:61]
	;; [unrolled: 1-line block ×3, first 2 shown]
	v_rcp_f64_e32 v[72:73], v[56:57]
	v_add_f64 v[62:63], v[58:59], v[60:61]
	v_add_f64 v[58:59], v[62:63], -v[58:59]
	v_add_f64 v[58:59], v[60:61], -v[58:59]
	;; [unrolled: 1-line block ×4, first 2 shown]
	v_fma_f64 v[60:61], -v[56:57], v[72:73], 1.0
	v_fmac_f64_e32 v[72:73], v[60:61], v[72:73]
	v_fma_f64 v[60:61], -v[56:57], v[72:73], 1.0
	v_fmac_f64_e32 v[72:73], v[60:61], v[72:73]
	v_mul_f64 v[60:61], v[62:63], v[72:73]
	v_mul_f64 v[64:65], v[56:57], v[60:61]
	v_fma_f64 v[74:75], v[60:61], v[56:57], -v[64:65]
	v_fmac_f64_e32 v[74:75], v[60:61], v[54:55]
	v_add_f64 v[76:77], v[64:65], v[74:75]
	v_add_f64 v[78:79], v[62:63], -v[76:77]
	v_add_f64 v[62:63], v[62:63], -v[78:79]
	;; [unrolled: 1-line block ×4, first 2 shown]
	v_add_f64 v[58:59], v[58:59], v[62:63]
	v_add_f64 v[62:63], v[64:65], -v[74:75]
	v_add_f64 v[58:59], v[62:63], v[58:59]
	v_add_f64 v[62:63], v[78:79], v[58:59]
	v_add_f64 v[64:65], v[78:79], -v[62:63]
	v_add_f64 v[58:59], v[58:59], v[64:65]
	v_mul_f64 v[64:65], v[72:73], v[62:63]
	v_mul_f64 v[74:75], v[56:57], v[64:65]
	v_fma_f64 v[56:57], v[64:65], v[56:57], -v[74:75]
	v_fmac_f64_e32 v[56:57], v[64:65], v[54:55]
	v_add_f64 v[54:55], v[74:75], v[56:57]
	v_add_f64 v[76:77], v[62:63], -v[54:55]
	v_add_f64 v[62:63], v[62:63], -v[76:77]
	;; [unrolled: 1-line block ×4, first 2 shown]
	v_add_f64 v[54:55], v[58:59], v[54:55]
	v_add_f64 v[56:57], v[74:75], -v[56:57]
	v_add_f64 v[54:55], v[56:57], v[54:55]
	v_add_f64 v[56:57], v[60:61], v[64:65]
	;; [unrolled: 1-line block ×3, first 2 shown]
	v_add_f64 v[58:59], v[56:57], -v[60:61]
	v_mul_f64 v[54:55], v[72:73], v[54:55]
	v_add_f64 v[58:59], v[64:65], -v[58:59]
	v_add_f64 v[54:55], v[58:59], v[54:55]
	v_add_f64 v[58:59], v[56:57], v[54:55]
	v_add_f64 v[56:57], v[58:59], -v[56:57]
	s_mov_b32 s46, 0xbf559e2b
	v_add_f64 v[54:55], v[54:55], -v[56:57]
	v_mul_f64 v[56:57], v[58:59], v[58:59]
	v_mov_b32_e32 v60, 0x6b47b09a
	v_mov_b32_e32 v61, 0x3fc38538
	s_mov_b32 s47, 0x3fc3ab76
	v_fmac_f64_e32 v[60:61], s[46:47], v[56:57]
	v_mov_b32_e32 v62, 0xd7f4df2e
	v_mov_b32_e32 v63, 0x3fc7474d
	v_fmac_f64_e32 v[62:63], v[56:57], v[60:61]
	v_mov_b32_e32 v60, 0x16291751
	v_mov_b32_e32 v61, 0x3fcc71c0
	;; [unrolled: 3-line block ×5, first 2 shown]
	v_fmac_f64_e32 v[62:63], v[56:57], v[60:61]
	v_cvt_f64_i32_e32 v[60:61], v1
	v_mul_f64 v[64:65], v[60:61], s[52:53]
	v_fma_f64 v[72:73], v[60:61], s[52:53], -v[64:65]
	v_fmac_f64_e32 v[72:73], s[54:55], v[60:61]
	v_add_f64 v[60:61], v[64:65], v[72:73]
	v_add_f64 v[64:65], v[60:61], -v[64:65]
	v_mul_f64 v[56:57], v[58:59], v[56:57]
	v_add_f64 v[64:65], v[72:73], -v[64:65]
	v_ldexp_f64 v[72:73], v[58:59], 1
	v_mul_f64 v[56:57], v[56:57], v[62:63]
	v_add_f64 v[58:59], v[72:73], v[56:57]
	v_add_f64 v[62:63], v[58:59], -v[72:73]
	v_ldexp_f64 v[54:55], v[54:55], 1
	v_add_f64 v[56:57], v[56:57], -v[62:63]
	v_add_f64 v[54:55], v[54:55], v[56:57]
	v_add_f64 v[56:57], v[58:59], v[54:55]
	v_add_f64 v[58:59], v[56:57], -v[58:59]
	v_add_f64 v[54:55], v[54:55], -v[58:59]
	v_add_f64 v[58:59], v[60:61], v[56:57]
	v_add_f64 v[62:63], v[58:59], -v[60:61]
	v_add_f64 v[72:73], v[58:59], -v[62:63]
	;; [unrolled: 1-line block ×4, first 2 shown]
	v_add_f64 v[56:57], v[56:57], v[60:61]
	v_add_f64 v[60:61], v[64:65], v[54:55]
	v_add_f64 v[62:63], v[60:61], -v[64:65]
	v_add_f64 v[56:57], v[60:61], v[56:57]
	v_add_f64 v[72:73], v[60:61], -v[62:63]
	;; [unrolled: 2-line block ×3, first 2 shown]
	v_add_f64 v[54:55], v[54:55], -v[62:63]
	v_add_f64 v[58:59], v[60:61], -v[58:59]
	v_add_f64 v[54:55], v[54:55], v[64:65]
	v_add_f64 v[56:57], v[56:57], -v[58:59]
	s_mov_b32 s46, 0
	v_add_f64 v[54:55], v[54:55], v[56:57]
	s_mov_b32 s47, 0x7ff00000
	v_add_f64 v[54:55], v[60:61], v[54:55]
	v_cmp_eq_f64_e64 s[46:47], s[46:47], v[32:33]
	s_nop 1
	v_cndmask_b32_e64 v1, v54, v32, s[46:47]
	v_cndmask_b32_e64 v35, v55, v33, s[46:47]
	v_mov_b32_e32 v54, 0x7ff80000
	v_cmp_ngt_f64_e64 s[46:47], -1.0, v[32:33]
	s_nop 1
	v_cndmask_b32_e64 v35, v54, v35, s[46:47]
	v_cmp_nge_f64_e64 s[46:47], -1.0, v[32:33]
	s_nop 1
	v_cndmask_b32_e64 v54, 0, v1, s[46:47]
	v_mov_b32_e32 v1, 0xfff00000
	v_cmp_neq_f64_e64 s[46:47], -1.0, v[32:33]
	s_nop 1
	v_cndmask_b32_e64 v55, v1, v35, s[46:47]
	v_add_f64 v[72:73], v[30:31], v[54:55]
.LBB40_46:
	s_or_b64 exec, exec, s[50:51]
	v_max_f64 v[54:55], v[16:17], v[16:17]
	v_max_f64 v[30:31], v[72:73], v[72:73]
	v_min_f64 v[32:33], v[30:31], v[54:55]
	v_cmp_u_f64_e64 s[48:49], v[72:73], v[72:73]
	v_cmp_u_f64_e64 s[46:47], v[16:17], v[16:17]
	v_max_f64 v[30:31], v[30:31], v[54:55]
	v_cndmask_b32_e64 v1, v32, v72, s[48:49]
	v_cndmask_b32_e64 v32, v33, v73, s[48:49]
	;; [unrolled: 1-line block ×8, first 2 shown]
	v_cmp_neq_f64_e64 s[48:49], v[32:33], v[30:31]
	v_cmp_class_f64_e64 s[50:51], v[32:33], s33
	s_or_b64 s[48:49], s[48:49], s[50:51]
	s_and_saveexec_b64 s[52:53], s[48:49]
	s_cbranch_execz .LBB40_48
; %bb.47:
	s_mov_b32 s48, 0x652b82fe
	v_add_f64 v[32:33], v[32:33], -v[30:31]
	s_mov_b32 s49, 0x3ff71547
	v_mul_f64 v[56:57], v[32:33], s[48:49]
	v_rndne_f64_e32 v[56:57], v[56:57]
	s_mov_b32 s55, 0xbfe62e42
	s_mov_b32 s54, 0xfefa39ef
	v_fma_f64 v[58:59], s[54:55], v[56:57], v[32:33]
	s_mov_b32 s57, 0xbc7abc9e
	s_mov_b32 s56, 0x3b39803f
	;; [unrolled: 1-line block ×3, first 2 shown]
	v_fmac_f64_e32 v[58:59], s[56:57], v[56:57]
	v_mov_b32_e32 v60, 0xfca7ab0c
	v_mov_b32_e32 v61, 0x3e928af3
	s_mov_b32 s49, 0x3e5ade15
	v_fmac_f64_e32 v[60:61], s[48:49], v[58:59]
	v_mov_b32_e32 v62, 0x623fde64
	v_mov_b32_e32 v63, 0x3ec71dee
	v_fmac_f64_e32 v[62:63], v[58:59], v[60:61]
	v_mov_b32_e32 v60, 0x7c89e6b0
	v_mov_b32_e32 v61, 0x3efa0199
	;; [unrolled: 3-line block ×8, first 2 shown]
	v_fmac_f64_e32 v[60:61], v[58:59], v[62:63]
	v_fma_f64 v[60:61], v[58:59], v[60:61], 1.0
	s_mov_b32 s48, 0
	s_mov_b32 s50, 0
	v_fma_f64 v[58:59], v[58:59], v[60:61], 1.0
	v_cvt_i32_f64_e32 v1, v[56:57]
	s_mov_b32 s49, 0x40900000
	s_mov_b32 s51, 0xc090cc00
	v_ldexp_f64 v[56:57], v[58:59], v1
	v_mov_b32_e32 v1, 0x7ff00000
	v_cmp_nlt_f64_e64 s[48:49], s[48:49], v[32:33]
	v_cmp_ngt_f64_e64 s[50:51], s[50:51], v[32:33]
	s_mov_b32 s55, 0x3fe62e42
	v_cndmask_b32_e64 v1, v1, v57, s[48:49]
	s_and_b64 s[48:49], s[50:51], s[48:49]
	v_cndmask_b32_e64 v33, 0, v1, s[50:51]
	v_cndmask_b32_e64 v32, 0, v56, s[48:49]
	v_add_f64 v[56:57], v[32:33], 1.0
	v_add_f64 v[58:59], v[56:57], -1.0
	v_add_f64 v[60:61], v[58:59], -v[56:57]
	v_add_f64 v[60:61], v[60:61], 1.0
	v_add_f64 v[58:59], v[32:33], -v[58:59]
	s_mov_b32 s48, 0x55555555
	v_add_f64 v[58:59], v[58:59], v[60:61]
	v_frexp_mant_f64_e32 v[60:61], v[56:57]
	s_mov_b32 s49, 0x3fe55555
	v_frexp_exp_i32_f64_e32 v1, v[56:57]
	v_cmp_gt_f64_e64 s[48:49], s[48:49], v[60:61]
	s_mov_b32 s57, 0x3c7abc9e
	s_nop 0
	v_subbrev_co_u32_e64 v1, s[48:49], 0, v1, s[48:49]
	v_sub_u32_e32 v35, 0, v1
	v_ldexp_f64 v[56:57], v[56:57], v35
	v_add_f64 v[60:61], v[56:57], -1.0
	v_add_f64 v[72:73], v[56:57], 1.0
	v_add_f64 v[62:63], v[60:61], 1.0
	v_add_f64 v[74:75], v[72:73], -1.0
	v_ldexp_f64 v[58:59], v[58:59], v35
	v_add_f64 v[62:63], v[56:57], -v[62:63]
	v_add_f64 v[56:57], v[56:57], -v[74:75]
	v_add_f64 v[56:57], v[58:59], v[56:57]
	v_add_f64 v[62:63], v[58:59], v[62:63]
	;; [unrolled: 1-line block ×3, first 2 shown]
	v_rcp_f64_e32 v[74:75], v[58:59]
	v_add_f64 v[64:65], v[60:61], v[62:63]
	v_add_f64 v[60:61], v[64:65], -v[60:61]
	v_add_f64 v[60:61], v[62:63], -v[60:61]
	;; [unrolled: 1-line block ×4, first 2 shown]
	v_fma_f64 v[62:63], -v[58:59], v[74:75], 1.0
	v_fmac_f64_e32 v[74:75], v[62:63], v[74:75]
	v_fma_f64 v[62:63], -v[58:59], v[74:75], 1.0
	v_fmac_f64_e32 v[74:75], v[62:63], v[74:75]
	v_mul_f64 v[62:63], v[64:65], v[74:75]
	v_mul_f64 v[72:73], v[58:59], v[62:63]
	v_fma_f64 v[76:77], v[62:63], v[58:59], -v[72:73]
	v_fmac_f64_e32 v[76:77], v[62:63], v[56:57]
	v_add_f64 v[78:79], v[72:73], v[76:77]
	v_add_f64 v[80:81], v[64:65], -v[78:79]
	v_add_f64 v[64:65], v[64:65], -v[80:81]
	;; [unrolled: 1-line block ×4, first 2 shown]
	v_add_f64 v[60:61], v[60:61], v[64:65]
	v_add_f64 v[64:65], v[72:73], -v[76:77]
	v_add_f64 v[60:61], v[64:65], v[60:61]
	v_add_f64 v[64:65], v[80:81], v[60:61]
	v_add_f64 v[72:73], v[80:81], -v[64:65]
	v_add_f64 v[60:61], v[60:61], v[72:73]
	v_mul_f64 v[72:73], v[74:75], v[64:65]
	v_mul_f64 v[76:77], v[58:59], v[72:73]
	v_fma_f64 v[58:59], v[72:73], v[58:59], -v[76:77]
	v_fmac_f64_e32 v[58:59], v[72:73], v[56:57]
	v_add_f64 v[56:57], v[76:77], v[58:59]
	v_add_f64 v[78:79], v[64:65], -v[56:57]
	v_add_f64 v[64:65], v[64:65], -v[78:79]
	;; [unrolled: 1-line block ×4, first 2 shown]
	v_add_f64 v[56:57], v[60:61], v[56:57]
	v_add_f64 v[58:59], v[76:77], -v[58:59]
	v_add_f64 v[56:57], v[58:59], v[56:57]
	v_add_f64 v[58:59], v[62:63], v[72:73]
	v_add_f64 v[56:57], v[78:79], v[56:57]
	v_add_f64 v[60:61], v[58:59], -v[62:63]
	v_mul_f64 v[56:57], v[74:75], v[56:57]
	v_add_f64 v[60:61], v[72:73], -v[60:61]
	v_add_f64 v[56:57], v[60:61], v[56:57]
	v_add_f64 v[60:61], v[58:59], v[56:57]
	v_add_f64 v[58:59], v[60:61], -v[58:59]
	s_mov_b32 s48, 0xbf559e2b
	v_add_f64 v[56:57], v[56:57], -v[58:59]
	v_mul_f64 v[58:59], v[60:61], v[60:61]
	v_mov_b32_e32 v62, 0x6b47b09a
	v_mov_b32_e32 v63, 0x3fc38538
	s_mov_b32 s49, 0x3fc3ab76
	v_fmac_f64_e32 v[62:63], s[48:49], v[58:59]
	v_mov_b32_e32 v64, 0xd7f4df2e
	v_mov_b32_e32 v65, 0x3fc7474d
	v_fmac_f64_e32 v[64:65], v[58:59], v[62:63]
	v_mov_b32_e32 v62, 0x16291751
	v_mov_b32_e32 v63, 0x3fcc71c0
	v_fmac_f64_e32 v[62:63], v[58:59], v[64:65]
	v_mov_b32_e32 v64, 0x9b27acf1
	v_mov_b32_e32 v65, 0x3fd24924
	v_fmac_f64_e32 v[64:65], v[58:59], v[62:63]
	v_mov_b32_e32 v62, 0x998ef7b6
	v_mov_b32_e32 v63, 0x3fd99999
	v_fmac_f64_e32 v[62:63], v[58:59], v[64:65]
	v_mov_b32_e32 v64, 0x55555780
	v_mov_b32_e32 v65, 0x3fe55555
	v_fmac_f64_e32 v[64:65], v[58:59], v[62:63]
	v_cvt_f64_i32_e32 v[62:63], v1
	v_mul_f64 v[72:73], v[62:63], s[54:55]
	v_fma_f64 v[74:75], v[62:63], s[54:55], -v[72:73]
	v_fmac_f64_e32 v[74:75], s[56:57], v[62:63]
	v_add_f64 v[62:63], v[72:73], v[74:75]
	v_add_f64 v[72:73], v[62:63], -v[72:73]
	v_mul_f64 v[58:59], v[60:61], v[58:59]
	v_add_f64 v[72:73], v[74:75], -v[72:73]
	v_ldexp_f64 v[74:75], v[60:61], 1
	v_mul_f64 v[58:59], v[58:59], v[64:65]
	v_add_f64 v[60:61], v[74:75], v[58:59]
	v_add_f64 v[64:65], v[60:61], -v[74:75]
	v_ldexp_f64 v[56:57], v[56:57], 1
	v_add_f64 v[58:59], v[58:59], -v[64:65]
	v_add_f64 v[56:57], v[56:57], v[58:59]
	v_add_f64 v[58:59], v[60:61], v[56:57]
	v_add_f64 v[60:61], v[58:59], -v[60:61]
	v_add_f64 v[56:57], v[56:57], -v[60:61]
	v_add_f64 v[60:61], v[62:63], v[58:59]
	v_add_f64 v[64:65], v[60:61], -v[62:63]
	v_add_f64 v[74:75], v[60:61], -v[64:65]
	v_add_f64 v[62:63], v[62:63], -v[74:75]
	v_add_f64 v[58:59], v[58:59], -v[64:65]
	v_add_f64 v[58:59], v[58:59], v[62:63]
	v_add_f64 v[62:63], v[72:73], v[56:57]
	v_add_f64 v[64:65], v[62:63], -v[72:73]
	v_add_f64 v[58:59], v[62:63], v[58:59]
	v_add_f64 v[74:75], v[62:63], -v[64:65]
	v_add_f64 v[62:63], v[60:61], v[58:59]
	v_add_f64 v[72:73], v[72:73], -v[74:75]
	v_add_f64 v[56:57], v[56:57], -v[64:65]
	v_add_f64 v[60:61], v[62:63], -v[60:61]
	v_add_f64 v[56:57], v[56:57], v[72:73]
	v_add_f64 v[58:59], v[58:59], -v[60:61]
	s_mov_b32 s48, 0
	v_add_f64 v[56:57], v[56:57], v[58:59]
	s_mov_b32 s49, 0x7ff00000
	v_add_f64 v[56:57], v[62:63], v[56:57]
	v_cmp_eq_f64_e64 s[48:49], s[48:49], v[32:33]
	s_nop 1
	v_cndmask_b32_e64 v1, v56, v32, s[48:49]
	v_cndmask_b32_e64 v35, v57, v33, s[48:49]
	v_mov_b32_e32 v56, 0x7ff80000
	v_cmp_ngt_f64_e64 s[48:49], -1.0, v[32:33]
	s_nop 1
	v_cndmask_b32_e64 v35, v56, v35, s[48:49]
	v_cmp_nge_f64_e64 s[48:49], -1.0, v[32:33]
	s_nop 1
	v_cndmask_b32_e64 v56, 0, v1, s[48:49]
	v_mov_b32_e32 v1, 0xfff00000
	v_cmp_neq_f64_e64 s[48:49], -1.0, v[32:33]
	s_nop 1
	v_cndmask_b32_e64 v57, v1, v35, s[48:49]
	v_add_f64 v[72:73], v[30:31], v[56:57]
.LBB40_48:
	s_or_b64 exec, exec, s[52:53]
	v_max_f64 v[56:57], v[10:11], v[10:11]
	v_max_f64 v[30:31], v[72:73], v[72:73]
	v_min_f64 v[32:33], v[30:31], v[56:57]
	v_cmp_u_f64_e64 s[50:51], v[72:73], v[72:73]
	v_cmp_u_f64_e64 s[48:49], v[10:11], v[10:11]
	v_max_f64 v[30:31], v[30:31], v[56:57]
	v_cndmask_b32_e64 v1, v32, v72, s[50:51]
	v_cndmask_b32_e64 v32, v33, v73, s[50:51]
	;; [unrolled: 1-line block ×8, first 2 shown]
	v_cmp_neq_f64_e64 s[50:51], v[32:33], v[30:31]
	v_cmp_class_f64_e64 s[52:53], v[32:33], s33
	s_or_b64 s[50:51], s[50:51], s[52:53]
	s_and_saveexec_b64 s[54:55], s[50:51]
	s_cbranch_execz .LBB40_50
; %bb.49:
	s_mov_b32 s50, 0x652b82fe
	v_add_f64 v[32:33], v[32:33], -v[30:31]
	s_mov_b32 s51, 0x3ff71547
	v_mul_f64 v[58:59], v[32:33], s[50:51]
	v_rndne_f64_e32 v[58:59], v[58:59]
	s_mov_b32 s57, 0xbfe62e42
	s_mov_b32 s56, 0xfefa39ef
	v_fma_f64 v[60:61], s[56:57], v[58:59], v[32:33]
	s_mov_b32 s63, 0xbc7abc9e
	s_mov_b32 s62, 0x3b39803f
	;; [unrolled: 1-line block ×3, first 2 shown]
	v_fmac_f64_e32 v[60:61], s[62:63], v[58:59]
	v_mov_b32_e32 v62, 0xfca7ab0c
	v_mov_b32_e32 v63, 0x3e928af3
	s_mov_b32 s51, 0x3e5ade15
	v_fmac_f64_e32 v[62:63], s[50:51], v[60:61]
	v_mov_b32_e32 v64, 0x623fde64
	v_mov_b32_e32 v65, 0x3ec71dee
	v_fmac_f64_e32 v[64:65], v[60:61], v[62:63]
	v_mov_b32_e32 v62, 0x7c89e6b0
	v_mov_b32_e32 v63, 0x3efa0199
	;; [unrolled: 3-line block ×8, first 2 shown]
	v_fmac_f64_e32 v[62:63], v[60:61], v[64:65]
	v_fma_f64 v[62:63], v[60:61], v[62:63], 1.0
	s_mov_b32 s50, 0
	s_mov_b32 s52, 0
	v_fma_f64 v[60:61], v[60:61], v[62:63], 1.0
	v_cvt_i32_f64_e32 v1, v[58:59]
	s_mov_b32 s51, 0x40900000
	s_mov_b32 s53, 0xc090cc00
	v_ldexp_f64 v[58:59], v[60:61], v1
	v_mov_b32_e32 v1, 0x7ff00000
	v_cmp_nlt_f64_e64 s[50:51], s[50:51], v[32:33]
	v_cmp_ngt_f64_e64 s[52:53], s[52:53], v[32:33]
	s_mov_b32 s57, 0x3fe62e42
	v_cndmask_b32_e64 v1, v1, v59, s[50:51]
	s_and_b64 s[50:51], s[52:53], s[50:51]
	v_cndmask_b32_e64 v33, 0, v1, s[52:53]
	v_cndmask_b32_e64 v32, 0, v58, s[50:51]
	v_add_f64 v[58:59], v[32:33], 1.0
	v_add_f64 v[60:61], v[58:59], -1.0
	v_add_f64 v[62:63], v[60:61], -v[58:59]
	v_add_f64 v[62:63], v[62:63], 1.0
	v_add_f64 v[60:61], v[32:33], -v[60:61]
	s_mov_b32 s50, 0x55555555
	v_add_f64 v[60:61], v[60:61], v[62:63]
	v_frexp_mant_f64_e32 v[62:63], v[58:59]
	s_mov_b32 s51, 0x3fe55555
	v_frexp_exp_i32_f64_e32 v1, v[58:59]
	v_cmp_gt_f64_e64 s[50:51], s[50:51], v[62:63]
	s_mov_b32 s63, 0x3c7abc9e
	s_nop 0
	v_subbrev_co_u32_e64 v1, s[50:51], 0, v1, s[50:51]
	v_sub_u32_e32 v35, 0, v1
	v_ldexp_f64 v[58:59], v[58:59], v35
	v_add_f64 v[62:63], v[58:59], -1.0
	v_add_f64 v[74:75], v[58:59], 1.0
	v_add_f64 v[64:65], v[62:63], 1.0
	v_add_f64 v[76:77], v[74:75], -1.0
	v_ldexp_f64 v[60:61], v[60:61], v35
	v_add_f64 v[64:65], v[58:59], -v[64:65]
	v_add_f64 v[58:59], v[58:59], -v[76:77]
	v_add_f64 v[58:59], v[60:61], v[58:59]
	v_add_f64 v[64:65], v[60:61], v[64:65]
	;; [unrolled: 1-line block ×3, first 2 shown]
	v_rcp_f64_e32 v[76:77], v[60:61]
	v_add_f64 v[72:73], v[62:63], v[64:65]
	v_add_f64 v[62:63], v[72:73], -v[62:63]
	v_add_f64 v[62:63], v[64:65], -v[62:63]
	v_add_f64 v[64:65], v[60:61], -v[74:75]
	v_add_f64 v[58:59], v[58:59], -v[64:65]
	v_fma_f64 v[64:65], -v[60:61], v[76:77], 1.0
	v_fmac_f64_e32 v[76:77], v[64:65], v[76:77]
	v_fma_f64 v[64:65], -v[60:61], v[76:77], 1.0
	v_fmac_f64_e32 v[76:77], v[64:65], v[76:77]
	v_mul_f64 v[64:65], v[72:73], v[76:77]
	v_mul_f64 v[74:75], v[60:61], v[64:65]
	v_fma_f64 v[78:79], v[64:65], v[60:61], -v[74:75]
	v_fmac_f64_e32 v[78:79], v[64:65], v[58:59]
	v_add_f64 v[80:81], v[74:75], v[78:79]
	v_add_f64 v[82:83], v[72:73], -v[80:81]
	v_add_f64 v[72:73], v[72:73], -v[82:83]
	;; [unrolled: 1-line block ×4, first 2 shown]
	v_add_f64 v[62:63], v[62:63], v[72:73]
	v_add_f64 v[72:73], v[74:75], -v[78:79]
	v_add_f64 v[62:63], v[72:73], v[62:63]
	v_add_f64 v[72:73], v[82:83], v[62:63]
	v_add_f64 v[74:75], v[82:83], -v[72:73]
	v_add_f64 v[62:63], v[62:63], v[74:75]
	v_mul_f64 v[74:75], v[76:77], v[72:73]
	v_mul_f64 v[78:79], v[60:61], v[74:75]
	v_fma_f64 v[60:61], v[74:75], v[60:61], -v[78:79]
	v_fmac_f64_e32 v[60:61], v[74:75], v[58:59]
	v_add_f64 v[58:59], v[78:79], v[60:61]
	v_add_f64 v[80:81], v[72:73], -v[58:59]
	v_add_f64 v[72:73], v[72:73], -v[80:81]
	;; [unrolled: 1-line block ×4, first 2 shown]
	v_add_f64 v[58:59], v[62:63], v[58:59]
	v_add_f64 v[60:61], v[78:79], -v[60:61]
	v_add_f64 v[58:59], v[60:61], v[58:59]
	v_add_f64 v[60:61], v[64:65], v[74:75]
	;; [unrolled: 1-line block ×3, first 2 shown]
	v_add_f64 v[62:63], v[60:61], -v[64:65]
	v_mul_f64 v[58:59], v[76:77], v[58:59]
	v_add_f64 v[62:63], v[74:75], -v[62:63]
	v_add_f64 v[58:59], v[62:63], v[58:59]
	v_add_f64 v[62:63], v[60:61], v[58:59]
	v_add_f64 v[60:61], v[62:63], -v[60:61]
	s_mov_b32 s50, 0xbf559e2b
	v_add_f64 v[58:59], v[58:59], -v[60:61]
	v_mul_f64 v[60:61], v[62:63], v[62:63]
	v_mov_b32_e32 v64, 0x6b47b09a
	v_mov_b32_e32 v65, 0x3fc38538
	s_mov_b32 s51, 0x3fc3ab76
	v_fmac_f64_e32 v[64:65], s[50:51], v[60:61]
	v_mov_b32_e32 v72, 0xd7f4df2e
	v_mov_b32_e32 v73, 0x3fc7474d
	v_fmac_f64_e32 v[72:73], v[60:61], v[64:65]
	v_mov_b32_e32 v64, 0x16291751
	v_mov_b32_e32 v65, 0x3fcc71c0
	v_fmac_f64_e32 v[64:65], v[60:61], v[72:73]
	v_mov_b32_e32 v72, 0x9b27acf1
	v_mov_b32_e32 v73, 0x3fd24924
	v_fmac_f64_e32 v[72:73], v[60:61], v[64:65]
	v_mov_b32_e32 v64, 0x998ef7b6
	v_mov_b32_e32 v65, 0x3fd99999
	v_fmac_f64_e32 v[64:65], v[60:61], v[72:73]
	v_mov_b32_e32 v72, 0x55555780
	v_mov_b32_e32 v73, 0x3fe55555
	v_fmac_f64_e32 v[72:73], v[60:61], v[64:65]
	v_cvt_f64_i32_e32 v[64:65], v1
	v_mul_f64 v[74:75], v[64:65], s[56:57]
	v_fma_f64 v[76:77], v[64:65], s[56:57], -v[74:75]
	v_fmac_f64_e32 v[76:77], s[62:63], v[64:65]
	v_add_f64 v[64:65], v[74:75], v[76:77]
	v_add_f64 v[74:75], v[64:65], -v[74:75]
	v_mul_f64 v[60:61], v[62:63], v[60:61]
	v_add_f64 v[74:75], v[76:77], -v[74:75]
	v_ldexp_f64 v[76:77], v[62:63], 1
	v_mul_f64 v[60:61], v[60:61], v[72:73]
	v_add_f64 v[62:63], v[76:77], v[60:61]
	v_add_f64 v[72:73], v[62:63], -v[76:77]
	v_ldexp_f64 v[58:59], v[58:59], 1
	v_add_f64 v[60:61], v[60:61], -v[72:73]
	v_add_f64 v[58:59], v[58:59], v[60:61]
	v_add_f64 v[60:61], v[62:63], v[58:59]
	v_add_f64 v[62:63], v[60:61], -v[62:63]
	v_add_f64 v[58:59], v[58:59], -v[62:63]
	v_add_f64 v[62:63], v[64:65], v[60:61]
	v_add_f64 v[72:73], v[62:63], -v[64:65]
	v_add_f64 v[76:77], v[62:63], -v[72:73]
	;; [unrolled: 1-line block ×4, first 2 shown]
	v_add_f64 v[60:61], v[60:61], v[64:65]
	v_add_f64 v[64:65], v[74:75], v[58:59]
	v_add_f64 v[72:73], v[64:65], -v[74:75]
	v_add_f64 v[60:61], v[64:65], v[60:61]
	v_add_f64 v[76:77], v[64:65], -v[72:73]
	;; [unrolled: 2-line block ×3, first 2 shown]
	v_add_f64 v[58:59], v[58:59], -v[72:73]
	v_add_f64 v[62:63], v[64:65], -v[62:63]
	v_add_f64 v[58:59], v[58:59], v[74:75]
	v_add_f64 v[60:61], v[60:61], -v[62:63]
	s_mov_b32 s50, 0
	v_add_f64 v[58:59], v[58:59], v[60:61]
	s_mov_b32 s51, 0x7ff00000
	v_add_f64 v[58:59], v[64:65], v[58:59]
	v_cmp_eq_f64_e64 s[50:51], s[50:51], v[32:33]
	s_nop 1
	v_cndmask_b32_e64 v1, v58, v32, s[50:51]
	v_cndmask_b32_e64 v35, v59, v33, s[50:51]
	v_mov_b32_e32 v58, 0x7ff80000
	v_cmp_ngt_f64_e64 s[50:51], -1.0, v[32:33]
	s_nop 1
	v_cndmask_b32_e64 v35, v58, v35, s[50:51]
	v_cmp_nge_f64_e64 s[50:51], -1.0, v[32:33]
	s_nop 1
	v_cndmask_b32_e64 v58, 0, v1, s[50:51]
	v_mov_b32_e32 v1, 0xfff00000
	v_cmp_neq_f64_e64 s[50:51], -1.0, v[32:33]
	s_nop 1
	v_cndmask_b32_e64 v59, v1, v35, s[50:51]
	v_add_f64 v[72:73], v[30:31], v[58:59]
.LBB40_50:
	s_or_b64 exec, exec, s[54:55]
	v_max_f64 v[58:59], v[12:13], v[12:13]
	v_max_f64 v[30:31], v[72:73], v[72:73]
	v_min_f64 v[32:33], v[30:31], v[58:59]
	v_cmp_u_f64_e64 s[52:53], v[72:73], v[72:73]
	v_cmp_u_f64_e64 s[50:51], v[12:13], v[12:13]
	v_max_f64 v[30:31], v[30:31], v[58:59]
	v_cndmask_b32_e64 v1, v32, v72, s[52:53]
	v_cndmask_b32_e64 v32, v33, v73, s[52:53]
	;; [unrolled: 1-line block ×8, first 2 shown]
	v_cmp_neq_f64_e64 s[52:53], v[32:33], v[30:31]
	v_cmp_class_f64_e64 s[54:55], v[32:33], s33
	s_or_b64 s[52:53], s[52:53], s[54:55]
	s_and_saveexec_b64 s[56:57], s[52:53]
	s_cbranch_execz .LBB40_52
; %bb.51:
	s_mov_b32 s52, 0x652b82fe
	v_add_f64 v[32:33], v[32:33], -v[30:31]
	s_mov_b32 s53, 0x3ff71547
	v_mul_f64 v[60:61], v[32:33], s[52:53]
	v_rndne_f64_e32 v[60:61], v[60:61]
	s_mov_b32 s63, 0xbfe62e42
	s_mov_b32 s62, 0xfefa39ef
	v_fma_f64 v[62:63], s[62:63], v[60:61], v[32:33]
	s_mov_b32 s65, 0xbc7abc9e
	s_mov_b32 s64, 0x3b39803f
	;; [unrolled: 1-line block ×3, first 2 shown]
	v_fmac_f64_e32 v[62:63], s[64:65], v[60:61]
	v_mov_b32_e32 v64, 0xfca7ab0c
	v_mov_b32_e32 v65, 0x3e928af3
	s_mov_b32 s53, 0x3e5ade15
	v_fmac_f64_e32 v[64:65], s[52:53], v[62:63]
	v_mov_b32_e32 v72, 0x623fde64
	v_mov_b32_e32 v73, 0x3ec71dee
	v_fmac_f64_e32 v[72:73], v[62:63], v[64:65]
	v_mov_b32_e32 v64, 0x7c89e6b0
	v_mov_b32_e32 v65, 0x3efa0199
	;; [unrolled: 3-line block ×8, first 2 shown]
	v_fmac_f64_e32 v[64:65], v[62:63], v[72:73]
	v_fma_f64 v[64:65], v[62:63], v[64:65], 1.0
	s_mov_b32 s52, 0
	s_mov_b32 s54, 0
	v_fma_f64 v[62:63], v[62:63], v[64:65], 1.0
	v_cvt_i32_f64_e32 v1, v[60:61]
	s_mov_b32 s53, 0x40900000
	s_mov_b32 s55, 0xc090cc00
	v_ldexp_f64 v[60:61], v[62:63], v1
	v_mov_b32_e32 v1, 0x7ff00000
	v_cmp_nlt_f64_e64 s[52:53], s[52:53], v[32:33]
	v_cmp_ngt_f64_e64 s[54:55], s[54:55], v[32:33]
	s_mov_b32 s63, 0x3fe62e42
	v_cndmask_b32_e64 v1, v1, v61, s[52:53]
	s_and_b64 s[52:53], s[54:55], s[52:53]
	v_cndmask_b32_e64 v33, 0, v1, s[54:55]
	v_cndmask_b32_e64 v32, 0, v60, s[52:53]
	v_add_f64 v[60:61], v[32:33], 1.0
	v_add_f64 v[62:63], v[60:61], -1.0
	v_add_f64 v[64:65], v[62:63], -v[60:61]
	v_add_f64 v[64:65], v[64:65], 1.0
	v_add_f64 v[62:63], v[32:33], -v[62:63]
	s_mov_b32 s52, 0x55555555
	v_add_f64 v[62:63], v[62:63], v[64:65]
	v_frexp_mant_f64_e32 v[64:65], v[60:61]
	s_mov_b32 s53, 0x3fe55555
	v_frexp_exp_i32_f64_e32 v1, v[60:61]
	v_cmp_gt_f64_e64 s[52:53], s[52:53], v[64:65]
	s_mov_b32 s65, 0x3c7abc9e
	s_nop 0
	v_subbrev_co_u32_e64 v1, s[52:53], 0, v1, s[52:53]
	v_sub_u32_e32 v35, 0, v1
	v_ldexp_f64 v[60:61], v[60:61], v35
	v_add_f64 v[64:65], v[60:61], -1.0
	v_add_f64 v[76:77], v[60:61], 1.0
	v_add_f64 v[72:73], v[64:65], 1.0
	v_add_f64 v[78:79], v[76:77], -1.0
	v_ldexp_f64 v[62:63], v[62:63], v35
	v_add_f64 v[72:73], v[60:61], -v[72:73]
	v_add_f64 v[60:61], v[60:61], -v[78:79]
	v_add_f64 v[60:61], v[62:63], v[60:61]
	v_add_f64 v[72:73], v[62:63], v[72:73]
	;; [unrolled: 1-line block ×3, first 2 shown]
	v_rcp_f64_e32 v[78:79], v[62:63]
	v_add_f64 v[74:75], v[64:65], v[72:73]
	v_add_f64 v[64:65], v[74:75], -v[64:65]
	v_add_f64 v[64:65], v[72:73], -v[64:65]
	;; [unrolled: 1-line block ×4, first 2 shown]
	v_fma_f64 v[72:73], -v[62:63], v[78:79], 1.0
	v_fmac_f64_e32 v[78:79], v[72:73], v[78:79]
	v_fma_f64 v[72:73], -v[62:63], v[78:79], 1.0
	v_fmac_f64_e32 v[78:79], v[72:73], v[78:79]
	v_mul_f64 v[72:73], v[74:75], v[78:79]
	v_mul_f64 v[76:77], v[62:63], v[72:73]
	v_fma_f64 v[80:81], v[72:73], v[62:63], -v[76:77]
	v_fmac_f64_e32 v[80:81], v[72:73], v[60:61]
	v_add_f64 v[82:83], v[76:77], v[80:81]
	v_add_f64 v[84:85], v[74:75], -v[82:83]
	v_add_f64 v[74:75], v[74:75], -v[84:85]
	;; [unrolled: 1-line block ×4, first 2 shown]
	v_add_f64 v[64:65], v[64:65], v[74:75]
	v_add_f64 v[74:75], v[76:77], -v[80:81]
	v_add_f64 v[64:65], v[74:75], v[64:65]
	v_add_f64 v[74:75], v[84:85], v[64:65]
	v_add_f64 v[76:77], v[84:85], -v[74:75]
	v_add_f64 v[64:65], v[64:65], v[76:77]
	v_mul_f64 v[76:77], v[78:79], v[74:75]
	v_mul_f64 v[80:81], v[62:63], v[76:77]
	v_fma_f64 v[62:63], v[76:77], v[62:63], -v[80:81]
	v_fmac_f64_e32 v[62:63], v[76:77], v[60:61]
	v_add_f64 v[60:61], v[80:81], v[62:63]
	v_add_f64 v[82:83], v[74:75], -v[60:61]
	v_add_f64 v[74:75], v[74:75], -v[82:83]
	;; [unrolled: 1-line block ×4, first 2 shown]
	v_add_f64 v[60:61], v[64:65], v[60:61]
	v_add_f64 v[62:63], v[80:81], -v[62:63]
	v_add_f64 v[60:61], v[62:63], v[60:61]
	v_add_f64 v[62:63], v[72:73], v[76:77]
	;; [unrolled: 1-line block ×3, first 2 shown]
	v_add_f64 v[64:65], v[62:63], -v[72:73]
	v_mul_f64 v[60:61], v[78:79], v[60:61]
	v_add_f64 v[64:65], v[76:77], -v[64:65]
	v_add_f64 v[60:61], v[64:65], v[60:61]
	v_add_f64 v[64:65], v[62:63], v[60:61]
	v_add_f64 v[62:63], v[64:65], -v[62:63]
	s_mov_b32 s52, 0xbf559e2b
	v_add_f64 v[60:61], v[60:61], -v[62:63]
	v_mul_f64 v[62:63], v[64:65], v[64:65]
	v_mov_b32_e32 v72, 0x6b47b09a
	v_mov_b32_e32 v73, 0x3fc38538
	s_mov_b32 s53, 0x3fc3ab76
	v_fmac_f64_e32 v[72:73], s[52:53], v[62:63]
	v_mov_b32_e32 v74, 0xd7f4df2e
	v_mov_b32_e32 v75, 0x3fc7474d
	v_fmac_f64_e32 v[74:75], v[62:63], v[72:73]
	v_mov_b32_e32 v72, 0x16291751
	v_mov_b32_e32 v73, 0x3fcc71c0
	;; [unrolled: 3-line block ×5, first 2 shown]
	v_fmac_f64_e32 v[74:75], v[62:63], v[72:73]
	v_cvt_f64_i32_e32 v[72:73], v1
	v_mul_f64 v[76:77], v[72:73], s[62:63]
	v_fma_f64 v[78:79], v[72:73], s[62:63], -v[76:77]
	v_fmac_f64_e32 v[78:79], s[64:65], v[72:73]
	v_add_f64 v[72:73], v[76:77], v[78:79]
	v_add_f64 v[76:77], v[72:73], -v[76:77]
	v_mul_f64 v[62:63], v[64:65], v[62:63]
	v_add_f64 v[76:77], v[78:79], -v[76:77]
	v_ldexp_f64 v[78:79], v[64:65], 1
	v_mul_f64 v[62:63], v[62:63], v[74:75]
	v_add_f64 v[64:65], v[78:79], v[62:63]
	v_add_f64 v[74:75], v[64:65], -v[78:79]
	v_ldexp_f64 v[60:61], v[60:61], 1
	v_add_f64 v[62:63], v[62:63], -v[74:75]
	v_add_f64 v[60:61], v[60:61], v[62:63]
	v_add_f64 v[62:63], v[64:65], v[60:61]
	v_add_f64 v[64:65], v[62:63], -v[64:65]
	v_add_f64 v[60:61], v[60:61], -v[64:65]
	v_add_f64 v[64:65], v[72:73], v[62:63]
	v_add_f64 v[74:75], v[64:65], -v[72:73]
	v_add_f64 v[78:79], v[64:65], -v[74:75]
	;; [unrolled: 1-line block ×4, first 2 shown]
	v_add_f64 v[62:63], v[62:63], v[72:73]
	v_add_f64 v[72:73], v[76:77], v[60:61]
	v_add_f64 v[74:75], v[72:73], -v[76:77]
	v_add_f64 v[62:63], v[72:73], v[62:63]
	v_add_f64 v[78:79], v[72:73], -v[74:75]
	;; [unrolled: 2-line block ×3, first 2 shown]
	v_add_f64 v[60:61], v[60:61], -v[74:75]
	v_add_f64 v[64:65], v[72:73], -v[64:65]
	v_add_f64 v[60:61], v[60:61], v[76:77]
	v_add_f64 v[62:63], v[62:63], -v[64:65]
	s_mov_b32 s52, 0
	v_add_f64 v[60:61], v[60:61], v[62:63]
	s_mov_b32 s53, 0x7ff00000
	v_add_f64 v[60:61], v[72:73], v[60:61]
	v_cmp_eq_f64_e64 s[52:53], s[52:53], v[32:33]
	s_nop 1
	v_cndmask_b32_e64 v1, v60, v32, s[52:53]
	v_cndmask_b32_e64 v35, v61, v33, s[52:53]
	v_mov_b32_e32 v60, 0x7ff80000
	v_cmp_ngt_f64_e64 s[52:53], -1.0, v[32:33]
	s_nop 1
	v_cndmask_b32_e64 v35, v60, v35, s[52:53]
	v_cmp_nge_f64_e64 s[52:53], -1.0, v[32:33]
	s_nop 1
	v_cndmask_b32_e64 v60, 0, v1, s[52:53]
	v_mov_b32_e32 v1, 0xfff00000
	v_cmp_neq_f64_e64 s[52:53], -1.0, v[32:33]
	s_nop 1
	v_cndmask_b32_e64 v61, v1, v35, s[52:53]
	v_add_f64 v[72:73], v[30:31], v[60:61]
.LBB40_52:
	s_or_b64 exec, exec, s[56:57]
	v_max_f64 v[60:61], v[6:7], v[6:7]
	v_max_f64 v[30:31], v[72:73], v[72:73]
	v_min_f64 v[32:33], v[30:31], v[60:61]
	v_cmp_u_f64_e64 s[54:55], v[72:73], v[72:73]
	v_cmp_u_f64_e64 s[52:53], v[6:7], v[6:7]
	v_max_f64 v[30:31], v[30:31], v[60:61]
	v_cndmask_b32_e64 v1, v32, v72, s[54:55]
	v_cndmask_b32_e64 v32, v33, v73, s[54:55]
	;; [unrolled: 1-line block ×8, first 2 shown]
	v_cmp_neq_f64_e64 s[54:55], v[32:33], v[30:31]
	v_cmp_class_f64_e64 s[56:57], v[32:33], s33
	s_or_b64 s[54:55], s[54:55], s[56:57]
	s_and_saveexec_b64 s[62:63], s[54:55]
	s_cbranch_execz .LBB40_54
; %bb.53:
	s_mov_b32 s54, 0x652b82fe
	v_add_f64 v[32:33], v[32:33], -v[30:31]
	s_mov_b32 s55, 0x3ff71547
	v_mul_f64 v[62:63], v[32:33], s[54:55]
	v_rndne_f64_e32 v[62:63], v[62:63]
	s_mov_b32 s65, 0xbfe62e42
	s_mov_b32 s64, 0xfefa39ef
	v_fma_f64 v[64:65], s[64:65], v[62:63], v[32:33]
	s_mov_b32 s67, 0xbc7abc9e
	s_mov_b32 s66, 0x3b39803f
	;; [unrolled: 1-line block ×3, first 2 shown]
	v_fmac_f64_e32 v[64:65], s[66:67], v[62:63]
	v_mov_b32_e32 v72, 0xfca7ab0c
	v_mov_b32_e32 v73, 0x3e928af3
	s_mov_b32 s55, 0x3e5ade15
	v_fmac_f64_e32 v[72:73], s[54:55], v[64:65]
	v_mov_b32_e32 v74, 0x623fde64
	v_mov_b32_e32 v75, 0x3ec71dee
	v_fmac_f64_e32 v[74:75], v[64:65], v[72:73]
	v_mov_b32_e32 v72, 0x7c89e6b0
	v_mov_b32_e32 v73, 0x3efa0199
	;; [unrolled: 3-line block ×8, first 2 shown]
	v_fmac_f64_e32 v[72:73], v[64:65], v[74:75]
	v_fma_f64 v[72:73], v[64:65], v[72:73], 1.0
	s_mov_b32 s54, 0
	s_mov_b32 s56, 0
	v_fma_f64 v[64:65], v[64:65], v[72:73], 1.0
	v_cvt_i32_f64_e32 v1, v[62:63]
	s_mov_b32 s55, 0x40900000
	s_mov_b32 s57, 0xc090cc00
	v_ldexp_f64 v[62:63], v[64:65], v1
	v_mov_b32_e32 v1, 0x7ff00000
	v_cmp_nlt_f64_e64 s[54:55], s[54:55], v[32:33]
	v_cmp_ngt_f64_e64 s[56:57], s[56:57], v[32:33]
	s_mov_b32 s65, 0x3fe62e42
	v_cndmask_b32_e64 v1, v1, v63, s[54:55]
	s_and_b64 s[54:55], s[56:57], s[54:55]
	v_cndmask_b32_e64 v33, 0, v1, s[56:57]
	v_cndmask_b32_e64 v32, 0, v62, s[54:55]
	v_add_f64 v[62:63], v[32:33], 1.0
	v_add_f64 v[64:65], v[62:63], -1.0
	v_add_f64 v[72:73], v[64:65], -v[62:63]
	v_add_f64 v[72:73], v[72:73], 1.0
	v_add_f64 v[64:65], v[32:33], -v[64:65]
	s_mov_b32 s54, 0x55555555
	v_add_f64 v[64:65], v[64:65], v[72:73]
	v_frexp_mant_f64_e32 v[72:73], v[62:63]
	s_mov_b32 s55, 0x3fe55555
	v_frexp_exp_i32_f64_e32 v1, v[62:63]
	v_cmp_gt_f64_e64 s[54:55], s[54:55], v[72:73]
	s_mov_b32 s67, 0x3c7abc9e
	s_nop 0
	v_subbrev_co_u32_e64 v1, s[54:55], 0, v1, s[54:55]
	v_sub_u32_e32 v35, 0, v1
	v_ldexp_f64 v[62:63], v[62:63], v35
	v_add_f64 v[72:73], v[62:63], -1.0
	v_add_f64 v[78:79], v[62:63], 1.0
	v_add_f64 v[74:75], v[72:73], 1.0
	v_add_f64 v[80:81], v[78:79], -1.0
	v_ldexp_f64 v[64:65], v[64:65], v35
	v_add_f64 v[74:75], v[62:63], -v[74:75]
	v_add_f64 v[62:63], v[62:63], -v[80:81]
	v_add_f64 v[62:63], v[64:65], v[62:63]
	v_add_f64 v[74:75], v[64:65], v[74:75]
	;; [unrolled: 1-line block ×3, first 2 shown]
	v_rcp_f64_e32 v[80:81], v[64:65]
	v_add_f64 v[76:77], v[72:73], v[74:75]
	v_add_f64 v[72:73], v[76:77], -v[72:73]
	v_add_f64 v[72:73], v[74:75], -v[72:73]
	;; [unrolled: 1-line block ×4, first 2 shown]
	v_fma_f64 v[74:75], -v[64:65], v[80:81], 1.0
	v_fmac_f64_e32 v[80:81], v[74:75], v[80:81]
	v_fma_f64 v[74:75], -v[64:65], v[80:81], 1.0
	v_fmac_f64_e32 v[80:81], v[74:75], v[80:81]
	v_mul_f64 v[74:75], v[76:77], v[80:81]
	v_mul_f64 v[78:79], v[64:65], v[74:75]
	v_fma_f64 v[82:83], v[74:75], v[64:65], -v[78:79]
	v_fmac_f64_e32 v[82:83], v[74:75], v[62:63]
	v_add_f64 v[84:85], v[78:79], v[82:83]
	v_add_f64 v[86:87], v[76:77], -v[84:85]
	v_add_f64 v[76:77], v[76:77], -v[86:87]
	;; [unrolled: 1-line block ×4, first 2 shown]
	v_add_f64 v[72:73], v[72:73], v[76:77]
	v_add_f64 v[76:77], v[78:79], -v[82:83]
	v_add_f64 v[72:73], v[76:77], v[72:73]
	v_add_f64 v[76:77], v[86:87], v[72:73]
	v_add_f64 v[78:79], v[86:87], -v[76:77]
	v_add_f64 v[72:73], v[72:73], v[78:79]
	v_mul_f64 v[78:79], v[80:81], v[76:77]
	v_mul_f64 v[82:83], v[64:65], v[78:79]
	v_fma_f64 v[64:65], v[78:79], v[64:65], -v[82:83]
	v_fmac_f64_e32 v[64:65], v[78:79], v[62:63]
	v_add_f64 v[62:63], v[82:83], v[64:65]
	v_add_f64 v[84:85], v[76:77], -v[62:63]
	v_add_f64 v[76:77], v[76:77], -v[84:85]
	;; [unrolled: 1-line block ×4, first 2 shown]
	v_add_f64 v[62:63], v[72:73], v[62:63]
	v_add_f64 v[64:65], v[82:83], -v[64:65]
	v_add_f64 v[62:63], v[64:65], v[62:63]
	v_add_f64 v[64:65], v[74:75], v[78:79]
	v_add_f64 v[62:63], v[84:85], v[62:63]
	v_add_f64 v[72:73], v[64:65], -v[74:75]
	v_mul_f64 v[62:63], v[80:81], v[62:63]
	v_add_f64 v[72:73], v[78:79], -v[72:73]
	v_add_f64 v[62:63], v[72:73], v[62:63]
	v_add_f64 v[72:73], v[64:65], v[62:63]
	v_add_f64 v[64:65], v[72:73], -v[64:65]
	s_mov_b32 s54, 0xbf559e2b
	v_add_f64 v[62:63], v[62:63], -v[64:65]
	v_mul_f64 v[64:65], v[72:73], v[72:73]
	v_mov_b32_e32 v74, 0x6b47b09a
	v_mov_b32_e32 v75, 0x3fc38538
	s_mov_b32 s55, 0x3fc3ab76
	v_fmac_f64_e32 v[74:75], s[54:55], v[64:65]
	v_mov_b32_e32 v76, 0xd7f4df2e
	v_mov_b32_e32 v77, 0x3fc7474d
	v_fmac_f64_e32 v[76:77], v[64:65], v[74:75]
	v_mov_b32_e32 v74, 0x16291751
	v_mov_b32_e32 v75, 0x3fcc71c0
	;; [unrolled: 3-line block ×5, first 2 shown]
	v_fmac_f64_e32 v[76:77], v[64:65], v[74:75]
	v_cvt_f64_i32_e32 v[74:75], v1
	v_mul_f64 v[78:79], v[74:75], s[64:65]
	v_fma_f64 v[80:81], v[74:75], s[64:65], -v[78:79]
	v_fmac_f64_e32 v[80:81], s[66:67], v[74:75]
	v_add_f64 v[74:75], v[78:79], v[80:81]
	v_add_f64 v[78:79], v[74:75], -v[78:79]
	v_mul_f64 v[64:65], v[72:73], v[64:65]
	v_add_f64 v[78:79], v[80:81], -v[78:79]
	v_ldexp_f64 v[80:81], v[72:73], 1
	v_mul_f64 v[64:65], v[64:65], v[76:77]
	v_add_f64 v[72:73], v[80:81], v[64:65]
	v_add_f64 v[76:77], v[72:73], -v[80:81]
	v_ldexp_f64 v[62:63], v[62:63], 1
	v_add_f64 v[64:65], v[64:65], -v[76:77]
	v_add_f64 v[62:63], v[62:63], v[64:65]
	v_add_f64 v[64:65], v[72:73], v[62:63]
	v_add_f64 v[72:73], v[64:65], -v[72:73]
	v_add_f64 v[62:63], v[62:63], -v[72:73]
	v_add_f64 v[72:73], v[74:75], v[64:65]
	v_add_f64 v[76:77], v[72:73], -v[74:75]
	v_add_f64 v[80:81], v[72:73], -v[76:77]
	;; [unrolled: 1-line block ×4, first 2 shown]
	v_add_f64 v[64:65], v[64:65], v[74:75]
	v_add_f64 v[74:75], v[78:79], v[62:63]
	v_add_f64 v[76:77], v[74:75], -v[78:79]
	v_add_f64 v[64:65], v[74:75], v[64:65]
	v_add_f64 v[80:81], v[74:75], -v[76:77]
	;; [unrolled: 2-line block ×3, first 2 shown]
	v_add_f64 v[62:63], v[62:63], -v[76:77]
	v_add_f64 v[72:73], v[74:75], -v[72:73]
	v_add_f64 v[62:63], v[62:63], v[78:79]
	v_add_f64 v[64:65], v[64:65], -v[72:73]
	s_mov_b32 s54, 0
	v_add_f64 v[62:63], v[62:63], v[64:65]
	s_mov_b32 s55, 0x7ff00000
	v_add_f64 v[62:63], v[74:75], v[62:63]
	v_cmp_eq_f64_e64 s[54:55], s[54:55], v[32:33]
	s_nop 1
	v_cndmask_b32_e64 v1, v62, v32, s[54:55]
	v_cndmask_b32_e64 v35, v63, v33, s[54:55]
	v_mov_b32_e32 v62, 0x7ff80000
	v_cmp_ngt_f64_e64 s[54:55], -1.0, v[32:33]
	s_nop 1
	v_cndmask_b32_e64 v35, v62, v35, s[54:55]
	v_cmp_nge_f64_e64 s[54:55], -1.0, v[32:33]
	s_nop 1
	v_cndmask_b32_e64 v62, 0, v1, s[54:55]
	v_mov_b32_e32 v1, 0xfff00000
	v_cmp_neq_f64_e64 s[54:55], -1.0, v[32:33]
	s_nop 1
	v_cndmask_b32_e64 v63, v1, v35, s[54:55]
	v_add_f64 v[72:73], v[30:31], v[62:63]
.LBB40_54:
	s_or_b64 exec, exec, s[62:63]
	v_max_f64 v[62:63], v[8:9], v[8:9]
	v_max_f64 v[30:31], v[72:73], v[72:73]
	v_min_f64 v[32:33], v[30:31], v[62:63]
	v_cmp_u_f64_e64 s[56:57], v[72:73], v[72:73]
	v_cmp_u_f64_e64 s[54:55], v[8:9], v[8:9]
	v_max_f64 v[30:31], v[30:31], v[62:63]
	v_cndmask_b32_e64 v1, v32, v72, s[56:57]
	v_cndmask_b32_e64 v32, v33, v73, s[56:57]
	;; [unrolled: 1-line block ×8, first 2 shown]
	v_cmp_neq_f64_e64 s[56:57], v[32:33], v[30:31]
	v_cmp_class_f64_e64 s[62:63], v[32:33], s33
	s_or_b64 s[56:57], s[56:57], s[62:63]
	s_and_saveexec_b64 s[64:65], s[56:57]
	s_cbranch_execz .LBB40_56
; %bb.55:
	s_mov_b32 s56, 0x652b82fe
	v_add_f64 v[32:33], v[32:33], -v[30:31]
	s_mov_b32 s57, 0x3ff71547
	v_mul_f64 v[64:65], v[32:33], s[56:57]
	v_rndne_f64_e32 v[64:65], v[64:65]
	s_mov_b32 s67, 0xbfe62e42
	s_mov_b32 s66, 0xfefa39ef
	v_fma_f64 v[72:73], s[66:67], v[64:65], v[32:33]
	s_mov_b32 s69, 0xbc7abc9e
	s_mov_b32 s68, 0x3b39803f
	;; [unrolled: 1-line block ×3, first 2 shown]
	v_fmac_f64_e32 v[72:73], s[68:69], v[64:65]
	v_mov_b32_e32 v74, 0xfca7ab0c
	v_mov_b32_e32 v75, 0x3e928af3
	s_mov_b32 s57, 0x3e5ade15
	v_fmac_f64_e32 v[74:75], s[56:57], v[72:73]
	v_mov_b32_e32 v76, 0x623fde64
	v_mov_b32_e32 v77, 0x3ec71dee
	v_fmac_f64_e32 v[76:77], v[72:73], v[74:75]
	v_mov_b32_e32 v74, 0x7c89e6b0
	v_mov_b32_e32 v75, 0x3efa0199
	;; [unrolled: 3-line block ×8, first 2 shown]
	v_fmac_f64_e32 v[74:75], v[72:73], v[76:77]
	v_fma_f64 v[74:75], v[72:73], v[74:75], 1.0
	s_mov_b32 s56, 0
	s_mov_b32 s62, 0
	v_fma_f64 v[72:73], v[72:73], v[74:75], 1.0
	v_cvt_i32_f64_e32 v1, v[64:65]
	s_mov_b32 s57, 0x40900000
	s_mov_b32 s63, 0xc090cc00
	v_ldexp_f64 v[64:65], v[72:73], v1
	v_mov_b32_e32 v1, 0x7ff00000
	v_cmp_nlt_f64_e64 s[56:57], s[56:57], v[32:33]
	v_cmp_ngt_f64_e64 s[62:63], s[62:63], v[32:33]
	s_mov_b32 s67, 0x3fe62e42
	v_cndmask_b32_e64 v1, v1, v65, s[56:57]
	s_and_b64 s[56:57], s[62:63], s[56:57]
	v_cndmask_b32_e64 v33, 0, v1, s[62:63]
	v_cndmask_b32_e64 v32, 0, v64, s[56:57]
	v_add_f64 v[64:65], v[32:33], 1.0
	v_add_f64 v[72:73], v[64:65], -1.0
	v_add_f64 v[74:75], v[72:73], -v[64:65]
	v_add_f64 v[74:75], v[74:75], 1.0
	v_add_f64 v[72:73], v[32:33], -v[72:73]
	s_mov_b32 s56, 0x55555555
	v_add_f64 v[72:73], v[72:73], v[74:75]
	v_frexp_mant_f64_e32 v[74:75], v[64:65]
	s_mov_b32 s57, 0x3fe55555
	v_frexp_exp_i32_f64_e32 v1, v[64:65]
	v_cmp_gt_f64_e64 s[56:57], s[56:57], v[74:75]
	s_mov_b32 s69, 0x3c7abc9e
	s_nop 0
	v_subbrev_co_u32_e64 v1, s[56:57], 0, v1, s[56:57]
	v_sub_u32_e32 v35, 0, v1
	v_ldexp_f64 v[64:65], v[64:65], v35
	v_add_f64 v[74:75], v[64:65], -1.0
	v_add_f64 v[80:81], v[64:65], 1.0
	v_add_f64 v[76:77], v[74:75], 1.0
	v_add_f64 v[82:83], v[80:81], -1.0
	v_ldexp_f64 v[72:73], v[72:73], v35
	v_add_f64 v[76:77], v[64:65], -v[76:77]
	v_add_f64 v[64:65], v[64:65], -v[82:83]
	v_add_f64 v[64:65], v[72:73], v[64:65]
	v_add_f64 v[76:77], v[72:73], v[76:77]
	;; [unrolled: 1-line block ×3, first 2 shown]
	v_rcp_f64_e32 v[82:83], v[72:73]
	v_add_f64 v[78:79], v[74:75], v[76:77]
	v_add_f64 v[74:75], v[78:79], -v[74:75]
	v_add_f64 v[74:75], v[76:77], -v[74:75]
	;; [unrolled: 1-line block ×4, first 2 shown]
	v_fma_f64 v[76:77], -v[72:73], v[82:83], 1.0
	v_fmac_f64_e32 v[82:83], v[76:77], v[82:83]
	v_fma_f64 v[76:77], -v[72:73], v[82:83], 1.0
	v_fmac_f64_e32 v[82:83], v[76:77], v[82:83]
	v_mul_f64 v[76:77], v[78:79], v[82:83]
	v_mul_f64 v[80:81], v[72:73], v[76:77]
	v_fma_f64 v[84:85], v[76:77], v[72:73], -v[80:81]
	v_fmac_f64_e32 v[84:85], v[76:77], v[64:65]
	v_add_f64 v[86:87], v[80:81], v[84:85]
	v_add_f64 v[88:89], v[78:79], -v[86:87]
	v_add_f64 v[78:79], v[78:79], -v[88:89]
	v_add_f64 v[80:81], v[86:87], -v[80:81]
	v_add_f64 v[78:79], v[78:79], -v[86:87]
	v_add_f64 v[74:75], v[74:75], v[78:79]
	v_add_f64 v[78:79], v[80:81], -v[84:85]
	v_add_f64 v[74:75], v[78:79], v[74:75]
	v_add_f64 v[78:79], v[88:89], v[74:75]
	v_add_f64 v[80:81], v[88:89], -v[78:79]
	v_add_f64 v[74:75], v[74:75], v[80:81]
	v_mul_f64 v[80:81], v[82:83], v[78:79]
	v_mul_f64 v[84:85], v[72:73], v[80:81]
	v_fma_f64 v[72:73], v[80:81], v[72:73], -v[84:85]
	v_fmac_f64_e32 v[72:73], v[80:81], v[64:65]
	v_add_f64 v[64:65], v[84:85], v[72:73]
	v_add_f64 v[86:87], v[78:79], -v[64:65]
	v_add_f64 v[78:79], v[78:79], -v[86:87]
	;; [unrolled: 1-line block ×4, first 2 shown]
	v_add_f64 v[64:65], v[74:75], v[64:65]
	v_add_f64 v[72:73], v[84:85], -v[72:73]
	v_add_f64 v[64:65], v[72:73], v[64:65]
	v_add_f64 v[72:73], v[76:77], v[80:81]
	;; [unrolled: 1-line block ×3, first 2 shown]
	v_add_f64 v[74:75], v[72:73], -v[76:77]
	v_mul_f64 v[64:65], v[82:83], v[64:65]
	v_add_f64 v[74:75], v[80:81], -v[74:75]
	v_add_f64 v[64:65], v[74:75], v[64:65]
	v_add_f64 v[74:75], v[72:73], v[64:65]
	v_add_f64 v[72:73], v[74:75], -v[72:73]
	s_mov_b32 s56, 0xbf559e2b
	v_add_f64 v[64:65], v[64:65], -v[72:73]
	v_mul_f64 v[72:73], v[74:75], v[74:75]
	v_mov_b32_e32 v76, 0x6b47b09a
	v_mov_b32_e32 v77, 0x3fc38538
	s_mov_b32 s57, 0x3fc3ab76
	v_fmac_f64_e32 v[76:77], s[56:57], v[72:73]
	v_mov_b32_e32 v78, 0xd7f4df2e
	v_mov_b32_e32 v79, 0x3fc7474d
	v_fmac_f64_e32 v[78:79], v[72:73], v[76:77]
	v_mov_b32_e32 v76, 0x16291751
	v_mov_b32_e32 v77, 0x3fcc71c0
	;; [unrolled: 3-line block ×5, first 2 shown]
	v_fmac_f64_e32 v[78:79], v[72:73], v[76:77]
	v_cvt_f64_i32_e32 v[76:77], v1
	v_mul_f64 v[80:81], v[76:77], s[66:67]
	v_fma_f64 v[82:83], v[76:77], s[66:67], -v[80:81]
	v_fmac_f64_e32 v[82:83], s[68:69], v[76:77]
	v_add_f64 v[76:77], v[80:81], v[82:83]
	v_add_f64 v[80:81], v[76:77], -v[80:81]
	v_mul_f64 v[72:73], v[74:75], v[72:73]
	v_add_f64 v[80:81], v[82:83], -v[80:81]
	v_ldexp_f64 v[82:83], v[74:75], 1
	v_mul_f64 v[72:73], v[72:73], v[78:79]
	v_add_f64 v[74:75], v[82:83], v[72:73]
	v_add_f64 v[78:79], v[74:75], -v[82:83]
	v_ldexp_f64 v[64:65], v[64:65], 1
	v_add_f64 v[72:73], v[72:73], -v[78:79]
	v_add_f64 v[64:65], v[64:65], v[72:73]
	v_add_f64 v[72:73], v[74:75], v[64:65]
	v_add_f64 v[74:75], v[72:73], -v[74:75]
	v_add_f64 v[64:65], v[64:65], -v[74:75]
	v_add_f64 v[74:75], v[76:77], v[72:73]
	v_add_f64 v[78:79], v[74:75], -v[76:77]
	v_add_f64 v[82:83], v[74:75], -v[78:79]
	;; [unrolled: 1-line block ×4, first 2 shown]
	v_add_f64 v[72:73], v[72:73], v[76:77]
	v_add_f64 v[76:77], v[80:81], v[64:65]
	v_add_f64 v[78:79], v[76:77], -v[80:81]
	v_add_f64 v[72:73], v[76:77], v[72:73]
	v_add_f64 v[82:83], v[76:77], -v[78:79]
	;; [unrolled: 2-line block ×3, first 2 shown]
	v_add_f64 v[64:65], v[64:65], -v[78:79]
	v_add_f64 v[74:75], v[76:77], -v[74:75]
	v_add_f64 v[64:65], v[64:65], v[80:81]
	v_add_f64 v[72:73], v[72:73], -v[74:75]
	s_mov_b32 s56, 0
	v_add_f64 v[64:65], v[64:65], v[72:73]
	s_mov_b32 s57, 0x7ff00000
	v_add_f64 v[64:65], v[76:77], v[64:65]
	v_cmp_eq_f64_e64 s[56:57], s[56:57], v[32:33]
	s_nop 1
	v_cndmask_b32_e64 v1, v64, v32, s[56:57]
	v_cndmask_b32_e64 v35, v65, v33, s[56:57]
	v_mov_b32_e32 v64, 0x7ff80000
	v_cmp_ngt_f64_e64 s[56:57], -1.0, v[32:33]
	s_nop 1
	v_cndmask_b32_e64 v35, v64, v35, s[56:57]
	v_cmp_nge_f64_e64 s[56:57], -1.0, v[32:33]
	s_nop 1
	v_cndmask_b32_e64 v64, 0, v1, s[56:57]
	v_mov_b32_e32 v1, 0xfff00000
	v_cmp_neq_f64_e64 s[56:57], -1.0, v[32:33]
	s_nop 1
	v_cndmask_b32_e64 v65, v1, v35, s[56:57]
	v_add_f64 v[72:73], v[30:31], v[64:65]
.LBB40_56:
	s_or_b64 exec, exec, s[64:65]
	v_max_f64 v[64:65], v[36:37], v[36:37]
	v_max_f64 v[30:31], v[72:73], v[72:73]
	v_min_f64 v[32:33], v[30:31], v[64:65]
	v_cmp_u_f64_e64 s[62:63], v[72:73], v[72:73]
	v_cmp_u_f64_e64 s[56:57], v[36:37], v[36:37]
	v_max_f64 v[30:31], v[30:31], v[64:65]
	v_cndmask_b32_e64 v1, v32, v72, s[62:63]
	v_cndmask_b32_e64 v32, v33, v73, s[62:63]
	v_cndmask_b32_e64 v33, v32, v37, s[56:57]
	v_cndmask_b32_e64 v32, v1, v36, s[56:57]
	v_cndmask_b32_e64 v1, v30, v72, s[62:63]
	v_cndmask_b32_e64 v30, v31, v73, s[62:63]
	v_cndmask_b32_e64 v31, v30, v37, s[56:57]
	v_cndmask_b32_e64 v30, v1, v36, s[56:57]
	v_cmp_neq_f64_e64 s[62:63], v[32:33], v[30:31]
	v_cmp_class_f64_e64 s[64:65], v[32:33], s33
	s_or_b64 s[62:63], s[62:63], s[64:65]
	s_and_saveexec_b64 s[66:67], s[62:63]
	s_cbranch_execz .LBB40_58
; %bb.57:
	s_mov_b32 s62, 0x652b82fe
	v_add_f64 v[32:33], v[32:33], -v[30:31]
	s_mov_b32 s63, 0x3ff71547
	v_mul_f64 v[72:73], v[32:33], s[62:63]
	v_rndne_f64_e32 v[72:73], v[72:73]
	s_mov_b32 s69, 0xbfe62e42
	s_mov_b32 s68, 0xfefa39ef
	v_fma_f64 v[74:75], s[68:69], v[72:73], v[32:33]
	s_mov_b32 s71, 0xbc7abc9e
	s_mov_b32 s70, 0x3b39803f
	;; [unrolled: 1-line block ×3, first 2 shown]
	v_fmac_f64_e32 v[74:75], s[70:71], v[72:73]
	v_mov_b32_e32 v76, 0xfca7ab0c
	v_mov_b32_e32 v77, 0x3e928af3
	s_mov_b32 s63, 0x3e5ade15
	v_fmac_f64_e32 v[76:77], s[62:63], v[74:75]
	v_mov_b32_e32 v78, 0x623fde64
	v_mov_b32_e32 v79, 0x3ec71dee
	v_fmac_f64_e32 v[78:79], v[74:75], v[76:77]
	v_mov_b32_e32 v76, 0x7c89e6b0
	v_mov_b32_e32 v77, 0x3efa0199
	;; [unrolled: 3-line block ×8, first 2 shown]
	v_fmac_f64_e32 v[76:77], v[74:75], v[78:79]
	v_fma_f64 v[76:77], v[74:75], v[76:77], 1.0
	s_mov_b32 s62, 0
	s_mov_b32 s64, 0
	v_fma_f64 v[74:75], v[74:75], v[76:77], 1.0
	v_cvt_i32_f64_e32 v1, v[72:73]
	s_mov_b32 s63, 0x40900000
	s_mov_b32 s65, 0xc090cc00
	v_ldexp_f64 v[72:73], v[74:75], v1
	v_mov_b32_e32 v1, 0x7ff00000
	v_cmp_nlt_f64_e64 s[62:63], s[62:63], v[32:33]
	v_cmp_ngt_f64_e64 s[64:65], s[64:65], v[32:33]
	s_mov_b32 s69, 0x3fe62e42
	v_cndmask_b32_e64 v1, v1, v73, s[62:63]
	s_and_b64 s[62:63], s[64:65], s[62:63]
	v_cndmask_b32_e64 v33, 0, v1, s[64:65]
	v_cndmask_b32_e64 v32, 0, v72, s[62:63]
	v_add_f64 v[72:73], v[32:33], 1.0
	v_add_f64 v[74:75], v[72:73], -1.0
	v_add_f64 v[76:77], v[74:75], -v[72:73]
	v_add_f64 v[76:77], v[76:77], 1.0
	v_add_f64 v[74:75], v[32:33], -v[74:75]
	s_mov_b32 s62, 0x55555555
	v_add_f64 v[74:75], v[74:75], v[76:77]
	v_frexp_mant_f64_e32 v[76:77], v[72:73]
	s_mov_b32 s63, 0x3fe55555
	v_frexp_exp_i32_f64_e32 v1, v[72:73]
	v_cmp_gt_f64_e64 s[62:63], s[62:63], v[76:77]
	s_mov_b32 s71, 0x3c7abc9e
	s_nop 0
	v_subbrev_co_u32_e64 v1, s[62:63], 0, v1, s[62:63]
	v_sub_u32_e32 v35, 0, v1
	v_ldexp_f64 v[72:73], v[72:73], v35
	v_add_f64 v[76:77], v[72:73], -1.0
	v_add_f64 v[82:83], v[72:73], 1.0
	v_add_f64 v[78:79], v[76:77], 1.0
	v_add_f64 v[84:85], v[82:83], -1.0
	v_ldexp_f64 v[74:75], v[74:75], v35
	v_add_f64 v[78:79], v[72:73], -v[78:79]
	v_add_f64 v[72:73], v[72:73], -v[84:85]
	v_add_f64 v[72:73], v[74:75], v[72:73]
	v_add_f64 v[78:79], v[74:75], v[78:79]
	v_add_f64 v[74:75], v[82:83], v[72:73]
	v_rcp_f64_e32 v[84:85], v[74:75]
	v_add_f64 v[80:81], v[76:77], v[78:79]
	v_add_f64 v[76:77], v[80:81], -v[76:77]
	v_add_f64 v[76:77], v[78:79], -v[76:77]
	;; [unrolled: 1-line block ×4, first 2 shown]
	v_fma_f64 v[78:79], -v[74:75], v[84:85], 1.0
	v_fmac_f64_e32 v[84:85], v[78:79], v[84:85]
	v_fma_f64 v[78:79], -v[74:75], v[84:85], 1.0
	v_fmac_f64_e32 v[84:85], v[78:79], v[84:85]
	v_mul_f64 v[78:79], v[80:81], v[84:85]
	v_mul_f64 v[82:83], v[74:75], v[78:79]
	v_fma_f64 v[86:87], v[78:79], v[74:75], -v[82:83]
	v_fmac_f64_e32 v[86:87], v[78:79], v[72:73]
	v_add_f64 v[88:89], v[82:83], v[86:87]
	v_add_f64 v[90:91], v[80:81], -v[88:89]
	v_add_f64 v[80:81], v[80:81], -v[90:91]
	;; [unrolled: 1-line block ×4, first 2 shown]
	v_add_f64 v[76:77], v[76:77], v[80:81]
	v_add_f64 v[80:81], v[82:83], -v[86:87]
	v_add_f64 v[76:77], v[80:81], v[76:77]
	v_add_f64 v[80:81], v[90:91], v[76:77]
	v_add_f64 v[82:83], v[90:91], -v[80:81]
	v_add_f64 v[76:77], v[76:77], v[82:83]
	v_mul_f64 v[82:83], v[84:85], v[80:81]
	v_mul_f64 v[86:87], v[74:75], v[82:83]
	v_fma_f64 v[74:75], v[82:83], v[74:75], -v[86:87]
	v_fmac_f64_e32 v[74:75], v[82:83], v[72:73]
	v_add_f64 v[72:73], v[86:87], v[74:75]
	v_add_f64 v[88:89], v[80:81], -v[72:73]
	v_add_f64 v[80:81], v[80:81], -v[88:89]
	;; [unrolled: 1-line block ×4, first 2 shown]
	v_add_f64 v[72:73], v[76:77], v[72:73]
	v_add_f64 v[74:75], v[86:87], -v[74:75]
	v_add_f64 v[72:73], v[74:75], v[72:73]
	v_add_f64 v[74:75], v[78:79], v[82:83]
	;; [unrolled: 1-line block ×3, first 2 shown]
	v_add_f64 v[76:77], v[74:75], -v[78:79]
	v_mul_f64 v[72:73], v[84:85], v[72:73]
	v_add_f64 v[76:77], v[82:83], -v[76:77]
	v_add_f64 v[72:73], v[76:77], v[72:73]
	v_add_f64 v[76:77], v[74:75], v[72:73]
	v_add_f64 v[74:75], v[76:77], -v[74:75]
	s_mov_b32 s62, 0xbf559e2b
	v_add_f64 v[72:73], v[72:73], -v[74:75]
	v_mul_f64 v[74:75], v[76:77], v[76:77]
	v_mov_b32_e32 v78, 0x6b47b09a
	v_mov_b32_e32 v79, 0x3fc38538
	s_mov_b32 s63, 0x3fc3ab76
	v_fmac_f64_e32 v[78:79], s[62:63], v[74:75]
	v_mov_b32_e32 v80, 0xd7f4df2e
	v_mov_b32_e32 v81, 0x3fc7474d
	v_fmac_f64_e32 v[80:81], v[74:75], v[78:79]
	v_mov_b32_e32 v78, 0x16291751
	v_mov_b32_e32 v79, 0x3fcc71c0
	;; [unrolled: 3-line block ×5, first 2 shown]
	v_fmac_f64_e32 v[80:81], v[74:75], v[78:79]
	v_cvt_f64_i32_e32 v[78:79], v1
	v_mul_f64 v[82:83], v[78:79], s[68:69]
	v_fma_f64 v[84:85], v[78:79], s[68:69], -v[82:83]
	v_fmac_f64_e32 v[84:85], s[70:71], v[78:79]
	v_add_f64 v[78:79], v[82:83], v[84:85]
	v_add_f64 v[82:83], v[78:79], -v[82:83]
	v_mul_f64 v[74:75], v[76:77], v[74:75]
	v_add_f64 v[82:83], v[84:85], -v[82:83]
	v_ldexp_f64 v[84:85], v[76:77], 1
	v_mul_f64 v[74:75], v[74:75], v[80:81]
	v_add_f64 v[76:77], v[84:85], v[74:75]
	v_add_f64 v[80:81], v[76:77], -v[84:85]
	v_ldexp_f64 v[72:73], v[72:73], 1
	v_add_f64 v[74:75], v[74:75], -v[80:81]
	v_add_f64 v[72:73], v[72:73], v[74:75]
	v_add_f64 v[74:75], v[76:77], v[72:73]
	v_add_f64 v[76:77], v[74:75], -v[76:77]
	v_add_f64 v[72:73], v[72:73], -v[76:77]
	v_add_f64 v[76:77], v[78:79], v[74:75]
	v_add_f64 v[80:81], v[76:77], -v[78:79]
	v_add_f64 v[84:85], v[76:77], -v[80:81]
	;; [unrolled: 1-line block ×4, first 2 shown]
	v_add_f64 v[74:75], v[74:75], v[78:79]
	v_add_f64 v[78:79], v[82:83], v[72:73]
	v_add_f64 v[80:81], v[78:79], -v[82:83]
	v_add_f64 v[74:75], v[78:79], v[74:75]
	v_add_f64 v[84:85], v[78:79], -v[80:81]
	;; [unrolled: 2-line block ×3, first 2 shown]
	v_add_f64 v[72:73], v[72:73], -v[80:81]
	v_add_f64 v[76:77], v[78:79], -v[76:77]
	v_add_f64 v[72:73], v[72:73], v[82:83]
	v_add_f64 v[74:75], v[74:75], -v[76:77]
	s_mov_b32 s62, 0
	v_add_f64 v[72:73], v[72:73], v[74:75]
	s_mov_b32 s63, 0x7ff00000
	v_add_f64 v[72:73], v[78:79], v[72:73]
	v_cmp_eq_f64_e64 s[62:63], s[62:63], v[32:33]
	s_nop 1
	v_cndmask_b32_e64 v1, v72, v32, s[62:63]
	v_cndmask_b32_e64 v35, v73, v33, s[62:63]
	v_mov_b32_e32 v72, 0x7ff80000
	v_cmp_ngt_f64_e64 s[62:63], -1.0, v[32:33]
	s_nop 1
	v_cndmask_b32_e64 v35, v72, v35, s[62:63]
	v_cmp_nge_f64_e64 s[62:63], -1.0, v[32:33]
	s_nop 1
	v_cndmask_b32_e64 v72, 0, v1, s[62:63]
	v_mov_b32_e32 v1, 0xfff00000
	v_cmp_neq_f64_e64 s[62:63], -1.0, v[32:33]
	s_nop 1
	v_cndmask_b32_e64 v73, v1, v35, s[62:63]
	v_add_f64 v[72:73], v[30:31], v[72:73]
.LBB40_58:
	s_or_b64 exec, exec, s[66:67]
	v_lshrrev_b32_e32 v1, 2, v0
	v_and_b32_e32 v1, 56, v1
	v_add_u32_e32 v1, v34, v1
	v_cmp_gt_u32_e64 s[62:63], 64, v0
	ds_write_b64 v1, v[72:73]
	s_waitcnt lgkmcnt(0)
	s_barrier
	s_and_saveexec_b64 s[68:69], s[62:63]
	s_cbranch_execz .LBB40_98
; %bb.59:
	v_lshlrev_b32_e32 v1, 2, v0
	v_lshrrev_b32_e32 v30, 3, v0
	v_add_lshl_u32 v1, v30, v1, 3
	ds_read2_b64 v[30:33], v1 offset1:1
	s_waitcnt lgkmcnt(0)
	v_max_f64 v[76:77], v[32:33], v[32:33]
	v_max_f64 v[74:75], v[30:31], v[30:31]
	v_min_f64 v[78:79], v[74:75], v[76:77]
	v_cmp_u_f64_e64 s[62:63], v[30:31], v[30:31]
	v_cmp_u_f64_e64 s[64:65], v[32:33], v[32:33]
	v_max_f64 v[76:77], v[74:75], v[76:77]
	v_cndmask_b32_e64 v35, v78, v30, s[62:63]
	v_cndmask_b32_e64 v78, v79, v31, s[62:63]
	;; [unrolled: 1-line block ×8, first 2 shown]
	v_cmp_neq_f64_e64 s[64:65], v[78:79], v[76:77]
	v_cmp_class_f64_e64 s[66:67], v[78:79], s33
	s_or_b64 s[64:65], s[64:65], s[66:67]
	v_mov_b64_e32 v[32:33], v[30:31]
	s_and_saveexec_b64 s[70:71], s[64:65]
	s_cbranch_execz .LBB40_61
; %bb.60:
	s_mov_b32 s64, 0x652b82fe
	v_add_f64 v[32:33], v[78:79], -v[76:77]
	s_mov_b32 s65, 0x3ff71547
	v_mul_f64 v[78:79], v[32:33], s[64:65]
	v_rndne_f64_e32 v[78:79], v[78:79]
	s_mov_b32 s73, 0xbfe62e42
	s_mov_b32 s72, 0xfefa39ef
	v_fma_f64 v[80:81], s[72:73], v[78:79], v[32:33]
	s_mov_b32 s75, 0xbc7abc9e
	s_mov_b32 s74, 0x3b39803f
	;; [unrolled: 1-line block ×3, first 2 shown]
	v_fmac_f64_e32 v[80:81], s[74:75], v[78:79]
	v_mov_b32_e32 v82, 0xfca7ab0c
	v_mov_b32_e32 v83, 0x3e928af3
	s_mov_b32 s65, 0x3e5ade15
	v_fmac_f64_e32 v[82:83], s[64:65], v[80:81]
	v_mov_b32_e32 v84, 0x623fde64
	v_mov_b32_e32 v85, 0x3ec71dee
	v_fmac_f64_e32 v[84:85], v[80:81], v[82:83]
	v_mov_b32_e32 v82, 0x7c89e6b0
	v_mov_b32_e32 v83, 0x3efa0199
	;; [unrolled: 3-line block ×8, first 2 shown]
	v_fmac_f64_e32 v[82:83], v[80:81], v[84:85]
	v_fma_f64 v[82:83], v[80:81], v[82:83], 1.0
	s_mov_b32 s64, 0
	s_mov_b32 s66, 0
	v_fma_f64 v[80:81], v[80:81], v[82:83], 1.0
	v_cvt_i32_f64_e32 v35, v[78:79]
	s_mov_b32 s65, 0x40900000
	s_mov_b32 s67, 0xc090cc00
	v_ldexp_f64 v[78:79], v[80:81], v35
	v_mov_b32_e32 v35, 0x7ff00000
	v_cmp_nlt_f64_e64 s[64:65], s[64:65], v[32:33]
	v_cmp_ngt_f64_e64 s[66:67], s[66:67], v[32:33]
	s_mov_b32 s73, 0x3fe62e42
	v_cndmask_b32_e64 v35, v35, v79, s[64:65]
	s_and_b64 s[64:65], s[66:67], s[64:65]
	v_cndmask_b32_e64 v33, 0, v35, s[66:67]
	v_cndmask_b32_e64 v32, 0, v78, s[64:65]
	v_add_f64 v[78:79], v[32:33], 1.0
	v_add_f64 v[80:81], v[78:79], -1.0
	v_add_f64 v[82:83], v[80:81], -v[78:79]
	v_add_f64 v[82:83], v[82:83], 1.0
	v_add_f64 v[80:81], v[32:33], -v[80:81]
	s_mov_b32 s64, 0x55555555
	v_add_f64 v[80:81], v[80:81], v[82:83]
	v_frexp_mant_f64_e32 v[82:83], v[78:79]
	s_mov_b32 s65, 0x3fe55555
	v_frexp_exp_i32_f64_e32 v35, v[78:79]
	v_cmp_gt_f64_e64 s[64:65], s[64:65], v[82:83]
	s_mov_b32 s75, 0x3c7abc9e
	s_nop 0
	v_subbrev_co_u32_e64 v35, s[64:65], 0, v35, s[64:65]
	v_sub_u32_e32 v82, 0, v35
	v_ldexp_f64 v[78:79], v[78:79], v82
	v_ldexp_f64 v[80:81], v[80:81], v82
	v_add_f64 v[82:83], v[78:79], -1.0
	v_add_f64 v[88:89], v[78:79], 1.0
	v_add_f64 v[84:85], v[82:83], 1.0
	v_add_f64 v[90:91], v[88:89], -1.0
	v_add_f64 v[84:85], v[78:79], -v[84:85]
	v_add_f64 v[78:79], v[78:79], -v[90:91]
	v_add_f64 v[78:79], v[80:81], v[78:79]
	v_add_f64 v[84:85], v[80:81], v[84:85]
	;; [unrolled: 1-line block ×3, first 2 shown]
	v_rcp_f64_e32 v[90:91], v[80:81]
	v_add_f64 v[86:87], v[82:83], v[84:85]
	v_add_f64 v[82:83], v[86:87], -v[82:83]
	v_add_f64 v[82:83], v[84:85], -v[82:83]
	v_add_f64 v[84:85], v[80:81], -v[88:89]
	v_add_f64 v[78:79], v[78:79], -v[84:85]
	v_fma_f64 v[84:85], -v[80:81], v[90:91], 1.0
	v_fmac_f64_e32 v[90:91], v[84:85], v[90:91]
	v_fma_f64 v[84:85], -v[80:81], v[90:91], 1.0
	v_fmac_f64_e32 v[90:91], v[84:85], v[90:91]
	v_mul_f64 v[84:85], v[86:87], v[90:91]
	v_mul_f64 v[88:89], v[80:81], v[84:85]
	v_fma_f64 v[92:93], v[84:85], v[80:81], -v[88:89]
	v_fmac_f64_e32 v[92:93], v[84:85], v[78:79]
	v_add_f64 v[94:95], v[88:89], v[92:93]
	v_add_f64 v[96:97], v[86:87], -v[94:95]
	v_add_f64 v[86:87], v[86:87], -v[96:97]
	;; [unrolled: 1-line block ×4, first 2 shown]
	v_add_f64 v[82:83], v[82:83], v[86:87]
	v_add_f64 v[86:87], v[88:89], -v[92:93]
	v_add_f64 v[82:83], v[86:87], v[82:83]
	v_add_f64 v[86:87], v[96:97], v[82:83]
	v_add_f64 v[88:89], v[96:97], -v[86:87]
	v_add_f64 v[82:83], v[82:83], v[88:89]
	v_mul_f64 v[88:89], v[90:91], v[86:87]
	v_mul_f64 v[92:93], v[80:81], v[88:89]
	v_fma_f64 v[80:81], v[88:89], v[80:81], -v[92:93]
	v_fmac_f64_e32 v[80:81], v[88:89], v[78:79]
	v_add_f64 v[78:79], v[92:93], v[80:81]
	v_add_f64 v[94:95], v[86:87], -v[78:79]
	v_add_f64 v[86:87], v[86:87], -v[94:95]
	v_add_f64 v[92:93], v[78:79], -v[92:93]
	v_add_f64 v[78:79], v[86:87], -v[78:79]
	v_add_f64 v[78:79], v[82:83], v[78:79]
	v_add_f64 v[80:81], v[92:93], -v[80:81]
	v_add_f64 v[78:79], v[80:81], v[78:79]
	v_add_f64 v[80:81], v[84:85], v[88:89]
	;; [unrolled: 1-line block ×3, first 2 shown]
	v_add_f64 v[82:83], v[80:81], -v[84:85]
	v_mul_f64 v[78:79], v[90:91], v[78:79]
	v_add_f64 v[82:83], v[88:89], -v[82:83]
	v_add_f64 v[78:79], v[82:83], v[78:79]
	v_add_f64 v[82:83], v[80:81], v[78:79]
	v_add_f64 v[80:81], v[82:83], -v[80:81]
	s_mov_b32 s64, 0xbf559e2b
	v_add_f64 v[78:79], v[78:79], -v[80:81]
	v_mul_f64 v[80:81], v[82:83], v[82:83]
	v_mov_b32_e32 v84, 0x6b47b09a
	v_mov_b32_e32 v85, 0x3fc38538
	s_mov_b32 s65, 0x3fc3ab76
	v_fmac_f64_e32 v[84:85], s[64:65], v[80:81]
	v_mov_b32_e32 v86, 0xd7f4df2e
	v_mov_b32_e32 v87, 0x3fc7474d
	v_fmac_f64_e32 v[86:87], v[80:81], v[84:85]
	v_mov_b32_e32 v84, 0x16291751
	v_mov_b32_e32 v85, 0x3fcc71c0
	;; [unrolled: 3-line block ×5, first 2 shown]
	v_fmac_f64_e32 v[86:87], v[80:81], v[84:85]
	v_cvt_f64_i32_e32 v[84:85], v35
	v_mul_f64 v[88:89], v[84:85], s[72:73]
	v_fma_f64 v[90:91], v[84:85], s[72:73], -v[88:89]
	v_fmac_f64_e32 v[90:91], s[74:75], v[84:85]
	v_add_f64 v[84:85], v[88:89], v[90:91]
	v_add_f64 v[88:89], v[84:85], -v[88:89]
	v_mul_f64 v[80:81], v[82:83], v[80:81]
	v_add_f64 v[88:89], v[90:91], -v[88:89]
	v_ldexp_f64 v[90:91], v[82:83], 1
	v_mul_f64 v[80:81], v[80:81], v[86:87]
	v_add_f64 v[82:83], v[90:91], v[80:81]
	v_add_f64 v[86:87], v[82:83], -v[90:91]
	v_ldexp_f64 v[78:79], v[78:79], 1
	v_add_f64 v[80:81], v[80:81], -v[86:87]
	v_add_f64 v[78:79], v[78:79], v[80:81]
	v_add_f64 v[80:81], v[82:83], v[78:79]
	v_add_f64 v[82:83], v[80:81], -v[82:83]
	v_add_f64 v[78:79], v[78:79], -v[82:83]
	v_add_f64 v[82:83], v[84:85], v[80:81]
	v_add_f64 v[86:87], v[82:83], -v[84:85]
	v_add_f64 v[90:91], v[82:83], -v[86:87]
	;; [unrolled: 1-line block ×4, first 2 shown]
	v_add_f64 v[80:81], v[80:81], v[84:85]
	v_add_f64 v[84:85], v[88:89], v[78:79]
	v_add_f64 v[86:87], v[84:85], -v[88:89]
	v_add_f64 v[80:81], v[84:85], v[80:81]
	v_add_f64 v[90:91], v[84:85], -v[86:87]
	;; [unrolled: 2-line block ×3, first 2 shown]
	v_add_f64 v[78:79], v[78:79], -v[86:87]
	v_add_f64 v[82:83], v[84:85], -v[82:83]
	v_add_f64 v[78:79], v[78:79], v[88:89]
	v_add_f64 v[80:81], v[80:81], -v[82:83]
	s_mov_b32 s64, 0
	v_add_f64 v[78:79], v[78:79], v[80:81]
	s_mov_b32 s65, 0x7ff00000
	v_add_f64 v[78:79], v[84:85], v[78:79]
	v_cmp_eq_f64_e64 s[64:65], s[64:65], v[32:33]
	s_nop 1
	v_cndmask_b32_e64 v35, v78, v32, s[64:65]
	v_cndmask_b32_e64 v78, v79, v33, s[64:65]
	v_mov_b32_e32 v79, 0x7ff80000
	v_cmp_ngt_f64_e64 s[64:65], -1.0, v[32:33]
	s_nop 1
	v_cndmask_b32_e64 v79, v79, v78, s[64:65]
	v_cmp_nge_f64_e64 s[64:65], -1.0, v[32:33]
	s_nop 1
	v_cndmask_b32_e64 v78, 0, v35, s[64:65]
	v_mov_b32_e32 v35, 0xfff00000
	v_cmp_neq_f64_e64 s[64:65], -1.0, v[32:33]
	s_nop 1
	v_cndmask_b32_e64 v79, v35, v79, s[64:65]
	v_add_f64 v[32:33], v[76:77], v[78:79]
.LBB40_61:
	s_or_b64 exec, exec, s[70:71]
	ds_read_b64 v[76:77], v1 offset:16
	v_max_f64 v[80:81], v[32:33], v[32:33]
	v_cmp_u_f64_e64 s[64:65], v[32:33], v[32:33]
	s_waitcnt lgkmcnt(0)
	v_max_f64 v[82:83], v[76:77], v[76:77]
	v_min_f64 v[78:79], v[80:81], v[82:83]
	v_cndmask_b32_e64 v35, v78, v32, s[64:65]
	v_cndmask_b32_e64 v78, v79, v33, s[64:65]
	v_cmp_u_f64_e64 s[66:67], v[76:77], v[76:77]
	v_max_f64 v[80:81], v[80:81], v[82:83]
	s_nop 0
	v_cndmask_b32_e64 v79, v78, v77, s[66:67]
	v_cndmask_b32_e64 v78, v35, v76, s[66:67]
	;; [unrolled: 1-line block ×6, first 2 shown]
	v_cmp_neq_f64_e64 s[64:65], v[78:79], v[76:77]
	v_cmp_class_f64_e64 s[66:67], v[78:79], s33
	s_or_b64 s[64:65], s[64:65], s[66:67]
	s_and_saveexec_b64 s[70:71], s[64:65]
	s_cbranch_execz .LBB40_63
; %bb.62:
	s_mov_b32 s64, 0x652b82fe
	v_add_f64 v[32:33], v[78:79], -v[76:77]
	s_mov_b32 s65, 0x3ff71547
	v_mul_f64 v[78:79], v[32:33], s[64:65]
	v_rndne_f64_e32 v[78:79], v[78:79]
	s_mov_b32 s73, 0xbfe62e42
	s_mov_b32 s72, 0xfefa39ef
	v_fma_f64 v[80:81], s[72:73], v[78:79], v[32:33]
	s_mov_b32 s75, 0xbc7abc9e
	s_mov_b32 s74, 0x3b39803f
	;; [unrolled: 1-line block ×3, first 2 shown]
	v_fmac_f64_e32 v[80:81], s[74:75], v[78:79]
	v_mov_b32_e32 v82, 0xfca7ab0c
	v_mov_b32_e32 v83, 0x3e928af3
	s_mov_b32 s65, 0x3e5ade15
	v_fmac_f64_e32 v[82:83], s[64:65], v[80:81]
	v_mov_b32_e32 v84, 0x623fde64
	v_mov_b32_e32 v85, 0x3ec71dee
	v_fmac_f64_e32 v[84:85], v[80:81], v[82:83]
	v_mov_b32_e32 v82, 0x7c89e6b0
	v_mov_b32_e32 v83, 0x3efa0199
	;; [unrolled: 3-line block ×8, first 2 shown]
	v_fmac_f64_e32 v[82:83], v[80:81], v[84:85]
	v_fma_f64 v[82:83], v[80:81], v[82:83], 1.0
	s_mov_b32 s64, 0
	s_mov_b32 s66, 0
	v_fma_f64 v[80:81], v[80:81], v[82:83], 1.0
	v_cvt_i32_f64_e32 v35, v[78:79]
	s_mov_b32 s65, 0x40900000
	s_mov_b32 s67, 0xc090cc00
	v_ldexp_f64 v[78:79], v[80:81], v35
	v_mov_b32_e32 v35, 0x7ff00000
	v_cmp_nlt_f64_e64 s[64:65], s[64:65], v[32:33]
	v_cmp_ngt_f64_e64 s[66:67], s[66:67], v[32:33]
	s_mov_b32 s73, 0x3fe62e42
	v_cndmask_b32_e64 v35, v35, v79, s[64:65]
	s_and_b64 s[64:65], s[66:67], s[64:65]
	v_cndmask_b32_e64 v33, 0, v35, s[66:67]
	v_cndmask_b32_e64 v32, 0, v78, s[64:65]
	v_add_f64 v[78:79], v[32:33], 1.0
	v_add_f64 v[80:81], v[78:79], -1.0
	v_add_f64 v[82:83], v[80:81], -v[78:79]
	v_add_f64 v[82:83], v[82:83], 1.0
	v_add_f64 v[80:81], v[32:33], -v[80:81]
	s_mov_b32 s64, 0x55555555
	v_add_f64 v[80:81], v[80:81], v[82:83]
	v_frexp_mant_f64_e32 v[82:83], v[78:79]
	s_mov_b32 s65, 0x3fe55555
	v_frexp_exp_i32_f64_e32 v35, v[78:79]
	v_cmp_gt_f64_e64 s[64:65], s[64:65], v[82:83]
	s_mov_b32 s75, 0x3c7abc9e
	s_nop 0
	v_subbrev_co_u32_e64 v35, s[64:65], 0, v35, s[64:65]
	v_sub_u32_e32 v82, 0, v35
	v_ldexp_f64 v[78:79], v[78:79], v82
	v_ldexp_f64 v[80:81], v[80:81], v82
	v_add_f64 v[82:83], v[78:79], -1.0
	v_add_f64 v[88:89], v[78:79], 1.0
	v_add_f64 v[84:85], v[82:83], 1.0
	v_add_f64 v[90:91], v[88:89], -1.0
	v_add_f64 v[84:85], v[78:79], -v[84:85]
	v_add_f64 v[78:79], v[78:79], -v[90:91]
	v_add_f64 v[78:79], v[80:81], v[78:79]
	v_add_f64 v[84:85], v[80:81], v[84:85]
	;; [unrolled: 1-line block ×3, first 2 shown]
	v_rcp_f64_e32 v[90:91], v[80:81]
	v_add_f64 v[86:87], v[82:83], v[84:85]
	v_add_f64 v[82:83], v[86:87], -v[82:83]
	v_add_f64 v[82:83], v[84:85], -v[82:83]
	;; [unrolled: 1-line block ×4, first 2 shown]
	v_fma_f64 v[84:85], -v[80:81], v[90:91], 1.0
	v_fmac_f64_e32 v[90:91], v[84:85], v[90:91]
	v_fma_f64 v[84:85], -v[80:81], v[90:91], 1.0
	v_fmac_f64_e32 v[90:91], v[84:85], v[90:91]
	v_mul_f64 v[84:85], v[86:87], v[90:91]
	v_mul_f64 v[88:89], v[80:81], v[84:85]
	v_fma_f64 v[92:93], v[84:85], v[80:81], -v[88:89]
	v_fmac_f64_e32 v[92:93], v[84:85], v[78:79]
	v_add_f64 v[94:95], v[88:89], v[92:93]
	v_add_f64 v[96:97], v[86:87], -v[94:95]
	v_add_f64 v[86:87], v[86:87], -v[96:97]
	;; [unrolled: 1-line block ×4, first 2 shown]
	v_add_f64 v[82:83], v[82:83], v[86:87]
	v_add_f64 v[86:87], v[88:89], -v[92:93]
	v_add_f64 v[82:83], v[86:87], v[82:83]
	v_add_f64 v[86:87], v[96:97], v[82:83]
	v_add_f64 v[88:89], v[96:97], -v[86:87]
	v_add_f64 v[82:83], v[82:83], v[88:89]
	v_mul_f64 v[88:89], v[90:91], v[86:87]
	v_mul_f64 v[92:93], v[80:81], v[88:89]
	v_fma_f64 v[80:81], v[88:89], v[80:81], -v[92:93]
	v_fmac_f64_e32 v[80:81], v[88:89], v[78:79]
	v_add_f64 v[78:79], v[92:93], v[80:81]
	v_add_f64 v[94:95], v[86:87], -v[78:79]
	v_add_f64 v[86:87], v[86:87], -v[94:95]
	;; [unrolled: 1-line block ×4, first 2 shown]
	v_add_f64 v[78:79], v[82:83], v[78:79]
	v_add_f64 v[80:81], v[92:93], -v[80:81]
	v_add_f64 v[78:79], v[80:81], v[78:79]
	v_add_f64 v[80:81], v[84:85], v[88:89]
	v_add_f64 v[78:79], v[94:95], v[78:79]
	v_add_f64 v[82:83], v[80:81], -v[84:85]
	v_mul_f64 v[78:79], v[90:91], v[78:79]
	v_add_f64 v[82:83], v[88:89], -v[82:83]
	v_add_f64 v[78:79], v[82:83], v[78:79]
	v_add_f64 v[82:83], v[80:81], v[78:79]
	v_add_f64 v[80:81], v[82:83], -v[80:81]
	s_mov_b32 s64, 0xbf559e2b
	v_add_f64 v[78:79], v[78:79], -v[80:81]
	v_mul_f64 v[80:81], v[82:83], v[82:83]
	v_mov_b32_e32 v84, 0x6b47b09a
	v_mov_b32_e32 v85, 0x3fc38538
	s_mov_b32 s65, 0x3fc3ab76
	v_fmac_f64_e32 v[84:85], s[64:65], v[80:81]
	v_mov_b32_e32 v86, 0xd7f4df2e
	v_mov_b32_e32 v87, 0x3fc7474d
	v_fmac_f64_e32 v[86:87], v[80:81], v[84:85]
	v_mov_b32_e32 v84, 0x16291751
	v_mov_b32_e32 v85, 0x3fcc71c0
	;; [unrolled: 3-line block ×5, first 2 shown]
	v_fmac_f64_e32 v[86:87], v[80:81], v[84:85]
	v_cvt_f64_i32_e32 v[84:85], v35
	v_mul_f64 v[88:89], v[84:85], s[72:73]
	v_fma_f64 v[90:91], v[84:85], s[72:73], -v[88:89]
	v_fmac_f64_e32 v[90:91], s[74:75], v[84:85]
	v_add_f64 v[84:85], v[88:89], v[90:91]
	v_add_f64 v[88:89], v[84:85], -v[88:89]
	v_mul_f64 v[80:81], v[82:83], v[80:81]
	v_add_f64 v[88:89], v[90:91], -v[88:89]
	v_ldexp_f64 v[90:91], v[82:83], 1
	v_mul_f64 v[80:81], v[80:81], v[86:87]
	v_add_f64 v[82:83], v[90:91], v[80:81]
	v_add_f64 v[86:87], v[82:83], -v[90:91]
	v_ldexp_f64 v[78:79], v[78:79], 1
	v_add_f64 v[80:81], v[80:81], -v[86:87]
	v_add_f64 v[78:79], v[78:79], v[80:81]
	v_add_f64 v[80:81], v[82:83], v[78:79]
	v_add_f64 v[82:83], v[80:81], -v[82:83]
	v_add_f64 v[78:79], v[78:79], -v[82:83]
	v_add_f64 v[82:83], v[84:85], v[80:81]
	v_add_f64 v[86:87], v[82:83], -v[84:85]
	v_add_f64 v[90:91], v[82:83], -v[86:87]
	;; [unrolled: 1-line block ×4, first 2 shown]
	v_add_f64 v[80:81], v[80:81], v[84:85]
	v_add_f64 v[84:85], v[88:89], v[78:79]
	v_add_f64 v[86:87], v[84:85], -v[88:89]
	v_add_f64 v[80:81], v[84:85], v[80:81]
	v_add_f64 v[90:91], v[84:85], -v[86:87]
	;; [unrolled: 2-line block ×3, first 2 shown]
	v_add_f64 v[78:79], v[78:79], -v[86:87]
	v_add_f64 v[82:83], v[84:85], -v[82:83]
	v_add_f64 v[78:79], v[78:79], v[88:89]
	v_add_f64 v[80:81], v[80:81], -v[82:83]
	s_mov_b32 s64, 0
	v_add_f64 v[78:79], v[78:79], v[80:81]
	s_mov_b32 s65, 0x7ff00000
	v_add_f64 v[78:79], v[84:85], v[78:79]
	v_cmp_eq_f64_e64 s[64:65], s[64:65], v[32:33]
	s_nop 1
	v_cndmask_b32_e64 v35, v78, v32, s[64:65]
	v_cndmask_b32_e64 v78, v79, v33, s[64:65]
	v_mov_b32_e32 v79, 0x7ff80000
	v_cmp_ngt_f64_e64 s[64:65], -1.0, v[32:33]
	s_nop 1
	v_cndmask_b32_e64 v79, v79, v78, s[64:65]
	v_cmp_nge_f64_e64 s[64:65], -1.0, v[32:33]
	s_nop 1
	v_cndmask_b32_e64 v78, 0, v35, s[64:65]
	v_mov_b32_e32 v35, 0xfff00000
	v_cmp_neq_f64_e64 s[64:65], -1.0, v[32:33]
	s_nop 1
	v_cndmask_b32_e64 v79, v35, v79, s[64:65]
	v_add_f64 v[32:33], v[76:77], v[78:79]
.LBB40_63:
	s_or_b64 exec, exec, s[70:71]
	ds_read_b64 v[76:77], v1 offset:24
	v_max_f64 v[80:81], v[32:33], v[32:33]
	v_cmp_u_f64_e64 s[64:65], v[32:33], v[32:33]
	s_waitcnt lgkmcnt(0)
	v_max_f64 v[82:83], v[76:77], v[76:77]
	v_min_f64 v[78:79], v[80:81], v[82:83]
	v_cndmask_b32_e64 v35, v78, v32, s[64:65]
	v_cndmask_b32_e64 v78, v79, v33, s[64:65]
	v_cmp_u_f64_e64 s[66:67], v[76:77], v[76:77]
	v_max_f64 v[80:81], v[80:81], v[82:83]
	s_nop 0
	v_cndmask_b32_e64 v79, v78, v77, s[66:67]
	v_cndmask_b32_e64 v78, v35, v76, s[66:67]
	;; [unrolled: 1-line block ×6, first 2 shown]
	v_cmp_neq_f64_e64 s[64:65], v[78:79], v[76:77]
	v_cmp_class_f64_e64 s[66:67], v[78:79], s33
	s_or_b64 s[64:65], s[64:65], s[66:67]
	s_and_saveexec_b64 s[70:71], s[64:65]
	s_cbranch_execz .LBB40_65
; %bb.64:
	s_mov_b32 s64, 0x652b82fe
	v_add_f64 v[32:33], v[78:79], -v[76:77]
	s_mov_b32 s65, 0x3ff71547
	v_mul_f64 v[78:79], v[32:33], s[64:65]
	v_rndne_f64_e32 v[78:79], v[78:79]
	s_mov_b32 s73, 0xbfe62e42
	s_mov_b32 s72, 0xfefa39ef
	v_fma_f64 v[80:81], s[72:73], v[78:79], v[32:33]
	s_mov_b32 s75, 0xbc7abc9e
	s_mov_b32 s74, 0x3b39803f
	;; [unrolled: 1-line block ×3, first 2 shown]
	v_fmac_f64_e32 v[80:81], s[74:75], v[78:79]
	v_mov_b32_e32 v82, 0xfca7ab0c
	v_mov_b32_e32 v83, 0x3e928af3
	s_mov_b32 s65, 0x3e5ade15
	v_fmac_f64_e32 v[82:83], s[64:65], v[80:81]
	v_mov_b32_e32 v84, 0x623fde64
	v_mov_b32_e32 v85, 0x3ec71dee
	v_fmac_f64_e32 v[84:85], v[80:81], v[82:83]
	v_mov_b32_e32 v82, 0x7c89e6b0
	v_mov_b32_e32 v83, 0x3efa0199
	;; [unrolled: 3-line block ×8, first 2 shown]
	v_fmac_f64_e32 v[82:83], v[80:81], v[84:85]
	v_fma_f64 v[82:83], v[80:81], v[82:83], 1.0
	s_mov_b32 s64, 0
	s_mov_b32 s66, 0
	v_fma_f64 v[80:81], v[80:81], v[82:83], 1.0
	v_cvt_i32_f64_e32 v35, v[78:79]
	s_mov_b32 s65, 0x40900000
	s_mov_b32 s67, 0xc090cc00
	v_ldexp_f64 v[78:79], v[80:81], v35
	v_mov_b32_e32 v35, 0x7ff00000
	v_cmp_nlt_f64_e64 s[64:65], s[64:65], v[32:33]
	v_cmp_ngt_f64_e64 s[66:67], s[66:67], v[32:33]
	s_mov_b32 s73, 0x3fe62e42
	v_cndmask_b32_e64 v35, v35, v79, s[64:65]
	s_and_b64 s[64:65], s[66:67], s[64:65]
	v_cndmask_b32_e64 v33, 0, v35, s[66:67]
	v_cndmask_b32_e64 v32, 0, v78, s[64:65]
	v_add_f64 v[78:79], v[32:33], 1.0
	v_add_f64 v[80:81], v[78:79], -1.0
	v_add_f64 v[82:83], v[80:81], -v[78:79]
	v_add_f64 v[82:83], v[82:83], 1.0
	v_add_f64 v[80:81], v[32:33], -v[80:81]
	s_mov_b32 s64, 0x55555555
	v_add_f64 v[80:81], v[80:81], v[82:83]
	v_frexp_mant_f64_e32 v[82:83], v[78:79]
	s_mov_b32 s65, 0x3fe55555
	v_frexp_exp_i32_f64_e32 v35, v[78:79]
	v_cmp_gt_f64_e64 s[64:65], s[64:65], v[82:83]
	s_mov_b32 s75, 0x3c7abc9e
	s_nop 0
	v_subbrev_co_u32_e64 v35, s[64:65], 0, v35, s[64:65]
	v_sub_u32_e32 v82, 0, v35
	v_ldexp_f64 v[78:79], v[78:79], v82
	v_ldexp_f64 v[80:81], v[80:81], v82
	v_add_f64 v[82:83], v[78:79], -1.0
	v_add_f64 v[88:89], v[78:79], 1.0
	v_add_f64 v[84:85], v[82:83], 1.0
	v_add_f64 v[90:91], v[88:89], -1.0
	v_add_f64 v[84:85], v[78:79], -v[84:85]
	v_add_f64 v[78:79], v[78:79], -v[90:91]
	v_add_f64 v[78:79], v[80:81], v[78:79]
	v_add_f64 v[84:85], v[80:81], v[84:85]
	;; [unrolled: 1-line block ×3, first 2 shown]
	v_rcp_f64_e32 v[90:91], v[80:81]
	v_add_f64 v[86:87], v[82:83], v[84:85]
	v_add_f64 v[82:83], v[86:87], -v[82:83]
	v_add_f64 v[82:83], v[84:85], -v[82:83]
	;; [unrolled: 1-line block ×4, first 2 shown]
	v_fma_f64 v[84:85], -v[80:81], v[90:91], 1.0
	v_fmac_f64_e32 v[90:91], v[84:85], v[90:91]
	v_fma_f64 v[84:85], -v[80:81], v[90:91], 1.0
	v_fmac_f64_e32 v[90:91], v[84:85], v[90:91]
	v_mul_f64 v[84:85], v[86:87], v[90:91]
	v_mul_f64 v[88:89], v[80:81], v[84:85]
	v_fma_f64 v[92:93], v[84:85], v[80:81], -v[88:89]
	v_fmac_f64_e32 v[92:93], v[84:85], v[78:79]
	v_add_f64 v[94:95], v[88:89], v[92:93]
	v_add_f64 v[96:97], v[86:87], -v[94:95]
	v_add_f64 v[86:87], v[86:87], -v[96:97]
	;; [unrolled: 1-line block ×4, first 2 shown]
	v_add_f64 v[82:83], v[82:83], v[86:87]
	v_add_f64 v[86:87], v[88:89], -v[92:93]
	v_add_f64 v[82:83], v[86:87], v[82:83]
	v_add_f64 v[86:87], v[96:97], v[82:83]
	v_add_f64 v[88:89], v[96:97], -v[86:87]
	v_add_f64 v[82:83], v[82:83], v[88:89]
	v_mul_f64 v[88:89], v[90:91], v[86:87]
	v_mul_f64 v[92:93], v[80:81], v[88:89]
	v_fma_f64 v[80:81], v[88:89], v[80:81], -v[92:93]
	v_fmac_f64_e32 v[80:81], v[88:89], v[78:79]
	v_add_f64 v[78:79], v[92:93], v[80:81]
	v_add_f64 v[94:95], v[86:87], -v[78:79]
	v_add_f64 v[86:87], v[86:87], -v[94:95]
	;; [unrolled: 1-line block ×4, first 2 shown]
	v_add_f64 v[78:79], v[82:83], v[78:79]
	v_add_f64 v[80:81], v[92:93], -v[80:81]
	v_add_f64 v[78:79], v[80:81], v[78:79]
	v_add_f64 v[80:81], v[84:85], v[88:89]
	;; [unrolled: 1-line block ×3, first 2 shown]
	v_add_f64 v[82:83], v[80:81], -v[84:85]
	v_mul_f64 v[78:79], v[90:91], v[78:79]
	v_add_f64 v[82:83], v[88:89], -v[82:83]
	v_add_f64 v[78:79], v[82:83], v[78:79]
	v_add_f64 v[82:83], v[80:81], v[78:79]
	v_add_f64 v[80:81], v[82:83], -v[80:81]
	s_mov_b32 s64, 0xbf559e2b
	v_add_f64 v[78:79], v[78:79], -v[80:81]
	v_mul_f64 v[80:81], v[82:83], v[82:83]
	v_mov_b32_e32 v84, 0x6b47b09a
	v_mov_b32_e32 v85, 0x3fc38538
	s_mov_b32 s65, 0x3fc3ab76
	v_fmac_f64_e32 v[84:85], s[64:65], v[80:81]
	v_mov_b32_e32 v86, 0xd7f4df2e
	v_mov_b32_e32 v87, 0x3fc7474d
	v_fmac_f64_e32 v[86:87], v[80:81], v[84:85]
	v_mov_b32_e32 v84, 0x16291751
	v_mov_b32_e32 v85, 0x3fcc71c0
	;; [unrolled: 3-line block ×5, first 2 shown]
	v_fmac_f64_e32 v[86:87], v[80:81], v[84:85]
	v_cvt_f64_i32_e32 v[84:85], v35
	v_mul_f64 v[88:89], v[84:85], s[72:73]
	v_fma_f64 v[90:91], v[84:85], s[72:73], -v[88:89]
	v_fmac_f64_e32 v[90:91], s[74:75], v[84:85]
	v_add_f64 v[84:85], v[88:89], v[90:91]
	v_add_f64 v[88:89], v[84:85], -v[88:89]
	v_mul_f64 v[80:81], v[82:83], v[80:81]
	v_add_f64 v[88:89], v[90:91], -v[88:89]
	v_ldexp_f64 v[90:91], v[82:83], 1
	v_mul_f64 v[80:81], v[80:81], v[86:87]
	v_add_f64 v[82:83], v[90:91], v[80:81]
	v_add_f64 v[86:87], v[82:83], -v[90:91]
	v_ldexp_f64 v[78:79], v[78:79], 1
	v_add_f64 v[80:81], v[80:81], -v[86:87]
	v_add_f64 v[78:79], v[78:79], v[80:81]
	v_add_f64 v[80:81], v[82:83], v[78:79]
	v_add_f64 v[82:83], v[80:81], -v[82:83]
	v_add_f64 v[78:79], v[78:79], -v[82:83]
	v_add_f64 v[82:83], v[84:85], v[80:81]
	v_add_f64 v[86:87], v[82:83], -v[84:85]
	v_add_f64 v[90:91], v[82:83], -v[86:87]
	;; [unrolled: 1-line block ×4, first 2 shown]
	v_add_f64 v[80:81], v[80:81], v[84:85]
	v_add_f64 v[84:85], v[88:89], v[78:79]
	v_add_f64 v[86:87], v[84:85], -v[88:89]
	v_add_f64 v[80:81], v[84:85], v[80:81]
	v_add_f64 v[90:91], v[84:85], -v[86:87]
	;; [unrolled: 2-line block ×3, first 2 shown]
	v_add_f64 v[78:79], v[78:79], -v[86:87]
	v_add_f64 v[82:83], v[84:85], -v[82:83]
	v_add_f64 v[78:79], v[78:79], v[88:89]
	v_add_f64 v[80:81], v[80:81], -v[82:83]
	s_mov_b32 s64, 0
	v_add_f64 v[78:79], v[78:79], v[80:81]
	s_mov_b32 s65, 0x7ff00000
	v_add_f64 v[78:79], v[84:85], v[78:79]
	v_cmp_eq_f64_e64 s[64:65], s[64:65], v[32:33]
	s_nop 1
	v_cndmask_b32_e64 v35, v78, v32, s[64:65]
	v_cndmask_b32_e64 v78, v79, v33, s[64:65]
	v_mov_b32_e32 v79, 0x7ff80000
	v_cmp_ngt_f64_e64 s[64:65], -1.0, v[32:33]
	s_nop 1
	v_cndmask_b32_e64 v79, v79, v78, s[64:65]
	v_cmp_nge_f64_e64 s[64:65], -1.0, v[32:33]
	s_nop 1
	v_cndmask_b32_e64 v78, 0, v35, s[64:65]
	v_mov_b32_e32 v35, 0xfff00000
	v_cmp_neq_f64_e64 s[64:65], -1.0, v[32:33]
	s_nop 1
	v_cndmask_b32_e64 v79, v35, v79, s[64:65]
	v_add_f64 v[32:33], v[76:77], v[78:79]
.LBB40_65:
	s_or_b64 exec, exec, s[70:71]
	v_mbcnt_lo_u32_b32 v35, -1, 0
	v_mbcnt_hi_u32_b32 v35, -1, v35
	v_and_b32_e32 v80, 15, v35
	v_mov_b32_dpp v76, v32 row_shr:1 row_mask:0xf bank_mask:0xf
	v_mov_b32_dpp v77, v33 row_shr:1 row_mask:0xf bank_mask:0xf
	v_cmp_ne_u32_e64 s[64:65], 0, v80
	v_mov_b32_e32 v78, v32
	v_mov_b32_e32 v79, v33
	s_and_saveexec_b64 s[66:67], s[64:65]
	s_xor_b64 s[70:71], exec, s[66:67]
	s_cbranch_execz .LBB40_69
; %bb.66:
	v_max_f64 v[82:83], v[76:77], v[76:77]
	v_max_f64 v[84:85], v[32:33], v[32:33]
	v_min_f64 v[78:79], v[82:83], v[84:85]
	v_cmp_u_f64_e64 s[64:65], v[76:77], v[76:77]
	v_max_f64 v[82:83], v[82:83], v[84:85]
	v_cmp_u_f64_e64 s[66:67], v[32:33], v[32:33]
	v_cndmask_b32_e64 v78, v78, v76, s[64:65]
	v_cndmask_b32_e64 v79, v79, v77, s[64:65]
	;; [unrolled: 1-line block ×8, first 2 shown]
	v_cmp_neq_f64_e64 s[64:65], v[78:79], v[32:33]
	v_cmp_class_f64_e64 s[66:67], v[78:79], s33
	s_or_b64 s[64:65], s[64:65], s[66:67]
	s_and_saveexec_b64 s[72:73], s[64:65]
	s_cbranch_execz .LBB40_68
; %bb.67:
	s_mov_b32 s64, 0x652b82fe
	v_add_f64 v[76:77], v[78:79], -v[32:33]
	s_mov_b32 s65, 0x3ff71547
	v_mul_f64 v[78:79], v[76:77], s[64:65]
	v_rndne_f64_e32 v[78:79], v[78:79]
	s_mov_b32 s75, 0xbfe62e42
	s_mov_b32 s74, 0xfefa39ef
	v_fma_f64 v[82:83], s[74:75], v[78:79], v[76:77]
	s_mov_b32 s77, 0xbc7abc9e
	s_mov_b32 s76, 0x3b39803f
	;; [unrolled: 1-line block ×3, first 2 shown]
	v_fmac_f64_e32 v[82:83], s[76:77], v[78:79]
	v_mov_b32_e32 v84, 0xfca7ab0c
	v_mov_b32_e32 v85, 0x3e928af3
	s_mov_b32 s65, 0x3e5ade15
	v_fmac_f64_e32 v[84:85], s[64:65], v[82:83]
	v_mov_b32_e32 v86, 0x623fde64
	v_mov_b32_e32 v87, 0x3ec71dee
	v_fmac_f64_e32 v[86:87], v[82:83], v[84:85]
	v_mov_b32_e32 v84, 0x7c89e6b0
	v_mov_b32_e32 v85, 0x3efa0199
	;; [unrolled: 3-line block ×8, first 2 shown]
	v_fmac_f64_e32 v[84:85], v[82:83], v[86:87]
	v_fma_f64 v[84:85], v[82:83], v[84:85], 1.0
	s_mov_b32 s64, 0
	s_mov_b32 s66, 0
	v_fma_f64 v[82:83], v[82:83], v[84:85], 1.0
	v_cvt_i32_f64_e32 v78, v[78:79]
	s_mov_b32 s65, 0x40900000
	s_mov_b32 s67, 0xc090cc00
	v_ldexp_f64 v[78:79], v[82:83], v78
	v_mov_b32_e32 v81, 0x7ff00000
	v_cmp_nlt_f64_e64 s[64:65], s[64:65], v[76:77]
	v_cmp_ngt_f64_e64 s[66:67], s[66:67], v[76:77]
	s_mov_b32 s75, 0x3fe62e42
	v_cndmask_b32_e64 v79, v81, v79, s[64:65]
	s_and_b64 s[64:65], s[66:67], s[64:65]
	v_cndmask_b32_e64 v77, 0, v79, s[66:67]
	v_cndmask_b32_e64 v76, 0, v78, s[64:65]
	v_add_f64 v[78:79], v[76:77], 1.0
	v_add_f64 v[82:83], v[78:79], -1.0
	v_add_f64 v[84:85], v[82:83], -v[78:79]
	v_add_f64 v[84:85], v[84:85], 1.0
	v_add_f64 v[82:83], v[76:77], -v[82:83]
	s_mov_b32 s64, 0x55555555
	v_add_f64 v[82:83], v[82:83], v[84:85]
	v_frexp_mant_f64_e32 v[84:85], v[78:79]
	s_mov_b32 s65, 0x3fe55555
	v_frexp_exp_i32_f64_e32 v81, v[78:79]
	v_cmp_gt_f64_e64 s[64:65], s[64:65], v[84:85]
	s_mov_b32 s77, 0x3c7abc9e
	s_nop 0
	v_subbrev_co_u32_e64 v81, s[64:65], 0, v81, s[64:65]
	v_sub_u32_e32 v84, 0, v81
	v_ldexp_f64 v[78:79], v[78:79], v84
	v_ldexp_f64 v[82:83], v[82:83], v84
	v_add_f64 v[84:85], v[78:79], -1.0
	v_add_f64 v[90:91], v[78:79], 1.0
	v_add_f64 v[86:87], v[84:85], 1.0
	v_add_f64 v[92:93], v[90:91], -1.0
	v_add_f64 v[86:87], v[78:79], -v[86:87]
	v_add_f64 v[78:79], v[78:79], -v[92:93]
	v_add_f64 v[78:79], v[82:83], v[78:79]
	v_add_f64 v[86:87], v[82:83], v[86:87]
	;; [unrolled: 1-line block ×3, first 2 shown]
	v_rcp_f64_e32 v[92:93], v[82:83]
	v_add_f64 v[88:89], v[84:85], v[86:87]
	v_add_f64 v[84:85], v[88:89], -v[84:85]
	v_add_f64 v[84:85], v[86:87], -v[84:85]
	;; [unrolled: 1-line block ×4, first 2 shown]
	v_fma_f64 v[86:87], -v[82:83], v[92:93], 1.0
	v_fmac_f64_e32 v[92:93], v[86:87], v[92:93]
	v_fma_f64 v[86:87], -v[82:83], v[92:93], 1.0
	v_fmac_f64_e32 v[92:93], v[86:87], v[92:93]
	v_mul_f64 v[86:87], v[88:89], v[92:93]
	v_mul_f64 v[90:91], v[82:83], v[86:87]
	v_fma_f64 v[94:95], v[86:87], v[82:83], -v[90:91]
	v_fmac_f64_e32 v[94:95], v[86:87], v[78:79]
	v_add_f64 v[96:97], v[90:91], v[94:95]
	v_add_f64 v[98:99], v[88:89], -v[96:97]
	v_add_f64 v[88:89], v[88:89], -v[98:99]
	;; [unrolled: 1-line block ×4, first 2 shown]
	v_add_f64 v[84:85], v[84:85], v[88:89]
	v_add_f64 v[88:89], v[90:91], -v[94:95]
	v_add_f64 v[84:85], v[88:89], v[84:85]
	v_add_f64 v[88:89], v[98:99], v[84:85]
	v_add_f64 v[90:91], v[98:99], -v[88:89]
	v_add_f64 v[84:85], v[84:85], v[90:91]
	v_mul_f64 v[90:91], v[92:93], v[88:89]
	v_mul_f64 v[94:95], v[82:83], v[90:91]
	v_fma_f64 v[82:83], v[90:91], v[82:83], -v[94:95]
	v_fmac_f64_e32 v[82:83], v[90:91], v[78:79]
	v_add_f64 v[78:79], v[94:95], v[82:83]
	v_add_f64 v[96:97], v[88:89], -v[78:79]
	v_add_f64 v[88:89], v[88:89], -v[96:97]
	;; [unrolled: 1-line block ×4, first 2 shown]
	v_add_f64 v[78:79], v[84:85], v[78:79]
	v_add_f64 v[82:83], v[94:95], -v[82:83]
	v_add_f64 v[78:79], v[82:83], v[78:79]
	v_add_f64 v[82:83], v[86:87], v[90:91]
	;; [unrolled: 1-line block ×3, first 2 shown]
	v_add_f64 v[84:85], v[82:83], -v[86:87]
	v_mul_f64 v[78:79], v[92:93], v[78:79]
	v_add_f64 v[84:85], v[90:91], -v[84:85]
	v_add_f64 v[78:79], v[84:85], v[78:79]
	v_add_f64 v[84:85], v[82:83], v[78:79]
	v_add_f64 v[82:83], v[84:85], -v[82:83]
	s_mov_b32 s64, 0xbf559e2b
	v_add_f64 v[78:79], v[78:79], -v[82:83]
	v_mul_f64 v[82:83], v[84:85], v[84:85]
	v_mov_b32_e32 v86, 0x6b47b09a
	v_mov_b32_e32 v87, 0x3fc38538
	s_mov_b32 s65, 0x3fc3ab76
	v_fmac_f64_e32 v[86:87], s[64:65], v[82:83]
	v_mov_b32_e32 v88, 0xd7f4df2e
	v_mov_b32_e32 v89, 0x3fc7474d
	v_fmac_f64_e32 v[88:89], v[82:83], v[86:87]
	v_mov_b32_e32 v86, 0x16291751
	v_mov_b32_e32 v87, 0x3fcc71c0
	;; [unrolled: 3-line block ×5, first 2 shown]
	v_fmac_f64_e32 v[88:89], v[82:83], v[86:87]
	v_cvt_f64_i32_e32 v[86:87], v81
	v_mul_f64 v[90:91], v[86:87], s[74:75]
	v_fma_f64 v[92:93], v[86:87], s[74:75], -v[90:91]
	v_fmac_f64_e32 v[92:93], s[76:77], v[86:87]
	v_add_f64 v[86:87], v[90:91], v[92:93]
	v_add_f64 v[90:91], v[86:87], -v[90:91]
	v_mul_f64 v[82:83], v[84:85], v[82:83]
	v_add_f64 v[90:91], v[92:93], -v[90:91]
	v_ldexp_f64 v[92:93], v[84:85], 1
	v_mul_f64 v[82:83], v[82:83], v[88:89]
	v_add_f64 v[84:85], v[92:93], v[82:83]
	v_add_f64 v[88:89], v[84:85], -v[92:93]
	v_ldexp_f64 v[78:79], v[78:79], 1
	v_add_f64 v[82:83], v[82:83], -v[88:89]
	v_add_f64 v[78:79], v[78:79], v[82:83]
	v_add_f64 v[82:83], v[84:85], v[78:79]
	v_add_f64 v[84:85], v[82:83], -v[84:85]
	v_add_f64 v[78:79], v[78:79], -v[84:85]
	v_add_f64 v[84:85], v[86:87], v[82:83]
	v_add_f64 v[88:89], v[84:85], -v[86:87]
	v_add_f64 v[92:93], v[84:85], -v[88:89]
	;; [unrolled: 1-line block ×4, first 2 shown]
	v_add_f64 v[82:83], v[82:83], v[86:87]
	v_add_f64 v[86:87], v[90:91], v[78:79]
	v_add_f64 v[88:89], v[86:87], -v[90:91]
	v_add_f64 v[82:83], v[86:87], v[82:83]
	v_add_f64 v[92:93], v[86:87], -v[88:89]
	;; [unrolled: 2-line block ×3, first 2 shown]
	v_add_f64 v[78:79], v[78:79], -v[88:89]
	v_add_f64 v[84:85], v[86:87], -v[84:85]
	v_add_f64 v[78:79], v[78:79], v[90:91]
	v_add_f64 v[82:83], v[82:83], -v[84:85]
	s_mov_b32 s64, 0
	v_add_f64 v[78:79], v[78:79], v[82:83]
	s_mov_b32 s65, 0x7ff00000
	v_add_f64 v[78:79], v[86:87], v[78:79]
	v_cmp_eq_f64_e64 s[64:65], s[64:65], v[76:77]
	v_mov_b32_e32 v81, 0x7ff80000
	s_nop 0
	v_cndmask_b32_e64 v78, v78, v76, s[64:65]
	v_cndmask_b32_e64 v79, v79, v77, s[64:65]
	v_cmp_ngt_f64_e64 s[64:65], -1.0, v[76:77]
	s_nop 1
	v_cndmask_b32_e64 v79, v81, v79, s[64:65]
	v_cmp_nge_f64_e64 s[64:65], -1.0, v[76:77]
	v_mov_b32_e32 v81, 0xfff00000
	s_nop 0
	v_cndmask_b32_e64 v78, 0, v78, s[64:65]
	v_cmp_neq_f64_e64 s[64:65], -1.0, v[76:77]
	s_nop 1
	v_cndmask_b32_e64 v79, v81, v79, s[64:65]
	v_add_f64 v[76:77], v[32:33], v[78:79]
.LBB40_68:
	s_or_b64 exec, exec, s[72:73]
	v_mov_b32_e32 v78, v76
	v_mov_b32_e32 v79, v77
	v_mov_b64_e32 v[32:33], v[76:77]
.LBB40_69:
	s_or_b64 exec, exec, s[70:71]
	v_mov_b32_dpp v76, v78 row_shr:2 row_mask:0xf bank_mask:0xf
	v_mov_b32_dpp v77, v79 row_shr:2 row_mask:0xf bank_mask:0xf
	v_cmp_lt_u32_e64 s[64:65], 1, v80
	s_and_saveexec_b64 s[70:71], s[64:65]
	s_cbranch_execz .LBB40_73
; %bb.70:
	v_max_f64 v[82:83], v[76:77], v[76:77]
	v_max_f64 v[84:85], v[32:33], v[32:33]
	v_min_f64 v[78:79], v[82:83], v[84:85]
	v_cmp_u_f64_e64 s[64:65], v[76:77], v[76:77]
	v_max_f64 v[82:83], v[82:83], v[84:85]
	v_cmp_u_f64_e64 s[66:67], v[32:33], v[32:33]
	v_cndmask_b32_e64 v78, v78, v76, s[64:65]
	v_cndmask_b32_e64 v79, v79, v77, s[64:65]
	;; [unrolled: 1-line block ×8, first 2 shown]
	v_cmp_neq_f64_e64 s[64:65], v[78:79], v[32:33]
	v_cmp_class_f64_e64 s[66:67], v[78:79], s33
	s_or_b64 s[64:65], s[64:65], s[66:67]
	s_and_saveexec_b64 s[72:73], s[64:65]
	s_cbranch_execz .LBB40_72
; %bb.71:
	s_mov_b32 s64, 0x652b82fe
	v_add_f64 v[76:77], v[78:79], -v[32:33]
	s_mov_b32 s65, 0x3ff71547
	v_mul_f64 v[78:79], v[76:77], s[64:65]
	v_rndne_f64_e32 v[78:79], v[78:79]
	s_mov_b32 s75, 0xbfe62e42
	s_mov_b32 s74, 0xfefa39ef
	v_fma_f64 v[82:83], s[74:75], v[78:79], v[76:77]
	s_mov_b32 s77, 0xbc7abc9e
	s_mov_b32 s76, 0x3b39803f
	;; [unrolled: 1-line block ×3, first 2 shown]
	v_fmac_f64_e32 v[82:83], s[76:77], v[78:79]
	v_mov_b32_e32 v84, 0xfca7ab0c
	v_mov_b32_e32 v85, 0x3e928af3
	s_mov_b32 s65, 0x3e5ade15
	v_fmac_f64_e32 v[84:85], s[64:65], v[82:83]
	v_mov_b32_e32 v86, 0x623fde64
	v_mov_b32_e32 v87, 0x3ec71dee
	v_fmac_f64_e32 v[86:87], v[82:83], v[84:85]
	v_mov_b32_e32 v84, 0x7c89e6b0
	v_mov_b32_e32 v85, 0x3efa0199
	;; [unrolled: 3-line block ×8, first 2 shown]
	v_fmac_f64_e32 v[84:85], v[82:83], v[86:87]
	v_fma_f64 v[84:85], v[82:83], v[84:85], 1.0
	s_mov_b32 s64, 0
	s_mov_b32 s66, 0
	v_fma_f64 v[82:83], v[82:83], v[84:85], 1.0
	v_cvt_i32_f64_e32 v78, v[78:79]
	s_mov_b32 s65, 0x40900000
	s_mov_b32 s67, 0xc090cc00
	v_ldexp_f64 v[78:79], v[82:83], v78
	v_mov_b32_e32 v81, 0x7ff00000
	v_cmp_nlt_f64_e64 s[64:65], s[64:65], v[76:77]
	v_cmp_ngt_f64_e64 s[66:67], s[66:67], v[76:77]
	s_mov_b32 s75, 0x3fe62e42
	v_cndmask_b32_e64 v79, v81, v79, s[64:65]
	s_and_b64 s[64:65], s[66:67], s[64:65]
	v_cndmask_b32_e64 v77, 0, v79, s[66:67]
	v_cndmask_b32_e64 v76, 0, v78, s[64:65]
	v_add_f64 v[78:79], v[76:77], 1.0
	v_add_f64 v[82:83], v[78:79], -1.0
	v_add_f64 v[84:85], v[82:83], -v[78:79]
	v_add_f64 v[84:85], v[84:85], 1.0
	v_add_f64 v[82:83], v[76:77], -v[82:83]
	s_mov_b32 s64, 0x55555555
	v_add_f64 v[82:83], v[82:83], v[84:85]
	v_frexp_mant_f64_e32 v[84:85], v[78:79]
	s_mov_b32 s65, 0x3fe55555
	v_frexp_exp_i32_f64_e32 v81, v[78:79]
	v_cmp_gt_f64_e64 s[64:65], s[64:65], v[84:85]
	s_mov_b32 s77, 0x3c7abc9e
	s_nop 0
	v_subbrev_co_u32_e64 v81, s[64:65], 0, v81, s[64:65]
	v_sub_u32_e32 v84, 0, v81
	v_ldexp_f64 v[78:79], v[78:79], v84
	v_ldexp_f64 v[82:83], v[82:83], v84
	v_add_f64 v[84:85], v[78:79], -1.0
	v_add_f64 v[90:91], v[78:79], 1.0
	v_add_f64 v[86:87], v[84:85], 1.0
	v_add_f64 v[92:93], v[90:91], -1.0
	v_add_f64 v[86:87], v[78:79], -v[86:87]
	v_add_f64 v[78:79], v[78:79], -v[92:93]
	v_add_f64 v[78:79], v[82:83], v[78:79]
	v_add_f64 v[86:87], v[82:83], v[86:87]
	;; [unrolled: 1-line block ×3, first 2 shown]
	v_rcp_f64_e32 v[92:93], v[82:83]
	v_add_f64 v[88:89], v[84:85], v[86:87]
	v_add_f64 v[84:85], v[88:89], -v[84:85]
	v_add_f64 v[84:85], v[86:87], -v[84:85]
	;; [unrolled: 1-line block ×4, first 2 shown]
	v_fma_f64 v[86:87], -v[82:83], v[92:93], 1.0
	v_fmac_f64_e32 v[92:93], v[86:87], v[92:93]
	v_fma_f64 v[86:87], -v[82:83], v[92:93], 1.0
	v_fmac_f64_e32 v[92:93], v[86:87], v[92:93]
	v_mul_f64 v[86:87], v[88:89], v[92:93]
	v_mul_f64 v[90:91], v[82:83], v[86:87]
	v_fma_f64 v[94:95], v[86:87], v[82:83], -v[90:91]
	v_fmac_f64_e32 v[94:95], v[86:87], v[78:79]
	v_add_f64 v[96:97], v[90:91], v[94:95]
	v_add_f64 v[98:99], v[88:89], -v[96:97]
	v_add_f64 v[88:89], v[88:89], -v[98:99]
	;; [unrolled: 1-line block ×4, first 2 shown]
	v_add_f64 v[84:85], v[84:85], v[88:89]
	v_add_f64 v[88:89], v[90:91], -v[94:95]
	v_add_f64 v[84:85], v[88:89], v[84:85]
	v_add_f64 v[88:89], v[98:99], v[84:85]
	v_add_f64 v[90:91], v[98:99], -v[88:89]
	v_add_f64 v[84:85], v[84:85], v[90:91]
	v_mul_f64 v[90:91], v[92:93], v[88:89]
	v_mul_f64 v[94:95], v[82:83], v[90:91]
	v_fma_f64 v[82:83], v[90:91], v[82:83], -v[94:95]
	v_fmac_f64_e32 v[82:83], v[90:91], v[78:79]
	v_add_f64 v[78:79], v[94:95], v[82:83]
	v_add_f64 v[96:97], v[88:89], -v[78:79]
	v_add_f64 v[88:89], v[88:89], -v[96:97]
	;; [unrolled: 1-line block ×4, first 2 shown]
	v_add_f64 v[78:79], v[84:85], v[78:79]
	v_add_f64 v[82:83], v[94:95], -v[82:83]
	v_add_f64 v[78:79], v[82:83], v[78:79]
	v_add_f64 v[82:83], v[86:87], v[90:91]
	;; [unrolled: 1-line block ×3, first 2 shown]
	v_add_f64 v[84:85], v[82:83], -v[86:87]
	v_mul_f64 v[78:79], v[92:93], v[78:79]
	v_add_f64 v[84:85], v[90:91], -v[84:85]
	v_add_f64 v[78:79], v[84:85], v[78:79]
	v_add_f64 v[84:85], v[82:83], v[78:79]
	v_add_f64 v[82:83], v[84:85], -v[82:83]
	s_mov_b32 s64, 0xbf559e2b
	v_add_f64 v[78:79], v[78:79], -v[82:83]
	v_mul_f64 v[82:83], v[84:85], v[84:85]
	v_mov_b32_e32 v86, 0x6b47b09a
	v_mov_b32_e32 v87, 0x3fc38538
	s_mov_b32 s65, 0x3fc3ab76
	v_fmac_f64_e32 v[86:87], s[64:65], v[82:83]
	v_mov_b32_e32 v88, 0xd7f4df2e
	v_mov_b32_e32 v89, 0x3fc7474d
	v_fmac_f64_e32 v[88:89], v[82:83], v[86:87]
	v_mov_b32_e32 v86, 0x16291751
	v_mov_b32_e32 v87, 0x3fcc71c0
	;; [unrolled: 3-line block ×5, first 2 shown]
	v_fmac_f64_e32 v[88:89], v[82:83], v[86:87]
	v_cvt_f64_i32_e32 v[86:87], v81
	v_mul_f64 v[90:91], v[86:87], s[74:75]
	v_fma_f64 v[92:93], v[86:87], s[74:75], -v[90:91]
	v_fmac_f64_e32 v[92:93], s[76:77], v[86:87]
	v_add_f64 v[86:87], v[90:91], v[92:93]
	v_add_f64 v[90:91], v[86:87], -v[90:91]
	v_mul_f64 v[82:83], v[84:85], v[82:83]
	v_add_f64 v[90:91], v[92:93], -v[90:91]
	v_ldexp_f64 v[92:93], v[84:85], 1
	v_mul_f64 v[82:83], v[82:83], v[88:89]
	v_add_f64 v[84:85], v[92:93], v[82:83]
	v_add_f64 v[88:89], v[84:85], -v[92:93]
	v_ldexp_f64 v[78:79], v[78:79], 1
	v_add_f64 v[82:83], v[82:83], -v[88:89]
	v_add_f64 v[78:79], v[78:79], v[82:83]
	v_add_f64 v[82:83], v[84:85], v[78:79]
	v_add_f64 v[84:85], v[82:83], -v[84:85]
	v_add_f64 v[78:79], v[78:79], -v[84:85]
	v_add_f64 v[84:85], v[86:87], v[82:83]
	v_add_f64 v[88:89], v[84:85], -v[86:87]
	v_add_f64 v[92:93], v[84:85], -v[88:89]
	;; [unrolled: 1-line block ×4, first 2 shown]
	v_add_f64 v[82:83], v[82:83], v[86:87]
	v_add_f64 v[86:87], v[90:91], v[78:79]
	v_add_f64 v[88:89], v[86:87], -v[90:91]
	v_add_f64 v[82:83], v[86:87], v[82:83]
	v_add_f64 v[92:93], v[86:87], -v[88:89]
	;; [unrolled: 2-line block ×3, first 2 shown]
	v_add_f64 v[78:79], v[78:79], -v[88:89]
	v_add_f64 v[84:85], v[86:87], -v[84:85]
	v_add_f64 v[78:79], v[78:79], v[90:91]
	v_add_f64 v[82:83], v[82:83], -v[84:85]
	s_mov_b32 s64, 0
	v_add_f64 v[78:79], v[78:79], v[82:83]
	s_mov_b32 s65, 0x7ff00000
	v_add_f64 v[78:79], v[86:87], v[78:79]
	v_cmp_eq_f64_e64 s[64:65], s[64:65], v[76:77]
	v_mov_b32_e32 v81, 0x7ff80000
	s_nop 0
	v_cndmask_b32_e64 v78, v78, v76, s[64:65]
	v_cndmask_b32_e64 v79, v79, v77, s[64:65]
	v_cmp_ngt_f64_e64 s[64:65], -1.0, v[76:77]
	s_nop 1
	v_cndmask_b32_e64 v79, v81, v79, s[64:65]
	v_cmp_nge_f64_e64 s[64:65], -1.0, v[76:77]
	v_mov_b32_e32 v81, 0xfff00000
	s_nop 0
	v_cndmask_b32_e64 v78, 0, v78, s[64:65]
	v_cmp_neq_f64_e64 s[64:65], -1.0, v[76:77]
	s_nop 1
	v_cndmask_b32_e64 v79, v81, v79, s[64:65]
	v_add_f64 v[76:77], v[32:33], v[78:79]
.LBB40_72:
	s_or_b64 exec, exec, s[72:73]
	v_mov_b64_e32 v[32:33], v[76:77]
	v_mov_b32_e32 v78, v76
	v_mov_b32_e32 v79, v77
.LBB40_73:
	s_or_b64 exec, exec, s[70:71]
	v_mov_b32_dpp v76, v78 row_shr:4 row_mask:0xf bank_mask:0xf
	v_mov_b32_dpp v77, v79 row_shr:4 row_mask:0xf bank_mask:0xf
	v_cmp_lt_u32_e64 s[64:65], 3, v80
	s_and_saveexec_b64 s[70:71], s[64:65]
	s_cbranch_execz .LBB40_77
; %bb.74:
	v_max_f64 v[82:83], v[76:77], v[76:77]
	v_max_f64 v[84:85], v[32:33], v[32:33]
	v_min_f64 v[78:79], v[82:83], v[84:85]
	v_cmp_u_f64_e64 s[64:65], v[76:77], v[76:77]
	v_max_f64 v[82:83], v[82:83], v[84:85]
	v_cmp_u_f64_e64 s[66:67], v[32:33], v[32:33]
	v_cndmask_b32_e64 v78, v78, v76, s[64:65]
	v_cndmask_b32_e64 v79, v79, v77, s[64:65]
	;; [unrolled: 1-line block ×8, first 2 shown]
	v_cmp_neq_f64_e64 s[64:65], v[78:79], v[32:33]
	v_cmp_class_f64_e64 s[66:67], v[78:79], s33
	s_or_b64 s[64:65], s[64:65], s[66:67]
	s_and_saveexec_b64 s[72:73], s[64:65]
	s_cbranch_execz .LBB40_76
; %bb.75:
	s_mov_b32 s64, 0x652b82fe
	v_add_f64 v[76:77], v[78:79], -v[32:33]
	s_mov_b32 s65, 0x3ff71547
	v_mul_f64 v[78:79], v[76:77], s[64:65]
	v_rndne_f64_e32 v[78:79], v[78:79]
	s_mov_b32 s75, 0xbfe62e42
	s_mov_b32 s74, 0xfefa39ef
	v_fma_f64 v[82:83], s[74:75], v[78:79], v[76:77]
	s_mov_b32 s77, 0xbc7abc9e
	s_mov_b32 s76, 0x3b39803f
	;; [unrolled: 1-line block ×3, first 2 shown]
	v_fmac_f64_e32 v[82:83], s[76:77], v[78:79]
	v_mov_b32_e32 v84, 0xfca7ab0c
	v_mov_b32_e32 v85, 0x3e928af3
	s_mov_b32 s65, 0x3e5ade15
	v_fmac_f64_e32 v[84:85], s[64:65], v[82:83]
	v_mov_b32_e32 v86, 0x623fde64
	v_mov_b32_e32 v87, 0x3ec71dee
	v_fmac_f64_e32 v[86:87], v[82:83], v[84:85]
	v_mov_b32_e32 v84, 0x7c89e6b0
	v_mov_b32_e32 v85, 0x3efa0199
	;; [unrolled: 3-line block ×8, first 2 shown]
	v_fmac_f64_e32 v[84:85], v[82:83], v[86:87]
	v_fma_f64 v[84:85], v[82:83], v[84:85], 1.0
	s_mov_b32 s64, 0
	s_mov_b32 s66, 0
	v_fma_f64 v[82:83], v[82:83], v[84:85], 1.0
	v_cvt_i32_f64_e32 v78, v[78:79]
	s_mov_b32 s65, 0x40900000
	s_mov_b32 s67, 0xc090cc00
	v_ldexp_f64 v[78:79], v[82:83], v78
	v_mov_b32_e32 v81, 0x7ff00000
	v_cmp_nlt_f64_e64 s[64:65], s[64:65], v[76:77]
	v_cmp_ngt_f64_e64 s[66:67], s[66:67], v[76:77]
	s_mov_b32 s75, 0x3fe62e42
	v_cndmask_b32_e64 v79, v81, v79, s[64:65]
	s_and_b64 s[64:65], s[66:67], s[64:65]
	v_cndmask_b32_e64 v77, 0, v79, s[66:67]
	v_cndmask_b32_e64 v76, 0, v78, s[64:65]
	v_add_f64 v[78:79], v[76:77], 1.0
	v_add_f64 v[82:83], v[78:79], -1.0
	v_add_f64 v[84:85], v[82:83], -v[78:79]
	v_add_f64 v[84:85], v[84:85], 1.0
	v_add_f64 v[82:83], v[76:77], -v[82:83]
	s_mov_b32 s64, 0x55555555
	v_add_f64 v[82:83], v[82:83], v[84:85]
	v_frexp_mant_f64_e32 v[84:85], v[78:79]
	s_mov_b32 s65, 0x3fe55555
	v_frexp_exp_i32_f64_e32 v81, v[78:79]
	v_cmp_gt_f64_e64 s[64:65], s[64:65], v[84:85]
	s_mov_b32 s77, 0x3c7abc9e
	s_nop 0
	v_subbrev_co_u32_e64 v81, s[64:65], 0, v81, s[64:65]
	v_sub_u32_e32 v84, 0, v81
	v_ldexp_f64 v[78:79], v[78:79], v84
	v_ldexp_f64 v[82:83], v[82:83], v84
	v_add_f64 v[84:85], v[78:79], -1.0
	v_add_f64 v[90:91], v[78:79], 1.0
	v_add_f64 v[86:87], v[84:85], 1.0
	v_add_f64 v[92:93], v[90:91], -1.0
	v_add_f64 v[86:87], v[78:79], -v[86:87]
	v_add_f64 v[78:79], v[78:79], -v[92:93]
	v_add_f64 v[78:79], v[82:83], v[78:79]
	v_add_f64 v[86:87], v[82:83], v[86:87]
	;; [unrolled: 1-line block ×3, first 2 shown]
	v_rcp_f64_e32 v[92:93], v[82:83]
	v_add_f64 v[88:89], v[84:85], v[86:87]
	v_add_f64 v[84:85], v[88:89], -v[84:85]
	v_add_f64 v[84:85], v[86:87], -v[84:85]
	;; [unrolled: 1-line block ×4, first 2 shown]
	v_fma_f64 v[86:87], -v[82:83], v[92:93], 1.0
	v_fmac_f64_e32 v[92:93], v[86:87], v[92:93]
	v_fma_f64 v[86:87], -v[82:83], v[92:93], 1.0
	v_fmac_f64_e32 v[92:93], v[86:87], v[92:93]
	v_mul_f64 v[86:87], v[88:89], v[92:93]
	v_mul_f64 v[90:91], v[82:83], v[86:87]
	v_fma_f64 v[94:95], v[86:87], v[82:83], -v[90:91]
	v_fmac_f64_e32 v[94:95], v[86:87], v[78:79]
	v_add_f64 v[96:97], v[90:91], v[94:95]
	v_add_f64 v[98:99], v[88:89], -v[96:97]
	v_add_f64 v[88:89], v[88:89], -v[98:99]
	;; [unrolled: 1-line block ×4, first 2 shown]
	v_add_f64 v[84:85], v[84:85], v[88:89]
	v_add_f64 v[88:89], v[90:91], -v[94:95]
	v_add_f64 v[84:85], v[88:89], v[84:85]
	v_add_f64 v[88:89], v[98:99], v[84:85]
	v_add_f64 v[90:91], v[98:99], -v[88:89]
	v_add_f64 v[84:85], v[84:85], v[90:91]
	v_mul_f64 v[90:91], v[92:93], v[88:89]
	v_mul_f64 v[94:95], v[82:83], v[90:91]
	v_fma_f64 v[82:83], v[90:91], v[82:83], -v[94:95]
	v_fmac_f64_e32 v[82:83], v[90:91], v[78:79]
	v_add_f64 v[78:79], v[94:95], v[82:83]
	v_add_f64 v[96:97], v[88:89], -v[78:79]
	v_add_f64 v[88:89], v[88:89], -v[96:97]
	;; [unrolled: 1-line block ×4, first 2 shown]
	v_add_f64 v[78:79], v[84:85], v[78:79]
	v_add_f64 v[82:83], v[94:95], -v[82:83]
	v_add_f64 v[78:79], v[82:83], v[78:79]
	v_add_f64 v[82:83], v[86:87], v[90:91]
	;; [unrolled: 1-line block ×3, first 2 shown]
	v_add_f64 v[84:85], v[82:83], -v[86:87]
	v_mul_f64 v[78:79], v[92:93], v[78:79]
	v_add_f64 v[84:85], v[90:91], -v[84:85]
	v_add_f64 v[78:79], v[84:85], v[78:79]
	v_add_f64 v[84:85], v[82:83], v[78:79]
	v_add_f64 v[82:83], v[84:85], -v[82:83]
	s_mov_b32 s64, 0xbf559e2b
	v_add_f64 v[78:79], v[78:79], -v[82:83]
	v_mul_f64 v[82:83], v[84:85], v[84:85]
	v_mov_b32_e32 v86, 0x6b47b09a
	v_mov_b32_e32 v87, 0x3fc38538
	s_mov_b32 s65, 0x3fc3ab76
	v_fmac_f64_e32 v[86:87], s[64:65], v[82:83]
	v_mov_b32_e32 v88, 0xd7f4df2e
	v_mov_b32_e32 v89, 0x3fc7474d
	v_fmac_f64_e32 v[88:89], v[82:83], v[86:87]
	v_mov_b32_e32 v86, 0x16291751
	v_mov_b32_e32 v87, 0x3fcc71c0
	;; [unrolled: 3-line block ×5, first 2 shown]
	v_fmac_f64_e32 v[88:89], v[82:83], v[86:87]
	v_cvt_f64_i32_e32 v[86:87], v81
	v_mul_f64 v[90:91], v[86:87], s[74:75]
	v_fma_f64 v[92:93], v[86:87], s[74:75], -v[90:91]
	v_fmac_f64_e32 v[92:93], s[76:77], v[86:87]
	v_add_f64 v[86:87], v[90:91], v[92:93]
	v_add_f64 v[90:91], v[86:87], -v[90:91]
	v_mul_f64 v[82:83], v[84:85], v[82:83]
	v_add_f64 v[90:91], v[92:93], -v[90:91]
	v_ldexp_f64 v[92:93], v[84:85], 1
	v_mul_f64 v[82:83], v[82:83], v[88:89]
	v_add_f64 v[84:85], v[92:93], v[82:83]
	v_add_f64 v[88:89], v[84:85], -v[92:93]
	v_ldexp_f64 v[78:79], v[78:79], 1
	v_add_f64 v[82:83], v[82:83], -v[88:89]
	v_add_f64 v[78:79], v[78:79], v[82:83]
	v_add_f64 v[82:83], v[84:85], v[78:79]
	v_add_f64 v[84:85], v[82:83], -v[84:85]
	v_add_f64 v[78:79], v[78:79], -v[84:85]
	v_add_f64 v[84:85], v[86:87], v[82:83]
	v_add_f64 v[88:89], v[84:85], -v[86:87]
	v_add_f64 v[92:93], v[84:85], -v[88:89]
	v_add_f64 v[86:87], v[86:87], -v[92:93]
	v_add_f64 v[82:83], v[82:83], -v[88:89]
	v_add_f64 v[82:83], v[82:83], v[86:87]
	v_add_f64 v[86:87], v[90:91], v[78:79]
	v_add_f64 v[88:89], v[86:87], -v[90:91]
	v_add_f64 v[82:83], v[86:87], v[82:83]
	v_add_f64 v[92:93], v[86:87], -v[88:89]
	;; [unrolled: 2-line block ×3, first 2 shown]
	v_add_f64 v[78:79], v[78:79], -v[88:89]
	v_add_f64 v[84:85], v[86:87], -v[84:85]
	v_add_f64 v[78:79], v[78:79], v[90:91]
	v_add_f64 v[82:83], v[82:83], -v[84:85]
	s_mov_b32 s64, 0
	v_add_f64 v[78:79], v[78:79], v[82:83]
	s_mov_b32 s65, 0x7ff00000
	v_add_f64 v[78:79], v[86:87], v[78:79]
	v_cmp_eq_f64_e64 s[64:65], s[64:65], v[76:77]
	v_mov_b32_e32 v81, 0x7ff80000
	s_nop 0
	v_cndmask_b32_e64 v78, v78, v76, s[64:65]
	v_cndmask_b32_e64 v79, v79, v77, s[64:65]
	v_cmp_ngt_f64_e64 s[64:65], -1.0, v[76:77]
	s_nop 1
	v_cndmask_b32_e64 v79, v81, v79, s[64:65]
	v_cmp_nge_f64_e64 s[64:65], -1.0, v[76:77]
	v_mov_b32_e32 v81, 0xfff00000
	s_nop 0
	v_cndmask_b32_e64 v78, 0, v78, s[64:65]
	v_cmp_neq_f64_e64 s[64:65], -1.0, v[76:77]
	s_nop 1
	v_cndmask_b32_e64 v79, v81, v79, s[64:65]
	v_add_f64 v[76:77], v[32:33], v[78:79]
.LBB40_76:
	s_or_b64 exec, exec, s[72:73]
	v_mov_b64_e32 v[32:33], v[76:77]
	v_mov_b32_e32 v78, v76
	v_mov_b32_e32 v79, v77
.LBB40_77:
	s_or_b64 exec, exec, s[70:71]
	v_mov_b32_dpp v76, v78 row_shr:8 row_mask:0xf bank_mask:0xf
	v_mov_b32_dpp v77, v79 row_shr:8 row_mask:0xf bank_mask:0xf
	v_cmp_lt_u32_e64 s[64:65], 7, v80
	s_and_saveexec_b64 s[70:71], s[64:65]
	s_cbranch_execz .LBB40_81
; %bb.78:
	v_max_f64 v[80:81], v[76:77], v[76:77]
	v_max_f64 v[82:83], v[32:33], v[32:33]
	v_min_f64 v[78:79], v[80:81], v[82:83]
	v_cmp_u_f64_e64 s[64:65], v[76:77], v[76:77]
	v_max_f64 v[80:81], v[80:81], v[82:83]
	v_cmp_u_f64_e64 s[66:67], v[32:33], v[32:33]
	v_cndmask_b32_e64 v78, v78, v76, s[64:65]
	v_cndmask_b32_e64 v79, v79, v77, s[64:65]
	;; [unrolled: 1-line block ×8, first 2 shown]
	v_cmp_neq_f64_e64 s[64:65], v[78:79], v[32:33]
	v_cmp_class_f64_e64 s[66:67], v[78:79], s33
	s_or_b64 s[64:65], s[64:65], s[66:67]
	s_and_saveexec_b64 s[72:73], s[64:65]
	s_cbranch_execz .LBB40_80
; %bb.79:
	s_mov_b32 s64, 0x652b82fe
	v_add_f64 v[76:77], v[78:79], -v[32:33]
	s_mov_b32 s65, 0x3ff71547
	v_mul_f64 v[78:79], v[76:77], s[64:65]
	v_rndne_f64_e32 v[78:79], v[78:79]
	s_mov_b32 s75, 0xbfe62e42
	s_mov_b32 s74, 0xfefa39ef
	v_fma_f64 v[80:81], s[74:75], v[78:79], v[76:77]
	s_mov_b32 s77, 0xbc7abc9e
	s_mov_b32 s76, 0x3b39803f
	;; [unrolled: 1-line block ×3, first 2 shown]
	v_fmac_f64_e32 v[80:81], s[76:77], v[78:79]
	v_mov_b32_e32 v82, 0xfca7ab0c
	v_mov_b32_e32 v83, 0x3e928af3
	s_mov_b32 s65, 0x3e5ade15
	v_fmac_f64_e32 v[82:83], s[64:65], v[80:81]
	v_mov_b32_e32 v84, 0x623fde64
	v_mov_b32_e32 v85, 0x3ec71dee
	v_fmac_f64_e32 v[84:85], v[80:81], v[82:83]
	v_mov_b32_e32 v82, 0x7c89e6b0
	v_mov_b32_e32 v83, 0x3efa0199
	;; [unrolled: 3-line block ×8, first 2 shown]
	v_fmac_f64_e32 v[82:83], v[80:81], v[84:85]
	v_fma_f64 v[82:83], v[80:81], v[82:83], 1.0
	s_mov_b32 s64, 0
	s_mov_b32 s66, 0
	v_fma_f64 v[80:81], v[80:81], v[82:83], 1.0
	v_cvt_i32_f64_e32 v78, v[78:79]
	s_mov_b32 s65, 0x40900000
	s_mov_b32 s67, 0xc090cc00
	v_ldexp_f64 v[78:79], v[80:81], v78
	v_mov_b32_e32 v80, 0x7ff00000
	v_cmp_nlt_f64_e64 s[64:65], s[64:65], v[76:77]
	v_cmp_ngt_f64_e64 s[66:67], s[66:67], v[76:77]
	s_mov_b32 s75, 0x3fe62e42
	v_cndmask_b32_e64 v79, v80, v79, s[64:65]
	s_and_b64 s[64:65], s[66:67], s[64:65]
	v_cndmask_b32_e64 v77, 0, v79, s[66:67]
	v_cndmask_b32_e64 v76, 0, v78, s[64:65]
	v_add_f64 v[78:79], v[76:77], 1.0
	v_add_f64 v[80:81], v[78:79], -1.0
	v_add_f64 v[82:83], v[80:81], -v[78:79]
	v_add_f64 v[82:83], v[82:83], 1.0
	v_add_f64 v[80:81], v[76:77], -v[80:81]
	s_mov_b32 s64, 0x55555555
	v_add_f64 v[80:81], v[80:81], v[82:83]
	v_frexp_mant_f64_e32 v[82:83], v[78:79]
	s_mov_b32 s65, 0x3fe55555
	v_frexp_exp_i32_f64_e32 v84, v[78:79]
	v_cmp_gt_f64_e64 s[64:65], s[64:65], v[82:83]
	s_mov_b32 s77, 0x3c7abc9e
	s_nop 0
	v_subbrev_co_u32_e64 v98, s[64:65], 0, v84, s[64:65]
	v_sub_u32_e32 v82, 0, v98
	v_ldexp_f64 v[78:79], v[78:79], v82
	v_ldexp_f64 v[80:81], v[80:81], v82
	v_add_f64 v[82:83], v[78:79], -1.0
	v_add_f64 v[88:89], v[78:79], 1.0
	v_add_f64 v[84:85], v[82:83], 1.0
	v_add_f64 v[90:91], v[88:89], -1.0
	v_add_f64 v[84:85], v[78:79], -v[84:85]
	v_add_f64 v[78:79], v[78:79], -v[90:91]
	v_add_f64 v[78:79], v[80:81], v[78:79]
	v_add_f64 v[84:85], v[80:81], v[84:85]
	v_add_f64 v[80:81], v[88:89], v[78:79]
	v_rcp_f64_e32 v[90:91], v[80:81]
	v_add_f64 v[86:87], v[82:83], v[84:85]
	v_add_f64 v[82:83], v[86:87], -v[82:83]
	v_add_f64 v[82:83], v[84:85], -v[82:83]
	;; [unrolled: 1-line block ×4, first 2 shown]
	v_fma_f64 v[84:85], -v[80:81], v[90:91], 1.0
	v_fmac_f64_e32 v[90:91], v[84:85], v[90:91]
	v_fma_f64 v[84:85], -v[80:81], v[90:91], 1.0
	v_fmac_f64_e32 v[90:91], v[84:85], v[90:91]
	v_mul_f64 v[84:85], v[86:87], v[90:91]
	v_mul_f64 v[88:89], v[80:81], v[84:85]
	v_fma_f64 v[92:93], v[84:85], v[80:81], -v[88:89]
	v_fmac_f64_e32 v[92:93], v[84:85], v[78:79]
	v_add_f64 v[94:95], v[88:89], v[92:93]
	v_add_f64 v[96:97], v[86:87], -v[94:95]
	v_add_f64 v[86:87], v[86:87], -v[96:97]
	;; [unrolled: 1-line block ×4, first 2 shown]
	v_add_f64 v[82:83], v[82:83], v[86:87]
	v_add_f64 v[86:87], v[88:89], -v[92:93]
	v_add_f64 v[82:83], v[86:87], v[82:83]
	v_add_f64 v[86:87], v[96:97], v[82:83]
	v_add_f64 v[88:89], v[96:97], -v[86:87]
	v_add_f64 v[82:83], v[82:83], v[88:89]
	v_mul_f64 v[88:89], v[90:91], v[86:87]
	v_mul_f64 v[92:93], v[80:81], v[88:89]
	v_fma_f64 v[80:81], v[88:89], v[80:81], -v[92:93]
	v_fmac_f64_e32 v[80:81], v[88:89], v[78:79]
	v_add_f64 v[78:79], v[92:93], v[80:81]
	v_add_f64 v[94:95], v[86:87], -v[78:79]
	v_add_f64 v[86:87], v[86:87], -v[94:95]
	;; [unrolled: 1-line block ×4, first 2 shown]
	v_add_f64 v[78:79], v[82:83], v[78:79]
	v_add_f64 v[80:81], v[92:93], -v[80:81]
	v_add_f64 v[78:79], v[80:81], v[78:79]
	v_add_f64 v[80:81], v[84:85], v[88:89]
	;; [unrolled: 1-line block ×3, first 2 shown]
	v_add_f64 v[82:83], v[80:81], -v[84:85]
	v_mul_f64 v[78:79], v[90:91], v[78:79]
	v_add_f64 v[82:83], v[88:89], -v[82:83]
	v_add_f64 v[78:79], v[82:83], v[78:79]
	v_add_f64 v[82:83], v[80:81], v[78:79]
	v_add_f64 v[80:81], v[82:83], -v[80:81]
	s_mov_b32 s64, 0xbf559e2b
	v_add_f64 v[78:79], v[78:79], -v[80:81]
	v_mul_f64 v[80:81], v[82:83], v[82:83]
	v_mov_b32_e32 v84, 0x6b47b09a
	v_mov_b32_e32 v85, 0x3fc38538
	s_mov_b32 s65, 0x3fc3ab76
	v_fmac_f64_e32 v[84:85], s[64:65], v[80:81]
	v_mov_b32_e32 v86, 0xd7f4df2e
	v_mov_b32_e32 v87, 0x3fc7474d
	v_fmac_f64_e32 v[86:87], v[80:81], v[84:85]
	v_mov_b32_e32 v84, 0x16291751
	v_mov_b32_e32 v85, 0x3fcc71c0
	;; [unrolled: 3-line block ×5, first 2 shown]
	v_fmac_f64_e32 v[86:87], v[80:81], v[84:85]
	v_cvt_f64_i32_e32 v[84:85], v98
	v_mul_f64 v[88:89], v[84:85], s[74:75]
	v_fma_f64 v[90:91], v[84:85], s[74:75], -v[88:89]
	v_fmac_f64_e32 v[90:91], s[76:77], v[84:85]
	v_add_f64 v[84:85], v[88:89], v[90:91]
	v_add_f64 v[88:89], v[84:85], -v[88:89]
	v_mul_f64 v[80:81], v[82:83], v[80:81]
	v_add_f64 v[88:89], v[90:91], -v[88:89]
	v_ldexp_f64 v[90:91], v[82:83], 1
	v_mul_f64 v[80:81], v[80:81], v[86:87]
	v_add_f64 v[82:83], v[90:91], v[80:81]
	v_add_f64 v[86:87], v[82:83], -v[90:91]
	v_ldexp_f64 v[78:79], v[78:79], 1
	v_add_f64 v[80:81], v[80:81], -v[86:87]
	v_add_f64 v[78:79], v[78:79], v[80:81]
	v_add_f64 v[80:81], v[82:83], v[78:79]
	v_add_f64 v[82:83], v[80:81], -v[82:83]
	v_add_f64 v[78:79], v[78:79], -v[82:83]
	v_add_f64 v[82:83], v[84:85], v[80:81]
	v_add_f64 v[86:87], v[82:83], -v[84:85]
	v_add_f64 v[90:91], v[82:83], -v[86:87]
	v_add_f64 v[84:85], v[84:85], -v[90:91]
	v_add_f64 v[80:81], v[80:81], -v[86:87]
	v_add_f64 v[80:81], v[80:81], v[84:85]
	v_add_f64 v[84:85], v[88:89], v[78:79]
	v_add_f64 v[86:87], v[84:85], -v[88:89]
	v_add_f64 v[80:81], v[84:85], v[80:81]
	v_add_f64 v[90:91], v[84:85], -v[86:87]
	;; [unrolled: 2-line block ×3, first 2 shown]
	v_add_f64 v[78:79], v[78:79], -v[86:87]
	v_add_f64 v[82:83], v[84:85], -v[82:83]
	v_add_f64 v[78:79], v[78:79], v[88:89]
	v_add_f64 v[80:81], v[80:81], -v[82:83]
	s_mov_b32 s64, 0
	v_add_f64 v[78:79], v[78:79], v[80:81]
	s_mov_b32 s65, 0x7ff00000
	v_add_f64 v[78:79], v[84:85], v[78:79]
	v_cmp_eq_f64_e64 s[64:65], s[64:65], v[76:77]
	v_mov_b32_e32 v80, 0x7ff80000
	s_nop 0
	v_cndmask_b32_e64 v78, v78, v76, s[64:65]
	v_cndmask_b32_e64 v79, v79, v77, s[64:65]
	v_cmp_ngt_f64_e64 s[64:65], -1.0, v[76:77]
	s_nop 1
	v_cndmask_b32_e64 v79, v80, v79, s[64:65]
	v_cmp_nge_f64_e64 s[64:65], -1.0, v[76:77]
	v_mov_b32_e32 v80, 0xfff00000
	s_nop 0
	v_cndmask_b32_e64 v78, 0, v78, s[64:65]
	v_cmp_neq_f64_e64 s[64:65], -1.0, v[76:77]
	s_nop 1
	v_cndmask_b32_e64 v79, v80, v79, s[64:65]
	v_add_f64 v[76:77], v[32:33], v[78:79]
.LBB40_80:
	s_or_b64 exec, exec, s[72:73]
	v_mov_b64_e32 v[32:33], v[76:77]
	v_mov_b32_e32 v78, v76
	v_mov_b32_e32 v79, v77
.LBB40_81:
	s_or_b64 exec, exec, s[70:71]
	v_and_b32_e32 v80, 16, v35
	v_mov_b32_dpp v76, v78 row_bcast:15 row_mask:0xf bank_mask:0xf
	v_mov_b32_dpp v77, v79 row_bcast:15 row_mask:0xf bank_mask:0xf
	v_cmp_ne_u32_e64 s[64:65], 0, v80
	s_and_saveexec_b64 s[70:71], s[64:65]
	s_cbranch_execz .LBB40_85
; %bb.82:
	v_max_f64 v[80:81], v[76:77], v[76:77]
	v_max_f64 v[82:83], v[32:33], v[32:33]
	v_min_f64 v[78:79], v[80:81], v[82:83]
	v_cmp_u_f64_e64 s[64:65], v[76:77], v[76:77]
	v_max_f64 v[80:81], v[80:81], v[82:83]
	v_cmp_u_f64_e64 s[66:67], v[32:33], v[32:33]
	v_cndmask_b32_e64 v78, v78, v76, s[64:65]
	v_cndmask_b32_e64 v79, v79, v77, s[64:65]
	;; [unrolled: 1-line block ×8, first 2 shown]
	v_cmp_neq_f64_e64 s[64:65], v[78:79], v[32:33]
	v_cmp_class_f64_e64 s[66:67], v[78:79], s33
	s_or_b64 s[64:65], s[64:65], s[66:67]
	s_and_saveexec_b64 s[72:73], s[64:65]
	s_cbranch_execz .LBB40_84
; %bb.83:
	s_mov_b32 s64, 0x652b82fe
	v_add_f64 v[76:77], v[78:79], -v[32:33]
	s_mov_b32 s65, 0x3ff71547
	v_mul_f64 v[78:79], v[76:77], s[64:65]
	v_rndne_f64_e32 v[78:79], v[78:79]
	s_mov_b32 s75, 0xbfe62e42
	s_mov_b32 s74, 0xfefa39ef
	v_fma_f64 v[80:81], s[74:75], v[78:79], v[76:77]
	s_mov_b32 s77, 0xbc7abc9e
	s_mov_b32 s76, 0x3b39803f
	;; [unrolled: 1-line block ×3, first 2 shown]
	v_fmac_f64_e32 v[80:81], s[76:77], v[78:79]
	v_mov_b32_e32 v82, 0xfca7ab0c
	v_mov_b32_e32 v83, 0x3e928af3
	s_mov_b32 s65, 0x3e5ade15
	v_fmac_f64_e32 v[82:83], s[64:65], v[80:81]
	v_mov_b32_e32 v84, 0x623fde64
	v_mov_b32_e32 v85, 0x3ec71dee
	v_fmac_f64_e32 v[84:85], v[80:81], v[82:83]
	v_mov_b32_e32 v82, 0x7c89e6b0
	v_mov_b32_e32 v83, 0x3efa0199
	;; [unrolled: 3-line block ×8, first 2 shown]
	v_fmac_f64_e32 v[82:83], v[80:81], v[84:85]
	v_fma_f64 v[82:83], v[80:81], v[82:83], 1.0
	s_mov_b32 s64, 0
	s_mov_b32 s66, 0
	v_fma_f64 v[80:81], v[80:81], v[82:83], 1.0
	v_cvt_i32_f64_e32 v78, v[78:79]
	s_mov_b32 s65, 0x40900000
	s_mov_b32 s67, 0xc090cc00
	v_ldexp_f64 v[78:79], v[80:81], v78
	v_mov_b32_e32 v80, 0x7ff00000
	v_cmp_nlt_f64_e64 s[64:65], s[64:65], v[76:77]
	v_cmp_ngt_f64_e64 s[66:67], s[66:67], v[76:77]
	s_mov_b32 s75, 0x3fe62e42
	v_cndmask_b32_e64 v79, v80, v79, s[64:65]
	s_and_b64 s[64:65], s[66:67], s[64:65]
	v_cndmask_b32_e64 v77, 0, v79, s[66:67]
	v_cndmask_b32_e64 v76, 0, v78, s[64:65]
	v_add_f64 v[78:79], v[76:77], 1.0
	v_add_f64 v[80:81], v[78:79], -1.0
	v_add_f64 v[82:83], v[80:81], -v[78:79]
	v_add_f64 v[82:83], v[82:83], 1.0
	v_add_f64 v[80:81], v[76:77], -v[80:81]
	s_mov_b32 s64, 0x55555555
	v_add_f64 v[80:81], v[80:81], v[82:83]
	v_frexp_mant_f64_e32 v[82:83], v[78:79]
	s_mov_b32 s65, 0x3fe55555
	v_frexp_exp_i32_f64_e32 v84, v[78:79]
	v_cmp_gt_f64_e64 s[64:65], s[64:65], v[82:83]
	s_mov_b32 s77, 0x3c7abc9e
	s_nop 0
	v_subbrev_co_u32_e64 v98, s[64:65], 0, v84, s[64:65]
	v_sub_u32_e32 v82, 0, v98
	v_ldexp_f64 v[78:79], v[78:79], v82
	v_ldexp_f64 v[80:81], v[80:81], v82
	v_add_f64 v[82:83], v[78:79], -1.0
	v_add_f64 v[88:89], v[78:79], 1.0
	v_add_f64 v[84:85], v[82:83], 1.0
	v_add_f64 v[90:91], v[88:89], -1.0
	v_add_f64 v[84:85], v[78:79], -v[84:85]
	v_add_f64 v[78:79], v[78:79], -v[90:91]
	v_add_f64 v[78:79], v[80:81], v[78:79]
	v_add_f64 v[84:85], v[80:81], v[84:85]
	;; [unrolled: 1-line block ×3, first 2 shown]
	v_rcp_f64_e32 v[90:91], v[80:81]
	v_add_f64 v[86:87], v[82:83], v[84:85]
	v_add_f64 v[82:83], v[86:87], -v[82:83]
	v_add_f64 v[82:83], v[84:85], -v[82:83]
	;; [unrolled: 1-line block ×4, first 2 shown]
	v_fma_f64 v[84:85], -v[80:81], v[90:91], 1.0
	v_fmac_f64_e32 v[90:91], v[84:85], v[90:91]
	v_fma_f64 v[84:85], -v[80:81], v[90:91], 1.0
	v_fmac_f64_e32 v[90:91], v[84:85], v[90:91]
	v_mul_f64 v[84:85], v[86:87], v[90:91]
	v_mul_f64 v[88:89], v[80:81], v[84:85]
	v_fma_f64 v[92:93], v[84:85], v[80:81], -v[88:89]
	v_fmac_f64_e32 v[92:93], v[84:85], v[78:79]
	v_add_f64 v[94:95], v[88:89], v[92:93]
	v_add_f64 v[96:97], v[86:87], -v[94:95]
	v_add_f64 v[86:87], v[86:87], -v[96:97]
	;; [unrolled: 1-line block ×4, first 2 shown]
	v_add_f64 v[82:83], v[82:83], v[86:87]
	v_add_f64 v[86:87], v[88:89], -v[92:93]
	v_add_f64 v[82:83], v[86:87], v[82:83]
	v_add_f64 v[86:87], v[96:97], v[82:83]
	v_add_f64 v[88:89], v[96:97], -v[86:87]
	v_add_f64 v[82:83], v[82:83], v[88:89]
	v_mul_f64 v[88:89], v[90:91], v[86:87]
	v_mul_f64 v[92:93], v[80:81], v[88:89]
	v_fma_f64 v[80:81], v[88:89], v[80:81], -v[92:93]
	v_fmac_f64_e32 v[80:81], v[88:89], v[78:79]
	v_add_f64 v[78:79], v[92:93], v[80:81]
	v_add_f64 v[94:95], v[86:87], -v[78:79]
	v_add_f64 v[86:87], v[86:87], -v[94:95]
	;; [unrolled: 1-line block ×4, first 2 shown]
	v_add_f64 v[78:79], v[82:83], v[78:79]
	v_add_f64 v[80:81], v[92:93], -v[80:81]
	v_add_f64 v[78:79], v[80:81], v[78:79]
	v_add_f64 v[80:81], v[84:85], v[88:89]
	;; [unrolled: 1-line block ×3, first 2 shown]
	v_add_f64 v[82:83], v[80:81], -v[84:85]
	v_mul_f64 v[78:79], v[90:91], v[78:79]
	v_add_f64 v[82:83], v[88:89], -v[82:83]
	v_add_f64 v[78:79], v[82:83], v[78:79]
	v_add_f64 v[82:83], v[80:81], v[78:79]
	v_add_f64 v[80:81], v[82:83], -v[80:81]
	s_mov_b32 s64, 0xbf559e2b
	v_add_f64 v[78:79], v[78:79], -v[80:81]
	v_mul_f64 v[80:81], v[82:83], v[82:83]
	v_mov_b32_e32 v84, 0x6b47b09a
	v_mov_b32_e32 v85, 0x3fc38538
	s_mov_b32 s65, 0x3fc3ab76
	v_fmac_f64_e32 v[84:85], s[64:65], v[80:81]
	v_mov_b32_e32 v86, 0xd7f4df2e
	v_mov_b32_e32 v87, 0x3fc7474d
	v_fmac_f64_e32 v[86:87], v[80:81], v[84:85]
	v_mov_b32_e32 v84, 0x16291751
	v_mov_b32_e32 v85, 0x3fcc71c0
	;; [unrolled: 3-line block ×5, first 2 shown]
	v_fmac_f64_e32 v[86:87], v[80:81], v[84:85]
	v_cvt_f64_i32_e32 v[84:85], v98
	v_mul_f64 v[88:89], v[84:85], s[74:75]
	v_fma_f64 v[90:91], v[84:85], s[74:75], -v[88:89]
	v_fmac_f64_e32 v[90:91], s[76:77], v[84:85]
	v_add_f64 v[84:85], v[88:89], v[90:91]
	v_add_f64 v[88:89], v[84:85], -v[88:89]
	v_mul_f64 v[80:81], v[82:83], v[80:81]
	v_add_f64 v[88:89], v[90:91], -v[88:89]
	v_ldexp_f64 v[90:91], v[82:83], 1
	v_mul_f64 v[80:81], v[80:81], v[86:87]
	v_add_f64 v[82:83], v[90:91], v[80:81]
	v_add_f64 v[86:87], v[82:83], -v[90:91]
	v_ldexp_f64 v[78:79], v[78:79], 1
	v_add_f64 v[80:81], v[80:81], -v[86:87]
	v_add_f64 v[78:79], v[78:79], v[80:81]
	v_add_f64 v[80:81], v[82:83], v[78:79]
	v_add_f64 v[82:83], v[80:81], -v[82:83]
	v_add_f64 v[78:79], v[78:79], -v[82:83]
	v_add_f64 v[82:83], v[84:85], v[80:81]
	v_add_f64 v[86:87], v[82:83], -v[84:85]
	v_add_f64 v[90:91], v[82:83], -v[86:87]
	;; [unrolled: 1-line block ×4, first 2 shown]
	v_add_f64 v[80:81], v[80:81], v[84:85]
	v_add_f64 v[84:85], v[88:89], v[78:79]
	v_add_f64 v[86:87], v[84:85], -v[88:89]
	v_add_f64 v[80:81], v[84:85], v[80:81]
	v_add_f64 v[90:91], v[84:85], -v[86:87]
	;; [unrolled: 2-line block ×3, first 2 shown]
	v_add_f64 v[78:79], v[78:79], -v[86:87]
	v_add_f64 v[82:83], v[84:85], -v[82:83]
	v_add_f64 v[78:79], v[78:79], v[88:89]
	v_add_f64 v[80:81], v[80:81], -v[82:83]
	s_mov_b32 s64, 0
	v_add_f64 v[78:79], v[78:79], v[80:81]
	s_mov_b32 s65, 0x7ff00000
	v_add_f64 v[78:79], v[84:85], v[78:79]
	v_cmp_eq_f64_e64 s[64:65], s[64:65], v[76:77]
	v_mov_b32_e32 v80, 0x7ff80000
	s_nop 0
	v_cndmask_b32_e64 v78, v78, v76, s[64:65]
	v_cndmask_b32_e64 v79, v79, v77, s[64:65]
	v_cmp_ngt_f64_e64 s[64:65], -1.0, v[76:77]
	s_nop 1
	v_cndmask_b32_e64 v79, v80, v79, s[64:65]
	v_cmp_nge_f64_e64 s[64:65], -1.0, v[76:77]
	v_mov_b32_e32 v80, 0xfff00000
	s_nop 0
	v_cndmask_b32_e64 v78, 0, v78, s[64:65]
	v_cmp_neq_f64_e64 s[64:65], -1.0, v[76:77]
	s_nop 1
	v_cndmask_b32_e64 v79, v80, v79, s[64:65]
	v_add_f64 v[76:77], v[32:33], v[78:79]
.LBB40_84:
	s_or_b64 exec, exec, s[72:73]
	v_mov_b32_e32 v78, v76
	v_mov_b32_e32 v79, v77
	v_mov_b64_e32 v[32:33], v[76:77]
.LBB40_85:
	s_or_b64 exec, exec, s[70:71]
	v_mov_b32_dpp v76, v78 row_bcast:31 row_mask:0xf bank_mask:0xf
	v_mov_b32_dpp v77, v79 row_bcast:31 row_mask:0xf bank_mask:0xf
	v_cmp_lt_u32_e64 s[64:65], 31, v35
	s_and_saveexec_b64 s[70:71], s[64:65]
	s_cbranch_execz .LBB40_89
; %bb.86:
	v_max_f64 v[80:81], v[76:77], v[76:77]
	v_max_f64 v[82:83], v[32:33], v[32:33]
	v_min_f64 v[78:79], v[80:81], v[82:83]
	v_cmp_u_f64_e64 s[64:65], v[76:77], v[76:77]
	v_max_f64 v[80:81], v[80:81], v[82:83]
	v_cmp_u_f64_e64 s[66:67], v[32:33], v[32:33]
	v_cndmask_b32_e64 v78, v78, v76, s[64:65]
	v_cndmask_b32_e64 v79, v79, v77, s[64:65]
	;; [unrolled: 1-line block ×8, first 2 shown]
	v_cmp_neq_f64_e64 s[64:65], v[78:79], v[32:33]
	v_cmp_class_f64_e64 s[66:67], v[78:79], s33
	s_or_b64 s[64:65], s[64:65], s[66:67]
	s_and_saveexec_b64 s[72:73], s[64:65]
	s_cbranch_execz .LBB40_88
; %bb.87:
	s_mov_b32 s64, 0x652b82fe
	v_add_f64 v[76:77], v[78:79], -v[32:33]
	s_mov_b32 s65, 0x3ff71547
	v_mul_f64 v[78:79], v[76:77], s[64:65]
	v_rndne_f64_e32 v[78:79], v[78:79]
	s_mov_b32 s75, 0xbfe62e42
	s_mov_b32 s74, 0xfefa39ef
	v_fma_f64 v[80:81], s[74:75], v[78:79], v[76:77]
	s_mov_b32 s77, 0xbc7abc9e
	s_mov_b32 s76, 0x3b39803f
	;; [unrolled: 1-line block ×3, first 2 shown]
	v_fmac_f64_e32 v[80:81], s[76:77], v[78:79]
	v_mov_b32_e32 v82, 0xfca7ab0c
	v_mov_b32_e32 v83, 0x3e928af3
	s_mov_b32 s65, 0x3e5ade15
	v_fmac_f64_e32 v[82:83], s[64:65], v[80:81]
	v_mov_b32_e32 v84, 0x623fde64
	v_mov_b32_e32 v85, 0x3ec71dee
	v_fmac_f64_e32 v[84:85], v[80:81], v[82:83]
	v_mov_b32_e32 v82, 0x7c89e6b0
	v_mov_b32_e32 v83, 0x3efa0199
	;; [unrolled: 3-line block ×8, first 2 shown]
	v_fmac_f64_e32 v[82:83], v[80:81], v[84:85]
	v_fma_f64 v[82:83], v[80:81], v[82:83], 1.0
	s_mov_b32 s64, 0
	s_mov_b32 s66, 0
	v_fma_f64 v[80:81], v[80:81], v[82:83], 1.0
	v_cvt_i32_f64_e32 v78, v[78:79]
	s_mov_b32 s65, 0x40900000
	s_mov_b32 s67, 0xc090cc00
	v_ldexp_f64 v[78:79], v[80:81], v78
	v_mov_b32_e32 v80, 0x7ff00000
	v_cmp_nlt_f64_e64 s[64:65], s[64:65], v[76:77]
	v_cmp_ngt_f64_e64 s[66:67], s[66:67], v[76:77]
	s_mov_b32 s75, 0x3fe62e42
	v_cndmask_b32_e64 v79, v80, v79, s[64:65]
	s_and_b64 s[64:65], s[66:67], s[64:65]
	v_cndmask_b32_e64 v77, 0, v79, s[66:67]
	v_cndmask_b32_e64 v76, 0, v78, s[64:65]
	v_add_f64 v[78:79], v[76:77], 1.0
	v_add_f64 v[80:81], v[78:79], -1.0
	v_add_f64 v[82:83], v[80:81], -v[78:79]
	v_add_f64 v[82:83], v[82:83], 1.0
	v_add_f64 v[80:81], v[76:77], -v[80:81]
	s_mov_b32 s64, 0x55555555
	v_add_f64 v[80:81], v[80:81], v[82:83]
	v_frexp_mant_f64_e32 v[82:83], v[78:79]
	s_mov_b32 s65, 0x3fe55555
	v_frexp_exp_i32_f64_e32 v84, v[78:79]
	v_cmp_gt_f64_e64 s[64:65], s[64:65], v[82:83]
	s_mov_b32 s77, 0x3c7abc9e
	s_nop 0
	v_subbrev_co_u32_e64 v98, s[64:65], 0, v84, s[64:65]
	v_sub_u32_e32 v82, 0, v98
	v_ldexp_f64 v[78:79], v[78:79], v82
	v_ldexp_f64 v[80:81], v[80:81], v82
	v_add_f64 v[82:83], v[78:79], -1.0
	v_add_f64 v[88:89], v[78:79], 1.0
	v_add_f64 v[84:85], v[82:83], 1.0
	v_add_f64 v[90:91], v[88:89], -1.0
	v_add_f64 v[84:85], v[78:79], -v[84:85]
	v_add_f64 v[78:79], v[78:79], -v[90:91]
	v_add_f64 v[78:79], v[80:81], v[78:79]
	v_add_f64 v[84:85], v[80:81], v[84:85]
	;; [unrolled: 1-line block ×3, first 2 shown]
	v_rcp_f64_e32 v[90:91], v[80:81]
	v_add_f64 v[86:87], v[82:83], v[84:85]
	v_add_f64 v[82:83], v[86:87], -v[82:83]
	v_add_f64 v[82:83], v[84:85], -v[82:83]
	;; [unrolled: 1-line block ×4, first 2 shown]
	v_fma_f64 v[84:85], -v[80:81], v[90:91], 1.0
	v_fmac_f64_e32 v[90:91], v[84:85], v[90:91]
	v_fma_f64 v[84:85], -v[80:81], v[90:91], 1.0
	v_fmac_f64_e32 v[90:91], v[84:85], v[90:91]
	v_mul_f64 v[84:85], v[86:87], v[90:91]
	v_mul_f64 v[88:89], v[80:81], v[84:85]
	v_fma_f64 v[92:93], v[84:85], v[80:81], -v[88:89]
	v_fmac_f64_e32 v[92:93], v[84:85], v[78:79]
	v_add_f64 v[94:95], v[88:89], v[92:93]
	v_add_f64 v[96:97], v[86:87], -v[94:95]
	v_add_f64 v[86:87], v[86:87], -v[96:97]
	;; [unrolled: 1-line block ×4, first 2 shown]
	v_add_f64 v[82:83], v[82:83], v[86:87]
	v_add_f64 v[86:87], v[88:89], -v[92:93]
	v_add_f64 v[82:83], v[86:87], v[82:83]
	v_add_f64 v[86:87], v[96:97], v[82:83]
	v_add_f64 v[88:89], v[96:97], -v[86:87]
	v_add_f64 v[82:83], v[82:83], v[88:89]
	v_mul_f64 v[88:89], v[90:91], v[86:87]
	v_mul_f64 v[92:93], v[80:81], v[88:89]
	v_fma_f64 v[80:81], v[88:89], v[80:81], -v[92:93]
	v_fmac_f64_e32 v[80:81], v[88:89], v[78:79]
	v_add_f64 v[78:79], v[92:93], v[80:81]
	v_add_f64 v[94:95], v[86:87], -v[78:79]
	v_add_f64 v[86:87], v[86:87], -v[94:95]
	v_add_f64 v[92:93], v[78:79], -v[92:93]
	v_add_f64 v[78:79], v[86:87], -v[78:79]
	v_add_f64 v[78:79], v[82:83], v[78:79]
	v_add_f64 v[80:81], v[92:93], -v[80:81]
	v_add_f64 v[78:79], v[80:81], v[78:79]
	v_add_f64 v[80:81], v[84:85], v[88:89]
	;; [unrolled: 1-line block ×3, first 2 shown]
	v_add_f64 v[82:83], v[80:81], -v[84:85]
	v_mul_f64 v[78:79], v[90:91], v[78:79]
	v_add_f64 v[82:83], v[88:89], -v[82:83]
	v_add_f64 v[78:79], v[82:83], v[78:79]
	v_add_f64 v[82:83], v[80:81], v[78:79]
	v_add_f64 v[80:81], v[82:83], -v[80:81]
	s_mov_b32 s64, 0xbf559e2b
	v_add_f64 v[78:79], v[78:79], -v[80:81]
	v_mul_f64 v[80:81], v[82:83], v[82:83]
	v_mov_b32_e32 v84, 0x6b47b09a
	v_mov_b32_e32 v85, 0x3fc38538
	s_mov_b32 s65, 0x3fc3ab76
	v_fmac_f64_e32 v[84:85], s[64:65], v[80:81]
	v_mov_b32_e32 v86, 0xd7f4df2e
	v_mov_b32_e32 v87, 0x3fc7474d
	v_fmac_f64_e32 v[86:87], v[80:81], v[84:85]
	v_mov_b32_e32 v84, 0x16291751
	v_mov_b32_e32 v85, 0x3fcc71c0
	;; [unrolled: 3-line block ×5, first 2 shown]
	v_fmac_f64_e32 v[86:87], v[80:81], v[84:85]
	v_cvt_f64_i32_e32 v[84:85], v98
	v_mul_f64 v[88:89], v[84:85], s[74:75]
	v_fma_f64 v[90:91], v[84:85], s[74:75], -v[88:89]
	v_fmac_f64_e32 v[90:91], s[76:77], v[84:85]
	v_add_f64 v[84:85], v[88:89], v[90:91]
	v_add_f64 v[88:89], v[84:85], -v[88:89]
	v_mul_f64 v[80:81], v[82:83], v[80:81]
	v_add_f64 v[88:89], v[90:91], -v[88:89]
	v_ldexp_f64 v[90:91], v[82:83], 1
	v_mul_f64 v[80:81], v[80:81], v[86:87]
	v_add_f64 v[82:83], v[90:91], v[80:81]
	v_add_f64 v[86:87], v[82:83], -v[90:91]
	v_ldexp_f64 v[78:79], v[78:79], 1
	v_add_f64 v[80:81], v[80:81], -v[86:87]
	v_add_f64 v[78:79], v[78:79], v[80:81]
	v_add_f64 v[80:81], v[82:83], v[78:79]
	v_add_f64 v[82:83], v[80:81], -v[82:83]
	v_add_f64 v[78:79], v[78:79], -v[82:83]
	v_add_f64 v[82:83], v[84:85], v[80:81]
	v_add_f64 v[86:87], v[82:83], -v[84:85]
	v_add_f64 v[90:91], v[82:83], -v[86:87]
	;; [unrolled: 1-line block ×4, first 2 shown]
	v_add_f64 v[80:81], v[80:81], v[84:85]
	v_add_f64 v[84:85], v[88:89], v[78:79]
	v_add_f64 v[86:87], v[84:85], -v[88:89]
	v_add_f64 v[80:81], v[84:85], v[80:81]
	v_add_f64 v[90:91], v[84:85], -v[86:87]
	;; [unrolled: 2-line block ×3, first 2 shown]
	v_add_f64 v[78:79], v[78:79], -v[86:87]
	v_add_f64 v[82:83], v[84:85], -v[82:83]
	v_add_f64 v[78:79], v[78:79], v[88:89]
	v_add_f64 v[80:81], v[80:81], -v[82:83]
	s_mov_b32 s64, 0
	v_add_f64 v[78:79], v[78:79], v[80:81]
	s_mov_b32 s65, 0x7ff00000
	v_add_f64 v[78:79], v[84:85], v[78:79]
	v_cmp_eq_f64_e64 s[64:65], s[64:65], v[76:77]
	v_mov_b32_e32 v80, 0x7ff80000
	s_nop 0
	v_cndmask_b32_e64 v78, v78, v76, s[64:65]
	v_cndmask_b32_e64 v79, v79, v77, s[64:65]
	v_cmp_ngt_f64_e64 s[64:65], -1.0, v[76:77]
	s_nop 1
	v_cndmask_b32_e64 v79, v80, v79, s[64:65]
	v_cmp_nge_f64_e64 s[64:65], -1.0, v[76:77]
	v_mov_b32_e32 v80, 0xfff00000
	s_nop 0
	v_cndmask_b32_e64 v78, 0, v78, s[64:65]
	v_cmp_neq_f64_e64 s[64:65], -1.0, v[76:77]
	s_nop 1
	v_cndmask_b32_e64 v79, v80, v79, s[64:65]
	v_add_f64 v[76:77], v[32:33], v[78:79]
.LBB40_88:
	s_or_b64 exec, exec, s[72:73]
	v_mov_b64_e32 v[32:33], v[76:77]
.LBB40_89:
	s_or_b64 exec, exec, s[70:71]
	v_add_u32_e32 v76, -1, v35
	v_and_b32_e32 v77, 64, v35
	v_cmp_lt_i32_e64 s[64:65], v76, v77
	s_nop 1
	v_cndmask_b32_e64 v35, v76, v35, s[64:65]
	v_lshlrev_b32_e32 v35, 2, v35
	ds_bpermute_b32 v32, v35, v32
	ds_bpermute_b32 v33, v35, v33
	s_waitcnt lgkmcnt(0)
	v_max_f64 v[78:79], v[32:33], v[32:33]
	v_min_f64 v[76:77], v[78:79], v[74:75]
	v_cmp_u_f64_e64 s[64:65], v[32:33], v[32:33]
	v_max_f64 v[74:75], v[78:79], v[74:75]
	s_nop 0
	v_cndmask_b32_e64 v35, v76, v32, s[64:65]
	v_cndmask_b32_e64 v76, v77, v33, s[64:65]
	;; [unrolled: 1-line block ×8, first 2 shown]
	v_cmp_neq_f64_e64 s[62:63], v[76:77], v[30:31]
	v_cmp_class_f64_e64 s[64:65], v[76:77], s33
	s_or_b64 s[62:63], s[62:63], s[64:65]
	s_and_saveexec_b64 s[66:67], s[62:63]
	s_cbranch_execz .LBB40_91
; %bb.90:
	s_mov_b32 s62, 0x652b82fe
	v_add_f64 v[32:33], v[76:77], -v[30:31]
	s_mov_b32 s63, 0x3ff71547
	v_mul_f64 v[74:75], v[32:33], s[62:63]
	v_rndne_f64_e32 v[74:75], v[74:75]
	s_mov_b32 s71, 0xbfe62e42
	s_mov_b32 s70, 0xfefa39ef
	v_fma_f64 v[76:77], s[70:71], v[74:75], v[32:33]
	s_mov_b32 s73, 0xbc7abc9e
	s_mov_b32 s72, 0x3b39803f
	;; [unrolled: 1-line block ×3, first 2 shown]
	v_fmac_f64_e32 v[76:77], s[72:73], v[74:75]
	v_mov_b32_e32 v78, 0xfca7ab0c
	v_mov_b32_e32 v79, 0x3e928af3
	s_mov_b32 s63, 0x3e5ade15
	v_fmac_f64_e32 v[78:79], s[62:63], v[76:77]
	v_mov_b32_e32 v80, 0x623fde64
	v_mov_b32_e32 v81, 0x3ec71dee
	v_fmac_f64_e32 v[80:81], v[76:77], v[78:79]
	v_mov_b32_e32 v78, 0x7c89e6b0
	v_mov_b32_e32 v79, 0x3efa0199
	v_fmac_f64_e32 v[78:79], v[76:77], v[80:81]
	v_mov_b32_e32 v80, 0x14761f6e
	v_mov_b32_e32 v81, 0x3f2a01a0
	v_fmac_f64_e32 v[80:81], v[76:77], v[78:79]
	v_mov_b32_e32 v78, 0x1852b7b0
	v_mov_b32_e32 v79, 0x3f56c16c
	v_fmac_f64_e32 v[78:79], v[76:77], v[80:81]
	v_mov_b32_e32 v80, 0x11122322
	v_mov_b32_e32 v81, 0x3f811111
	v_fmac_f64_e32 v[80:81], v[76:77], v[78:79]
	v_mov_b32_e32 v78, 0x555502a1
	v_mov_b32_e32 v79, 0x3fa55555
	v_fmac_f64_e32 v[78:79], v[76:77], v[80:81]
	v_mov_b32_e32 v80, 0x55555511
	v_mov_b32_e32 v81, 0x3fc55555
	v_fmac_f64_e32 v[80:81], v[76:77], v[78:79]
	v_mov_b32_e32 v78, 11
	v_mov_b32_e32 v79, 0x3fe00000
	v_fmac_f64_e32 v[78:79], v[76:77], v[80:81]
	v_fma_f64 v[78:79], v[76:77], v[78:79], 1.0
	s_mov_b32 s62, 0
	s_mov_b32 s64, 0
	v_fma_f64 v[76:77], v[76:77], v[78:79], 1.0
	v_cvt_i32_f64_e32 v35, v[74:75]
	s_mov_b32 s63, 0x40900000
	s_mov_b32 s65, 0xc090cc00
	v_ldexp_f64 v[74:75], v[76:77], v35
	v_mov_b32_e32 v35, 0x7ff00000
	v_cmp_nlt_f64_e64 s[62:63], s[62:63], v[32:33]
	v_cmp_ngt_f64_e64 s[64:65], s[64:65], v[32:33]
	s_mov_b32 s71, 0x3fe62e42
	v_cndmask_b32_e64 v35, v35, v75, s[62:63]
	s_and_b64 s[62:63], s[64:65], s[62:63]
	v_cndmask_b32_e64 v33, 0, v35, s[64:65]
	v_cndmask_b32_e64 v32, 0, v74, s[62:63]
	v_add_f64 v[74:75], v[32:33], 1.0
	v_add_f64 v[76:77], v[74:75], -1.0
	v_add_f64 v[78:79], v[76:77], -v[74:75]
	v_add_f64 v[78:79], v[78:79], 1.0
	v_add_f64 v[76:77], v[32:33], -v[76:77]
	s_mov_b32 s62, 0x55555555
	v_add_f64 v[76:77], v[76:77], v[78:79]
	v_frexp_mant_f64_e32 v[78:79], v[74:75]
	s_mov_b32 s63, 0x3fe55555
	v_frexp_exp_i32_f64_e32 v35, v[74:75]
	v_cmp_gt_f64_e64 s[62:63], s[62:63], v[78:79]
	s_mov_b32 s73, 0x3c7abc9e
	s_nop 0
	v_subbrev_co_u32_e64 v35, s[62:63], 0, v35, s[62:63]
	v_sub_u32_e32 v78, 0, v35
	v_ldexp_f64 v[74:75], v[74:75], v78
	v_ldexp_f64 v[76:77], v[76:77], v78
	v_add_f64 v[78:79], v[74:75], -1.0
	v_add_f64 v[84:85], v[74:75], 1.0
	v_add_f64 v[80:81], v[78:79], 1.0
	v_add_f64 v[86:87], v[84:85], -1.0
	v_add_f64 v[80:81], v[74:75], -v[80:81]
	v_add_f64 v[74:75], v[74:75], -v[86:87]
	v_add_f64 v[74:75], v[76:77], v[74:75]
	v_add_f64 v[80:81], v[76:77], v[80:81]
	;; [unrolled: 1-line block ×3, first 2 shown]
	v_rcp_f64_e32 v[86:87], v[76:77]
	v_add_f64 v[82:83], v[78:79], v[80:81]
	v_add_f64 v[78:79], v[82:83], -v[78:79]
	v_add_f64 v[78:79], v[80:81], -v[78:79]
	v_add_f64 v[80:81], v[76:77], -v[84:85]
	v_add_f64 v[74:75], v[74:75], -v[80:81]
	v_fma_f64 v[80:81], -v[76:77], v[86:87], 1.0
	v_fmac_f64_e32 v[86:87], v[80:81], v[86:87]
	v_fma_f64 v[80:81], -v[76:77], v[86:87], 1.0
	v_fmac_f64_e32 v[86:87], v[80:81], v[86:87]
	v_mul_f64 v[80:81], v[82:83], v[86:87]
	v_mul_f64 v[84:85], v[76:77], v[80:81]
	v_fma_f64 v[88:89], v[80:81], v[76:77], -v[84:85]
	v_fmac_f64_e32 v[88:89], v[80:81], v[74:75]
	v_add_f64 v[90:91], v[84:85], v[88:89]
	v_add_f64 v[92:93], v[82:83], -v[90:91]
	v_add_f64 v[82:83], v[82:83], -v[92:93]
	v_add_f64 v[84:85], v[90:91], -v[84:85]
	v_add_f64 v[82:83], v[82:83], -v[90:91]
	v_add_f64 v[78:79], v[78:79], v[82:83]
	v_add_f64 v[82:83], v[84:85], -v[88:89]
	v_add_f64 v[78:79], v[82:83], v[78:79]
	v_add_f64 v[82:83], v[92:93], v[78:79]
	v_add_f64 v[84:85], v[92:93], -v[82:83]
	v_add_f64 v[78:79], v[78:79], v[84:85]
	v_mul_f64 v[84:85], v[86:87], v[82:83]
	v_mul_f64 v[88:89], v[76:77], v[84:85]
	v_fma_f64 v[76:77], v[84:85], v[76:77], -v[88:89]
	v_fmac_f64_e32 v[76:77], v[84:85], v[74:75]
	v_add_f64 v[74:75], v[88:89], v[76:77]
	v_add_f64 v[90:91], v[82:83], -v[74:75]
	v_add_f64 v[82:83], v[82:83], -v[90:91]
	;; [unrolled: 1-line block ×4, first 2 shown]
	v_add_f64 v[74:75], v[78:79], v[74:75]
	v_add_f64 v[76:77], v[88:89], -v[76:77]
	v_add_f64 v[74:75], v[76:77], v[74:75]
	v_add_f64 v[76:77], v[80:81], v[84:85]
	;; [unrolled: 1-line block ×3, first 2 shown]
	v_add_f64 v[78:79], v[76:77], -v[80:81]
	v_mul_f64 v[74:75], v[86:87], v[74:75]
	v_add_f64 v[78:79], v[84:85], -v[78:79]
	v_add_f64 v[74:75], v[78:79], v[74:75]
	v_add_f64 v[78:79], v[76:77], v[74:75]
	v_add_f64 v[76:77], v[78:79], -v[76:77]
	s_mov_b32 s62, 0xbf559e2b
	v_add_f64 v[74:75], v[74:75], -v[76:77]
	v_mul_f64 v[76:77], v[78:79], v[78:79]
	v_mov_b32_e32 v80, 0x6b47b09a
	v_mov_b32_e32 v81, 0x3fc38538
	s_mov_b32 s63, 0x3fc3ab76
	v_fmac_f64_e32 v[80:81], s[62:63], v[76:77]
	v_mov_b32_e32 v82, 0xd7f4df2e
	v_mov_b32_e32 v83, 0x3fc7474d
	v_fmac_f64_e32 v[82:83], v[76:77], v[80:81]
	v_mov_b32_e32 v80, 0x16291751
	v_mov_b32_e32 v81, 0x3fcc71c0
	v_fmac_f64_e32 v[80:81], v[76:77], v[82:83]
	v_mov_b32_e32 v82, 0x9b27acf1
	v_mov_b32_e32 v83, 0x3fd24924
	v_fmac_f64_e32 v[82:83], v[76:77], v[80:81]
	v_mov_b32_e32 v80, 0x998ef7b6
	v_mov_b32_e32 v81, 0x3fd99999
	v_fmac_f64_e32 v[80:81], v[76:77], v[82:83]
	v_mov_b32_e32 v82, 0x55555780
	v_mov_b32_e32 v83, 0x3fe55555
	v_fmac_f64_e32 v[82:83], v[76:77], v[80:81]
	v_cvt_f64_i32_e32 v[80:81], v35
	v_mul_f64 v[84:85], v[80:81], s[70:71]
	v_fma_f64 v[86:87], v[80:81], s[70:71], -v[84:85]
	v_fmac_f64_e32 v[86:87], s[72:73], v[80:81]
	v_add_f64 v[80:81], v[84:85], v[86:87]
	v_add_f64 v[84:85], v[80:81], -v[84:85]
	v_mul_f64 v[76:77], v[78:79], v[76:77]
	v_add_f64 v[84:85], v[86:87], -v[84:85]
	v_ldexp_f64 v[86:87], v[78:79], 1
	v_mul_f64 v[76:77], v[76:77], v[82:83]
	v_add_f64 v[78:79], v[86:87], v[76:77]
	v_add_f64 v[82:83], v[78:79], -v[86:87]
	v_ldexp_f64 v[74:75], v[74:75], 1
	v_add_f64 v[76:77], v[76:77], -v[82:83]
	v_add_f64 v[74:75], v[74:75], v[76:77]
	v_add_f64 v[76:77], v[78:79], v[74:75]
	v_add_f64 v[78:79], v[76:77], -v[78:79]
	v_add_f64 v[74:75], v[74:75], -v[78:79]
	v_add_f64 v[78:79], v[80:81], v[76:77]
	v_add_f64 v[82:83], v[78:79], -v[80:81]
	v_add_f64 v[86:87], v[78:79], -v[82:83]
	;; [unrolled: 1-line block ×4, first 2 shown]
	v_add_f64 v[76:77], v[76:77], v[80:81]
	v_add_f64 v[80:81], v[84:85], v[74:75]
	v_add_f64 v[82:83], v[80:81], -v[84:85]
	v_add_f64 v[76:77], v[80:81], v[76:77]
	v_add_f64 v[86:87], v[80:81], -v[82:83]
	;; [unrolled: 2-line block ×3, first 2 shown]
	v_add_f64 v[74:75], v[74:75], -v[82:83]
	v_add_f64 v[78:79], v[80:81], -v[78:79]
	v_add_f64 v[74:75], v[74:75], v[84:85]
	v_add_f64 v[76:77], v[76:77], -v[78:79]
	s_mov_b32 s62, 0
	v_add_f64 v[74:75], v[74:75], v[76:77]
	s_mov_b32 s63, 0x7ff00000
	v_add_f64 v[74:75], v[80:81], v[74:75]
	v_cmp_eq_f64_e64 s[62:63], s[62:63], v[32:33]
	s_nop 1
	v_cndmask_b32_e64 v35, v74, v32, s[62:63]
	v_cndmask_b32_e64 v74, v75, v33, s[62:63]
	v_mov_b32_e32 v75, 0x7ff80000
	v_cmp_ngt_f64_e64 s[62:63], -1.0, v[32:33]
	s_nop 1
	v_cndmask_b32_e64 v75, v75, v74, s[62:63]
	v_cmp_nge_f64_e64 s[62:63], -1.0, v[32:33]
	s_nop 1
	v_cndmask_b32_e64 v74, 0, v35, s[62:63]
	v_mov_b32_e32 v35, 0xfff00000
	v_cmp_neq_f64_e64 s[62:63], -1.0, v[32:33]
	s_nop 1
	v_cndmask_b32_e64 v75, v35, v75, s[62:63]
	v_add_f64 v[32:33], v[30:31], v[74:75]
.LBB40_91:
	s_or_b64 exec, exec, s[66:67]
	v_cmp_eq_u32_e64 s[62:63], 0, v0
	; wave barrier
	s_nop 1
	v_cndmask_b32_e64 v33, v33, v73, s[62:63]
	v_cndmask_b32_e64 v32, v32, v72, s[62:63]
	ds_write_b64 v1, v[32:33]
	; wave barrier
	ds_read_b64 v[30:31], v1 offset:8
	v_max_f64 v[76:77], v[32:33], v[32:33]
	v_cmp_u_f64_e64 s[62:63], v[32:33], v[32:33]
	s_waitcnt lgkmcnt(0)
	v_max_f64 v[78:79], v[30:31], v[30:31]
	v_min_f64 v[74:75], v[76:77], v[78:79]
	v_cndmask_b32_e64 v35, v74, v32, s[62:63]
	v_cndmask_b32_e64 v74, v75, v33, s[62:63]
	v_cmp_u_f64_e64 s[64:65], v[30:31], v[30:31]
	v_max_f64 v[76:77], v[76:77], v[78:79]
	s_nop 0
	v_cndmask_b32_e64 v75, v74, v31, s[64:65]
	v_cndmask_b32_e64 v74, v35, v30, s[64:65]
	;; [unrolled: 1-line block ×6, first 2 shown]
	v_cmp_neq_f64_e64 s[62:63], v[74:75], v[30:31]
	v_cmp_class_f64_e64 s[64:65], v[74:75], s33
	s_or_b64 s[62:63], s[62:63], s[64:65]
	s_and_saveexec_b64 s[66:67], s[62:63]
	s_cbranch_execz .LBB40_93
; %bb.92:
	s_mov_b32 s62, 0x652b82fe
	v_add_f64 v[32:33], v[74:75], -v[30:31]
	s_mov_b32 s63, 0x3ff71547
	v_mul_f64 v[74:75], v[32:33], s[62:63]
	v_rndne_f64_e32 v[74:75], v[74:75]
	s_mov_b32 s71, 0xbfe62e42
	s_mov_b32 s70, 0xfefa39ef
	v_fma_f64 v[76:77], s[70:71], v[74:75], v[32:33]
	s_mov_b32 s73, 0xbc7abc9e
	s_mov_b32 s72, 0x3b39803f
	;; [unrolled: 1-line block ×3, first 2 shown]
	v_fmac_f64_e32 v[76:77], s[72:73], v[74:75]
	v_mov_b32_e32 v78, 0xfca7ab0c
	v_mov_b32_e32 v79, 0x3e928af3
	s_mov_b32 s63, 0x3e5ade15
	v_fmac_f64_e32 v[78:79], s[62:63], v[76:77]
	v_mov_b32_e32 v80, 0x623fde64
	v_mov_b32_e32 v81, 0x3ec71dee
	v_fmac_f64_e32 v[80:81], v[76:77], v[78:79]
	v_mov_b32_e32 v78, 0x7c89e6b0
	v_mov_b32_e32 v79, 0x3efa0199
	;; [unrolled: 3-line block ×8, first 2 shown]
	v_fmac_f64_e32 v[78:79], v[76:77], v[80:81]
	v_fma_f64 v[78:79], v[76:77], v[78:79], 1.0
	s_mov_b32 s62, 0
	s_mov_b32 s64, 0
	v_fma_f64 v[76:77], v[76:77], v[78:79], 1.0
	v_cvt_i32_f64_e32 v35, v[74:75]
	s_mov_b32 s63, 0x40900000
	s_mov_b32 s65, 0xc090cc00
	v_ldexp_f64 v[74:75], v[76:77], v35
	v_mov_b32_e32 v35, 0x7ff00000
	v_cmp_nlt_f64_e64 s[62:63], s[62:63], v[32:33]
	v_cmp_ngt_f64_e64 s[64:65], s[64:65], v[32:33]
	s_mov_b32 s71, 0x3fe62e42
	v_cndmask_b32_e64 v35, v35, v75, s[62:63]
	s_and_b64 s[62:63], s[64:65], s[62:63]
	v_cndmask_b32_e64 v33, 0, v35, s[64:65]
	v_cndmask_b32_e64 v32, 0, v74, s[62:63]
	v_add_f64 v[74:75], v[32:33], 1.0
	v_add_f64 v[76:77], v[74:75], -1.0
	v_add_f64 v[78:79], v[76:77], -v[74:75]
	v_add_f64 v[78:79], v[78:79], 1.0
	v_add_f64 v[76:77], v[32:33], -v[76:77]
	s_mov_b32 s62, 0x55555555
	v_add_f64 v[76:77], v[76:77], v[78:79]
	v_frexp_mant_f64_e32 v[78:79], v[74:75]
	s_mov_b32 s63, 0x3fe55555
	v_frexp_exp_i32_f64_e32 v35, v[74:75]
	v_cmp_gt_f64_e64 s[62:63], s[62:63], v[78:79]
	s_mov_b32 s73, 0x3c7abc9e
	s_nop 0
	v_subbrev_co_u32_e64 v35, s[62:63], 0, v35, s[62:63]
	v_sub_u32_e32 v78, 0, v35
	v_ldexp_f64 v[74:75], v[74:75], v78
	v_ldexp_f64 v[76:77], v[76:77], v78
	v_add_f64 v[78:79], v[74:75], -1.0
	v_add_f64 v[84:85], v[74:75], 1.0
	v_add_f64 v[80:81], v[78:79], 1.0
	v_add_f64 v[86:87], v[84:85], -1.0
	v_add_f64 v[80:81], v[74:75], -v[80:81]
	v_add_f64 v[74:75], v[74:75], -v[86:87]
	v_add_f64 v[74:75], v[76:77], v[74:75]
	v_add_f64 v[80:81], v[76:77], v[80:81]
	;; [unrolled: 1-line block ×3, first 2 shown]
	v_rcp_f64_e32 v[86:87], v[76:77]
	v_add_f64 v[82:83], v[78:79], v[80:81]
	v_add_f64 v[78:79], v[82:83], -v[78:79]
	v_add_f64 v[78:79], v[80:81], -v[78:79]
	;; [unrolled: 1-line block ×4, first 2 shown]
	v_fma_f64 v[80:81], -v[76:77], v[86:87], 1.0
	v_fmac_f64_e32 v[86:87], v[80:81], v[86:87]
	v_fma_f64 v[80:81], -v[76:77], v[86:87], 1.0
	v_fmac_f64_e32 v[86:87], v[80:81], v[86:87]
	v_mul_f64 v[80:81], v[82:83], v[86:87]
	v_mul_f64 v[84:85], v[76:77], v[80:81]
	v_fma_f64 v[88:89], v[80:81], v[76:77], -v[84:85]
	v_fmac_f64_e32 v[88:89], v[80:81], v[74:75]
	v_add_f64 v[90:91], v[84:85], v[88:89]
	v_add_f64 v[92:93], v[82:83], -v[90:91]
	v_add_f64 v[82:83], v[82:83], -v[92:93]
	;; [unrolled: 1-line block ×4, first 2 shown]
	v_add_f64 v[78:79], v[78:79], v[82:83]
	v_add_f64 v[82:83], v[84:85], -v[88:89]
	v_add_f64 v[78:79], v[82:83], v[78:79]
	v_add_f64 v[82:83], v[92:93], v[78:79]
	v_add_f64 v[84:85], v[92:93], -v[82:83]
	v_add_f64 v[78:79], v[78:79], v[84:85]
	v_mul_f64 v[84:85], v[86:87], v[82:83]
	v_mul_f64 v[88:89], v[76:77], v[84:85]
	v_fma_f64 v[76:77], v[84:85], v[76:77], -v[88:89]
	v_fmac_f64_e32 v[76:77], v[84:85], v[74:75]
	v_add_f64 v[74:75], v[88:89], v[76:77]
	v_add_f64 v[90:91], v[82:83], -v[74:75]
	v_add_f64 v[82:83], v[82:83], -v[90:91]
	;; [unrolled: 1-line block ×4, first 2 shown]
	v_add_f64 v[74:75], v[78:79], v[74:75]
	v_add_f64 v[76:77], v[88:89], -v[76:77]
	v_add_f64 v[74:75], v[76:77], v[74:75]
	v_add_f64 v[76:77], v[80:81], v[84:85]
	;; [unrolled: 1-line block ×3, first 2 shown]
	v_add_f64 v[78:79], v[76:77], -v[80:81]
	v_mul_f64 v[74:75], v[86:87], v[74:75]
	v_add_f64 v[78:79], v[84:85], -v[78:79]
	v_add_f64 v[74:75], v[78:79], v[74:75]
	v_add_f64 v[78:79], v[76:77], v[74:75]
	v_add_f64 v[76:77], v[78:79], -v[76:77]
	s_mov_b32 s62, 0xbf559e2b
	v_add_f64 v[74:75], v[74:75], -v[76:77]
	v_mul_f64 v[76:77], v[78:79], v[78:79]
	v_mov_b32_e32 v80, 0x6b47b09a
	v_mov_b32_e32 v81, 0x3fc38538
	s_mov_b32 s63, 0x3fc3ab76
	v_fmac_f64_e32 v[80:81], s[62:63], v[76:77]
	v_mov_b32_e32 v82, 0xd7f4df2e
	v_mov_b32_e32 v83, 0x3fc7474d
	v_fmac_f64_e32 v[82:83], v[76:77], v[80:81]
	v_mov_b32_e32 v80, 0x16291751
	v_mov_b32_e32 v81, 0x3fcc71c0
	;; [unrolled: 3-line block ×5, first 2 shown]
	v_fmac_f64_e32 v[82:83], v[76:77], v[80:81]
	v_cvt_f64_i32_e32 v[80:81], v35
	v_mul_f64 v[84:85], v[80:81], s[70:71]
	v_fma_f64 v[86:87], v[80:81], s[70:71], -v[84:85]
	v_fmac_f64_e32 v[86:87], s[72:73], v[80:81]
	v_add_f64 v[80:81], v[84:85], v[86:87]
	v_add_f64 v[84:85], v[80:81], -v[84:85]
	v_mul_f64 v[76:77], v[78:79], v[76:77]
	v_add_f64 v[84:85], v[86:87], -v[84:85]
	v_ldexp_f64 v[86:87], v[78:79], 1
	v_mul_f64 v[76:77], v[76:77], v[82:83]
	v_add_f64 v[78:79], v[86:87], v[76:77]
	v_add_f64 v[82:83], v[78:79], -v[86:87]
	v_ldexp_f64 v[74:75], v[74:75], 1
	v_add_f64 v[76:77], v[76:77], -v[82:83]
	v_add_f64 v[74:75], v[74:75], v[76:77]
	v_add_f64 v[76:77], v[78:79], v[74:75]
	v_add_f64 v[78:79], v[76:77], -v[78:79]
	v_add_f64 v[74:75], v[74:75], -v[78:79]
	v_add_f64 v[78:79], v[80:81], v[76:77]
	v_add_f64 v[82:83], v[78:79], -v[80:81]
	v_add_f64 v[86:87], v[78:79], -v[82:83]
	;; [unrolled: 1-line block ×4, first 2 shown]
	v_add_f64 v[76:77], v[76:77], v[80:81]
	v_add_f64 v[80:81], v[84:85], v[74:75]
	v_add_f64 v[82:83], v[80:81], -v[84:85]
	v_add_f64 v[76:77], v[80:81], v[76:77]
	v_add_f64 v[86:87], v[80:81], -v[82:83]
	;; [unrolled: 2-line block ×3, first 2 shown]
	v_add_f64 v[74:75], v[74:75], -v[82:83]
	v_add_f64 v[78:79], v[80:81], -v[78:79]
	v_add_f64 v[74:75], v[74:75], v[84:85]
	v_add_f64 v[76:77], v[76:77], -v[78:79]
	s_mov_b32 s62, 0
	v_add_f64 v[74:75], v[74:75], v[76:77]
	s_mov_b32 s63, 0x7ff00000
	v_add_f64 v[74:75], v[80:81], v[74:75]
	v_cmp_eq_f64_e64 s[62:63], s[62:63], v[32:33]
	s_nop 1
	v_cndmask_b32_e64 v35, v74, v32, s[62:63]
	v_cndmask_b32_e64 v74, v75, v33, s[62:63]
	v_mov_b32_e32 v75, 0x7ff80000
	v_cmp_ngt_f64_e64 s[62:63], -1.0, v[32:33]
	s_nop 1
	v_cndmask_b32_e64 v75, v75, v74, s[62:63]
	v_cmp_nge_f64_e64 s[62:63], -1.0, v[32:33]
	s_nop 1
	v_cndmask_b32_e64 v74, 0, v35, s[62:63]
	v_mov_b32_e32 v35, 0xfff00000
	v_cmp_neq_f64_e64 s[62:63], -1.0, v[32:33]
	s_nop 1
	v_cndmask_b32_e64 v75, v35, v75, s[62:63]
	v_add_f64 v[32:33], v[30:31], v[74:75]
.LBB40_93:
	s_or_b64 exec, exec, s[66:67]
	ds_read_b64 v[30:31], v1 offset:16
	v_max_f64 v[76:77], v[32:33], v[32:33]
	v_cmp_u_f64_e64 s[62:63], v[32:33], v[32:33]
	ds_write_b64 v1, v[32:33] offset:8
	s_waitcnt lgkmcnt(1)
	v_max_f64 v[78:79], v[30:31], v[30:31]
	v_min_f64 v[74:75], v[76:77], v[78:79]
	v_cndmask_b32_e64 v35, v74, v32, s[62:63]
	v_cndmask_b32_e64 v74, v75, v33, s[62:63]
	v_cmp_u_f64_e64 s[64:65], v[30:31], v[30:31]
	v_max_f64 v[76:77], v[76:77], v[78:79]
	s_nop 0
	v_cndmask_b32_e64 v75, v74, v31, s[64:65]
	v_cndmask_b32_e64 v74, v35, v30, s[64:65]
	;; [unrolled: 1-line block ×6, first 2 shown]
	v_cmp_neq_f64_e64 s[62:63], v[74:75], v[30:31]
	v_cmp_class_f64_e64 s[64:65], v[74:75], s33
	s_or_b64 s[62:63], s[62:63], s[64:65]
	s_and_saveexec_b64 s[66:67], s[62:63]
	s_cbranch_execz .LBB40_95
; %bb.94:
	s_mov_b32 s62, 0x652b82fe
	v_add_f64 v[32:33], v[74:75], -v[30:31]
	s_mov_b32 s63, 0x3ff71547
	v_mul_f64 v[74:75], v[32:33], s[62:63]
	v_rndne_f64_e32 v[74:75], v[74:75]
	s_mov_b32 s71, 0xbfe62e42
	s_mov_b32 s70, 0xfefa39ef
	v_fma_f64 v[76:77], s[70:71], v[74:75], v[32:33]
	s_mov_b32 s73, 0xbc7abc9e
	s_mov_b32 s72, 0x3b39803f
	;; [unrolled: 1-line block ×3, first 2 shown]
	v_fmac_f64_e32 v[76:77], s[72:73], v[74:75]
	v_mov_b32_e32 v78, 0xfca7ab0c
	v_mov_b32_e32 v79, 0x3e928af3
	s_mov_b32 s63, 0x3e5ade15
	v_fmac_f64_e32 v[78:79], s[62:63], v[76:77]
	v_mov_b32_e32 v80, 0x623fde64
	v_mov_b32_e32 v81, 0x3ec71dee
	v_fmac_f64_e32 v[80:81], v[76:77], v[78:79]
	v_mov_b32_e32 v78, 0x7c89e6b0
	v_mov_b32_e32 v79, 0x3efa0199
	;; [unrolled: 3-line block ×8, first 2 shown]
	v_fmac_f64_e32 v[78:79], v[76:77], v[80:81]
	v_fma_f64 v[78:79], v[76:77], v[78:79], 1.0
	s_mov_b32 s62, 0
	s_mov_b32 s64, 0
	v_fma_f64 v[76:77], v[76:77], v[78:79], 1.0
	v_cvt_i32_f64_e32 v35, v[74:75]
	s_mov_b32 s63, 0x40900000
	s_mov_b32 s65, 0xc090cc00
	v_ldexp_f64 v[74:75], v[76:77], v35
	v_mov_b32_e32 v35, 0x7ff00000
	v_cmp_nlt_f64_e64 s[62:63], s[62:63], v[32:33]
	v_cmp_ngt_f64_e64 s[64:65], s[64:65], v[32:33]
	s_mov_b32 s71, 0x3fe62e42
	v_cndmask_b32_e64 v35, v35, v75, s[62:63]
	s_and_b64 s[62:63], s[64:65], s[62:63]
	v_cndmask_b32_e64 v33, 0, v35, s[64:65]
	v_cndmask_b32_e64 v32, 0, v74, s[62:63]
	v_add_f64 v[74:75], v[32:33], 1.0
	v_add_f64 v[76:77], v[74:75], -1.0
	v_add_f64 v[78:79], v[76:77], -v[74:75]
	v_add_f64 v[78:79], v[78:79], 1.0
	v_add_f64 v[76:77], v[32:33], -v[76:77]
	s_mov_b32 s62, 0x55555555
	v_add_f64 v[76:77], v[76:77], v[78:79]
	v_frexp_mant_f64_e32 v[78:79], v[74:75]
	s_mov_b32 s63, 0x3fe55555
	v_frexp_exp_i32_f64_e32 v35, v[74:75]
	v_cmp_gt_f64_e64 s[62:63], s[62:63], v[78:79]
	s_mov_b32 s73, 0x3c7abc9e
	s_nop 0
	v_subbrev_co_u32_e64 v35, s[62:63], 0, v35, s[62:63]
	v_sub_u32_e32 v78, 0, v35
	v_ldexp_f64 v[74:75], v[74:75], v78
	v_ldexp_f64 v[76:77], v[76:77], v78
	v_add_f64 v[78:79], v[74:75], -1.0
	v_add_f64 v[84:85], v[74:75], 1.0
	v_add_f64 v[80:81], v[78:79], 1.0
	v_add_f64 v[86:87], v[84:85], -1.0
	v_add_f64 v[80:81], v[74:75], -v[80:81]
	v_add_f64 v[74:75], v[74:75], -v[86:87]
	v_add_f64 v[74:75], v[76:77], v[74:75]
	v_add_f64 v[80:81], v[76:77], v[80:81]
	;; [unrolled: 1-line block ×3, first 2 shown]
	v_rcp_f64_e32 v[86:87], v[76:77]
	v_add_f64 v[82:83], v[78:79], v[80:81]
	v_add_f64 v[78:79], v[82:83], -v[78:79]
	v_add_f64 v[78:79], v[80:81], -v[78:79]
	;; [unrolled: 1-line block ×4, first 2 shown]
	v_fma_f64 v[80:81], -v[76:77], v[86:87], 1.0
	v_fmac_f64_e32 v[86:87], v[80:81], v[86:87]
	v_fma_f64 v[80:81], -v[76:77], v[86:87], 1.0
	v_fmac_f64_e32 v[86:87], v[80:81], v[86:87]
	v_mul_f64 v[80:81], v[82:83], v[86:87]
	v_mul_f64 v[84:85], v[76:77], v[80:81]
	v_fma_f64 v[88:89], v[80:81], v[76:77], -v[84:85]
	v_fmac_f64_e32 v[88:89], v[80:81], v[74:75]
	v_add_f64 v[90:91], v[84:85], v[88:89]
	v_add_f64 v[92:93], v[82:83], -v[90:91]
	v_add_f64 v[82:83], v[82:83], -v[92:93]
	;; [unrolled: 1-line block ×4, first 2 shown]
	v_add_f64 v[78:79], v[78:79], v[82:83]
	v_add_f64 v[82:83], v[84:85], -v[88:89]
	v_add_f64 v[78:79], v[82:83], v[78:79]
	v_add_f64 v[82:83], v[92:93], v[78:79]
	v_add_f64 v[84:85], v[92:93], -v[82:83]
	v_add_f64 v[78:79], v[78:79], v[84:85]
	v_mul_f64 v[84:85], v[86:87], v[82:83]
	v_mul_f64 v[88:89], v[76:77], v[84:85]
	v_fma_f64 v[76:77], v[84:85], v[76:77], -v[88:89]
	v_fmac_f64_e32 v[76:77], v[84:85], v[74:75]
	v_add_f64 v[74:75], v[88:89], v[76:77]
	v_add_f64 v[90:91], v[82:83], -v[74:75]
	v_add_f64 v[82:83], v[82:83], -v[90:91]
	;; [unrolled: 1-line block ×4, first 2 shown]
	v_add_f64 v[74:75], v[78:79], v[74:75]
	v_add_f64 v[76:77], v[88:89], -v[76:77]
	v_add_f64 v[74:75], v[76:77], v[74:75]
	v_add_f64 v[76:77], v[80:81], v[84:85]
	;; [unrolled: 1-line block ×3, first 2 shown]
	v_add_f64 v[78:79], v[76:77], -v[80:81]
	v_mul_f64 v[74:75], v[86:87], v[74:75]
	v_add_f64 v[78:79], v[84:85], -v[78:79]
	v_add_f64 v[74:75], v[78:79], v[74:75]
	v_add_f64 v[78:79], v[76:77], v[74:75]
	v_add_f64 v[76:77], v[78:79], -v[76:77]
	s_mov_b32 s62, 0xbf559e2b
	v_add_f64 v[74:75], v[74:75], -v[76:77]
	v_mul_f64 v[76:77], v[78:79], v[78:79]
	v_mov_b32_e32 v80, 0x6b47b09a
	v_mov_b32_e32 v81, 0x3fc38538
	s_mov_b32 s63, 0x3fc3ab76
	v_fmac_f64_e32 v[80:81], s[62:63], v[76:77]
	v_mov_b32_e32 v82, 0xd7f4df2e
	v_mov_b32_e32 v83, 0x3fc7474d
	v_fmac_f64_e32 v[82:83], v[76:77], v[80:81]
	v_mov_b32_e32 v80, 0x16291751
	v_mov_b32_e32 v81, 0x3fcc71c0
	;; [unrolled: 3-line block ×5, first 2 shown]
	v_fmac_f64_e32 v[82:83], v[76:77], v[80:81]
	v_cvt_f64_i32_e32 v[80:81], v35
	v_mul_f64 v[84:85], v[80:81], s[70:71]
	v_fma_f64 v[86:87], v[80:81], s[70:71], -v[84:85]
	v_fmac_f64_e32 v[86:87], s[72:73], v[80:81]
	v_add_f64 v[80:81], v[84:85], v[86:87]
	v_add_f64 v[84:85], v[80:81], -v[84:85]
	v_mul_f64 v[76:77], v[78:79], v[76:77]
	v_add_f64 v[84:85], v[86:87], -v[84:85]
	v_ldexp_f64 v[86:87], v[78:79], 1
	v_mul_f64 v[76:77], v[76:77], v[82:83]
	v_add_f64 v[78:79], v[86:87], v[76:77]
	v_add_f64 v[82:83], v[78:79], -v[86:87]
	v_ldexp_f64 v[74:75], v[74:75], 1
	v_add_f64 v[76:77], v[76:77], -v[82:83]
	v_add_f64 v[74:75], v[74:75], v[76:77]
	v_add_f64 v[76:77], v[78:79], v[74:75]
	v_add_f64 v[78:79], v[76:77], -v[78:79]
	v_add_f64 v[74:75], v[74:75], -v[78:79]
	v_add_f64 v[78:79], v[80:81], v[76:77]
	v_add_f64 v[82:83], v[78:79], -v[80:81]
	v_add_f64 v[86:87], v[78:79], -v[82:83]
	;; [unrolled: 1-line block ×4, first 2 shown]
	v_add_f64 v[76:77], v[76:77], v[80:81]
	v_add_f64 v[80:81], v[84:85], v[74:75]
	v_add_f64 v[82:83], v[80:81], -v[84:85]
	v_add_f64 v[76:77], v[80:81], v[76:77]
	v_add_f64 v[86:87], v[80:81], -v[82:83]
	;; [unrolled: 2-line block ×3, first 2 shown]
	v_add_f64 v[74:75], v[74:75], -v[82:83]
	v_add_f64 v[78:79], v[80:81], -v[78:79]
	v_add_f64 v[74:75], v[74:75], v[84:85]
	v_add_f64 v[76:77], v[76:77], -v[78:79]
	s_mov_b32 s62, 0
	v_add_f64 v[74:75], v[74:75], v[76:77]
	s_mov_b32 s63, 0x7ff00000
	v_add_f64 v[74:75], v[80:81], v[74:75]
	v_cmp_eq_f64_e64 s[62:63], s[62:63], v[32:33]
	s_nop 1
	v_cndmask_b32_e64 v35, v74, v32, s[62:63]
	v_cndmask_b32_e64 v74, v75, v33, s[62:63]
	v_mov_b32_e32 v75, 0x7ff80000
	v_cmp_ngt_f64_e64 s[62:63], -1.0, v[32:33]
	s_nop 1
	v_cndmask_b32_e64 v75, v75, v74, s[62:63]
	v_cmp_nge_f64_e64 s[62:63], -1.0, v[32:33]
	s_nop 1
	v_cndmask_b32_e64 v74, 0, v35, s[62:63]
	v_mov_b32_e32 v35, 0xfff00000
	v_cmp_neq_f64_e64 s[62:63], -1.0, v[32:33]
	s_nop 1
	v_cndmask_b32_e64 v75, v35, v75, s[62:63]
	v_add_f64 v[32:33], v[30:31], v[74:75]
.LBB40_95:
	s_or_b64 exec, exec, s[66:67]
	ds_read_b64 v[30:31], v1 offset:24
	v_max_f64 v[76:77], v[32:33], v[32:33]
	v_cmp_u_f64_e64 s[62:63], v[32:33], v[32:33]
	ds_write_b64 v1, v[32:33] offset:16
	s_waitcnt lgkmcnt(1)
	v_max_f64 v[78:79], v[30:31], v[30:31]
	v_min_f64 v[74:75], v[76:77], v[78:79]
	v_cndmask_b32_e64 v35, v74, v32, s[62:63]
	v_cndmask_b32_e64 v74, v75, v33, s[62:63]
	v_cmp_u_f64_e64 s[64:65], v[30:31], v[30:31]
	v_max_f64 v[76:77], v[76:77], v[78:79]
	s_nop 0
	v_cndmask_b32_e64 v75, v74, v31, s[64:65]
	v_cndmask_b32_e64 v74, v35, v30, s[64:65]
	;; [unrolled: 1-line block ×6, first 2 shown]
	v_cmp_neq_f64_e64 s[62:63], v[74:75], v[30:31]
	v_cmp_class_f64_e64 s[64:65], v[74:75], s33
	s_or_b64 s[62:63], s[62:63], s[64:65]
	s_and_saveexec_b64 s[66:67], s[62:63]
	s_cbranch_execz .LBB40_97
; %bb.96:
	s_mov_b32 s62, 0x652b82fe
	v_add_f64 v[32:33], v[74:75], -v[30:31]
	s_mov_b32 s63, 0x3ff71547
	v_mul_f64 v[74:75], v[32:33], s[62:63]
	v_rndne_f64_e32 v[74:75], v[74:75]
	s_mov_b32 s71, 0xbfe62e42
	s_mov_b32 s70, 0xfefa39ef
	v_fma_f64 v[76:77], s[70:71], v[74:75], v[32:33]
	s_mov_b32 s73, 0xbc7abc9e
	s_mov_b32 s72, 0x3b39803f
	;; [unrolled: 1-line block ×3, first 2 shown]
	v_fmac_f64_e32 v[76:77], s[72:73], v[74:75]
	v_mov_b32_e32 v78, 0xfca7ab0c
	v_mov_b32_e32 v79, 0x3e928af3
	s_mov_b32 s63, 0x3e5ade15
	v_fmac_f64_e32 v[78:79], s[62:63], v[76:77]
	v_mov_b32_e32 v80, 0x623fde64
	v_mov_b32_e32 v81, 0x3ec71dee
	v_fmac_f64_e32 v[80:81], v[76:77], v[78:79]
	v_mov_b32_e32 v78, 0x7c89e6b0
	v_mov_b32_e32 v79, 0x3efa0199
	;; [unrolled: 3-line block ×8, first 2 shown]
	v_fmac_f64_e32 v[78:79], v[76:77], v[80:81]
	v_fma_f64 v[78:79], v[76:77], v[78:79], 1.0
	s_mov_b32 s62, 0
	s_mov_b32 s64, 0
	v_fma_f64 v[76:77], v[76:77], v[78:79], 1.0
	v_cvt_i32_f64_e32 v35, v[74:75]
	s_mov_b32 s63, 0x40900000
	s_mov_b32 s65, 0xc090cc00
	v_ldexp_f64 v[74:75], v[76:77], v35
	v_mov_b32_e32 v35, 0x7ff00000
	v_cmp_nlt_f64_e64 s[62:63], s[62:63], v[32:33]
	v_cmp_ngt_f64_e64 s[64:65], s[64:65], v[32:33]
	s_mov_b32 s71, 0x3fe62e42
	v_cndmask_b32_e64 v35, v35, v75, s[62:63]
	s_and_b64 s[62:63], s[64:65], s[62:63]
	v_cndmask_b32_e64 v33, 0, v35, s[64:65]
	v_cndmask_b32_e64 v32, 0, v74, s[62:63]
	v_add_f64 v[74:75], v[32:33], 1.0
	v_add_f64 v[76:77], v[74:75], -1.0
	v_add_f64 v[78:79], v[76:77], -v[74:75]
	v_add_f64 v[78:79], v[78:79], 1.0
	v_add_f64 v[76:77], v[32:33], -v[76:77]
	s_mov_b32 s62, 0x55555555
	v_add_f64 v[76:77], v[76:77], v[78:79]
	v_frexp_mant_f64_e32 v[78:79], v[74:75]
	s_mov_b32 s63, 0x3fe55555
	v_frexp_exp_i32_f64_e32 v35, v[74:75]
	v_cmp_gt_f64_e64 s[62:63], s[62:63], v[78:79]
	s_mov_b32 s73, 0x3c7abc9e
	s_nop 0
	v_subbrev_co_u32_e64 v35, s[62:63], 0, v35, s[62:63]
	v_sub_u32_e32 v78, 0, v35
	v_ldexp_f64 v[74:75], v[74:75], v78
	v_ldexp_f64 v[76:77], v[76:77], v78
	v_add_f64 v[78:79], v[74:75], -1.0
	v_add_f64 v[84:85], v[74:75], 1.0
	v_add_f64 v[80:81], v[78:79], 1.0
	v_add_f64 v[86:87], v[84:85], -1.0
	v_add_f64 v[80:81], v[74:75], -v[80:81]
	v_add_f64 v[74:75], v[74:75], -v[86:87]
	v_add_f64 v[74:75], v[76:77], v[74:75]
	v_add_f64 v[80:81], v[76:77], v[80:81]
	;; [unrolled: 1-line block ×3, first 2 shown]
	v_rcp_f64_e32 v[86:87], v[76:77]
	v_add_f64 v[82:83], v[78:79], v[80:81]
	v_add_f64 v[78:79], v[82:83], -v[78:79]
	v_add_f64 v[78:79], v[80:81], -v[78:79]
	;; [unrolled: 1-line block ×4, first 2 shown]
	v_fma_f64 v[80:81], -v[76:77], v[86:87], 1.0
	v_fmac_f64_e32 v[86:87], v[80:81], v[86:87]
	v_fma_f64 v[80:81], -v[76:77], v[86:87], 1.0
	v_fmac_f64_e32 v[86:87], v[80:81], v[86:87]
	v_mul_f64 v[80:81], v[82:83], v[86:87]
	v_mul_f64 v[84:85], v[76:77], v[80:81]
	v_fma_f64 v[88:89], v[80:81], v[76:77], -v[84:85]
	v_fmac_f64_e32 v[88:89], v[80:81], v[74:75]
	v_add_f64 v[90:91], v[84:85], v[88:89]
	v_add_f64 v[92:93], v[82:83], -v[90:91]
	v_add_f64 v[82:83], v[82:83], -v[92:93]
	;; [unrolled: 1-line block ×4, first 2 shown]
	v_add_f64 v[78:79], v[78:79], v[82:83]
	v_add_f64 v[82:83], v[84:85], -v[88:89]
	v_add_f64 v[78:79], v[82:83], v[78:79]
	v_add_f64 v[82:83], v[92:93], v[78:79]
	v_add_f64 v[84:85], v[92:93], -v[82:83]
	v_add_f64 v[78:79], v[78:79], v[84:85]
	v_mul_f64 v[84:85], v[86:87], v[82:83]
	v_mul_f64 v[88:89], v[76:77], v[84:85]
	v_fma_f64 v[76:77], v[84:85], v[76:77], -v[88:89]
	v_fmac_f64_e32 v[76:77], v[84:85], v[74:75]
	v_add_f64 v[74:75], v[88:89], v[76:77]
	v_add_f64 v[90:91], v[82:83], -v[74:75]
	v_add_f64 v[82:83], v[82:83], -v[90:91]
	;; [unrolled: 1-line block ×4, first 2 shown]
	v_add_f64 v[74:75], v[78:79], v[74:75]
	v_add_f64 v[76:77], v[88:89], -v[76:77]
	v_add_f64 v[74:75], v[76:77], v[74:75]
	v_add_f64 v[76:77], v[80:81], v[84:85]
	;; [unrolled: 1-line block ×3, first 2 shown]
	v_add_f64 v[78:79], v[76:77], -v[80:81]
	v_mul_f64 v[74:75], v[86:87], v[74:75]
	v_add_f64 v[78:79], v[84:85], -v[78:79]
	v_add_f64 v[74:75], v[78:79], v[74:75]
	v_add_f64 v[78:79], v[76:77], v[74:75]
	v_add_f64 v[76:77], v[78:79], -v[76:77]
	s_mov_b32 s62, 0xbf559e2b
	v_add_f64 v[74:75], v[74:75], -v[76:77]
	v_mul_f64 v[76:77], v[78:79], v[78:79]
	v_mov_b32_e32 v80, 0x6b47b09a
	v_mov_b32_e32 v81, 0x3fc38538
	s_mov_b32 s63, 0x3fc3ab76
	v_fmac_f64_e32 v[80:81], s[62:63], v[76:77]
	v_mov_b32_e32 v82, 0xd7f4df2e
	v_mov_b32_e32 v83, 0x3fc7474d
	v_fmac_f64_e32 v[82:83], v[76:77], v[80:81]
	v_mov_b32_e32 v80, 0x16291751
	v_mov_b32_e32 v81, 0x3fcc71c0
	;; [unrolled: 3-line block ×5, first 2 shown]
	v_fmac_f64_e32 v[82:83], v[76:77], v[80:81]
	v_cvt_f64_i32_e32 v[80:81], v35
	v_mul_f64 v[84:85], v[80:81], s[70:71]
	v_fma_f64 v[86:87], v[80:81], s[70:71], -v[84:85]
	v_fmac_f64_e32 v[86:87], s[72:73], v[80:81]
	v_add_f64 v[80:81], v[84:85], v[86:87]
	v_add_f64 v[84:85], v[80:81], -v[84:85]
	v_mul_f64 v[76:77], v[78:79], v[76:77]
	v_add_f64 v[84:85], v[86:87], -v[84:85]
	v_ldexp_f64 v[86:87], v[78:79], 1
	v_mul_f64 v[76:77], v[76:77], v[82:83]
	v_add_f64 v[78:79], v[86:87], v[76:77]
	v_add_f64 v[82:83], v[78:79], -v[86:87]
	v_ldexp_f64 v[74:75], v[74:75], 1
	v_add_f64 v[76:77], v[76:77], -v[82:83]
	v_add_f64 v[74:75], v[74:75], v[76:77]
	v_add_f64 v[76:77], v[78:79], v[74:75]
	v_add_f64 v[78:79], v[76:77], -v[78:79]
	v_add_f64 v[74:75], v[74:75], -v[78:79]
	v_add_f64 v[78:79], v[80:81], v[76:77]
	v_add_f64 v[82:83], v[78:79], -v[80:81]
	v_add_f64 v[86:87], v[78:79], -v[82:83]
	;; [unrolled: 1-line block ×4, first 2 shown]
	v_add_f64 v[76:77], v[76:77], v[80:81]
	v_add_f64 v[80:81], v[84:85], v[74:75]
	v_add_f64 v[82:83], v[80:81], -v[84:85]
	v_add_f64 v[76:77], v[80:81], v[76:77]
	v_add_f64 v[86:87], v[80:81], -v[82:83]
	;; [unrolled: 2-line block ×3, first 2 shown]
	v_add_f64 v[74:75], v[74:75], -v[82:83]
	v_add_f64 v[78:79], v[80:81], -v[78:79]
	v_add_f64 v[74:75], v[74:75], v[84:85]
	v_add_f64 v[76:77], v[76:77], -v[78:79]
	s_mov_b32 s62, 0
	v_add_f64 v[74:75], v[74:75], v[76:77]
	s_mov_b32 s63, 0x7ff00000
	v_add_f64 v[74:75], v[80:81], v[74:75]
	v_cmp_eq_f64_e64 s[62:63], s[62:63], v[32:33]
	s_nop 1
	v_cndmask_b32_e64 v35, v74, v32, s[62:63]
	v_cndmask_b32_e64 v74, v75, v33, s[62:63]
	v_mov_b32_e32 v75, 0x7ff80000
	v_cmp_ngt_f64_e64 s[62:63], -1.0, v[32:33]
	s_nop 1
	v_cndmask_b32_e64 v75, v75, v74, s[62:63]
	v_cmp_nge_f64_e64 s[62:63], -1.0, v[32:33]
	s_nop 1
	v_cndmask_b32_e64 v74, 0, v35, s[62:63]
	v_mov_b32_e32 v35, 0xfff00000
	v_cmp_neq_f64_e64 s[62:63], -1.0, v[32:33]
	s_nop 1
	v_cndmask_b32_e64 v75, v35, v75, s[62:63]
	v_add_f64 v[32:33], v[30:31], v[74:75]
.LBB40_97:
	s_or_b64 exec, exec, s[66:67]
	ds_write_b64 v1, v[32:33] offset:24
.LBB40_98:
	s_or_b64 exec, exec, s[68:69]
	s_load_dwordx2 s[62:63], s[0:1], 0x20
	v_mul_u32_u24_e32 v35, 0x70, v0
	v_cmp_ne_u32_e64 s[0:1], 0, v0
	s_waitcnt lgkmcnt(0)
	s_barrier
	s_and_saveexec_b64 s[64:65], s[0:1]
	s_cbranch_execz .LBB40_100
; %bb.99:
	v_add_u32_e32 v0, -1, v0
	v_lshrrev_b32_e32 v1, 5, v0
	v_add_lshl_u32 v0, v1, v0, 3
	ds_read_b64 v[72:73], v0
.LBB40_100:
	s_or_b64 exec, exec, s[64:65]
	s_and_saveexec_b64 s[64:65], s[0:1]
	s_cbranch_execz .LBB40_104
; %bb.101:
	s_waitcnt lgkmcnt(0)
	v_max_f64 v[0:1], v[72:73], v[72:73]
	v_min_f64 v[30:31], v[0:1], v[68:69]
	v_cmp_u_f64_e64 s[0:1], v[72:73], v[72:73]
	v_max_f64 v[0:1], v[0:1], v[68:69]
	s_nop 0
	v_cndmask_b32_e64 v30, v30, v72, s[0:1]
	v_cndmask_b32_e64 v31, v31, v73, s[0:1]
	v_cndmask_b32_e64 v0, v0, v72, s[0:1]
	v_cndmask_b32_e64 v1, v1, v73, s[0:1]
	v_cndmask_b32_e64 v31, v31, v3, s[60:61]
	v_cndmask_b32_e64 v30, v30, v2, s[60:61]
	v_cndmask_b32_e64 v1, v1, v3, s[60:61]
	v_cndmask_b32_e64 v0, v0, v2, s[60:61]
	v_cmp_neq_f64_e64 s[0:1], v[30:31], v[0:1]
	v_cmp_class_f64_e64 s[60:61], v[30:31], s33
	s_or_b64 s[0:1], s[0:1], s[60:61]
	s_and_saveexec_b64 s[66:67], s[0:1]
	s_cbranch_execz .LBB40_103
; %bb.102:
	s_mov_b32 s0, 0x652b82fe
	v_add_f64 v[2:3], v[30:31], -v[0:1]
	s_mov_b32 s1, 0x3ff71547
	v_mul_f64 v[30:31], v[2:3], s[0:1]
	v_rndne_f64_e32 v[30:31], v[30:31]
	s_mov_b32 s69, 0xbfe62e42
	s_mov_b32 s68, 0xfefa39ef
	v_fma_f64 v[32:33], s[68:69], v[30:31], v[2:3]
	s_mov_b32 s71, 0xbc7abc9e
	s_mov_b32 s70, 0x3b39803f
	;; [unrolled: 1-line block ×3, first 2 shown]
	v_fmac_f64_e32 v[32:33], s[70:71], v[30:31]
	v_mov_b32_e32 v66, 0xfca7ab0c
	v_mov_b32_e32 v67, 0x3e928af3
	s_mov_b32 s1, 0x3e5ade15
	v_fmac_f64_e32 v[66:67], s[0:1], v[32:33]
	v_mov_b32_e32 v68, 0x623fde64
	v_mov_b32_e32 v69, 0x3ec71dee
	v_fmac_f64_e32 v[68:69], v[32:33], v[66:67]
	v_mov_b32_e32 v66, 0x7c89e6b0
	v_mov_b32_e32 v67, 0x3efa0199
	;; [unrolled: 3-line block ×8, first 2 shown]
	v_fmac_f64_e32 v[66:67], v[32:33], v[68:69]
	v_fma_f64 v[66:67], v[32:33], v[66:67], 1.0
	s_mov_b32 s0, 0
	s_mov_b32 s60, 0
	v_fma_f64 v[32:33], v[32:33], v[66:67], 1.0
	v_cvt_i32_f64_e32 v30, v[30:31]
	s_mov_b32 s1, 0x40900000
	s_mov_b32 s61, 0xc090cc00
	v_ldexp_f64 v[30:31], v[32:33], v30
	v_mov_b32_e32 v32, 0x7ff00000
	v_cmp_nlt_f64_e64 s[0:1], s[0:1], v[2:3]
	v_cmp_ngt_f64_e64 s[60:61], s[60:61], v[2:3]
	s_mov_b32 s69, 0x3fe62e42
	v_cndmask_b32_e64 v31, v32, v31, s[0:1]
	s_and_b64 s[0:1], s[60:61], s[0:1]
	v_cndmask_b32_e64 v3, 0, v31, s[60:61]
	v_cndmask_b32_e64 v2, 0, v30, s[0:1]
	v_add_f64 v[30:31], v[2:3], 1.0
	v_add_f64 v[32:33], v[30:31], -1.0
	v_add_f64 v[66:67], v[32:33], -v[30:31]
	v_add_f64 v[66:67], v[66:67], 1.0
	v_add_f64 v[32:33], v[2:3], -v[32:33]
	s_mov_b32 s0, 0x55555555
	v_add_f64 v[32:33], v[32:33], v[66:67]
	v_frexp_mant_f64_e32 v[66:67], v[30:31]
	s_mov_b32 s1, 0x3fe55555
	v_frexp_exp_i32_f64_e32 v68, v[30:31]
	v_cmp_gt_f64_e64 s[0:1], s[0:1], v[66:67]
	s_mov_b32 s71, 0x3c7abc9e
	s_nop 0
	v_subbrev_co_u32_e64 v82, s[0:1], 0, v68, s[0:1]
	v_sub_u32_e32 v66, 0, v82
	v_ldexp_f64 v[30:31], v[30:31], v66
	v_ldexp_f64 v[32:33], v[32:33], v66
	v_add_f64 v[66:67], v[30:31], -1.0
	v_add_f64 v[72:73], v[30:31], 1.0
	v_add_f64 v[68:69], v[66:67], 1.0
	v_add_f64 v[74:75], v[72:73], -1.0
	v_add_f64 v[68:69], v[30:31], -v[68:69]
	v_add_f64 v[30:31], v[30:31], -v[74:75]
	v_add_f64 v[30:31], v[32:33], v[30:31]
	v_add_f64 v[68:69], v[32:33], v[68:69]
	;; [unrolled: 1-line block ×3, first 2 shown]
	v_rcp_f64_e32 v[74:75], v[32:33]
	v_add_f64 v[70:71], v[66:67], v[68:69]
	v_add_f64 v[66:67], v[70:71], -v[66:67]
	v_add_f64 v[66:67], v[68:69], -v[66:67]
	;; [unrolled: 1-line block ×4, first 2 shown]
	v_fma_f64 v[68:69], -v[32:33], v[74:75], 1.0
	v_fmac_f64_e32 v[74:75], v[68:69], v[74:75]
	v_fma_f64 v[68:69], -v[32:33], v[74:75], 1.0
	v_fmac_f64_e32 v[74:75], v[68:69], v[74:75]
	v_mul_f64 v[68:69], v[70:71], v[74:75]
	v_mul_f64 v[72:73], v[32:33], v[68:69]
	v_fma_f64 v[76:77], v[68:69], v[32:33], -v[72:73]
	v_fmac_f64_e32 v[76:77], v[68:69], v[30:31]
	v_add_f64 v[78:79], v[72:73], v[76:77]
	v_add_f64 v[80:81], v[70:71], -v[78:79]
	v_add_f64 v[70:71], v[70:71], -v[80:81]
	;; [unrolled: 1-line block ×4, first 2 shown]
	v_add_f64 v[66:67], v[66:67], v[70:71]
	v_add_f64 v[70:71], v[72:73], -v[76:77]
	v_add_f64 v[66:67], v[70:71], v[66:67]
	v_add_f64 v[70:71], v[80:81], v[66:67]
	v_add_f64 v[72:73], v[80:81], -v[70:71]
	v_add_f64 v[66:67], v[66:67], v[72:73]
	v_mul_f64 v[72:73], v[74:75], v[70:71]
	v_mul_f64 v[76:77], v[32:33], v[72:73]
	v_fma_f64 v[32:33], v[72:73], v[32:33], -v[76:77]
	v_fmac_f64_e32 v[32:33], v[72:73], v[30:31]
	v_add_f64 v[30:31], v[76:77], v[32:33]
	v_add_f64 v[78:79], v[70:71], -v[30:31]
	v_add_f64 v[70:71], v[70:71], -v[78:79]
	;; [unrolled: 1-line block ×4, first 2 shown]
	v_add_f64 v[30:31], v[66:67], v[30:31]
	v_add_f64 v[32:33], v[76:77], -v[32:33]
	v_add_f64 v[30:31], v[32:33], v[30:31]
	v_add_f64 v[32:33], v[68:69], v[72:73]
	;; [unrolled: 1-line block ×3, first 2 shown]
	v_add_f64 v[66:67], v[32:33], -v[68:69]
	v_mul_f64 v[30:31], v[74:75], v[30:31]
	v_add_f64 v[66:67], v[72:73], -v[66:67]
	v_add_f64 v[30:31], v[66:67], v[30:31]
	v_add_f64 v[66:67], v[32:33], v[30:31]
	v_add_f64 v[32:33], v[66:67], -v[32:33]
	s_mov_b32 s0, 0xbf559e2b
	v_add_f64 v[30:31], v[30:31], -v[32:33]
	v_mul_f64 v[32:33], v[66:67], v[66:67]
	v_mov_b32_e32 v68, 0x6b47b09a
	v_mov_b32_e32 v69, 0x3fc38538
	s_mov_b32 s1, 0x3fc3ab76
	v_fmac_f64_e32 v[68:69], s[0:1], v[32:33]
	v_mov_b32_e32 v70, 0xd7f4df2e
	v_mov_b32_e32 v71, 0x3fc7474d
	v_fmac_f64_e32 v[70:71], v[32:33], v[68:69]
	v_mov_b32_e32 v68, 0x16291751
	v_mov_b32_e32 v69, 0x3fcc71c0
	;; [unrolled: 3-line block ×5, first 2 shown]
	v_fmac_f64_e32 v[70:71], v[32:33], v[68:69]
	v_cvt_f64_i32_e32 v[68:69], v82
	v_mul_f64 v[72:73], v[68:69], s[68:69]
	v_fma_f64 v[74:75], v[68:69], s[68:69], -v[72:73]
	v_fmac_f64_e32 v[74:75], s[70:71], v[68:69]
	v_add_f64 v[68:69], v[72:73], v[74:75]
	v_add_f64 v[72:73], v[68:69], -v[72:73]
	v_mul_f64 v[32:33], v[66:67], v[32:33]
	v_add_f64 v[72:73], v[74:75], -v[72:73]
	v_ldexp_f64 v[74:75], v[66:67], 1
	v_mul_f64 v[32:33], v[32:33], v[70:71]
	v_add_f64 v[66:67], v[74:75], v[32:33]
	v_add_f64 v[70:71], v[66:67], -v[74:75]
	v_ldexp_f64 v[30:31], v[30:31], 1
	v_add_f64 v[32:33], v[32:33], -v[70:71]
	v_add_f64 v[30:31], v[30:31], v[32:33]
	v_add_f64 v[32:33], v[66:67], v[30:31]
	v_add_f64 v[66:67], v[32:33], -v[66:67]
	v_add_f64 v[30:31], v[30:31], -v[66:67]
	v_add_f64 v[66:67], v[68:69], v[32:33]
	v_add_f64 v[70:71], v[66:67], -v[68:69]
	v_add_f64 v[74:75], v[66:67], -v[70:71]
	;; [unrolled: 1-line block ×4, first 2 shown]
	v_add_f64 v[32:33], v[32:33], v[68:69]
	v_add_f64 v[68:69], v[72:73], v[30:31]
	v_add_f64 v[70:71], v[68:69], -v[72:73]
	v_add_f64 v[32:33], v[68:69], v[32:33]
	v_add_f64 v[74:75], v[68:69], -v[70:71]
	;; [unrolled: 2-line block ×3, first 2 shown]
	v_add_f64 v[30:31], v[30:31], -v[70:71]
	v_add_f64 v[66:67], v[68:69], -v[66:67]
	v_add_f64 v[30:31], v[30:31], v[72:73]
	v_add_f64 v[32:33], v[32:33], -v[66:67]
	s_mov_b32 s0, 0
	v_add_f64 v[30:31], v[30:31], v[32:33]
	s_mov_b32 s1, 0x7ff00000
	v_add_f64 v[30:31], v[68:69], v[30:31]
	v_cmp_eq_f64_e64 s[0:1], s[0:1], v[2:3]
	v_mov_b32_e32 v32, 0x7ff80000
	s_nop 0
	v_cndmask_b32_e64 v30, v30, v2, s[0:1]
	v_cndmask_b32_e64 v31, v31, v3, s[0:1]
	v_cmp_ngt_f64_e64 s[0:1], -1.0, v[2:3]
	s_nop 1
	v_cndmask_b32_e64 v31, v32, v31, s[0:1]
	v_cmp_nge_f64_e64 s[0:1], -1.0, v[2:3]
	v_mov_b32_e32 v32, 0xfff00000
	s_nop 0
	v_cndmask_b32_e64 v30, 0, v30, s[0:1]
	v_cmp_neq_f64_e64 s[0:1], -1.0, v[2:3]
	s_nop 1
	v_cndmask_b32_e64 v31, v32, v31, s[0:1]
	v_add_f64 v[72:73], v[0:1], v[30:31]
.LBB40_103:
	s_or_b64 exec, exec, s[66:67]
	v_max_f64 v[0:1], v[72:73], v[72:73]
	v_min_f64 v[66:67], v[0:1], v[42:43]
	v_max_f64 v[70:71], v[0:1], v[42:43]
	v_mov_b64_e32 v[2:3], v[72:73]
	;;#ASMSTART
	;;#ASMEND
.LBB40_104:
	s_or_b64 exec, exec, s[64:65]
	v_cmp_u_f64_e64 s[0:1], v[2:3], v[2:3]
	s_nop 1
	v_cndmask_b32_e64 v0, v66, v2, s[0:1]
	v_cndmask_b32_e64 v1, v67, v3, s[0:1]
	;; [unrolled: 1-line block ×8, first 2 shown]
	v_cmp_neq_f64_e64 s[0:1], v[30:31], v[4:5]
	v_cmp_class_f64_e64 s[28:29], v[30:31], s33
	s_or_b64 s[0:1], s[0:1], s[28:29]
	v_mov_b64_e32 v[0:1], v[2:3]
	s_and_saveexec_b64 s[60:61], s[0:1]
	s_cbranch_execz .LBB40_106
; %bb.105:
	s_mov_b32 s0, 0x652b82fe
	v_add_f64 v[0:1], v[30:31], -v[4:5]
	s_mov_b32 s1, 0x3ff71547
	v_mul_f64 v[30:31], v[0:1], s[0:1]
	v_rndne_f64_e32 v[30:31], v[30:31]
	s_mov_b32 s65, 0xbfe62e42
	s_mov_b32 s64, 0xfefa39ef
	v_fma_f64 v[32:33], s[64:65], v[30:31], v[0:1]
	s_mov_b32 s67, 0xbc7abc9e
	s_mov_b32 s66, 0x3b39803f
	;; [unrolled: 1-line block ×3, first 2 shown]
	v_fmac_f64_e32 v[32:33], s[66:67], v[30:31]
	v_mov_b32_e32 v42, 0xfca7ab0c
	v_mov_b32_e32 v43, 0x3e928af3
	s_mov_b32 s1, 0x3e5ade15
	v_fmac_f64_e32 v[42:43], s[0:1], v[32:33]
	v_mov_b32_e32 v66, 0x623fde64
	v_mov_b32_e32 v67, 0x3ec71dee
	v_fmac_f64_e32 v[66:67], v[32:33], v[42:43]
	v_mov_b32_e32 v42, 0x7c89e6b0
	v_mov_b32_e32 v43, 0x3efa0199
	;; [unrolled: 3-line block ×8, first 2 shown]
	v_fmac_f64_e32 v[42:43], v[32:33], v[66:67]
	v_fma_f64 v[42:43], v[32:33], v[42:43], 1.0
	s_mov_b32 s0, 0
	s_mov_b32 s28, 0
	v_fma_f64 v[32:33], v[32:33], v[42:43], 1.0
	v_cvt_i32_f64_e32 v30, v[30:31]
	s_mov_b32 s1, 0x40900000
	s_mov_b32 s29, 0xc090cc00
	v_ldexp_f64 v[30:31], v[32:33], v30
	v_mov_b32_e32 v32, 0x7ff00000
	v_cmp_nlt_f64_e64 s[0:1], s[0:1], v[0:1]
	v_cmp_ngt_f64_e64 s[28:29], s[28:29], v[0:1]
	s_mov_b32 s65, 0x3fe62e42
	v_cndmask_b32_e64 v31, v32, v31, s[0:1]
	s_and_b64 s[0:1], s[28:29], s[0:1]
	v_cndmask_b32_e64 v1, 0, v31, s[28:29]
	v_cndmask_b32_e64 v0, 0, v30, s[0:1]
	v_add_f64 v[30:31], v[0:1], 1.0
	v_add_f64 v[32:33], v[30:31], -1.0
	v_add_f64 v[42:43], v[32:33], -v[30:31]
	v_add_f64 v[42:43], v[42:43], 1.0
	v_add_f64 v[32:33], v[0:1], -v[32:33]
	s_mov_b32 s0, 0x55555555
	v_add_f64 v[32:33], v[32:33], v[42:43]
	v_frexp_mant_f64_e32 v[42:43], v[30:31]
	s_mov_b32 s1, 0x3fe55555
	v_frexp_exp_i32_f64_e32 v66, v[30:31]
	v_cmp_gt_f64_e64 s[0:1], s[0:1], v[42:43]
	s_mov_b32 s67, 0x3c7abc9e
	s_nop 0
	v_subbrev_co_u32_e64 v80, s[0:1], 0, v66, s[0:1]
	v_sub_u32_e32 v42, 0, v80
	v_ldexp_f64 v[30:31], v[30:31], v42
	v_ldexp_f64 v[32:33], v[32:33], v42
	v_add_f64 v[42:43], v[30:31], -1.0
	v_add_f64 v[70:71], v[30:31], 1.0
	v_add_f64 v[66:67], v[42:43], 1.0
	s_waitcnt lgkmcnt(0)
	v_add_f64 v[72:73], v[70:71], -1.0
	v_add_f64 v[66:67], v[30:31], -v[66:67]
	v_add_f64 v[30:31], v[30:31], -v[72:73]
	v_add_f64 v[30:31], v[32:33], v[30:31]
	v_add_f64 v[66:67], v[32:33], v[66:67]
	;; [unrolled: 1-line block ×3, first 2 shown]
	v_rcp_f64_e32 v[72:73], v[32:33]
	v_add_f64 v[68:69], v[42:43], v[66:67]
	v_add_f64 v[42:43], v[68:69], -v[42:43]
	v_add_f64 v[42:43], v[66:67], -v[42:43]
	v_add_f64 v[66:67], v[32:33], -v[70:71]
	v_add_f64 v[30:31], v[30:31], -v[66:67]
	v_fma_f64 v[66:67], -v[32:33], v[72:73], 1.0
	v_fmac_f64_e32 v[72:73], v[66:67], v[72:73]
	v_fma_f64 v[66:67], -v[32:33], v[72:73], 1.0
	v_fmac_f64_e32 v[72:73], v[66:67], v[72:73]
	v_mul_f64 v[66:67], v[68:69], v[72:73]
	v_mul_f64 v[70:71], v[32:33], v[66:67]
	v_fma_f64 v[74:75], v[66:67], v[32:33], -v[70:71]
	v_fmac_f64_e32 v[74:75], v[66:67], v[30:31]
	v_add_f64 v[76:77], v[70:71], v[74:75]
	v_add_f64 v[78:79], v[68:69], -v[76:77]
	v_add_f64 v[68:69], v[68:69], -v[78:79]
	;; [unrolled: 1-line block ×4, first 2 shown]
	v_add_f64 v[42:43], v[42:43], v[68:69]
	v_add_f64 v[68:69], v[70:71], -v[74:75]
	v_add_f64 v[42:43], v[68:69], v[42:43]
	v_add_f64 v[68:69], v[78:79], v[42:43]
	v_add_f64 v[70:71], v[78:79], -v[68:69]
	v_add_f64 v[42:43], v[42:43], v[70:71]
	v_mul_f64 v[70:71], v[72:73], v[68:69]
	v_mul_f64 v[74:75], v[32:33], v[70:71]
	v_fma_f64 v[32:33], v[70:71], v[32:33], -v[74:75]
	v_fmac_f64_e32 v[32:33], v[70:71], v[30:31]
	v_add_f64 v[30:31], v[74:75], v[32:33]
	v_add_f64 v[76:77], v[68:69], -v[30:31]
	v_add_f64 v[68:69], v[68:69], -v[76:77]
	;; [unrolled: 1-line block ×4, first 2 shown]
	v_add_f64 v[30:31], v[42:43], v[30:31]
	v_add_f64 v[32:33], v[74:75], -v[32:33]
	v_add_f64 v[30:31], v[32:33], v[30:31]
	v_add_f64 v[32:33], v[66:67], v[70:71]
	;; [unrolled: 1-line block ×3, first 2 shown]
	v_add_f64 v[42:43], v[32:33], -v[66:67]
	v_mul_f64 v[30:31], v[72:73], v[30:31]
	v_add_f64 v[42:43], v[70:71], -v[42:43]
	v_add_f64 v[30:31], v[42:43], v[30:31]
	v_add_f64 v[42:43], v[32:33], v[30:31]
	v_add_f64 v[32:33], v[42:43], -v[32:33]
	s_mov_b32 s0, 0xbf559e2b
	v_add_f64 v[30:31], v[30:31], -v[32:33]
	v_mul_f64 v[32:33], v[42:43], v[42:43]
	v_mov_b32_e32 v66, 0x6b47b09a
	v_mov_b32_e32 v67, 0x3fc38538
	s_mov_b32 s1, 0x3fc3ab76
	v_fmac_f64_e32 v[66:67], s[0:1], v[32:33]
	v_mov_b32_e32 v68, 0xd7f4df2e
	v_mov_b32_e32 v69, 0x3fc7474d
	v_fmac_f64_e32 v[68:69], v[32:33], v[66:67]
	v_mov_b32_e32 v66, 0x16291751
	v_mov_b32_e32 v67, 0x3fcc71c0
	;; [unrolled: 3-line block ×5, first 2 shown]
	v_fmac_f64_e32 v[68:69], v[32:33], v[66:67]
	v_cvt_f64_i32_e32 v[66:67], v80
	v_mul_f64 v[70:71], v[66:67], s[64:65]
	v_fma_f64 v[72:73], v[66:67], s[64:65], -v[70:71]
	v_fmac_f64_e32 v[72:73], s[66:67], v[66:67]
	v_add_f64 v[66:67], v[70:71], v[72:73]
	v_add_f64 v[70:71], v[66:67], -v[70:71]
	v_mul_f64 v[32:33], v[42:43], v[32:33]
	v_add_f64 v[70:71], v[72:73], -v[70:71]
	v_ldexp_f64 v[72:73], v[42:43], 1
	v_mul_f64 v[32:33], v[32:33], v[68:69]
	v_add_f64 v[42:43], v[72:73], v[32:33]
	v_add_f64 v[68:69], v[42:43], -v[72:73]
	v_ldexp_f64 v[30:31], v[30:31], 1
	v_add_f64 v[32:33], v[32:33], -v[68:69]
	v_add_f64 v[30:31], v[30:31], v[32:33]
	v_add_f64 v[32:33], v[42:43], v[30:31]
	v_add_f64 v[42:43], v[32:33], -v[42:43]
	v_add_f64 v[30:31], v[30:31], -v[42:43]
	v_add_f64 v[42:43], v[66:67], v[32:33]
	v_add_f64 v[68:69], v[42:43], -v[66:67]
	v_add_f64 v[72:73], v[42:43], -v[68:69]
	;; [unrolled: 1-line block ×4, first 2 shown]
	v_add_f64 v[32:33], v[32:33], v[66:67]
	v_add_f64 v[66:67], v[70:71], v[30:31]
	v_add_f64 v[68:69], v[66:67], -v[70:71]
	v_add_f64 v[32:33], v[66:67], v[32:33]
	v_add_f64 v[72:73], v[66:67], -v[68:69]
	;; [unrolled: 2-line block ×3, first 2 shown]
	v_add_f64 v[30:31], v[30:31], -v[68:69]
	v_add_f64 v[42:43], v[66:67], -v[42:43]
	v_add_f64 v[30:31], v[30:31], v[70:71]
	v_add_f64 v[32:33], v[32:33], -v[42:43]
	s_mov_b32 s0, 0
	v_add_f64 v[30:31], v[30:31], v[32:33]
	s_mov_b32 s1, 0x7ff00000
	v_add_f64 v[30:31], v[66:67], v[30:31]
	v_cmp_eq_f64_e64 s[0:1], s[0:1], v[0:1]
	v_mov_b32_e32 v32, 0x7ff80000
	s_nop 0
	v_cndmask_b32_e64 v30, v30, v0, s[0:1]
	v_cndmask_b32_e64 v31, v31, v1, s[0:1]
	v_cmp_ngt_f64_e64 s[0:1], -1.0, v[0:1]
	s_nop 1
	v_cndmask_b32_e64 v31, v32, v31, s[0:1]
	v_cmp_nge_f64_e64 s[0:1], -1.0, v[0:1]
	v_mov_b32_e32 v32, 0xfff00000
	s_nop 0
	v_cndmask_b32_e64 v30, 0, v30, s[0:1]
	v_cmp_neq_f64_e64 s[0:1], -1.0, v[0:1]
	s_nop 1
	v_cndmask_b32_e64 v31, v32, v31, s[0:1]
	v_add_f64 v[0:1], v[4:5], v[30:31]
.LBB40_106:
	s_or_b64 exec, exec, s[60:61]
	v_max_f64 v[4:5], v[0:1], v[0:1]
	v_min_f64 v[30:31], v[4:5], v[38:39]
	v_cmp_u_f64_e64 s[0:1], v[0:1], v[0:1]
	v_max_f64 v[4:5], v[4:5], v[38:39]
	s_nop 0
	v_cndmask_b32_e64 v30, v30, v0, s[0:1]
	v_cndmask_b32_e64 v31, v31, v1, s[0:1]
	;; [unrolled: 1-line block ×8, first 2 shown]
	v_cmp_neq_f64_e64 s[0:1], v[30:31], v[26:27]
	v_cmp_class_f64_e64 s[28:29], v[30:31], s33
	s_or_b64 s[0:1], s[0:1], s[28:29]
	v_mov_b64_e32 v[4:5], v[0:1]
	s_and_saveexec_b64 s[30:31], s[0:1]
	s_cbranch_execz .LBB40_108
; %bb.107:
	s_mov_b32 s0, 0x652b82fe
	v_add_f64 v[4:5], v[30:31], -v[26:27]
	s_mov_b32 s1, 0x3ff71547
	v_mul_f64 v[30:31], v[4:5], s[0:1]
	v_rndne_f64_e32 v[30:31], v[30:31]
	s_mov_b32 s61, 0xbfe62e42
	s_mov_b32 s60, 0xfefa39ef
	v_fma_f64 v[32:33], s[60:61], v[30:31], v[4:5]
	s_mov_b32 s65, 0xbc7abc9e
	s_mov_b32 s64, 0x3b39803f
	;; [unrolled: 1-line block ×3, first 2 shown]
	v_fmac_f64_e32 v[32:33], s[64:65], v[30:31]
	v_mov_b32_e32 v38, 0xfca7ab0c
	v_mov_b32_e32 v39, 0x3e928af3
	s_mov_b32 s1, 0x3e5ade15
	v_fmac_f64_e32 v[38:39], s[0:1], v[32:33]
	v_mov_b32_e32 v42, 0x623fde64
	v_mov_b32_e32 v43, 0x3ec71dee
	v_fmac_f64_e32 v[42:43], v[32:33], v[38:39]
	v_mov_b32_e32 v38, 0x7c89e6b0
	v_mov_b32_e32 v39, 0x3efa0199
	;; [unrolled: 3-line block ×8, first 2 shown]
	v_fmac_f64_e32 v[38:39], v[32:33], v[42:43]
	v_fma_f64 v[38:39], v[32:33], v[38:39], 1.0
	s_mov_b32 s0, 0
	s_mov_b32 s28, 0
	v_fma_f64 v[32:33], v[32:33], v[38:39], 1.0
	v_cvt_i32_f64_e32 v30, v[30:31]
	s_mov_b32 s1, 0x40900000
	s_mov_b32 s29, 0xc090cc00
	v_ldexp_f64 v[30:31], v[32:33], v30
	v_mov_b32_e32 v32, 0x7ff00000
	v_cmp_nlt_f64_e64 s[0:1], s[0:1], v[4:5]
	v_cmp_ngt_f64_e64 s[28:29], s[28:29], v[4:5]
	s_mov_b32 s61, 0x3fe62e42
	v_cndmask_b32_e64 v31, v32, v31, s[0:1]
	s_and_b64 s[0:1], s[28:29], s[0:1]
	v_cndmask_b32_e64 v5, 0, v31, s[28:29]
	v_cndmask_b32_e64 v4, 0, v30, s[0:1]
	v_add_f64 v[30:31], v[4:5], 1.0
	v_add_f64 v[32:33], v[30:31], -1.0
	v_add_f64 v[38:39], v[32:33], -v[30:31]
	v_add_f64 v[38:39], v[38:39], 1.0
	v_add_f64 v[32:33], v[4:5], -v[32:33]
	s_mov_b32 s0, 0x55555555
	v_add_f64 v[32:33], v[32:33], v[38:39]
	v_frexp_mant_f64_e32 v[38:39], v[30:31]
	s_mov_b32 s1, 0x3fe55555
	v_frexp_exp_i32_f64_e32 v42, v[30:31]
	v_cmp_gt_f64_e64 s[0:1], s[0:1], v[38:39]
	s_mov_b32 s65, 0x3c7abc9e
	s_nop 0
	v_subbrev_co_u32_e64 v78, s[0:1], 0, v42, s[0:1]
	v_sub_u32_e32 v38, 0, v78
	v_ldexp_f64 v[30:31], v[30:31], v38
	v_ldexp_f64 v[32:33], v[32:33], v38
	v_add_f64 v[38:39], v[30:31], -1.0
	v_add_f64 v[68:69], v[30:31], 1.0
	v_add_f64 v[42:43], v[38:39], 1.0
	v_add_f64 v[70:71], v[68:69], -1.0
	v_add_f64 v[42:43], v[30:31], -v[42:43]
	v_add_f64 v[30:31], v[30:31], -v[70:71]
	v_add_f64 v[30:31], v[32:33], v[30:31]
	v_add_f64 v[42:43], v[32:33], v[42:43]
	;; [unrolled: 1-line block ×3, first 2 shown]
	v_rcp_f64_e32 v[70:71], v[32:33]
	v_add_f64 v[66:67], v[38:39], v[42:43]
	v_add_f64 v[38:39], v[66:67], -v[38:39]
	v_add_f64 v[38:39], v[42:43], -v[38:39]
	;; [unrolled: 1-line block ×4, first 2 shown]
	v_fma_f64 v[42:43], -v[32:33], v[70:71], 1.0
	v_fmac_f64_e32 v[70:71], v[42:43], v[70:71]
	v_fma_f64 v[42:43], -v[32:33], v[70:71], 1.0
	v_fmac_f64_e32 v[70:71], v[42:43], v[70:71]
	v_mul_f64 v[42:43], v[66:67], v[70:71]
	v_mul_f64 v[68:69], v[32:33], v[42:43]
	s_waitcnt lgkmcnt(0)
	v_fma_f64 v[72:73], v[42:43], v[32:33], -v[68:69]
	v_fmac_f64_e32 v[72:73], v[42:43], v[30:31]
	v_add_f64 v[74:75], v[68:69], v[72:73]
	v_add_f64 v[76:77], v[66:67], -v[74:75]
	v_add_f64 v[66:67], v[66:67], -v[76:77]
	;; [unrolled: 1-line block ×4, first 2 shown]
	v_add_f64 v[38:39], v[38:39], v[66:67]
	v_add_f64 v[66:67], v[68:69], -v[72:73]
	v_add_f64 v[38:39], v[66:67], v[38:39]
	v_add_f64 v[66:67], v[76:77], v[38:39]
	v_add_f64 v[68:69], v[76:77], -v[66:67]
	v_add_f64 v[38:39], v[38:39], v[68:69]
	v_mul_f64 v[68:69], v[70:71], v[66:67]
	v_mul_f64 v[72:73], v[32:33], v[68:69]
	v_fma_f64 v[32:33], v[68:69], v[32:33], -v[72:73]
	v_fmac_f64_e32 v[32:33], v[68:69], v[30:31]
	v_add_f64 v[30:31], v[72:73], v[32:33]
	v_add_f64 v[74:75], v[66:67], -v[30:31]
	v_add_f64 v[66:67], v[66:67], -v[74:75]
	;; [unrolled: 1-line block ×4, first 2 shown]
	v_add_f64 v[30:31], v[38:39], v[30:31]
	v_add_f64 v[32:33], v[72:73], -v[32:33]
	v_add_f64 v[30:31], v[32:33], v[30:31]
	v_add_f64 v[32:33], v[42:43], v[68:69]
	;; [unrolled: 1-line block ×3, first 2 shown]
	v_add_f64 v[38:39], v[32:33], -v[42:43]
	v_mul_f64 v[30:31], v[70:71], v[30:31]
	v_add_f64 v[38:39], v[68:69], -v[38:39]
	v_add_f64 v[30:31], v[38:39], v[30:31]
	v_add_f64 v[38:39], v[32:33], v[30:31]
	v_add_f64 v[32:33], v[38:39], -v[32:33]
	s_mov_b32 s0, 0xbf559e2b
	v_add_f64 v[30:31], v[30:31], -v[32:33]
	v_mul_f64 v[32:33], v[38:39], v[38:39]
	v_mov_b32_e32 v42, 0x6b47b09a
	v_mov_b32_e32 v43, 0x3fc38538
	s_mov_b32 s1, 0x3fc3ab76
	v_fmac_f64_e32 v[42:43], s[0:1], v[32:33]
	v_mov_b32_e32 v66, 0xd7f4df2e
	v_mov_b32_e32 v67, 0x3fc7474d
	v_fmac_f64_e32 v[66:67], v[32:33], v[42:43]
	v_mov_b32_e32 v42, 0x16291751
	v_mov_b32_e32 v43, 0x3fcc71c0
	v_fmac_f64_e32 v[42:43], v[32:33], v[66:67]
	v_mov_b32_e32 v66, 0x9b27acf1
	v_mov_b32_e32 v67, 0x3fd24924
	v_fmac_f64_e32 v[66:67], v[32:33], v[42:43]
	v_mov_b32_e32 v42, 0x998ef7b6
	v_mov_b32_e32 v43, 0x3fd99999
	v_fmac_f64_e32 v[42:43], v[32:33], v[66:67]
	v_mov_b32_e32 v66, 0x55555780
	v_mov_b32_e32 v67, 0x3fe55555
	v_fmac_f64_e32 v[66:67], v[32:33], v[42:43]
	v_cvt_f64_i32_e32 v[42:43], v78
	v_mul_f64 v[68:69], v[42:43], s[60:61]
	v_fma_f64 v[70:71], v[42:43], s[60:61], -v[68:69]
	v_fmac_f64_e32 v[70:71], s[64:65], v[42:43]
	v_add_f64 v[42:43], v[68:69], v[70:71]
	v_add_f64 v[68:69], v[42:43], -v[68:69]
	v_mul_f64 v[32:33], v[38:39], v[32:33]
	v_add_f64 v[68:69], v[70:71], -v[68:69]
	v_ldexp_f64 v[70:71], v[38:39], 1
	v_mul_f64 v[32:33], v[32:33], v[66:67]
	v_add_f64 v[38:39], v[70:71], v[32:33]
	v_add_f64 v[66:67], v[38:39], -v[70:71]
	v_ldexp_f64 v[30:31], v[30:31], 1
	v_add_f64 v[32:33], v[32:33], -v[66:67]
	v_add_f64 v[30:31], v[30:31], v[32:33]
	v_add_f64 v[32:33], v[38:39], v[30:31]
	v_add_f64 v[38:39], v[32:33], -v[38:39]
	v_add_f64 v[30:31], v[30:31], -v[38:39]
	v_add_f64 v[38:39], v[42:43], v[32:33]
	v_add_f64 v[66:67], v[38:39], -v[42:43]
	v_add_f64 v[70:71], v[38:39], -v[66:67]
	;; [unrolled: 1-line block ×4, first 2 shown]
	v_add_f64 v[32:33], v[32:33], v[42:43]
	v_add_f64 v[42:43], v[68:69], v[30:31]
	v_add_f64 v[66:67], v[42:43], -v[68:69]
	v_add_f64 v[32:33], v[42:43], v[32:33]
	v_add_f64 v[70:71], v[42:43], -v[66:67]
	;; [unrolled: 2-line block ×3, first 2 shown]
	v_add_f64 v[30:31], v[30:31], -v[66:67]
	v_add_f64 v[38:39], v[42:43], -v[38:39]
	v_add_f64 v[30:31], v[30:31], v[68:69]
	v_add_f64 v[32:33], v[32:33], -v[38:39]
	s_mov_b32 s0, 0
	v_add_f64 v[30:31], v[30:31], v[32:33]
	s_mov_b32 s1, 0x7ff00000
	v_add_f64 v[30:31], v[42:43], v[30:31]
	v_cmp_eq_f64_e64 s[0:1], s[0:1], v[4:5]
	v_mov_b32_e32 v32, 0x7ff80000
	s_nop 0
	v_cndmask_b32_e64 v30, v30, v4, s[0:1]
	v_cndmask_b32_e64 v31, v31, v5, s[0:1]
	v_cmp_ngt_f64_e64 s[0:1], -1.0, v[4:5]
	s_nop 1
	v_cndmask_b32_e64 v31, v32, v31, s[0:1]
	v_cmp_nge_f64_e64 s[0:1], -1.0, v[4:5]
	v_mov_b32_e32 v32, 0xfff00000
	s_nop 0
	v_cndmask_b32_e64 v30, 0, v30, s[0:1]
	v_cmp_neq_f64_e64 s[0:1], -1.0, v[4:5]
	s_nop 1
	v_cndmask_b32_e64 v31, v32, v31, s[0:1]
	v_add_f64 v[4:5], v[26:27], v[30:31]
.LBB40_108:
	s_or_b64 exec, exec, s[30:31]
	v_max_f64 v[26:27], v[4:5], v[4:5]
	v_min_f64 v[30:31], v[26:27], v[40:41]
	v_cmp_u_f64_e64 s[0:1], v[4:5], v[4:5]
	v_max_f64 v[26:27], v[26:27], v[40:41]
	s_nop 0
	v_cndmask_b32_e64 v30, v30, v4, s[0:1]
	v_cndmask_b32_e64 v31, v31, v5, s[0:1]
	;; [unrolled: 1-line block ×8, first 2 shown]
	v_cmp_neq_f64_e64 s[0:1], v[30:31], v[28:29]
	v_cmp_class_f64_e64 s[28:29], v[30:31], s33
	s_or_b64 s[0:1], s[0:1], s[28:29]
	v_mov_b64_e32 v[26:27], v[4:5]
	s_and_saveexec_b64 s[30:31], s[0:1]
	s_cbranch_execz .LBB40_110
; %bb.109:
	s_mov_b32 s0, 0x652b82fe
	v_add_f64 v[26:27], v[30:31], -v[28:29]
	s_mov_b32 s1, 0x3ff71547
	v_mul_f64 v[30:31], v[26:27], s[0:1]
	v_rndne_f64_e32 v[30:31], v[30:31]
	s_mov_b32 s35, 0xbfe62e42
	s_mov_b32 s34, 0xfefa39ef
	v_fma_f64 v[32:33], s[34:35], v[30:31], v[26:27]
	s_mov_b32 s61, 0xbc7abc9e
	s_mov_b32 s60, 0x3b39803f
	;; [unrolled: 1-line block ×3, first 2 shown]
	v_fmac_f64_e32 v[32:33], s[60:61], v[30:31]
	v_mov_b32_e32 v38, 0xfca7ab0c
	v_mov_b32_e32 v39, 0x3e928af3
	s_mov_b32 s1, 0x3e5ade15
	v_fmac_f64_e32 v[38:39], s[0:1], v[32:33]
	v_mov_b32_e32 v40, 0x623fde64
	v_mov_b32_e32 v41, 0x3ec71dee
	v_fmac_f64_e32 v[40:41], v[32:33], v[38:39]
	v_mov_b32_e32 v38, 0x7c89e6b0
	v_mov_b32_e32 v39, 0x3efa0199
	;; [unrolled: 3-line block ×8, first 2 shown]
	v_fmac_f64_e32 v[38:39], v[32:33], v[40:41]
	v_fma_f64 v[38:39], v[32:33], v[38:39], 1.0
	s_mov_b32 s0, 0
	s_mov_b32 s28, 0
	v_fma_f64 v[32:33], v[32:33], v[38:39], 1.0
	v_cvt_i32_f64_e32 v30, v[30:31]
	s_mov_b32 s1, 0x40900000
	s_mov_b32 s29, 0xc090cc00
	v_ldexp_f64 v[30:31], v[32:33], v30
	v_mov_b32_e32 v32, 0x7ff00000
	v_cmp_nlt_f64_e64 s[0:1], s[0:1], v[26:27]
	v_cmp_ngt_f64_e64 s[28:29], s[28:29], v[26:27]
	s_mov_b32 s35, 0x3fe62e42
	v_cndmask_b32_e64 v31, v32, v31, s[0:1]
	s_and_b64 s[0:1], s[28:29], s[0:1]
	v_cndmask_b32_e64 v27, 0, v31, s[28:29]
	v_cndmask_b32_e64 v26, 0, v30, s[0:1]
	v_add_f64 v[30:31], v[26:27], 1.0
	v_add_f64 v[32:33], v[30:31], -1.0
	v_add_f64 v[38:39], v[32:33], -v[30:31]
	v_add_f64 v[38:39], v[38:39], 1.0
	v_add_f64 v[32:33], v[26:27], -v[32:33]
	s_mov_b32 s0, 0x55555555
	v_add_f64 v[32:33], v[32:33], v[38:39]
	v_frexp_mant_f64_e32 v[38:39], v[30:31]
	s_mov_b32 s1, 0x3fe55555
	v_frexp_exp_i32_f64_e32 v40, v[30:31]
	v_cmp_gt_f64_e64 s[0:1], s[0:1], v[38:39]
	s_mov_b32 s61, 0x3c7abc9e
	s_nop 0
	v_subbrev_co_u32_e64 v76, s[0:1], 0, v40, s[0:1]
	v_sub_u32_e32 v38, 0, v76
	v_ldexp_f64 v[30:31], v[30:31], v38
	v_ldexp_f64 v[32:33], v[32:33], v38
	v_add_f64 v[38:39], v[30:31], -1.0
	v_add_f64 v[66:67], v[30:31], 1.0
	v_add_f64 v[40:41], v[38:39], 1.0
	v_add_f64 v[68:69], v[66:67], -1.0
	v_add_f64 v[40:41], v[30:31], -v[40:41]
	v_add_f64 v[30:31], v[30:31], -v[68:69]
	v_add_f64 v[30:31], v[32:33], v[30:31]
	v_add_f64 v[40:41], v[32:33], v[40:41]
	;; [unrolled: 1-line block ×3, first 2 shown]
	v_rcp_f64_e32 v[68:69], v[32:33]
	v_add_f64 v[42:43], v[38:39], v[40:41]
	v_add_f64 v[38:39], v[42:43], -v[38:39]
	v_add_f64 v[38:39], v[40:41], -v[38:39]
	;; [unrolled: 1-line block ×4, first 2 shown]
	v_fma_f64 v[40:41], -v[32:33], v[68:69], 1.0
	v_fmac_f64_e32 v[68:69], v[40:41], v[68:69]
	v_fma_f64 v[40:41], -v[32:33], v[68:69], 1.0
	v_fmac_f64_e32 v[68:69], v[40:41], v[68:69]
	v_mul_f64 v[40:41], v[42:43], v[68:69]
	v_mul_f64 v[66:67], v[32:33], v[40:41]
	v_fma_f64 v[70:71], v[40:41], v[32:33], -v[66:67]
	v_fmac_f64_e32 v[70:71], v[40:41], v[30:31]
	s_waitcnt lgkmcnt(0)
	v_add_f64 v[72:73], v[66:67], v[70:71]
	v_add_f64 v[74:75], v[42:43], -v[72:73]
	v_add_f64 v[42:43], v[42:43], -v[74:75]
	;; [unrolled: 1-line block ×4, first 2 shown]
	v_add_f64 v[38:39], v[38:39], v[42:43]
	v_add_f64 v[42:43], v[66:67], -v[70:71]
	v_add_f64 v[38:39], v[42:43], v[38:39]
	v_add_f64 v[42:43], v[74:75], v[38:39]
	v_add_f64 v[66:67], v[74:75], -v[42:43]
	v_add_f64 v[38:39], v[38:39], v[66:67]
	v_mul_f64 v[66:67], v[68:69], v[42:43]
	v_mul_f64 v[70:71], v[32:33], v[66:67]
	v_fma_f64 v[32:33], v[66:67], v[32:33], -v[70:71]
	v_fmac_f64_e32 v[32:33], v[66:67], v[30:31]
	v_add_f64 v[30:31], v[70:71], v[32:33]
	v_add_f64 v[72:73], v[42:43], -v[30:31]
	v_add_f64 v[42:43], v[42:43], -v[72:73]
	;; [unrolled: 1-line block ×4, first 2 shown]
	v_add_f64 v[30:31], v[38:39], v[30:31]
	v_add_f64 v[32:33], v[70:71], -v[32:33]
	v_add_f64 v[30:31], v[32:33], v[30:31]
	v_add_f64 v[32:33], v[40:41], v[66:67]
	;; [unrolled: 1-line block ×3, first 2 shown]
	v_add_f64 v[38:39], v[32:33], -v[40:41]
	v_mul_f64 v[30:31], v[68:69], v[30:31]
	v_add_f64 v[38:39], v[66:67], -v[38:39]
	v_add_f64 v[30:31], v[38:39], v[30:31]
	v_add_f64 v[38:39], v[32:33], v[30:31]
	v_add_f64 v[32:33], v[38:39], -v[32:33]
	s_mov_b32 s0, 0xbf559e2b
	v_add_f64 v[30:31], v[30:31], -v[32:33]
	v_mul_f64 v[32:33], v[38:39], v[38:39]
	v_mov_b32_e32 v40, 0x6b47b09a
	v_mov_b32_e32 v41, 0x3fc38538
	s_mov_b32 s1, 0x3fc3ab76
	v_fmac_f64_e32 v[40:41], s[0:1], v[32:33]
	v_mov_b32_e32 v42, 0xd7f4df2e
	v_mov_b32_e32 v43, 0x3fc7474d
	v_fmac_f64_e32 v[42:43], v[32:33], v[40:41]
	v_mov_b32_e32 v40, 0x16291751
	v_mov_b32_e32 v41, 0x3fcc71c0
	;; [unrolled: 3-line block ×5, first 2 shown]
	v_fmac_f64_e32 v[42:43], v[32:33], v[40:41]
	v_cvt_f64_i32_e32 v[40:41], v76
	v_mul_f64 v[66:67], v[40:41], s[34:35]
	v_fma_f64 v[68:69], v[40:41], s[34:35], -v[66:67]
	v_fmac_f64_e32 v[68:69], s[60:61], v[40:41]
	v_add_f64 v[40:41], v[66:67], v[68:69]
	v_add_f64 v[66:67], v[40:41], -v[66:67]
	v_mul_f64 v[32:33], v[38:39], v[32:33]
	v_add_f64 v[66:67], v[68:69], -v[66:67]
	v_ldexp_f64 v[68:69], v[38:39], 1
	v_mul_f64 v[32:33], v[32:33], v[42:43]
	v_add_f64 v[38:39], v[68:69], v[32:33]
	v_add_f64 v[42:43], v[38:39], -v[68:69]
	v_ldexp_f64 v[30:31], v[30:31], 1
	v_add_f64 v[32:33], v[32:33], -v[42:43]
	v_add_f64 v[30:31], v[30:31], v[32:33]
	v_add_f64 v[32:33], v[38:39], v[30:31]
	v_add_f64 v[38:39], v[32:33], -v[38:39]
	v_add_f64 v[30:31], v[30:31], -v[38:39]
	v_add_f64 v[38:39], v[40:41], v[32:33]
	v_add_f64 v[42:43], v[38:39], -v[40:41]
	v_add_f64 v[68:69], v[38:39], -v[42:43]
	;; [unrolled: 1-line block ×4, first 2 shown]
	v_add_f64 v[32:33], v[32:33], v[40:41]
	v_add_f64 v[40:41], v[66:67], v[30:31]
	v_add_f64 v[42:43], v[40:41], -v[66:67]
	v_add_f64 v[32:33], v[40:41], v[32:33]
	v_add_f64 v[68:69], v[40:41], -v[42:43]
	;; [unrolled: 2-line block ×3, first 2 shown]
	v_add_f64 v[30:31], v[30:31], -v[42:43]
	v_add_f64 v[38:39], v[40:41], -v[38:39]
	v_add_f64 v[30:31], v[30:31], v[66:67]
	v_add_f64 v[32:33], v[32:33], -v[38:39]
	s_mov_b32 s0, 0
	v_add_f64 v[30:31], v[30:31], v[32:33]
	s_mov_b32 s1, 0x7ff00000
	v_add_f64 v[30:31], v[40:41], v[30:31]
	v_cmp_eq_f64_e64 s[0:1], s[0:1], v[26:27]
	v_mov_b32_e32 v32, 0x7ff80000
	s_nop 0
	v_cndmask_b32_e64 v30, v30, v26, s[0:1]
	v_cndmask_b32_e64 v31, v31, v27, s[0:1]
	v_cmp_ngt_f64_e64 s[0:1], -1.0, v[26:27]
	s_nop 1
	v_cndmask_b32_e64 v31, v32, v31, s[0:1]
	v_cmp_nge_f64_e64 s[0:1], -1.0, v[26:27]
	v_mov_b32_e32 v32, 0xfff00000
	s_nop 0
	v_cndmask_b32_e64 v30, 0, v30, s[0:1]
	v_cmp_neq_f64_e64 s[0:1], -1.0, v[26:27]
	s_nop 1
	v_cndmask_b32_e64 v31, v32, v31, s[0:1]
	v_add_f64 v[26:27], v[28:29], v[30:31]
.LBB40_110:
	s_or_b64 exec, exec, s[30:31]
	v_max_f64 v[28:29], v[26:27], v[26:27]
	v_min_f64 v[30:31], v[28:29], v[44:45]
	v_cmp_u_f64_e64 s[0:1], v[26:27], v[26:27]
	v_max_f64 v[28:29], v[28:29], v[44:45]
	s_nop 0
	v_cndmask_b32_e64 v30, v30, v26, s[0:1]
	v_cndmask_b32_e64 v31, v31, v27, s[0:1]
	;; [unrolled: 1-line block ×8, first 2 shown]
	v_cmp_neq_f64_e64 s[0:1], v[30:31], v[28:29]
	v_cmp_class_f64_e64 s[28:29], v[30:31], s33
	s_or_b64 s[0:1], s[0:1], s[28:29]
	v_mov_b64_e32 v[22:23], v[26:27]
	s_and_saveexec_b64 s[30:31], s[0:1]
	s_cbranch_execz .LBB40_112
; %bb.111:
	s_mov_b32 s0, 0x652b82fe
	v_add_f64 v[22:23], v[30:31], -v[28:29]
	s_mov_b32 s1, 0x3ff71547
	v_mul_f64 v[30:31], v[22:23], s[0:1]
	v_rndne_f64_e32 v[30:31], v[30:31]
	s_mov_b32 s35, 0xbfe62e42
	s_mov_b32 s34, 0xfefa39ef
	v_fma_f64 v[32:33], s[34:35], v[30:31], v[22:23]
	s_mov_b32 s37, 0xbc7abc9e
	s_mov_b32 s36, 0x3b39803f
	;; [unrolled: 1-line block ×3, first 2 shown]
	v_fmac_f64_e32 v[32:33], s[36:37], v[30:31]
	v_mov_b32_e32 v38, 0xfca7ab0c
	v_mov_b32_e32 v39, 0x3e928af3
	s_mov_b32 s1, 0x3e5ade15
	v_fmac_f64_e32 v[38:39], s[0:1], v[32:33]
	v_mov_b32_e32 v40, 0x623fde64
	v_mov_b32_e32 v41, 0x3ec71dee
	v_fmac_f64_e32 v[40:41], v[32:33], v[38:39]
	v_mov_b32_e32 v38, 0x7c89e6b0
	v_mov_b32_e32 v39, 0x3efa0199
	;; [unrolled: 3-line block ×8, first 2 shown]
	v_fmac_f64_e32 v[38:39], v[32:33], v[40:41]
	v_fma_f64 v[38:39], v[32:33], v[38:39], 1.0
	s_mov_b32 s0, 0
	s_mov_b32 s28, 0
	v_fma_f64 v[32:33], v[32:33], v[38:39], 1.0
	v_cvt_i32_f64_e32 v30, v[30:31]
	s_mov_b32 s1, 0x40900000
	s_mov_b32 s29, 0xc090cc00
	v_ldexp_f64 v[30:31], v[32:33], v30
	v_mov_b32_e32 v32, 0x7ff00000
	v_cmp_nlt_f64_e64 s[0:1], s[0:1], v[22:23]
	v_cmp_ngt_f64_e64 s[28:29], s[28:29], v[22:23]
	s_mov_b32 s35, 0x3fe62e42
	v_cndmask_b32_e64 v31, v32, v31, s[0:1]
	s_and_b64 s[0:1], s[28:29], s[0:1]
	v_cndmask_b32_e64 v23, 0, v31, s[28:29]
	v_cndmask_b32_e64 v22, 0, v30, s[0:1]
	v_add_f64 v[30:31], v[22:23], 1.0
	v_add_f64 v[32:33], v[30:31], -1.0
	v_add_f64 v[38:39], v[32:33], -v[30:31]
	v_add_f64 v[38:39], v[38:39], 1.0
	v_add_f64 v[32:33], v[22:23], -v[32:33]
	s_mov_b32 s0, 0x55555555
	v_add_f64 v[32:33], v[32:33], v[38:39]
	v_frexp_mant_f64_e32 v[38:39], v[30:31]
	s_mov_b32 s1, 0x3fe55555
	v_frexp_exp_i32_f64_e32 v40, v[30:31]
	v_cmp_gt_f64_e64 s[0:1], s[0:1], v[38:39]
	s_mov_b32 s37, 0x3c7abc9e
	s_nop 0
	v_subbrev_co_u32_e64 v74, s[0:1], 0, v40, s[0:1]
	v_sub_u32_e32 v38, 0, v74
	v_ldexp_f64 v[30:31], v[30:31], v38
	v_ldexp_f64 v[32:33], v[32:33], v38
	v_add_f64 v[38:39], v[30:31], -1.0
	v_add_f64 v[44:45], v[30:31], 1.0
	v_add_f64 v[40:41], v[38:39], 1.0
	v_add_f64 v[66:67], v[44:45], -1.0
	v_add_f64 v[40:41], v[30:31], -v[40:41]
	v_add_f64 v[30:31], v[30:31], -v[66:67]
	v_add_f64 v[30:31], v[32:33], v[30:31]
	v_add_f64 v[40:41], v[32:33], v[40:41]
	;; [unrolled: 1-line block ×3, first 2 shown]
	v_rcp_f64_e32 v[66:67], v[32:33]
	v_add_f64 v[42:43], v[38:39], v[40:41]
	v_add_f64 v[38:39], v[42:43], -v[38:39]
	v_add_f64 v[38:39], v[40:41], -v[38:39]
	;; [unrolled: 1-line block ×4, first 2 shown]
	v_fma_f64 v[40:41], -v[32:33], v[66:67], 1.0
	v_fmac_f64_e32 v[66:67], v[40:41], v[66:67]
	v_fma_f64 v[40:41], -v[32:33], v[66:67], 1.0
	v_fmac_f64_e32 v[66:67], v[40:41], v[66:67]
	v_mul_f64 v[40:41], v[42:43], v[66:67]
	v_mul_f64 v[44:45], v[32:33], v[40:41]
	v_fma_f64 v[68:69], v[40:41], v[32:33], -v[44:45]
	v_fmac_f64_e32 v[68:69], v[40:41], v[30:31]
	v_add_f64 v[70:71], v[44:45], v[68:69]
	s_waitcnt lgkmcnt(0)
	v_add_f64 v[72:73], v[42:43], -v[70:71]
	v_add_f64 v[42:43], v[42:43], -v[72:73]
	v_add_f64 v[44:45], v[70:71], -v[44:45]
	v_add_f64 v[42:43], v[42:43], -v[70:71]
	v_add_f64 v[38:39], v[38:39], v[42:43]
	v_add_f64 v[42:43], v[44:45], -v[68:69]
	v_add_f64 v[38:39], v[42:43], v[38:39]
	v_add_f64 v[42:43], v[72:73], v[38:39]
	v_add_f64 v[44:45], v[72:73], -v[42:43]
	v_add_f64 v[38:39], v[38:39], v[44:45]
	v_mul_f64 v[44:45], v[66:67], v[42:43]
	v_mul_f64 v[68:69], v[32:33], v[44:45]
	v_fma_f64 v[32:33], v[44:45], v[32:33], -v[68:69]
	v_fmac_f64_e32 v[32:33], v[44:45], v[30:31]
	v_add_f64 v[30:31], v[68:69], v[32:33]
	v_add_f64 v[70:71], v[42:43], -v[30:31]
	v_add_f64 v[42:43], v[42:43], -v[70:71]
	;; [unrolled: 1-line block ×4, first 2 shown]
	v_add_f64 v[30:31], v[38:39], v[30:31]
	v_add_f64 v[32:33], v[68:69], -v[32:33]
	v_add_f64 v[30:31], v[32:33], v[30:31]
	v_add_f64 v[32:33], v[40:41], v[44:45]
	;; [unrolled: 1-line block ×3, first 2 shown]
	v_add_f64 v[38:39], v[32:33], -v[40:41]
	v_mul_f64 v[30:31], v[66:67], v[30:31]
	v_add_f64 v[38:39], v[44:45], -v[38:39]
	v_add_f64 v[30:31], v[38:39], v[30:31]
	v_add_f64 v[38:39], v[32:33], v[30:31]
	v_add_f64 v[32:33], v[38:39], -v[32:33]
	s_mov_b32 s0, 0xbf559e2b
	v_add_f64 v[30:31], v[30:31], -v[32:33]
	v_mul_f64 v[32:33], v[38:39], v[38:39]
	v_mov_b32_e32 v40, 0x6b47b09a
	v_mov_b32_e32 v41, 0x3fc38538
	s_mov_b32 s1, 0x3fc3ab76
	v_fmac_f64_e32 v[40:41], s[0:1], v[32:33]
	v_mov_b32_e32 v42, 0xd7f4df2e
	v_mov_b32_e32 v43, 0x3fc7474d
	v_fmac_f64_e32 v[42:43], v[32:33], v[40:41]
	v_mov_b32_e32 v40, 0x16291751
	v_mov_b32_e32 v41, 0x3fcc71c0
	v_fmac_f64_e32 v[40:41], v[32:33], v[42:43]
	v_mov_b32_e32 v42, 0x9b27acf1
	v_mov_b32_e32 v43, 0x3fd24924
	v_fmac_f64_e32 v[42:43], v[32:33], v[40:41]
	v_mov_b32_e32 v40, 0x998ef7b6
	v_mov_b32_e32 v41, 0x3fd99999
	v_fmac_f64_e32 v[40:41], v[32:33], v[42:43]
	v_mov_b32_e32 v42, 0x55555780
	v_mov_b32_e32 v43, 0x3fe55555
	v_fmac_f64_e32 v[42:43], v[32:33], v[40:41]
	v_cvt_f64_i32_e32 v[40:41], v74
	v_mul_f64 v[44:45], v[40:41], s[34:35]
	v_fma_f64 v[66:67], v[40:41], s[34:35], -v[44:45]
	v_fmac_f64_e32 v[66:67], s[36:37], v[40:41]
	v_add_f64 v[40:41], v[44:45], v[66:67]
	v_add_f64 v[44:45], v[40:41], -v[44:45]
	v_mul_f64 v[32:33], v[38:39], v[32:33]
	v_add_f64 v[44:45], v[66:67], -v[44:45]
	v_ldexp_f64 v[66:67], v[38:39], 1
	v_mul_f64 v[32:33], v[32:33], v[42:43]
	v_add_f64 v[38:39], v[66:67], v[32:33]
	v_add_f64 v[42:43], v[38:39], -v[66:67]
	v_ldexp_f64 v[30:31], v[30:31], 1
	v_add_f64 v[32:33], v[32:33], -v[42:43]
	v_add_f64 v[30:31], v[30:31], v[32:33]
	v_add_f64 v[32:33], v[38:39], v[30:31]
	v_add_f64 v[38:39], v[32:33], -v[38:39]
	v_add_f64 v[30:31], v[30:31], -v[38:39]
	v_add_f64 v[38:39], v[40:41], v[32:33]
	v_add_f64 v[42:43], v[38:39], -v[40:41]
	v_add_f64 v[66:67], v[38:39], -v[42:43]
	;; [unrolled: 1-line block ×4, first 2 shown]
	v_add_f64 v[32:33], v[32:33], v[40:41]
	v_add_f64 v[40:41], v[44:45], v[30:31]
	v_add_f64 v[42:43], v[40:41], -v[44:45]
	v_add_f64 v[32:33], v[40:41], v[32:33]
	v_add_f64 v[66:67], v[40:41], -v[42:43]
	;; [unrolled: 2-line block ×3, first 2 shown]
	v_add_f64 v[30:31], v[30:31], -v[42:43]
	v_add_f64 v[38:39], v[40:41], -v[38:39]
	v_add_f64 v[30:31], v[30:31], v[44:45]
	v_add_f64 v[32:33], v[32:33], -v[38:39]
	s_mov_b32 s0, 0
	v_add_f64 v[30:31], v[30:31], v[32:33]
	s_mov_b32 s1, 0x7ff00000
	v_add_f64 v[30:31], v[40:41], v[30:31]
	v_cmp_eq_f64_e64 s[0:1], s[0:1], v[22:23]
	v_mov_b32_e32 v32, 0x7ff80000
	s_nop 0
	v_cndmask_b32_e64 v30, v30, v22, s[0:1]
	v_cndmask_b32_e64 v31, v31, v23, s[0:1]
	v_cmp_ngt_f64_e64 s[0:1], -1.0, v[22:23]
	s_nop 1
	v_cndmask_b32_e64 v31, v32, v31, s[0:1]
	v_cmp_nge_f64_e64 s[0:1], -1.0, v[22:23]
	v_mov_b32_e32 v32, 0xfff00000
	s_nop 0
	v_cndmask_b32_e64 v30, 0, v30, s[0:1]
	v_cmp_neq_f64_e64 s[0:1], -1.0, v[22:23]
	s_nop 1
	v_cndmask_b32_e64 v31, v32, v31, s[0:1]
	v_add_f64 v[22:23], v[28:29], v[30:31]
.LBB40_112:
	s_or_b64 exec, exec, s[30:31]
	v_max_f64 v[28:29], v[22:23], v[22:23]
	v_min_f64 v[30:31], v[28:29], v[46:47]
	v_cmp_u_f64_e64 s[0:1], v[22:23], v[22:23]
	v_max_f64 v[28:29], v[28:29], v[46:47]
	s_nop 0
	v_cndmask_b32_e64 v30, v30, v22, s[0:1]
	v_cndmask_b32_e64 v31, v31, v23, s[0:1]
	;; [unrolled: 1-line block ×8, first 2 shown]
	v_cmp_neq_f64_e64 s[0:1], v[30:31], v[28:29]
	v_cmp_class_f64_e64 s[28:29], v[30:31], s33
	s_or_b64 s[0:1], s[0:1], s[28:29]
	v_mov_b64_e32 v[24:25], v[22:23]
	s_and_saveexec_b64 s[30:31], s[0:1]
	s_cbranch_execz .LBB40_114
; %bb.113:
	s_mov_b32 s0, 0x652b82fe
	v_add_f64 v[24:25], v[30:31], -v[28:29]
	s_mov_b32 s1, 0x3ff71547
	v_mul_f64 v[30:31], v[24:25], s[0:1]
	v_rndne_f64_e32 v[30:31], v[30:31]
	s_mov_b32 s35, 0xbfe62e42
	s_mov_b32 s34, 0xfefa39ef
	v_fma_f64 v[32:33], s[34:35], v[30:31], v[24:25]
	s_mov_b32 s37, 0xbc7abc9e
	s_mov_b32 s36, 0x3b39803f
	;; [unrolled: 1-line block ×3, first 2 shown]
	v_fmac_f64_e32 v[32:33], s[36:37], v[30:31]
	v_mov_b32_e32 v38, 0xfca7ab0c
	v_mov_b32_e32 v39, 0x3e928af3
	s_mov_b32 s1, 0x3e5ade15
	v_fmac_f64_e32 v[38:39], s[0:1], v[32:33]
	v_mov_b32_e32 v40, 0x623fde64
	v_mov_b32_e32 v41, 0x3ec71dee
	v_fmac_f64_e32 v[40:41], v[32:33], v[38:39]
	v_mov_b32_e32 v38, 0x7c89e6b0
	v_mov_b32_e32 v39, 0x3efa0199
	v_fmac_f64_e32 v[38:39], v[32:33], v[40:41]
	v_mov_b32_e32 v40, 0x14761f6e
	v_mov_b32_e32 v41, 0x3f2a01a0
	v_fmac_f64_e32 v[40:41], v[32:33], v[38:39]
	v_mov_b32_e32 v38, 0x1852b7b0
	v_mov_b32_e32 v39, 0x3f56c16c
	v_fmac_f64_e32 v[38:39], v[32:33], v[40:41]
	v_mov_b32_e32 v40, 0x11122322
	v_mov_b32_e32 v41, 0x3f811111
	v_fmac_f64_e32 v[40:41], v[32:33], v[38:39]
	v_mov_b32_e32 v38, 0x555502a1
	v_mov_b32_e32 v39, 0x3fa55555
	v_fmac_f64_e32 v[38:39], v[32:33], v[40:41]
	v_mov_b32_e32 v40, 0x55555511
	v_mov_b32_e32 v41, 0x3fc55555
	v_fmac_f64_e32 v[40:41], v[32:33], v[38:39]
	v_mov_b32_e32 v38, 11
	v_mov_b32_e32 v39, 0x3fe00000
	v_fmac_f64_e32 v[38:39], v[32:33], v[40:41]
	v_fma_f64 v[38:39], v[32:33], v[38:39], 1.0
	s_mov_b32 s0, 0
	s_mov_b32 s28, 0
	v_fma_f64 v[32:33], v[32:33], v[38:39], 1.0
	v_cvt_i32_f64_e32 v30, v[30:31]
	s_mov_b32 s1, 0x40900000
	s_mov_b32 s29, 0xc090cc00
	v_ldexp_f64 v[30:31], v[32:33], v30
	v_mov_b32_e32 v32, 0x7ff00000
	v_cmp_nlt_f64_e64 s[0:1], s[0:1], v[24:25]
	v_cmp_ngt_f64_e64 s[28:29], s[28:29], v[24:25]
	s_mov_b32 s35, 0x3fe62e42
	v_cndmask_b32_e64 v31, v32, v31, s[0:1]
	s_and_b64 s[0:1], s[28:29], s[0:1]
	v_cndmask_b32_e64 v25, 0, v31, s[28:29]
	v_cndmask_b32_e64 v24, 0, v30, s[0:1]
	v_add_f64 v[30:31], v[24:25], 1.0
	v_add_f64 v[32:33], v[30:31], -1.0
	v_add_f64 v[38:39], v[32:33], -v[30:31]
	v_add_f64 v[38:39], v[38:39], 1.0
	v_add_f64 v[32:33], v[24:25], -v[32:33]
	s_mov_b32 s0, 0x55555555
	v_add_f64 v[32:33], v[32:33], v[38:39]
	v_frexp_mant_f64_e32 v[38:39], v[30:31]
	s_mov_b32 s1, 0x3fe55555
	v_frexp_exp_i32_f64_e32 v40, v[30:31]
	v_cmp_gt_f64_e64 s[0:1], s[0:1], v[38:39]
	s_mov_b32 s37, 0x3c7abc9e
	s_waitcnt lgkmcnt(0)
	v_subbrev_co_u32_e64 v72, s[0:1], 0, v40, s[0:1]
	v_sub_u32_e32 v38, 0, v72
	v_ldexp_f64 v[30:31], v[30:31], v38
	v_ldexp_f64 v[32:33], v[32:33], v38
	v_add_f64 v[38:39], v[30:31], -1.0
	v_add_f64 v[44:45], v[30:31], 1.0
	v_add_f64 v[40:41], v[38:39], 1.0
	v_add_f64 v[46:47], v[44:45], -1.0
	v_add_f64 v[40:41], v[30:31], -v[40:41]
	v_add_f64 v[30:31], v[30:31], -v[46:47]
	v_add_f64 v[30:31], v[32:33], v[30:31]
	v_add_f64 v[40:41], v[32:33], v[40:41]
	;; [unrolled: 1-line block ×3, first 2 shown]
	v_rcp_f64_e32 v[46:47], v[32:33]
	v_add_f64 v[42:43], v[38:39], v[40:41]
	v_add_f64 v[38:39], v[42:43], -v[38:39]
	v_add_f64 v[38:39], v[40:41], -v[38:39]
	;; [unrolled: 1-line block ×4, first 2 shown]
	v_fma_f64 v[40:41], -v[32:33], v[46:47], 1.0
	v_fmac_f64_e32 v[46:47], v[40:41], v[46:47]
	v_fma_f64 v[40:41], -v[32:33], v[46:47], 1.0
	v_fmac_f64_e32 v[46:47], v[40:41], v[46:47]
	v_mul_f64 v[40:41], v[42:43], v[46:47]
	v_mul_f64 v[44:45], v[32:33], v[40:41]
	v_fma_f64 v[66:67], v[40:41], v[32:33], -v[44:45]
	v_fmac_f64_e32 v[66:67], v[40:41], v[30:31]
	v_add_f64 v[68:69], v[44:45], v[66:67]
	v_add_f64 v[70:71], v[42:43], -v[68:69]
	v_add_f64 v[42:43], v[42:43], -v[70:71]
	;; [unrolled: 1-line block ×4, first 2 shown]
	v_add_f64 v[38:39], v[38:39], v[42:43]
	v_add_f64 v[42:43], v[44:45], -v[66:67]
	v_add_f64 v[38:39], v[42:43], v[38:39]
	v_add_f64 v[42:43], v[70:71], v[38:39]
	v_add_f64 v[44:45], v[70:71], -v[42:43]
	v_add_f64 v[38:39], v[38:39], v[44:45]
	v_mul_f64 v[44:45], v[46:47], v[42:43]
	v_mul_f64 v[66:67], v[32:33], v[44:45]
	v_fma_f64 v[32:33], v[44:45], v[32:33], -v[66:67]
	v_fmac_f64_e32 v[32:33], v[44:45], v[30:31]
	v_add_f64 v[30:31], v[66:67], v[32:33]
	v_add_f64 v[68:69], v[42:43], -v[30:31]
	v_add_f64 v[42:43], v[42:43], -v[68:69]
	;; [unrolled: 1-line block ×4, first 2 shown]
	v_add_f64 v[30:31], v[38:39], v[30:31]
	v_add_f64 v[32:33], v[66:67], -v[32:33]
	v_add_f64 v[30:31], v[32:33], v[30:31]
	v_add_f64 v[32:33], v[40:41], v[44:45]
	;; [unrolled: 1-line block ×3, first 2 shown]
	v_add_f64 v[38:39], v[32:33], -v[40:41]
	v_mul_f64 v[30:31], v[46:47], v[30:31]
	v_add_f64 v[38:39], v[44:45], -v[38:39]
	v_add_f64 v[30:31], v[38:39], v[30:31]
	v_add_f64 v[38:39], v[32:33], v[30:31]
	v_add_f64 v[32:33], v[38:39], -v[32:33]
	s_mov_b32 s0, 0xbf559e2b
	v_add_f64 v[30:31], v[30:31], -v[32:33]
	v_mul_f64 v[32:33], v[38:39], v[38:39]
	v_mov_b32_e32 v40, 0x6b47b09a
	v_mov_b32_e32 v41, 0x3fc38538
	s_mov_b32 s1, 0x3fc3ab76
	v_fmac_f64_e32 v[40:41], s[0:1], v[32:33]
	v_mov_b32_e32 v42, 0xd7f4df2e
	v_mov_b32_e32 v43, 0x3fc7474d
	v_fmac_f64_e32 v[42:43], v[32:33], v[40:41]
	v_mov_b32_e32 v40, 0x16291751
	v_mov_b32_e32 v41, 0x3fcc71c0
	;; [unrolled: 3-line block ×5, first 2 shown]
	v_fmac_f64_e32 v[42:43], v[32:33], v[40:41]
	v_cvt_f64_i32_e32 v[40:41], v72
	v_mul_f64 v[44:45], v[40:41], s[34:35]
	v_fma_f64 v[46:47], v[40:41], s[34:35], -v[44:45]
	v_fmac_f64_e32 v[46:47], s[36:37], v[40:41]
	v_add_f64 v[40:41], v[44:45], v[46:47]
	v_add_f64 v[44:45], v[40:41], -v[44:45]
	v_mul_f64 v[32:33], v[38:39], v[32:33]
	v_add_f64 v[44:45], v[46:47], -v[44:45]
	v_ldexp_f64 v[46:47], v[38:39], 1
	v_mul_f64 v[32:33], v[32:33], v[42:43]
	v_add_f64 v[38:39], v[46:47], v[32:33]
	v_add_f64 v[42:43], v[38:39], -v[46:47]
	v_ldexp_f64 v[30:31], v[30:31], 1
	v_add_f64 v[32:33], v[32:33], -v[42:43]
	v_add_f64 v[30:31], v[30:31], v[32:33]
	v_add_f64 v[32:33], v[38:39], v[30:31]
	v_add_f64 v[38:39], v[32:33], -v[38:39]
	v_add_f64 v[30:31], v[30:31], -v[38:39]
	v_add_f64 v[38:39], v[40:41], v[32:33]
	v_add_f64 v[42:43], v[38:39], -v[40:41]
	v_add_f64 v[46:47], v[38:39], -v[42:43]
	;; [unrolled: 1-line block ×4, first 2 shown]
	v_add_f64 v[32:33], v[32:33], v[40:41]
	v_add_f64 v[40:41], v[44:45], v[30:31]
	v_add_f64 v[42:43], v[40:41], -v[44:45]
	v_add_f64 v[32:33], v[40:41], v[32:33]
	v_add_f64 v[46:47], v[40:41], -v[42:43]
	;; [unrolled: 2-line block ×3, first 2 shown]
	v_add_f64 v[30:31], v[30:31], -v[42:43]
	v_add_f64 v[38:39], v[40:41], -v[38:39]
	v_add_f64 v[30:31], v[30:31], v[44:45]
	v_add_f64 v[32:33], v[32:33], -v[38:39]
	s_mov_b32 s0, 0
	v_add_f64 v[30:31], v[30:31], v[32:33]
	s_mov_b32 s1, 0x7ff00000
	v_add_f64 v[30:31], v[40:41], v[30:31]
	v_cmp_eq_f64_e64 s[0:1], s[0:1], v[24:25]
	v_mov_b32_e32 v32, 0x7ff80000
	s_nop 0
	v_cndmask_b32_e64 v30, v30, v24, s[0:1]
	v_cndmask_b32_e64 v31, v31, v25, s[0:1]
	v_cmp_ngt_f64_e64 s[0:1], -1.0, v[24:25]
	s_nop 1
	v_cndmask_b32_e64 v31, v32, v31, s[0:1]
	v_cmp_nge_f64_e64 s[0:1], -1.0, v[24:25]
	v_mov_b32_e32 v32, 0xfff00000
	s_nop 0
	v_cndmask_b32_e64 v30, 0, v30, s[0:1]
	v_cmp_neq_f64_e64 s[0:1], -1.0, v[24:25]
	s_nop 1
	v_cndmask_b32_e64 v31, v32, v31, s[0:1]
	v_add_f64 v[24:25], v[28:29], v[30:31]
.LBB40_114:
	s_or_b64 exec, exec, s[30:31]
	v_max_f64 v[28:29], v[24:25], v[24:25]
	v_min_f64 v[30:31], v[28:29], v[48:49]
	v_cmp_u_f64_e64 s[0:1], v[24:25], v[24:25]
	v_max_f64 v[28:29], v[28:29], v[48:49]
	s_nop 0
	v_cndmask_b32_e64 v30, v30, v24, s[0:1]
	v_cndmask_b32_e64 v31, v31, v25, s[0:1]
	;; [unrolled: 1-line block ×8, first 2 shown]
	v_cmp_neq_f64_e64 s[0:1], v[30:31], v[28:29]
	v_cmp_class_f64_e64 s[28:29], v[30:31], s33
	s_or_b64 s[0:1], s[0:1], s[28:29]
	v_mov_b64_e32 v[18:19], v[24:25]
	s_and_saveexec_b64 s[30:31], s[0:1]
	s_cbranch_execz .LBB40_116
; %bb.115:
	s_mov_b32 s0, 0x652b82fe
	v_add_f64 v[18:19], v[30:31], -v[28:29]
	s_mov_b32 s1, 0x3ff71547
	v_mul_f64 v[30:31], v[18:19], s[0:1]
	v_rndne_f64_e32 v[30:31], v[30:31]
	s_mov_b32 s35, 0xbfe62e42
	s_mov_b32 s34, 0xfefa39ef
	v_fma_f64 v[32:33], s[34:35], v[30:31], v[18:19]
	s_mov_b32 s37, 0xbc7abc9e
	s_mov_b32 s36, 0x3b39803f
	;; [unrolled: 1-line block ×3, first 2 shown]
	v_fmac_f64_e32 v[32:33], s[36:37], v[30:31]
	v_mov_b32_e32 v38, 0xfca7ab0c
	v_mov_b32_e32 v39, 0x3e928af3
	s_mov_b32 s1, 0x3e5ade15
	v_fmac_f64_e32 v[38:39], s[0:1], v[32:33]
	v_mov_b32_e32 v40, 0x623fde64
	v_mov_b32_e32 v41, 0x3ec71dee
	v_fmac_f64_e32 v[40:41], v[32:33], v[38:39]
	v_mov_b32_e32 v38, 0x7c89e6b0
	v_mov_b32_e32 v39, 0x3efa0199
	;; [unrolled: 3-line block ×8, first 2 shown]
	v_fmac_f64_e32 v[38:39], v[32:33], v[40:41]
	v_fma_f64 v[38:39], v[32:33], v[38:39], 1.0
	s_mov_b32 s0, 0
	s_mov_b32 s28, 0
	v_fma_f64 v[32:33], v[32:33], v[38:39], 1.0
	v_cvt_i32_f64_e32 v30, v[30:31]
	s_mov_b32 s1, 0x40900000
	s_mov_b32 s29, 0xc090cc00
	v_ldexp_f64 v[30:31], v[32:33], v30
	v_mov_b32_e32 v32, 0x7ff00000
	v_cmp_nlt_f64_e64 s[0:1], s[0:1], v[18:19]
	v_cmp_ngt_f64_e64 s[28:29], s[28:29], v[18:19]
	s_mov_b32 s35, 0x3fe62e42
	v_cndmask_b32_e64 v31, v32, v31, s[0:1]
	s_and_b64 s[0:1], s[28:29], s[0:1]
	v_cndmask_b32_e64 v19, 0, v31, s[28:29]
	v_cndmask_b32_e64 v18, 0, v30, s[0:1]
	v_add_f64 v[30:31], v[18:19], 1.0
	v_add_f64 v[32:33], v[30:31], -1.0
	v_add_f64 v[38:39], v[32:33], -v[30:31]
	v_add_f64 v[38:39], v[38:39], 1.0
	v_add_f64 v[32:33], v[18:19], -v[32:33]
	s_mov_b32 s0, 0x55555555
	v_add_f64 v[32:33], v[32:33], v[38:39]
	v_frexp_mant_f64_e32 v[38:39], v[30:31]
	s_mov_b32 s1, 0x3fe55555
	v_frexp_exp_i32_f64_e32 v40, v[30:31]
	v_cmp_gt_f64_e64 s[0:1], s[0:1], v[38:39]
	s_mov_b32 s37, 0x3c7abc9e
	s_nop 0
	v_subbrev_co_u32_e64 v70, s[0:1], 0, v40, s[0:1]
	v_sub_u32_e32 v38, 0, v70
	v_ldexp_f64 v[30:31], v[30:31], v38
	v_ldexp_f64 v[32:33], v[32:33], v38
	v_add_f64 v[38:39], v[30:31], -1.0
	v_add_f64 v[44:45], v[30:31], 1.0
	v_add_f64 v[40:41], v[38:39], 1.0
	v_add_f64 v[46:47], v[44:45], -1.0
	v_add_f64 v[40:41], v[30:31], -v[40:41]
	v_add_f64 v[30:31], v[30:31], -v[46:47]
	v_add_f64 v[30:31], v[32:33], v[30:31]
	v_add_f64 v[40:41], v[32:33], v[40:41]
	;; [unrolled: 1-line block ×3, first 2 shown]
	v_rcp_f64_e32 v[46:47], v[32:33]
	v_add_f64 v[42:43], v[38:39], v[40:41]
	v_add_f64 v[38:39], v[42:43], -v[38:39]
	v_add_f64 v[38:39], v[40:41], -v[38:39]
	;; [unrolled: 1-line block ×4, first 2 shown]
	v_fma_f64 v[40:41], -v[32:33], v[46:47], 1.0
	v_fmac_f64_e32 v[46:47], v[40:41], v[46:47]
	v_fma_f64 v[40:41], -v[32:33], v[46:47], 1.0
	v_fmac_f64_e32 v[46:47], v[40:41], v[46:47]
	v_mul_f64 v[40:41], v[42:43], v[46:47]
	v_mul_f64 v[44:45], v[32:33], v[40:41]
	v_fma_f64 v[48:49], v[40:41], v[32:33], -v[44:45]
	v_fmac_f64_e32 v[48:49], v[40:41], v[30:31]
	v_add_f64 v[66:67], v[44:45], v[48:49]
	v_add_f64 v[68:69], v[42:43], -v[66:67]
	v_add_f64 v[42:43], v[42:43], -v[68:69]
	;; [unrolled: 1-line block ×4, first 2 shown]
	v_add_f64 v[38:39], v[38:39], v[42:43]
	v_add_f64 v[42:43], v[44:45], -v[48:49]
	v_add_f64 v[38:39], v[42:43], v[38:39]
	v_add_f64 v[42:43], v[68:69], v[38:39]
	v_add_f64 v[44:45], v[68:69], -v[42:43]
	v_add_f64 v[38:39], v[38:39], v[44:45]
	v_mul_f64 v[44:45], v[46:47], v[42:43]
	v_mul_f64 v[48:49], v[32:33], v[44:45]
	v_fma_f64 v[32:33], v[44:45], v[32:33], -v[48:49]
	v_fmac_f64_e32 v[32:33], v[44:45], v[30:31]
	v_add_f64 v[30:31], v[48:49], v[32:33]
	v_add_f64 v[66:67], v[42:43], -v[30:31]
	v_add_f64 v[42:43], v[42:43], -v[66:67]
	;; [unrolled: 1-line block ×4, first 2 shown]
	v_add_f64 v[30:31], v[38:39], v[30:31]
	v_add_f64 v[32:33], v[48:49], -v[32:33]
	v_add_f64 v[30:31], v[32:33], v[30:31]
	v_add_f64 v[32:33], v[40:41], v[44:45]
	;; [unrolled: 1-line block ×3, first 2 shown]
	v_add_f64 v[38:39], v[32:33], -v[40:41]
	v_mul_f64 v[30:31], v[46:47], v[30:31]
	v_add_f64 v[38:39], v[44:45], -v[38:39]
	v_add_f64 v[30:31], v[38:39], v[30:31]
	v_add_f64 v[38:39], v[32:33], v[30:31]
	v_add_f64 v[32:33], v[38:39], -v[32:33]
	s_mov_b32 s0, 0xbf559e2b
	v_add_f64 v[30:31], v[30:31], -v[32:33]
	v_mul_f64 v[32:33], v[38:39], v[38:39]
	v_mov_b32_e32 v40, 0x6b47b09a
	v_mov_b32_e32 v41, 0x3fc38538
	s_mov_b32 s1, 0x3fc3ab76
	v_fmac_f64_e32 v[40:41], s[0:1], v[32:33]
	v_mov_b32_e32 v42, 0xd7f4df2e
	v_mov_b32_e32 v43, 0x3fc7474d
	v_fmac_f64_e32 v[42:43], v[32:33], v[40:41]
	v_mov_b32_e32 v40, 0x16291751
	v_mov_b32_e32 v41, 0x3fcc71c0
	;; [unrolled: 3-line block ×5, first 2 shown]
	v_fmac_f64_e32 v[42:43], v[32:33], v[40:41]
	v_cvt_f64_i32_e32 v[40:41], v70
	v_mul_f64 v[44:45], v[40:41], s[34:35]
	v_fma_f64 v[46:47], v[40:41], s[34:35], -v[44:45]
	v_fmac_f64_e32 v[46:47], s[36:37], v[40:41]
	v_add_f64 v[40:41], v[44:45], v[46:47]
	v_add_f64 v[44:45], v[40:41], -v[44:45]
	v_mul_f64 v[32:33], v[38:39], v[32:33]
	v_add_f64 v[44:45], v[46:47], -v[44:45]
	v_ldexp_f64 v[46:47], v[38:39], 1
	v_mul_f64 v[32:33], v[32:33], v[42:43]
	v_add_f64 v[38:39], v[46:47], v[32:33]
	v_add_f64 v[42:43], v[38:39], -v[46:47]
	v_ldexp_f64 v[30:31], v[30:31], 1
	v_add_f64 v[32:33], v[32:33], -v[42:43]
	v_add_f64 v[30:31], v[30:31], v[32:33]
	v_add_f64 v[32:33], v[38:39], v[30:31]
	v_add_f64 v[38:39], v[32:33], -v[38:39]
	v_add_f64 v[30:31], v[30:31], -v[38:39]
	v_add_f64 v[38:39], v[40:41], v[32:33]
	v_add_f64 v[42:43], v[38:39], -v[40:41]
	v_add_f64 v[46:47], v[38:39], -v[42:43]
	;; [unrolled: 1-line block ×4, first 2 shown]
	v_add_f64 v[32:33], v[32:33], v[40:41]
	v_add_f64 v[40:41], v[44:45], v[30:31]
	v_add_f64 v[42:43], v[40:41], -v[44:45]
	v_add_f64 v[32:33], v[40:41], v[32:33]
	v_add_f64 v[46:47], v[40:41], -v[42:43]
	;; [unrolled: 2-line block ×3, first 2 shown]
	v_add_f64 v[30:31], v[30:31], -v[42:43]
	v_add_f64 v[38:39], v[40:41], -v[38:39]
	v_add_f64 v[30:31], v[30:31], v[44:45]
	v_add_f64 v[32:33], v[32:33], -v[38:39]
	s_mov_b32 s0, 0
	v_add_f64 v[30:31], v[30:31], v[32:33]
	s_mov_b32 s1, 0x7ff00000
	v_add_f64 v[30:31], v[40:41], v[30:31]
	v_cmp_eq_f64_e64 s[0:1], s[0:1], v[18:19]
	v_mov_b32_e32 v32, 0x7ff80000
	s_nop 0
	v_cndmask_b32_e64 v30, v30, v18, s[0:1]
	v_cndmask_b32_e64 v31, v31, v19, s[0:1]
	v_cmp_ngt_f64_e64 s[0:1], -1.0, v[18:19]
	s_nop 1
	v_cndmask_b32_e64 v31, v32, v31, s[0:1]
	v_cmp_nge_f64_e64 s[0:1], -1.0, v[18:19]
	v_mov_b32_e32 v32, 0xfff00000
	s_nop 0
	v_cndmask_b32_e64 v30, 0, v30, s[0:1]
	v_cmp_neq_f64_e64 s[0:1], -1.0, v[18:19]
	s_nop 1
	v_cndmask_b32_e64 v31, v32, v31, s[0:1]
	v_add_f64 v[18:19], v[28:29], v[30:31]
.LBB40_116:
	s_or_b64 exec, exec, s[30:31]
	v_max_f64 v[28:29], v[18:19], v[18:19]
	v_min_f64 v[30:31], v[28:29], v[50:51]
	v_cmp_u_f64_e64 s[0:1], v[18:19], v[18:19]
	v_max_f64 v[28:29], v[28:29], v[50:51]
	s_nop 0
	v_cndmask_b32_e64 v30, v30, v18, s[0:1]
	v_cndmask_b32_e64 v31, v31, v19, s[0:1]
	;; [unrolled: 1-line block ×8, first 2 shown]
	v_cmp_neq_f64_e64 s[0:1], v[30:31], v[28:29]
	v_cmp_class_f64_e64 s[28:29], v[30:31], s33
	s_or_b64 s[0:1], s[0:1], s[28:29]
	v_mov_b64_e32 v[20:21], v[18:19]
	s_and_saveexec_b64 s[30:31], s[0:1]
	s_cbranch_execz .LBB40_118
; %bb.117:
	s_mov_b32 s0, 0x652b82fe
	v_add_f64 v[20:21], v[30:31], -v[28:29]
	s_mov_b32 s1, 0x3ff71547
	v_mul_f64 v[30:31], v[20:21], s[0:1]
	v_rndne_f64_e32 v[30:31], v[30:31]
	s_mov_b32 s35, 0xbfe62e42
	s_mov_b32 s34, 0xfefa39ef
	v_fma_f64 v[32:33], s[34:35], v[30:31], v[20:21]
	s_mov_b32 s37, 0xbc7abc9e
	s_mov_b32 s36, 0x3b39803f
	;; [unrolled: 1-line block ×3, first 2 shown]
	v_fmac_f64_e32 v[32:33], s[36:37], v[30:31]
	v_mov_b32_e32 v38, 0xfca7ab0c
	v_mov_b32_e32 v39, 0x3e928af3
	s_mov_b32 s1, 0x3e5ade15
	v_fmac_f64_e32 v[38:39], s[0:1], v[32:33]
	v_mov_b32_e32 v40, 0x623fde64
	v_mov_b32_e32 v41, 0x3ec71dee
	v_fmac_f64_e32 v[40:41], v[32:33], v[38:39]
	v_mov_b32_e32 v38, 0x7c89e6b0
	v_mov_b32_e32 v39, 0x3efa0199
	;; [unrolled: 3-line block ×8, first 2 shown]
	v_fmac_f64_e32 v[38:39], v[32:33], v[40:41]
	v_fma_f64 v[38:39], v[32:33], v[38:39], 1.0
	s_mov_b32 s0, 0
	s_mov_b32 s28, 0
	v_fma_f64 v[32:33], v[32:33], v[38:39], 1.0
	v_cvt_i32_f64_e32 v30, v[30:31]
	s_mov_b32 s1, 0x40900000
	s_mov_b32 s29, 0xc090cc00
	v_ldexp_f64 v[30:31], v[32:33], v30
	v_mov_b32_e32 v32, 0x7ff00000
	v_cmp_nlt_f64_e64 s[0:1], s[0:1], v[20:21]
	v_cmp_ngt_f64_e64 s[28:29], s[28:29], v[20:21]
	s_mov_b32 s35, 0x3fe62e42
	v_cndmask_b32_e64 v31, v32, v31, s[0:1]
	s_and_b64 s[0:1], s[28:29], s[0:1]
	v_cndmask_b32_e64 v21, 0, v31, s[28:29]
	v_cndmask_b32_e64 v20, 0, v30, s[0:1]
	v_add_f64 v[30:31], v[20:21], 1.0
	v_add_f64 v[32:33], v[30:31], -1.0
	v_add_f64 v[38:39], v[32:33], -v[30:31]
	v_add_f64 v[38:39], v[38:39], 1.0
	v_add_f64 v[32:33], v[20:21], -v[32:33]
	s_mov_b32 s0, 0x55555555
	v_add_f64 v[32:33], v[32:33], v[38:39]
	v_frexp_mant_f64_e32 v[38:39], v[30:31]
	s_mov_b32 s1, 0x3fe55555
	v_frexp_exp_i32_f64_e32 v40, v[30:31]
	v_cmp_gt_f64_e64 s[0:1], s[0:1], v[38:39]
	s_mov_b32 s37, 0x3c7abc9e
	s_nop 0
	v_subbrev_co_u32_e64 v68, s[0:1], 0, v40, s[0:1]
	v_sub_u32_e32 v38, 0, v68
	v_ldexp_f64 v[30:31], v[30:31], v38
	v_ldexp_f64 v[32:33], v[32:33], v38
	v_add_f64 v[38:39], v[30:31], -1.0
	v_add_f64 v[44:45], v[30:31], 1.0
	v_add_f64 v[40:41], v[38:39], 1.0
	v_add_f64 v[46:47], v[44:45], -1.0
	v_add_f64 v[40:41], v[30:31], -v[40:41]
	v_add_f64 v[30:31], v[30:31], -v[46:47]
	v_add_f64 v[30:31], v[32:33], v[30:31]
	v_add_f64 v[40:41], v[32:33], v[40:41]
	;; [unrolled: 1-line block ×3, first 2 shown]
	v_rcp_f64_e32 v[46:47], v[32:33]
	v_add_f64 v[42:43], v[38:39], v[40:41]
	v_add_f64 v[38:39], v[42:43], -v[38:39]
	v_add_f64 v[38:39], v[40:41], -v[38:39]
	;; [unrolled: 1-line block ×4, first 2 shown]
	v_fma_f64 v[40:41], -v[32:33], v[46:47], 1.0
	v_fmac_f64_e32 v[46:47], v[40:41], v[46:47]
	v_fma_f64 v[40:41], -v[32:33], v[46:47], 1.0
	v_fmac_f64_e32 v[46:47], v[40:41], v[46:47]
	v_mul_f64 v[40:41], v[42:43], v[46:47]
	v_mul_f64 v[44:45], v[32:33], v[40:41]
	v_fma_f64 v[48:49], v[40:41], v[32:33], -v[44:45]
	v_fmac_f64_e32 v[48:49], v[40:41], v[30:31]
	v_add_f64 v[50:51], v[44:45], v[48:49]
	v_add_f64 v[66:67], v[42:43], -v[50:51]
	v_add_f64 v[42:43], v[42:43], -v[66:67]
	;; [unrolled: 1-line block ×4, first 2 shown]
	v_add_f64 v[38:39], v[38:39], v[42:43]
	v_add_f64 v[42:43], v[44:45], -v[48:49]
	v_add_f64 v[38:39], v[42:43], v[38:39]
	v_add_f64 v[42:43], v[66:67], v[38:39]
	v_add_f64 v[44:45], v[66:67], -v[42:43]
	v_add_f64 v[38:39], v[38:39], v[44:45]
	v_mul_f64 v[44:45], v[46:47], v[42:43]
	v_mul_f64 v[48:49], v[32:33], v[44:45]
	v_fma_f64 v[32:33], v[44:45], v[32:33], -v[48:49]
	v_fmac_f64_e32 v[32:33], v[44:45], v[30:31]
	v_add_f64 v[30:31], v[48:49], v[32:33]
	v_add_f64 v[50:51], v[42:43], -v[30:31]
	v_add_f64 v[42:43], v[42:43], -v[50:51]
	;; [unrolled: 1-line block ×4, first 2 shown]
	v_add_f64 v[30:31], v[38:39], v[30:31]
	v_add_f64 v[32:33], v[48:49], -v[32:33]
	v_add_f64 v[30:31], v[32:33], v[30:31]
	v_add_f64 v[32:33], v[40:41], v[44:45]
	;; [unrolled: 1-line block ×3, first 2 shown]
	v_add_f64 v[38:39], v[32:33], -v[40:41]
	v_mul_f64 v[30:31], v[46:47], v[30:31]
	v_add_f64 v[38:39], v[44:45], -v[38:39]
	v_add_f64 v[30:31], v[38:39], v[30:31]
	v_add_f64 v[38:39], v[32:33], v[30:31]
	v_add_f64 v[32:33], v[38:39], -v[32:33]
	s_mov_b32 s0, 0xbf559e2b
	v_add_f64 v[30:31], v[30:31], -v[32:33]
	v_mul_f64 v[32:33], v[38:39], v[38:39]
	v_mov_b32_e32 v40, 0x6b47b09a
	v_mov_b32_e32 v41, 0x3fc38538
	s_mov_b32 s1, 0x3fc3ab76
	v_fmac_f64_e32 v[40:41], s[0:1], v[32:33]
	v_mov_b32_e32 v42, 0xd7f4df2e
	v_mov_b32_e32 v43, 0x3fc7474d
	v_fmac_f64_e32 v[42:43], v[32:33], v[40:41]
	v_mov_b32_e32 v40, 0x16291751
	v_mov_b32_e32 v41, 0x3fcc71c0
	;; [unrolled: 3-line block ×5, first 2 shown]
	v_fmac_f64_e32 v[42:43], v[32:33], v[40:41]
	v_cvt_f64_i32_e32 v[40:41], v68
	v_mul_f64 v[44:45], v[40:41], s[34:35]
	v_fma_f64 v[46:47], v[40:41], s[34:35], -v[44:45]
	v_fmac_f64_e32 v[46:47], s[36:37], v[40:41]
	v_add_f64 v[40:41], v[44:45], v[46:47]
	v_add_f64 v[44:45], v[40:41], -v[44:45]
	v_mul_f64 v[32:33], v[38:39], v[32:33]
	v_add_f64 v[44:45], v[46:47], -v[44:45]
	v_ldexp_f64 v[46:47], v[38:39], 1
	v_mul_f64 v[32:33], v[32:33], v[42:43]
	v_add_f64 v[38:39], v[46:47], v[32:33]
	v_add_f64 v[42:43], v[38:39], -v[46:47]
	v_ldexp_f64 v[30:31], v[30:31], 1
	v_add_f64 v[32:33], v[32:33], -v[42:43]
	v_add_f64 v[30:31], v[30:31], v[32:33]
	v_add_f64 v[32:33], v[38:39], v[30:31]
	v_add_f64 v[38:39], v[32:33], -v[38:39]
	v_add_f64 v[30:31], v[30:31], -v[38:39]
	v_add_f64 v[38:39], v[40:41], v[32:33]
	v_add_f64 v[42:43], v[38:39], -v[40:41]
	v_add_f64 v[46:47], v[38:39], -v[42:43]
	;; [unrolled: 1-line block ×4, first 2 shown]
	v_add_f64 v[32:33], v[32:33], v[40:41]
	v_add_f64 v[40:41], v[44:45], v[30:31]
	v_add_f64 v[42:43], v[40:41], -v[44:45]
	v_add_f64 v[32:33], v[40:41], v[32:33]
	v_add_f64 v[46:47], v[40:41], -v[42:43]
	;; [unrolled: 2-line block ×3, first 2 shown]
	v_add_f64 v[30:31], v[30:31], -v[42:43]
	v_add_f64 v[38:39], v[40:41], -v[38:39]
	v_add_f64 v[30:31], v[30:31], v[44:45]
	v_add_f64 v[32:33], v[32:33], -v[38:39]
	s_mov_b32 s0, 0
	v_add_f64 v[30:31], v[30:31], v[32:33]
	s_mov_b32 s1, 0x7ff00000
	v_add_f64 v[30:31], v[40:41], v[30:31]
	v_cmp_eq_f64_e64 s[0:1], s[0:1], v[20:21]
	v_mov_b32_e32 v32, 0x7ff80000
	s_nop 0
	v_cndmask_b32_e64 v30, v30, v20, s[0:1]
	v_cndmask_b32_e64 v31, v31, v21, s[0:1]
	v_cmp_ngt_f64_e64 s[0:1], -1.0, v[20:21]
	s_nop 1
	v_cndmask_b32_e64 v31, v32, v31, s[0:1]
	v_cmp_nge_f64_e64 s[0:1], -1.0, v[20:21]
	v_mov_b32_e32 v32, 0xfff00000
	s_nop 0
	v_cndmask_b32_e64 v30, 0, v30, s[0:1]
	v_cmp_neq_f64_e64 s[0:1], -1.0, v[20:21]
	s_nop 1
	v_cndmask_b32_e64 v31, v32, v31, s[0:1]
	v_add_f64 v[20:21], v[28:29], v[30:31]
.LBB40_118:
	s_or_b64 exec, exec, s[30:31]
	v_max_f64 v[28:29], v[20:21], v[20:21]
	v_min_f64 v[30:31], v[28:29], v[52:53]
	v_cmp_u_f64_e64 s[0:1], v[20:21], v[20:21]
	v_max_f64 v[28:29], v[28:29], v[52:53]
	s_nop 0
	v_cndmask_b32_e64 v30, v30, v20, s[0:1]
	v_cndmask_b32_e64 v31, v31, v21, s[0:1]
	;; [unrolled: 1-line block ×8, first 2 shown]
	v_cmp_neq_f64_e64 s[0:1], v[30:31], v[28:29]
	v_cmp_class_f64_e64 s[28:29], v[30:31], s33
	s_or_b64 s[0:1], s[0:1], s[28:29]
	v_mov_b64_e32 v[14:15], v[20:21]
	s_and_saveexec_b64 s[30:31], s[0:1]
	s_cbranch_execz .LBB40_120
; %bb.119:
	s_mov_b32 s0, 0x652b82fe
	v_add_f64 v[14:15], v[30:31], -v[28:29]
	s_mov_b32 s1, 0x3ff71547
	v_mul_f64 v[30:31], v[14:15], s[0:1]
	v_rndne_f64_e32 v[30:31], v[30:31]
	s_mov_b32 s35, 0xbfe62e42
	s_mov_b32 s34, 0xfefa39ef
	v_fma_f64 v[32:33], s[34:35], v[30:31], v[14:15]
	s_mov_b32 s37, 0xbc7abc9e
	s_mov_b32 s36, 0x3b39803f
	;; [unrolled: 1-line block ×3, first 2 shown]
	v_fmac_f64_e32 v[32:33], s[36:37], v[30:31]
	v_mov_b32_e32 v38, 0xfca7ab0c
	v_mov_b32_e32 v39, 0x3e928af3
	s_mov_b32 s1, 0x3e5ade15
	v_fmac_f64_e32 v[38:39], s[0:1], v[32:33]
	v_mov_b32_e32 v40, 0x623fde64
	v_mov_b32_e32 v41, 0x3ec71dee
	v_fmac_f64_e32 v[40:41], v[32:33], v[38:39]
	v_mov_b32_e32 v38, 0x7c89e6b0
	v_mov_b32_e32 v39, 0x3efa0199
	;; [unrolled: 3-line block ×8, first 2 shown]
	v_fmac_f64_e32 v[38:39], v[32:33], v[40:41]
	v_fma_f64 v[38:39], v[32:33], v[38:39], 1.0
	s_mov_b32 s0, 0
	s_mov_b32 s28, 0
	v_fma_f64 v[32:33], v[32:33], v[38:39], 1.0
	v_cvt_i32_f64_e32 v30, v[30:31]
	s_mov_b32 s1, 0x40900000
	s_mov_b32 s29, 0xc090cc00
	v_ldexp_f64 v[30:31], v[32:33], v30
	v_mov_b32_e32 v32, 0x7ff00000
	v_cmp_nlt_f64_e64 s[0:1], s[0:1], v[14:15]
	v_cmp_ngt_f64_e64 s[28:29], s[28:29], v[14:15]
	s_mov_b32 s35, 0x3fe62e42
	v_cndmask_b32_e64 v31, v32, v31, s[0:1]
	s_and_b64 s[0:1], s[28:29], s[0:1]
	v_cndmask_b32_e64 v15, 0, v31, s[28:29]
	v_cndmask_b32_e64 v14, 0, v30, s[0:1]
	v_add_f64 v[30:31], v[14:15], 1.0
	v_add_f64 v[32:33], v[30:31], -1.0
	v_add_f64 v[38:39], v[32:33], -v[30:31]
	v_add_f64 v[38:39], v[38:39], 1.0
	v_add_f64 v[32:33], v[14:15], -v[32:33]
	s_mov_b32 s0, 0x55555555
	v_add_f64 v[32:33], v[32:33], v[38:39]
	v_frexp_mant_f64_e32 v[38:39], v[30:31]
	s_mov_b32 s1, 0x3fe55555
	v_frexp_exp_i32_f64_e32 v40, v[30:31]
	v_cmp_gt_f64_e64 s[0:1], s[0:1], v[38:39]
	s_mov_b32 s37, 0x3c7abc9e
	s_nop 0
	v_subbrev_co_u32_e64 v66, s[0:1], 0, v40, s[0:1]
	v_sub_u32_e32 v38, 0, v66
	v_ldexp_f64 v[30:31], v[30:31], v38
	v_ldexp_f64 v[32:33], v[32:33], v38
	v_add_f64 v[38:39], v[30:31], -1.0
	v_add_f64 v[44:45], v[30:31], 1.0
	v_add_f64 v[40:41], v[38:39], 1.0
	v_add_f64 v[46:47], v[44:45], -1.0
	v_add_f64 v[40:41], v[30:31], -v[40:41]
	v_add_f64 v[30:31], v[30:31], -v[46:47]
	v_add_f64 v[30:31], v[32:33], v[30:31]
	v_add_f64 v[40:41], v[32:33], v[40:41]
	;; [unrolled: 1-line block ×3, first 2 shown]
	v_rcp_f64_e32 v[46:47], v[32:33]
	v_add_f64 v[42:43], v[38:39], v[40:41]
	v_add_f64 v[38:39], v[42:43], -v[38:39]
	v_add_f64 v[38:39], v[40:41], -v[38:39]
	;; [unrolled: 1-line block ×4, first 2 shown]
	v_fma_f64 v[40:41], -v[32:33], v[46:47], 1.0
	v_fmac_f64_e32 v[46:47], v[40:41], v[46:47]
	v_fma_f64 v[40:41], -v[32:33], v[46:47], 1.0
	v_fmac_f64_e32 v[46:47], v[40:41], v[46:47]
	v_mul_f64 v[40:41], v[42:43], v[46:47]
	v_mul_f64 v[44:45], v[32:33], v[40:41]
	v_fma_f64 v[48:49], v[40:41], v[32:33], -v[44:45]
	v_fmac_f64_e32 v[48:49], v[40:41], v[30:31]
	v_add_f64 v[50:51], v[44:45], v[48:49]
	v_add_f64 v[52:53], v[42:43], -v[50:51]
	v_add_f64 v[42:43], v[42:43], -v[52:53]
	v_add_f64 v[44:45], v[50:51], -v[44:45]
	v_add_f64 v[42:43], v[42:43], -v[50:51]
	v_add_f64 v[38:39], v[38:39], v[42:43]
	v_add_f64 v[42:43], v[44:45], -v[48:49]
	v_add_f64 v[38:39], v[42:43], v[38:39]
	v_add_f64 v[42:43], v[52:53], v[38:39]
	v_add_f64 v[44:45], v[52:53], -v[42:43]
	v_add_f64 v[38:39], v[38:39], v[44:45]
	v_mul_f64 v[44:45], v[46:47], v[42:43]
	v_mul_f64 v[48:49], v[32:33], v[44:45]
	v_fma_f64 v[32:33], v[44:45], v[32:33], -v[48:49]
	v_fmac_f64_e32 v[32:33], v[44:45], v[30:31]
	v_add_f64 v[30:31], v[48:49], v[32:33]
	v_add_f64 v[50:51], v[42:43], -v[30:31]
	v_add_f64 v[42:43], v[42:43], -v[50:51]
	;; [unrolled: 1-line block ×4, first 2 shown]
	v_add_f64 v[30:31], v[38:39], v[30:31]
	v_add_f64 v[32:33], v[48:49], -v[32:33]
	v_add_f64 v[30:31], v[32:33], v[30:31]
	v_add_f64 v[32:33], v[40:41], v[44:45]
	;; [unrolled: 1-line block ×3, first 2 shown]
	v_add_f64 v[38:39], v[32:33], -v[40:41]
	v_mul_f64 v[30:31], v[46:47], v[30:31]
	v_add_f64 v[38:39], v[44:45], -v[38:39]
	v_add_f64 v[30:31], v[38:39], v[30:31]
	v_add_f64 v[38:39], v[32:33], v[30:31]
	v_add_f64 v[32:33], v[38:39], -v[32:33]
	s_mov_b32 s0, 0xbf559e2b
	v_add_f64 v[30:31], v[30:31], -v[32:33]
	v_mul_f64 v[32:33], v[38:39], v[38:39]
	v_mov_b32_e32 v40, 0x6b47b09a
	v_mov_b32_e32 v41, 0x3fc38538
	s_mov_b32 s1, 0x3fc3ab76
	v_fmac_f64_e32 v[40:41], s[0:1], v[32:33]
	v_mov_b32_e32 v42, 0xd7f4df2e
	v_mov_b32_e32 v43, 0x3fc7474d
	v_fmac_f64_e32 v[42:43], v[32:33], v[40:41]
	v_mov_b32_e32 v40, 0x16291751
	v_mov_b32_e32 v41, 0x3fcc71c0
	;; [unrolled: 3-line block ×5, first 2 shown]
	v_fmac_f64_e32 v[42:43], v[32:33], v[40:41]
	v_cvt_f64_i32_e32 v[40:41], v66
	v_mul_f64 v[44:45], v[40:41], s[34:35]
	v_fma_f64 v[46:47], v[40:41], s[34:35], -v[44:45]
	v_fmac_f64_e32 v[46:47], s[36:37], v[40:41]
	v_add_f64 v[40:41], v[44:45], v[46:47]
	v_add_f64 v[44:45], v[40:41], -v[44:45]
	v_mul_f64 v[32:33], v[38:39], v[32:33]
	v_add_f64 v[44:45], v[46:47], -v[44:45]
	v_ldexp_f64 v[46:47], v[38:39], 1
	v_mul_f64 v[32:33], v[32:33], v[42:43]
	v_add_f64 v[38:39], v[46:47], v[32:33]
	v_add_f64 v[42:43], v[38:39], -v[46:47]
	v_ldexp_f64 v[30:31], v[30:31], 1
	v_add_f64 v[32:33], v[32:33], -v[42:43]
	v_add_f64 v[30:31], v[30:31], v[32:33]
	v_add_f64 v[32:33], v[38:39], v[30:31]
	v_add_f64 v[38:39], v[32:33], -v[38:39]
	v_add_f64 v[30:31], v[30:31], -v[38:39]
	v_add_f64 v[38:39], v[40:41], v[32:33]
	v_add_f64 v[42:43], v[38:39], -v[40:41]
	v_add_f64 v[46:47], v[38:39], -v[42:43]
	;; [unrolled: 1-line block ×4, first 2 shown]
	v_add_f64 v[32:33], v[32:33], v[40:41]
	v_add_f64 v[40:41], v[44:45], v[30:31]
	v_add_f64 v[42:43], v[40:41], -v[44:45]
	v_add_f64 v[32:33], v[40:41], v[32:33]
	v_add_f64 v[46:47], v[40:41], -v[42:43]
	;; [unrolled: 2-line block ×3, first 2 shown]
	v_add_f64 v[30:31], v[30:31], -v[42:43]
	v_add_f64 v[38:39], v[40:41], -v[38:39]
	v_add_f64 v[30:31], v[30:31], v[44:45]
	v_add_f64 v[32:33], v[32:33], -v[38:39]
	s_mov_b32 s0, 0
	v_add_f64 v[30:31], v[30:31], v[32:33]
	s_mov_b32 s1, 0x7ff00000
	v_add_f64 v[30:31], v[40:41], v[30:31]
	v_cmp_eq_f64_e64 s[0:1], s[0:1], v[14:15]
	v_mov_b32_e32 v32, 0x7ff80000
	s_nop 0
	v_cndmask_b32_e64 v30, v30, v14, s[0:1]
	v_cndmask_b32_e64 v31, v31, v15, s[0:1]
	v_cmp_ngt_f64_e64 s[0:1], -1.0, v[14:15]
	s_nop 1
	v_cndmask_b32_e64 v31, v32, v31, s[0:1]
	v_cmp_nge_f64_e64 s[0:1], -1.0, v[14:15]
	v_mov_b32_e32 v32, 0xfff00000
	s_nop 0
	v_cndmask_b32_e64 v30, 0, v30, s[0:1]
	v_cmp_neq_f64_e64 s[0:1], -1.0, v[14:15]
	s_nop 1
	v_cndmask_b32_e64 v31, v32, v31, s[0:1]
	v_add_f64 v[14:15], v[28:29], v[30:31]
.LBB40_120:
	s_or_b64 exec, exec, s[30:31]
	v_max_f64 v[28:29], v[14:15], v[14:15]
	v_min_f64 v[30:31], v[28:29], v[54:55]
	v_cmp_u_f64_e64 s[0:1], v[14:15], v[14:15]
	v_max_f64 v[28:29], v[28:29], v[54:55]
	s_nop 0
	v_cndmask_b32_e64 v30, v30, v14, s[0:1]
	v_cndmask_b32_e64 v31, v31, v15, s[0:1]
	;; [unrolled: 1-line block ×8, first 2 shown]
	v_cmp_neq_f64_e64 s[0:1], v[30:31], v[28:29]
	v_cmp_class_f64_e64 s[28:29], v[30:31], s33
	s_or_b64 s[0:1], s[0:1], s[28:29]
	v_mov_b64_e32 v[16:17], v[14:15]
	s_and_saveexec_b64 s[30:31], s[0:1]
	s_cbranch_execz .LBB40_122
; %bb.121:
	s_mov_b32 s0, 0x652b82fe
	v_add_f64 v[16:17], v[30:31], -v[28:29]
	s_mov_b32 s1, 0x3ff71547
	v_mul_f64 v[30:31], v[16:17], s[0:1]
	v_rndne_f64_e32 v[30:31], v[30:31]
	s_mov_b32 s35, 0xbfe62e42
	s_mov_b32 s34, 0xfefa39ef
	v_fma_f64 v[32:33], s[34:35], v[30:31], v[16:17]
	s_mov_b32 s37, 0xbc7abc9e
	s_mov_b32 s36, 0x3b39803f
	;; [unrolled: 1-line block ×3, first 2 shown]
	v_fmac_f64_e32 v[32:33], s[36:37], v[30:31]
	v_mov_b32_e32 v38, 0xfca7ab0c
	v_mov_b32_e32 v39, 0x3e928af3
	s_mov_b32 s1, 0x3e5ade15
	v_fmac_f64_e32 v[38:39], s[0:1], v[32:33]
	v_mov_b32_e32 v40, 0x623fde64
	v_mov_b32_e32 v41, 0x3ec71dee
	v_fmac_f64_e32 v[40:41], v[32:33], v[38:39]
	v_mov_b32_e32 v38, 0x7c89e6b0
	v_mov_b32_e32 v39, 0x3efa0199
	;; [unrolled: 3-line block ×8, first 2 shown]
	v_fmac_f64_e32 v[38:39], v[32:33], v[40:41]
	v_fma_f64 v[38:39], v[32:33], v[38:39], 1.0
	s_mov_b32 s0, 0
	s_mov_b32 s28, 0
	v_fma_f64 v[32:33], v[32:33], v[38:39], 1.0
	v_cvt_i32_f64_e32 v30, v[30:31]
	s_mov_b32 s1, 0x40900000
	s_mov_b32 s29, 0xc090cc00
	v_ldexp_f64 v[30:31], v[32:33], v30
	v_mov_b32_e32 v32, 0x7ff00000
	v_cmp_nlt_f64_e64 s[0:1], s[0:1], v[16:17]
	v_cmp_ngt_f64_e64 s[28:29], s[28:29], v[16:17]
	s_mov_b32 s35, 0x3fe62e42
	v_cndmask_b32_e64 v31, v32, v31, s[0:1]
	s_and_b64 s[0:1], s[28:29], s[0:1]
	v_cndmask_b32_e64 v17, 0, v31, s[28:29]
	v_cndmask_b32_e64 v16, 0, v30, s[0:1]
	v_add_f64 v[30:31], v[16:17], 1.0
	v_add_f64 v[32:33], v[30:31], -1.0
	v_add_f64 v[38:39], v[32:33], -v[30:31]
	v_add_f64 v[38:39], v[38:39], 1.0
	v_add_f64 v[32:33], v[16:17], -v[32:33]
	s_mov_b32 s0, 0x55555555
	v_add_f64 v[32:33], v[32:33], v[38:39]
	v_frexp_mant_f64_e32 v[38:39], v[30:31]
	s_mov_b32 s1, 0x3fe55555
	v_frexp_exp_i32_f64_e32 v40, v[30:31]
	v_cmp_gt_f64_e64 s[0:1], s[0:1], v[38:39]
	s_mov_b32 s37, 0x3c7abc9e
	s_nop 0
	v_subbrev_co_u32_e64 v54, s[0:1], 0, v40, s[0:1]
	v_sub_u32_e32 v38, 0, v54
	v_ldexp_f64 v[30:31], v[30:31], v38
	v_ldexp_f64 v[32:33], v[32:33], v38
	v_add_f64 v[38:39], v[30:31], -1.0
	v_add_f64 v[44:45], v[30:31], 1.0
	v_add_f64 v[40:41], v[38:39], 1.0
	v_add_f64 v[46:47], v[44:45], -1.0
	v_add_f64 v[40:41], v[30:31], -v[40:41]
	v_add_f64 v[30:31], v[30:31], -v[46:47]
	v_add_f64 v[30:31], v[32:33], v[30:31]
	v_add_f64 v[40:41], v[32:33], v[40:41]
	;; [unrolled: 1-line block ×3, first 2 shown]
	v_rcp_f64_e32 v[46:47], v[32:33]
	v_add_f64 v[42:43], v[38:39], v[40:41]
	v_add_f64 v[38:39], v[42:43], -v[38:39]
	v_add_f64 v[38:39], v[40:41], -v[38:39]
	;; [unrolled: 1-line block ×4, first 2 shown]
	v_fma_f64 v[40:41], -v[32:33], v[46:47], 1.0
	v_fmac_f64_e32 v[46:47], v[40:41], v[46:47]
	v_fma_f64 v[40:41], -v[32:33], v[46:47], 1.0
	v_fmac_f64_e32 v[46:47], v[40:41], v[46:47]
	v_mul_f64 v[40:41], v[42:43], v[46:47]
	v_mul_f64 v[44:45], v[32:33], v[40:41]
	v_fma_f64 v[48:49], v[40:41], v[32:33], -v[44:45]
	v_fmac_f64_e32 v[48:49], v[40:41], v[30:31]
	v_add_f64 v[50:51], v[44:45], v[48:49]
	v_add_f64 v[52:53], v[42:43], -v[50:51]
	v_add_f64 v[42:43], v[42:43], -v[52:53]
	;; [unrolled: 1-line block ×4, first 2 shown]
	v_add_f64 v[38:39], v[38:39], v[42:43]
	v_add_f64 v[42:43], v[44:45], -v[48:49]
	v_add_f64 v[38:39], v[42:43], v[38:39]
	v_add_f64 v[42:43], v[52:53], v[38:39]
	v_add_f64 v[44:45], v[52:53], -v[42:43]
	v_add_f64 v[38:39], v[38:39], v[44:45]
	v_mul_f64 v[44:45], v[46:47], v[42:43]
	v_mul_f64 v[48:49], v[32:33], v[44:45]
	v_fma_f64 v[32:33], v[44:45], v[32:33], -v[48:49]
	v_fmac_f64_e32 v[32:33], v[44:45], v[30:31]
	v_add_f64 v[30:31], v[48:49], v[32:33]
	v_add_f64 v[50:51], v[42:43], -v[30:31]
	v_add_f64 v[42:43], v[42:43], -v[50:51]
	;; [unrolled: 1-line block ×4, first 2 shown]
	v_add_f64 v[30:31], v[38:39], v[30:31]
	v_add_f64 v[32:33], v[48:49], -v[32:33]
	v_add_f64 v[30:31], v[32:33], v[30:31]
	v_add_f64 v[32:33], v[40:41], v[44:45]
	;; [unrolled: 1-line block ×3, first 2 shown]
	v_add_f64 v[38:39], v[32:33], -v[40:41]
	v_mul_f64 v[30:31], v[46:47], v[30:31]
	v_add_f64 v[38:39], v[44:45], -v[38:39]
	v_add_f64 v[30:31], v[38:39], v[30:31]
	v_add_f64 v[38:39], v[32:33], v[30:31]
	v_add_f64 v[32:33], v[38:39], -v[32:33]
	s_mov_b32 s0, 0xbf559e2b
	v_add_f64 v[30:31], v[30:31], -v[32:33]
	v_mul_f64 v[32:33], v[38:39], v[38:39]
	v_mov_b32_e32 v40, 0x6b47b09a
	v_mov_b32_e32 v41, 0x3fc38538
	s_mov_b32 s1, 0x3fc3ab76
	v_fmac_f64_e32 v[40:41], s[0:1], v[32:33]
	v_mov_b32_e32 v42, 0xd7f4df2e
	v_mov_b32_e32 v43, 0x3fc7474d
	v_fmac_f64_e32 v[42:43], v[32:33], v[40:41]
	v_mov_b32_e32 v40, 0x16291751
	v_mov_b32_e32 v41, 0x3fcc71c0
	;; [unrolled: 3-line block ×5, first 2 shown]
	v_fmac_f64_e32 v[42:43], v[32:33], v[40:41]
	v_cvt_f64_i32_e32 v[40:41], v54
	v_mul_f64 v[44:45], v[40:41], s[34:35]
	v_fma_f64 v[46:47], v[40:41], s[34:35], -v[44:45]
	v_fmac_f64_e32 v[46:47], s[36:37], v[40:41]
	v_add_f64 v[40:41], v[44:45], v[46:47]
	v_add_f64 v[44:45], v[40:41], -v[44:45]
	v_mul_f64 v[32:33], v[38:39], v[32:33]
	v_add_f64 v[44:45], v[46:47], -v[44:45]
	v_ldexp_f64 v[46:47], v[38:39], 1
	v_mul_f64 v[32:33], v[32:33], v[42:43]
	v_add_f64 v[38:39], v[46:47], v[32:33]
	v_add_f64 v[42:43], v[38:39], -v[46:47]
	v_ldexp_f64 v[30:31], v[30:31], 1
	v_add_f64 v[32:33], v[32:33], -v[42:43]
	v_add_f64 v[30:31], v[30:31], v[32:33]
	v_add_f64 v[32:33], v[38:39], v[30:31]
	v_add_f64 v[38:39], v[32:33], -v[38:39]
	v_add_f64 v[30:31], v[30:31], -v[38:39]
	v_add_f64 v[38:39], v[40:41], v[32:33]
	v_add_f64 v[42:43], v[38:39], -v[40:41]
	v_add_f64 v[46:47], v[38:39], -v[42:43]
	;; [unrolled: 1-line block ×4, first 2 shown]
	v_add_f64 v[32:33], v[32:33], v[40:41]
	v_add_f64 v[40:41], v[44:45], v[30:31]
	v_add_f64 v[42:43], v[40:41], -v[44:45]
	v_add_f64 v[32:33], v[40:41], v[32:33]
	v_add_f64 v[46:47], v[40:41], -v[42:43]
	;; [unrolled: 2-line block ×3, first 2 shown]
	v_add_f64 v[30:31], v[30:31], -v[42:43]
	v_add_f64 v[38:39], v[40:41], -v[38:39]
	v_add_f64 v[30:31], v[30:31], v[44:45]
	v_add_f64 v[32:33], v[32:33], -v[38:39]
	s_mov_b32 s0, 0
	v_add_f64 v[30:31], v[30:31], v[32:33]
	s_mov_b32 s1, 0x7ff00000
	v_add_f64 v[30:31], v[40:41], v[30:31]
	v_cmp_eq_f64_e64 s[0:1], s[0:1], v[16:17]
	v_mov_b32_e32 v32, 0x7ff80000
	s_nop 0
	v_cndmask_b32_e64 v30, v30, v16, s[0:1]
	v_cndmask_b32_e64 v31, v31, v17, s[0:1]
	v_cmp_ngt_f64_e64 s[0:1], -1.0, v[16:17]
	s_nop 1
	v_cndmask_b32_e64 v31, v32, v31, s[0:1]
	v_cmp_nge_f64_e64 s[0:1], -1.0, v[16:17]
	v_mov_b32_e32 v32, 0xfff00000
	s_nop 0
	v_cndmask_b32_e64 v30, 0, v30, s[0:1]
	v_cmp_neq_f64_e64 s[0:1], -1.0, v[16:17]
	s_nop 1
	v_cndmask_b32_e64 v31, v32, v31, s[0:1]
	v_add_f64 v[16:17], v[28:29], v[30:31]
.LBB40_122:
	s_or_b64 exec, exec, s[30:31]
	v_max_f64 v[28:29], v[16:17], v[16:17]
	v_min_f64 v[30:31], v[28:29], v[56:57]
	v_cmp_u_f64_e64 s[0:1], v[16:17], v[16:17]
	v_max_f64 v[28:29], v[28:29], v[56:57]
	s_nop 0
	v_cndmask_b32_e64 v30, v30, v16, s[0:1]
	v_cndmask_b32_e64 v31, v31, v17, s[0:1]
	;; [unrolled: 1-line block ×8, first 2 shown]
	v_cmp_neq_f64_e64 s[0:1], v[30:31], v[28:29]
	v_cmp_class_f64_e64 s[28:29], v[30:31], s33
	s_or_b64 s[0:1], s[0:1], s[28:29]
	v_mov_b64_e32 v[10:11], v[16:17]
	s_and_saveexec_b64 s[30:31], s[0:1]
	s_cbranch_execz .LBB40_124
; %bb.123:
	s_mov_b32 s0, 0x652b82fe
	v_add_f64 v[10:11], v[30:31], -v[28:29]
	s_mov_b32 s1, 0x3ff71547
	v_mul_f64 v[30:31], v[10:11], s[0:1]
	v_rndne_f64_e32 v[30:31], v[30:31]
	s_mov_b32 s35, 0xbfe62e42
	s_mov_b32 s34, 0xfefa39ef
	v_fma_f64 v[32:33], s[34:35], v[30:31], v[10:11]
	s_mov_b32 s37, 0xbc7abc9e
	s_mov_b32 s36, 0x3b39803f
	;; [unrolled: 1-line block ×3, first 2 shown]
	v_fmac_f64_e32 v[32:33], s[36:37], v[30:31]
	v_mov_b32_e32 v38, 0xfca7ab0c
	v_mov_b32_e32 v39, 0x3e928af3
	s_mov_b32 s1, 0x3e5ade15
	v_fmac_f64_e32 v[38:39], s[0:1], v[32:33]
	v_mov_b32_e32 v40, 0x623fde64
	v_mov_b32_e32 v41, 0x3ec71dee
	v_fmac_f64_e32 v[40:41], v[32:33], v[38:39]
	v_mov_b32_e32 v38, 0x7c89e6b0
	v_mov_b32_e32 v39, 0x3efa0199
	;; [unrolled: 3-line block ×8, first 2 shown]
	v_fmac_f64_e32 v[38:39], v[32:33], v[40:41]
	v_fma_f64 v[38:39], v[32:33], v[38:39], 1.0
	s_mov_b32 s0, 0
	s_mov_b32 s28, 0
	v_fma_f64 v[32:33], v[32:33], v[38:39], 1.0
	v_cvt_i32_f64_e32 v30, v[30:31]
	s_mov_b32 s1, 0x40900000
	s_mov_b32 s29, 0xc090cc00
	v_ldexp_f64 v[30:31], v[32:33], v30
	v_mov_b32_e32 v32, 0x7ff00000
	v_cmp_nlt_f64_e64 s[0:1], s[0:1], v[10:11]
	v_cmp_ngt_f64_e64 s[28:29], s[28:29], v[10:11]
	s_mov_b32 s35, 0x3fe62e42
	v_cndmask_b32_e64 v31, v32, v31, s[0:1]
	s_and_b64 s[0:1], s[28:29], s[0:1]
	v_cndmask_b32_e64 v11, 0, v31, s[28:29]
	v_cndmask_b32_e64 v10, 0, v30, s[0:1]
	v_add_f64 v[30:31], v[10:11], 1.0
	v_add_f64 v[32:33], v[30:31], -1.0
	v_add_f64 v[38:39], v[32:33], -v[30:31]
	v_add_f64 v[38:39], v[38:39], 1.0
	v_add_f64 v[32:33], v[10:11], -v[32:33]
	s_mov_b32 s0, 0x55555555
	v_add_f64 v[32:33], v[32:33], v[38:39]
	v_frexp_mant_f64_e32 v[38:39], v[30:31]
	s_mov_b32 s1, 0x3fe55555
	v_frexp_exp_i32_f64_e32 v40, v[30:31]
	v_cmp_gt_f64_e64 s[0:1], s[0:1], v[38:39]
	s_mov_b32 s37, 0x3c7abc9e
	s_nop 0
	v_subbrev_co_u32_e64 v54, s[0:1], 0, v40, s[0:1]
	v_sub_u32_e32 v38, 0, v54
	v_ldexp_f64 v[30:31], v[30:31], v38
	v_ldexp_f64 v[32:33], v[32:33], v38
	v_add_f64 v[38:39], v[30:31], -1.0
	v_add_f64 v[44:45], v[30:31], 1.0
	v_add_f64 v[40:41], v[38:39], 1.0
	v_add_f64 v[46:47], v[44:45], -1.0
	v_add_f64 v[40:41], v[30:31], -v[40:41]
	v_add_f64 v[30:31], v[30:31], -v[46:47]
	v_add_f64 v[30:31], v[32:33], v[30:31]
	v_add_f64 v[40:41], v[32:33], v[40:41]
	;; [unrolled: 1-line block ×3, first 2 shown]
	v_rcp_f64_e32 v[46:47], v[32:33]
	v_add_f64 v[42:43], v[38:39], v[40:41]
	v_add_f64 v[38:39], v[42:43], -v[38:39]
	v_add_f64 v[38:39], v[40:41], -v[38:39]
	;; [unrolled: 1-line block ×4, first 2 shown]
	v_fma_f64 v[40:41], -v[32:33], v[46:47], 1.0
	v_fmac_f64_e32 v[46:47], v[40:41], v[46:47]
	v_fma_f64 v[40:41], -v[32:33], v[46:47], 1.0
	v_fmac_f64_e32 v[46:47], v[40:41], v[46:47]
	v_mul_f64 v[40:41], v[42:43], v[46:47]
	v_mul_f64 v[44:45], v[32:33], v[40:41]
	v_fma_f64 v[48:49], v[40:41], v[32:33], -v[44:45]
	v_fmac_f64_e32 v[48:49], v[40:41], v[30:31]
	v_add_f64 v[50:51], v[44:45], v[48:49]
	v_add_f64 v[52:53], v[42:43], -v[50:51]
	v_add_f64 v[42:43], v[42:43], -v[52:53]
	;; [unrolled: 1-line block ×4, first 2 shown]
	v_add_f64 v[38:39], v[38:39], v[42:43]
	v_add_f64 v[42:43], v[44:45], -v[48:49]
	v_add_f64 v[38:39], v[42:43], v[38:39]
	v_add_f64 v[42:43], v[52:53], v[38:39]
	v_add_f64 v[44:45], v[52:53], -v[42:43]
	v_add_f64 v[38:39], v[38:39], v[44:45]
	v_mul_f64 v[44:45], v[46:47], v[42:43]
	v_mul_f64 v[48:49], v[32:33], v[44:45]
	v_fma_f64 v[32:33], v[44:45], v[32:33], -v[48:49]
	v_fmac_f64_e32 v[32:33], v[44:45], v[30:31]
	v_add_f64 v[30:31], v[48:49], v[32:33]
	v_add_f64 v[50:51], v[42:43], -v[30:31]
	v_add_f64 v[42:43], v[42:43], -v[50:51]
	;; [unrolled: 1-line block ×4, first 2 shown]
	v_add_f64 v[30:31], v[38:39], v[30:31]
	v_add_f64 v[32:33], v[48:49], -v[32:33]
	v_add_f64 v[30:31], v[32:33], v[30:31]
	v_add_f64 v[32:33], v[40:41], v[44:45]
	;; [unrolled: 1-line block ×3, first 2 shown]
	v_add_f64 v[38:39], v[32:33], -v[40:41]
	v_mul_f64 v[30:31], v[46:47], v[30:31]
	v_add_f64 v[38:39], v[44:45], -v[38:39]
	v_add_f64 v[30:31], v[38:39], v[30:31]
	v_add_f64 v[38:39], v[32:33], v[30:31]
	v_add_f64 v[32:33], v[38:39], -v[32:33]
	s_mov_b32 s0, 0xbf559e2b
	v_add_f64 v[30:31], v[30:31], -v[32:33]
	v_mul_f64 v[32:33], v[38:39], v[38:39]
	v_mov_b32_e32 v40, 0x6b47b09a
	v_mov_b32_e32 v41, 0x3fc38538
	s_mov_b32 s1, 0x3fc3ab76
	v_fmac_f64_e32 v[40:41], s[0:1], v[32:33]
	v_mov_b32_e32 v42, 0xd7f4df2e
	v_mov_b32_e32 v43, 0x3fc7474d
	v_fmac_f64_e32 v[42:43], v[32:33], v[40:41]
	v_mov_b32_e32 v40, 0x16291751
	v_mov_b32_e32 v41, 0x3fcc71c0
	;; [unrolled: 3-line block ×5, first 2 shown]
	v_fmac_f64_e32 v[42:43], v[32:33], v[40:41]
	v_cvt_f64_i32_e32 v[40:41], v54
	v_mul_f64 v[44:45], v[40:41], s[34:35]
	v_fma_f64 v[46:47], v[40:41], s[34:35], -v[44:45]
	v_fmac_f64_e32 v[46:47], s[36:37], v[40:41]
	v_add_f64 v[40:41], v[44:45], v[46:47]
	v_add_f64 v[44:45], v[40:41], -v[44:45]
	v_mul_f64 v[32:33], v[38:39], v[32:33]
	v_add_f64 v[44:45], v[46:47], -v[44:45]
	v_ldexp_f64 v[46:47], v[38:39], 1
	v_mul_f64 v[32:33], v[32:33], v[42:43]
	v_add_f64 v[38:39], v[46:47], v[32:33]
	v_add_f64 v[42:43], v[38:39], -v[46:47]
	v_ldexp_f64 v[30:31], v[30:31], 1
	v_add_f64 v[32:33], v[32:33], -v[42:43]
	v_add_f64 v[30:31], v[30:31], v[32:33]
	v_add_f64 v[32:33], v[38:39], v[30:31]
	v_add_f64 v[38:39], v[32:33], -v[38:39]
	v_add_f64 v[30:31], v[30:31], -v[38:39]
	v_add_f64 v[38:39], v[40:41], v[32:33]
	v_add_f64 v[42:43], v[38:39], -v[40:41]
	v_add_f64 v[46:47], v[38:39], -v[42:43]
	;; [unrolled: 1-line block ×4, first 2 shown]
	v_add_f64 v[32:33], v[32:33], v[40:41]
	v_add_f64 v[40:41], v[44:45], v[30:31]
	v_add_f64 v[42:43], v[40:41], -v[44:45]
	v_add_f64 v[32:33], v[40:41], v[32:33]
	v_add_f64 v[46:47], v[40:41], -v[42:43]
	;; [unrolled: 2-line block ×3, first 2 shown]
	v_add_f64 v[30:31], v[30:31], -v[42:43]
	v_add_f64 v[38:39], v[40:41], -v[38:39]
	v_add_f64 v[30:31], v[30:31], v[44:45]
	v_add_f64 v[32:33], v[32:33], -v[38:39]
	s_mov_b32 s0, 0
	v_add_f64 v[30:31], v[30:31], v[32:33]
	s_mov_b32 s1, 0x7ff00000
	v_add_f64 v[30:31], v[40:41], v[30:31]
	v_cmp_eq_f64_e64 s[0:1], s[0:1], v[10:11]
	v_mov_b32_e32 v32, 0x7ff80000
	s_nop 0
	v_cndmask_b32_e64 v30, v30, v10, s[0:1]
	v_cndmask_b32_e64 v31, v31, v11, s[0:1]
	v_cmp_ngt_f64_e64 s[0:1], -1.0, v[10:11]
	s_nop 1
	v_cndmask_b32_e64 v31, v32, v31, s[0:1]
	v_cmp_nge_f64_e64 s[0:1], -1.0, v[10:11]
	v_mov_b32_e32 v32, 0xfff00000
	s_nop 0
	v_cndmask_b32_e64 v30, 0, v30, s[0:1]
	v_cmp_neq_f64_e64 s[0:1], -1.0, v[10:11]
	s_nop 1
	v_cndmask_b32_e64 v31, v32, v31, s[0:1]
	v_add_f64 v[10:11], v[28:29], v[30:31]
.LBB40_124:
	s_or_b64 exec, exec, s[30:31]
	v_max_f64 v[28:29], v[10:11], v[10:11]
	v_min_f64 v[30:31], v[28:29], v[58:59]
	v_cmp_u_f64_e64 s[0:1], v[10:11], v[10:11]
	v_max_f64 v[28:29], v[28:29], v[58:59]
	s_nop 0
	v_cndmask_b32_e64 v30, v30, v10, s[0:1]
	v_cndmask_b32_e64 v31, v31, v11, s[0:1]
	;; [unrolled: 1-line block ×8, first 2 shown]
	v_cmp_neq_f64_e64 s[0:1], v[30:31], v[28:29]
	v_cmp_class_f64_e64 s[28:29], v[30:31], s33
	s_or_b64 s[0:1], s[0:1], s[28:29]
	v_mov_b64_e32 v[12:13], v[10:11]
	s_and_saveexec_b64 s[30:31], s[0:1]
	s_cbranch_execz .LBB40_126
; %bb.125:
	s_mov_b32 s0, 0x652b82fe
	v_add_f64 v[12:13], v[30:31], -v[28:29]
	s_mov_b32 s1, 0x3ff71547
	v_mul_f64 v[30:31], v[12:13], s[0:1]
	v_rndne_f64_e32 v[30:31], v[30:31]
	s_mov_b32 s35, 0xbfe62e42
	s_mov_b32 s34, 0xfefa39ef
	v_fma_f64 v[32:33], s[34:35], v[30:31], v[12:13]
	s_mov_b32 s37, 0xbc7abc9e
	s_mov_b32 s36, 0x3b39803f
	;; [unrolled: 1-line block ×3, first 2 shown]
	v_fmac_f64_e32 v[32:33], s[36:37], v[30:31]
	v_mov_b32_e32 v38, 0xfca7ab0c
	v_mov_b32_e32 v39, 0x3e928af3
	s_mov_b32 s1, 0x3e5ade15
	v_fmac_f64_e32 v[38:39], s[0:1], v[32:33]
	v_mov_b32_e32 v40, 0x623fde64
	v_mov_b32_e32 v41, 0x3ec71dee
	v_fmac_f64_e32 v[40:41], v[32:33], v[38:39]
	v_mov_b32_e32 v38, 0x7c89e6b0
	v_mov_b32_e32 v39, 0x3efa0199
	;; [unrolled: 3-line block ×8, first 2 shown]
	v_fmac_f64_e32 v[38:39], v[32:33], v[40:41]
	v_fma_f64 v[38:39], v[32:33], v[38:39], 1.0
	s_mov_b32 s0, 0
	s_mov_b32 s28, 0
	v_fma_f64 v[32:33], v[32:33], v[38:39], 1.0
	v_cvt_i32_f64_e32 v30, v[30:31]
	s_mov_b32 s1, 0x40900000
	s_mov_b32 s29, 0xc090cc00
	v_ldexp_f64 v[30:31], v[32:33], v30
	v_mov_b32_e32 v32, 0x7ff00000
	v_cmp_nlt_f64_e64 s[0:1], s[0:1], v[12:13]
	v_cmp_ngt_f64_e64 s[28:29], s[28:29], v[12:13]
	s_mov_b32 s35, 0x3fe62e42
	v_cndmask_b32_e64 v31, v32, v31, s[0:1]
	s_and_b64 s[0:1], s[28:29], s[0:1]
	v_cndmask_b32_e64 v13, 0, v31, s[28:29]
	v_cndmask_b32_e64 v12, 0, v30, s[0:1]
	v_add_f64 v[30:31], v[12:13], 1.0
	v_add_f64 v[32:33], v[30:31], -1.0
	v_add_f64 v[38:39], v[32:33], -v[30:31]
	v_add_f64 v[38:39], v[38:39], 1.0
	v_add_f64 v[32:33], v[12:13], -v[32:33]
	s_mov_b32 s0, 0x55555555
	v_add_f64 v[32:33], v[32:33], v[38:39]
	v_frexp_mant_f64_e32 v[38:39], v[30:31]
	s_mov_b32 s1, 0x3fe55555
	v_frexp_exp_i32_f64_e32 v40, v[30:31]
	v_cmp_gt_f64_e64 s[0:1], s[0:1], v[38:39]
	s_mov_b32 s37, 0x3c7abc9e
	s_nop 0
	v_subbrev_co_u32_e64 v54, s[0:1], 0, v40, s[0:1]
	v_sub_u32_e32 v38, 0, v54
	v_ldexp_f64 v[30:31], v[30:31], v38
	v_ldexp_f64 v[32:33], v[32:33], v38
	v_add_f64 v[38:39], v[30:31], -1.0
	v_add_f64 v[44:45], v[30:31], 1.0
	v_add_f64 v[40:41], v[38:39], 1.0
	v_add_f64 v[46:47], v[44:45], -1.0
	v_add_f64 v[40:41], v[30:31], -v[40:41]
	v_add_f64 v[30:31], v[30:31], -v[46:47]
	v_add_f64 v[30:31], v[32:33], v[30:31]
	v_add_f64 v[40:41], v[32:33], v[40:41]
	;; [unrolled: 1-line block ×3, first 2 shown]
	v_rcp_f64_e32 v[46:47], v[32:33]
	v_add_f64 v[42:43], v[38:39], v[40:41]
	v_add_f64 v[38:39], v[42:43], -v[38:39]
	v_add_f64 v[38:39], v[40:41], -v[38:39]
	v_add_f64 v[40:41], v[32:33], -v[44:45]
	v_add_f64 v[30:31], v[30:31], -v[40:41]
	v_fma_f64 v[40:41], -v[32:33], v[46:47], 1.0
	v_fmac_f64_e32 v[46:47], v[40:41], v[46:47]
	v_fma_f64 v[40:41], -v[32:33], v[46:47], 1.0
	v_fmac_f64_e32 v[46:47], v[40:41], v[46:47]
	v_mul_f64 v[40:41], v[42:43], v[46:47]
	v_mul_f64 v[44:45], v[32:33], v[40:41]
	v_fma_f64 v[48:49], v[40:41], v[32:33], -v[44:45]
	v_fmac_f64_e32 v[48:49], v[40:41], v[30:31]
	v_add_f64 v[50:51], v[44:45], v[48:49]
	v_add_f64 v[52:53], v[42:43], -v[50:51]
	v_add_f64 v[42:43], v[42:43], -v[52:53]
	;; [unrolled: 1-line block ×4, first 2 shown]
	v_add_f64 v[38:39], v[38:39], v[42:43]
	v_add_f64 v[42:43], v[44:45], -v[48:49]
	v_add_f64 v[38:39], v[42:43], v[38:39]
	v_add_f64 v[42:43], v[52:53], v[38:39]
	v_add_f64 v[44:45], v[52:53], -v[42:43]
	v_add_f64 v[38:39], v[38:39], v[44:45]
	v_mul_f64 v[44:45], v[46:47], v[42:43]
	v_mul_f64 v[48:49], v[32:33], v[44:45]
	v_fma_f64 v[32:33], v[44:45], v[32:33], -v[48:49]
	v_fmac_f64_e32 v[32:33], v[44:45], v[30:31]
	v_add_f64 v[30:31], v[48:49], v[32:33]
	v_add_f64 v[50:51], v[42:43], -v[30:31]
	v_add_f64 v[42:43], v[42:43], -v[50:51]
	;; [unrolled: 1-line block ×4, first 2 shown]
	v_add_f64 v[30:31], v[38:39], v[30:31]
	v_add_f64 v[32:33], v[48:49], -v[32:33]
	v_add_f64 v[30:31], v[32:33], v[30:31]
	v_add_f64 v[32:33], v[40:41], v[44:45]
	;; [unrolled: 1-line block ×3, first 2 shown]
	v_add_f64 v[38:39], v[32:33], -v[40:41]
	v_mul_f64 v[30:31], v[46:47], v[30:31]
	v_add_f64 v[38:39], v[44:45], -v[38:39]
	v_add_f64 v[30:31], v[38:39], v[30:31]
	v_add_f64 v[38:39], v[32:33], v[30:31]
	v_add_f64 v[32:33], v[38:39], -v[32:33]
	s_mov_b32 s0, 0xbf559e2b
	v_add_f64 v[30:31], v[30:31], -v[32:33]
	v_mul_f64 v[32:33], v[38:39], v[38:39]
	v_mov_b32_e32 v40, 0x6b47b09a
	v_mov_b32_e32 v41, 0x3fc38538
	s_mov_b32 s1, 0x3fc3ab76
	v_fmac_f64_e32 v[40:41], s[0:1], v[32:33]
	v_mov_b32_e32 v42, 0xd7f4df2e
	v_mov_b32_e32 v43, 0x3fc7474d
	v_fmac_f64_e32 v[42:43], v[32:33], v[40:41]
	v_mov_b32_e32 v40, 0x16291751
	v_mov_b32_e32 v41, 0x3fcc71c0
	;; [unrolled: 3-line block ×5, first 2 shown]
	v_fmac_f64_e32 v[42:43], v[32:33], v[40:41]
	v_cvt_f64_i32_e32 v[40:41], v54
	v_mul_f64 v[44:45], v[40:41], s[34:35]
	v_fma_f64 v[46:47], v[40:41], s[34:35], -v[44:45]
	v_fmac_f64_e32 v[46:47], s[36:37], v[40:41]
	v_add_f64 v[40:41], v[44:45], v[46:47]
	v_add_f64 v[44:45], v[40:41], -v[44:45]
	v_mul_f64 v[32:33], v[38:39], v[32:33]
	v_add_f64 v[44:45], v[46:47], -v[44:45]
	v_ldexp_f64 v[46:47], v[38:39], 1
	v_mul_f64 v[32:33], v[32:33], v[42:43]
	v_add_f64 v[38:39], v[46:47], v[32:33]
	v_add_f64 v[42:43], v[38:39], -v[46:47]
	v_ldexp_f64 v[30:31], v[30:31], 1
	v_add_f64 v[32:33], v[32:33], -v[42:43]
	v_add_f64 v[30:31], v[30:31], v[32:33]
	v_add_f64 v[32:33], v[38:39], v[30:31]
	v_add_f64 v[38:39], v[32:33], -v[38:39]
	v_add_f64 v[30:31], v[30:31], -v[38:39]
	v_add_f64 v[38:39], v[40:41], v[32:33]
	v_add_f64 v[42:43], v[38:39], -v[40:41]
	v_add_f64 v[46:47], v[38:39], -v[42:43]
	;; [unrolled: 1-line block ×4, first 2 shown]
	v_add_f64 v[32:33], v[32:33], v[40:41]
	v_add_f64 v[40:41], v[44:45], v[30:31]
	v_add_f64 v[42:43], v[40:41], -v[44:45]
	v_add_f64 v[32:33], v[40:41], v[32:33]
	v_add_f64 v[46:47], v[40:41], -v[42:43]
	;; [unrolled: 2-line block ×3, first 2 shown]
	v_add_f64 v[30:31], v[30:31], -v[42:43]
	v_add_f64 v[38:39], v[40:41], -v[38:39]
	v_add_f64 v[30:31], v[30:31], v[44:45]
	v_add_f64 v[32:33], v[32:33], -v[38:39]
	s_mov_b32 s0, 0
	v_add_f64 v[30:31], v[30:31], v[32:33]
	s_mov_b32 s1, 0x7ff00000
	v_add_f64 v[30:31], v[40:41], v[30:31]
	v_cmp_eq_f64_e64 s[0:1], s[0:1], v[12:13]
	v_mov_b32_e32 v32, 0x7ff80000
	s_nop 0
	v_cndmask_b32_e64 v30, v30, v12, s[0:1]
	v_cndmask_b32_e64 v31, v31, v13, s[0:1]
	v_cmp_ngt_f64_e64 s[0:1], -1.0, v[12:13]
	s_nop 1
	v_cndmask_b32_e64 v31, v32, v31, s[0:1]
	v_cmp_nge_f64_e64 s[0:1], -1.0, v[12:13]
	v_mov_b32_e32 v32, 0xfff00000
	s_nop 0
	v_cndmask_b32_e64 v30, 0, v30, s[0:1]
	v_cmp_neq_f64_e64 s[0:1], -1.0, v[12:13]
	s_nop 1
	v_cndmask_b32_e64 v31, v32, v31, s[0:1]
	v_add_f64 v[12:13], v[28:29], v[30:31]
.LBB40_126:
	s_or_b64 exec, exec, s[30:31]
	v_max_f64 v[28:29], v[12:13], v[12:13]
	v_min_f64 v[30:31], v[28:29], v[60:61]
	v_cmp_u_f64_e64 s[0:1], v[12:13], v[12:13]
	v_max_f64 v[28:29], v[28:29], v[60:61]
	s_nop 0
	v_cndmask_b32_e64 v30, v30, v12, s[0:1]
	v_cndmask_b32_e64 v31, v31, v13, s[0:1]
	;; [unrolled: 1-line block ×8, first 2 shown]
	v_cmp_neq_f64_e64 s[0:1], v[30:31], v[28:29]
	v_cmp_class_f64_e64 s[28:29], v[30:31], s33
	s_or_b64 s[0:1], s[0:1], s[28:29]
	v_mov_b64_e32 v[6:7], v[12:13]
	s_and_saveexec_b64 s[30:31], s[0:1]
	s_cbranch_execz .LBB40_128
; %bb.127:
	s_mov_b32 s0, 0x652b82fe
	v_add_f64 v[6:7], v[30:31], -v[28:29]
	s_mov_b32 s1, 0x3ff71547
	v_mul_f64 v[30:31], v[6:7], s[0:1]
	v_rndne_f64_e32 v[30:31], v[30:31]
	s_mov_b32 s35, 0xbfe62e42
	s_mov_b32 s34, 0xfefa39ef
	v_fma_f64 v[32:33], s[34:35], v[30:31], v[6:7]
	s_mov_b32 s37, 0xbc7abc9e
	s_mov_b32 s36, 0x3b39803f
	;; [unrolled: 1-line block ×3, first 2 shown]
	v_fmac_f64_e32 v[32:33], s[36:37], v[30:31]
	v_mov_b32_e32 v38, 0xfca7ab0c
	v_mov_b32_e32 v39, 0x3e928af3
	s_mov_b32 s1, 0x3e5ade15
	v_fmac_f64_e32 v[38:39], s[0:1], v[32:33]
	v_mov_b32_e32 v40, 0x623fde64
	v_mov_b32_e32 v41, 0x3ec71dee
	v_fmac_f64_e32 v[40:41], v[32:33], v[38:39]
	v_mov_b32_e32 v38, 0x7c89e6b0
	v_mov_b32_e32 v39, 0x3efa0199
	;; [unrolled: 3-line block ×8, first 2 shown]
	v_fmac_f64_e32 v[38:39], v[32:33], v[40:41]
	v_fma_f64 v[38:39], v[32:33], v[38:39], 1.0
	s_mov_b32 s0, 0
	s_mov_b32 s28, 0
	v_fma_f64 v[32:33], v[32:33], v[38:39], 1.0
	v_cvt_i32_f64_e32 v30, v[30:31]
	s_mov_b32 s1, 0x40900000
	s_mov_b32 s29, 0xc090cc00
	v_ldexp_f64 v[30:31], v[32:33], v30
	v_mov_b32_e32 v32, 0x7ff00000
	v_cmp_nlt_f64_e64 s[0:1], s[0:1], v[6:7]
	v_cmp_ngt_f64_e64 s[28:29], s[28:29], v[6:7]
	s_mov_b32 s35, 0x3fe62e42
	v_cndmask_b32_e64 v31, v32, v31, s[0:1]
	s_and_b64 s[0:1], s[28:29], s[0:1]
	v_cndmask_b32_e64 v7, 0, v31, s[28:29]
	v_cndmask_b32_e64 v6, 0, v30, s[0:1]
	v_add_f64 v[30:31], v[6:7], 1.0
	v_add_f64 v[32:33], v[30:31], -1.0
	v_add_f64 v[38:39], v[32:33], -v[30:31]
	v_add_f64 v[38:39], v[38:39], 1.0
	v_add_f64 v[32:33], v[6:7], -v[32:33]
	s_mov_b32 s0, 0x55555555
	v_add_f64 v[32:33], v[32:33], v[38:39]
	v_frexp_mant_f64_e32 v[38:39], v[30:31]
	s_mov_b32 s1, 0x3fe55555
	v_frexp_exp_i32_f64_e32 v40, v[30:31]
	v_cmp_gt_f64_e64 s[0:1], s[0:1], v[38:39]
	s_mov_b32 s37, 0x3c7abc9e
	s_nop 0
	v_subbrev_co_u32_e64 v54, s[0:1], 0, v40, s[0:1]
	v_sub_u32_e32 v38, 0, v54
	v_ldexp_f64 v[30:31], v[30:31], v38
	v_ldexp_f64 v[32:33], v[32:33], v38
	v_add_f64 v[38:39], v[30:31], -1.0
	v_add_f64 v[44:45], v[30:31], 1.0
	v_add_f64 v[40:41], v[38:39], 1.0
	v_add_f64 v[46:47], v[44:45], -1.0
	v_add_f64 v[40:41], v[30:31], -v[40:41]
	v_add_f64 v[30:31], v[30:31], -v[46:47]
	v_add_f64 v[30:31], v[32:33], v[30:31]
	v_add_f64 v[40:41], v[32:33], v[40:41]
	;; [unrolled: 1-line block ×3, first 2 shown]
	v_rcp_f64_e32 v[46:47], v[32:33]
	v_add_f64 v[42:43], v[38:39], v[40:41]
	v_add_f64 v[38:39], v[42:43], -v[38:39]
	v_add_f64 v[38:39], v[40:41], -v[38:39]
	;; [unrolled: 1-line block ×4, first 2 shown]
	v_fma_f64 v[40:41], -v[32:33], v[46:47], 1.0
	v_fmac_f64_e32 v[46:47], v[40:41], v[46:47]
	v_fma_f64 v[40:41], -v[32:33], v[46:47], 1.0
	v_fmac_f64_e32 v[46:47], v[40:41], v[46:47]
	v_mul_f64 v[40:41], v[42:43], v[46:47]
	v_mul_f64 v[44:45], v[32:33], v[40:41]
	v_fma_f64 v[48:49], v[40:41], v[32:33], -v[44:45]
	v_fmac_f64_e32 v[48:49], v[40:41], v[30:31]
	v_add_f64 v[50:51], v[44:45], v[48:49]
	v_add_f64 v[52:53], v[42:43], -v[50:51]
	v_add_f64 v[42:43], v[42:43], -v[52:53]
	;; [unrolled: 1-line block ×4, first 2 shown]
	v_add_f64 v[38:39], v[38:39], v[42:43]
	v_add_f64 v[42:43], v[44:45], -v[48:49]
	v_add_f64 v[38:39], v[42:43], v[38:39]
	v_add_f64 v[42:43], v[52:53], v[38:39]
	v_add_f64 v[44:45], v[52:53], -v[42:43]
	v_add_f64 v[38:39], v[38:39], v[44:45]
	v_mul_f64 v[44:45], v[46:47], v[42:43]
	v_mul_f64 v[48:49], v[32:33], v[44:45]
	v_fma_f64 v[32:33], v[44:45], v[32:33], -v[48:49]
	v_fmac_f64_e32 v[32:33], v[44:45], v[30:31]
	v_add_f64 v[30:31], v[48:49], v[32:33]
	v_add_f64 v[50:51], v[42:43], -v[30:31]
	v_add_f64 v[42:43], v[42:43], -v[50:51]
	;; [unrolled: 1-line block ×4, first 2 shown]
	v_add_f64 v[30:31], v[38:39], v[30:31]
	v_add_f64 v[32:33], v[48:49], -v[32:33]
	v_add_f64 v[30:31], v[32:33], v[30:31]
	v_add_f64 v[32:33], v[40:41], v[44:45]
	v_add_f64 v[30:31], v[50:51], v[30:31]
	v_add_f64 v[38:39], v[32:33], -v[40:41]
	v_mul_f64 v[30:31], v[46:47], v[30:31]
	v_add_f64 v[38:39], v[44:45], -v[38:39]
	v_add_f64 v[30:31], v[38:39], v[30:31]
	v_add_f64 v[38:39], v[32:33], v[30:31]
	v_add_f64 v[32:33], v[38:39], -v[32:33]
	s_mov_b32 s0, 0xbf559e2b
	v_add_f64 v[30:31], v[30:31], -v[32:33]
	v_mul_f64 v[32:33], v[38:39], v[38:39]
	v_mov_b32_e32 v40, 0x6b47b09a
	v_mov_b32_e32 v41, 0x3fc38538
	s_mov_b32 s1, 0x3fc3ab76
	v_fmac_f64_e32 v[40:41], s[0:1], v[32:33]
	v_mov_b32_e32 v42, 0xd7f4df2e
	v_mov_b32_e32 v43, 0x3fc7474d
	v_fmac_f64_e32 v[42:43], v[32:33], v[40:41]
	v_mov_b32_e32 v40, 0x16291751
	v_mov_b32_e32 v41, 0x3fcc71c0
	;; [unrolled: 3-line block ×5, first 2 shown]
	v_fmac_f64_e32 v[42:43], v[32:33], v[40:41]
	v_cvt_f64_i32_e32 v[40:41], v54
	v_mul_f64 v[44:45], v[40:41], s[34:35]
	v_fma_f64 v[46:47], v[40:41], s[34:35], -v[44:45]
	v_fmac_f64_e32 v[46:47], s[36:37], v[40:41]
	v_add_f64 v[40:41], v[44:45], v[46:47]
	v_add_f64 v[44:45], v[40:41], -v[44:45]
	v_mul_f64 v[32:33], v[38:39], v[32:33]
	v_add_f64 v[44:45], v[46:47], -v[44:45]
	v_ldexp_f64 v[46:47], v[38:39], 1
	v_mul_f64 v[32:33], v[32:33], v[42:43]
	v_add_f64 v[38:39], v[46:47], v[32:33]
	v_add_f64 v[42:43], v[38:39], -v[46:47]
	v_ldexp_f64 v[30:31], v[30:31], 1
	v_add_f64 v[32:33], v[32:33], -v[42:43]
	v_add_f64 v[30:31], v[30:31], v[32:33]
	v_add_f64 v[32:33], v[38:39], v[30:31]
	v_add_f64 v[38:39], v[32:33], -v[38:39]
	v_add_f64 v[30:31], v[30:31], -v[38:39]
	v_add_f64 v[38:39], v[40:41], v[32:33]
	v_add_f64 v[42:43], v[38:39], -v[40:41]
	v_add_f64 v[46:47], v[38:39], -v[42:43]
	;; [unrolled: 1-line block ×4, first 2 shown]
	v_add_f64 v[32:33], v[32:33], v[40:41]
	v_add_f64 v[40:41], v[44:45], v[30:31]
	v_add_f64 v[42:43], v[40:41], -v[44:45]
	v_add_f64 v[32:33], v[40:41], v[32:33]
	v_add_f64 v[46:47], v[40:41], -v[42:43]
	;; [unrolled: 2-line block ×3, first 2 shown]
	v_add_f64 v[30:31], v[30:31], -v[42:43]
	v_add_f64 v[38:39], v[40:41], -v[38:39]
	v_add_f64 v[30:31], v[30:31], v[44:45]
	v_add_f64 v[32:33], v[32:33], -v[38:39]
	s_mov_b32 s0, 0
	v_add_f64 v[30:31], v[30:31], v[32:33]
	s_mov_b32 s1, 0x7ff00000
	v_add_f64 v[30:31], v[40:41], v[30:31]
	v_cmp_eq_f64_e64 s[0:1], s[0:1], v[6:7]
	v_mov_b32_e32 v32, 0x7ff80000
	s_nop 0
	v_cndmask_b32_e64 v30, v30, v6, s[0:1]
	v_cndmask_b32_e64 v31, v31, v7, s[0:1]
	v_cmp_ngt_f64_e64 s[0:1], -1.0, v[6:7]
	s_nop 1
	v_cndmask_b32_e64 v31, v32, v31, s[0:1]
	v_cmp_nge_f64_e64 s[0:1], -1.0, v[6:7]
	v_mov_b32_e32 v32, 0xfff00000
	s_nop 0
	v_cndmask_b32_e64 v30, 0, v30, s[0:1]
	v_cmp_neq_f64_e64 s[0:1], -1.0, v[6:7]
	s_nop 1
	v_cndmask_b32_e64 v31, v32, v31, s[0:1]
	v_add_f64 v[6:7], v[28:29], v[30:31]
.LBB40_128:
	s_or_b64 exec, exec, s[30:31]
	v_max_f64 v[28:29], v[6:7], v[6:7]
	v_min_f64 v[30:31], v[28:29], v[62:63]
	v_cmp_u_f64_e64 s[0:1], v[6:7], v[6:7]
	v_max_f64 v[28:29], v[28:29], v[62:63]
	s_nop 0
	v_cndmask_b32_e64 v30, v30, v6, s[0:1]
	v_cndmask_b32_e64 v31, v31, v7, s[0:1]
	;; [unrolled: 1-line block ×8, first 2 shown]
	v_cmp_neq_f64_e64 s[0:1], v[30:31], v[28:29]
	v_cmp_class_f64_e64 s[28:29], v[30:31], s33
	s_or_b64 s[0:1], s[0:1], s[28:29]
	v_mov_b64_e32 v[8:9], v[6:7]
	s_and_saveexec_b64 s[30:31], s[0:1]
	s_cbranch_execz .LBB40_130
; %bb.129:
	s_mov_b32 s0, 0x652b82fe
	v_add_f64 v[8:9], v[30:31], -v[28:29]
	s_mov_b32 s1, 0x3ff71547
	v_mul_f64 v[30:31], v[8:9], s[0:1]
	v_rndne_f64_e32 v[30:31], v[30:31]
	s_mov_b32 s35, 0xbfe62e42
	s_mov_b32 s34, 0xfefa39ef
	v_fma_f64 v[32:33], s[34:35], v[30:31], v[8:9]
	s_mov_b32 s37, 0xbc7abc9e
	s_mov_b32 s36, 0x3b39803f
	;; [unrolled: 1-line block ×3, first 2 shown]
	v_fmac_f64_e32 v[32:33], s[36:37], v[30:31]
	v_mov_b32_e32 v38, 0xfca7ab0c
	v_mov_b32_e32 v39, 0x3e928af3
	s_mov_b32 s1, 0x3e5ade15
	v_fmac_f64_e32 v[38:39], s[0:1], v[32:33]
	v_mov_b32_e32 v40, 0x623fde64
	v_mov_b32_e32 v41, 0x3ec71dee
	v_fmac_f64_e32 v[40:41], v[32:33], v[38:39]
	v_mov_b32_e32 v38, 0x7c89e6b0
	v_mov_b32_e32 v39, 0x3efa0199
	;; [unrolled: 3-line block ×8, first 2 shown]
	v_fmac_f64_e32 v[38:39], v[32:33], v[40:41]
	v_fma_f64 v[38:39], v[32:33], v[38:39], 1.0
	s_mov_b32 s0, 0
	s_mov_b32 s28, 0
	v_fma_f64 v[32:33], v[32:33], v[38:39], 1.0
	v_cvt_i32_f64_e32 v30, v[30:31]
	s_mov_b32 s1, 0x40900000
	s_mov_b32 s29, 0xc090cc00
	v_ldexp_f64 v[30:31], v[32:33], v30
	v_mov_b32_e32 v32, 0x7ff00000
	v_cmp_nlt_f64_e64 s[0:1], s[0:1], v[8:9]
	v_cmp_ngt_f64_e64 s[28:29], s[28:29], v[8:9]
	s_mov_b32 s35, 0x3fe62e42
	v_cndmask_b32_e64 v31, v32, v31, s[0:1]
	s_and_b64 s[0:1], s[28:29], s[0:1]
	v_cndmask_b32_e64 v9, 0, v31, s[28:29]
	v_cndmask_b32_e64 v8, 0, v30, s[0:1]
	v_add_f64 v[30:31], v[8:9], 1.0
	v_add_f64 v[32:33], v[30:31], -1.0
	v_add_f64 v[38:39], v[32:33], -v[30:31]
	v_add_f64 v[38:39], v[38:39], 1.0
	v_add_f64 v[32:33], v[8:9], -v[32:33]
	s_mov_b32 s0, 0x55555555
	v_add_f64 v[32:33], v[32:33], v[38:39]
	v_frexp_mant_f64_e32 v[38:39], v[30:31]
	s_mov_b32 s1, 0x3fe55555
	v_frexp_exp_i32_f64_e32 v40, v[30:31]
	v_cmp_gt_f64_e64 s[0:1], s[0:1], v[38:39]
	s_mov_b32 s37, 0x3c7abc9e
	s_nop 0
	v_subbrev_co_u32_e64 v54, s[0:1], 0, v40, s[0:1]
	v_sub_u32_e32 v38, 0, v54
	v_ldexp_f64 v[30:31], v[30:31], v38
	v_ldexp_f64 v[32:33], v[32:33], v38
	v_add_f64 v[38:39], v[30:31], -1.0
	v_add_f64 v[44:45], v[30:31], 1.0
	v_add_f64 v[40:41], v[38:39], 1.0
	v_add_f64 v[46:47], v[44:45], -1.0
	v_add_f64 v[40:41], v[30:31], -v[40:41]
	v_add_f64 v[30:31], v[30:31], -v[46:47]
	v_add_f64 v[30:31], v[32:33], v[30:31]
	v_add_f64 v[40:41], v[32:33], v[40:41]
	;; [unrolled: 1-line block ×3, first 2 shown]
	v_rcp_f64_e32 v[46:47], v[32:33]
	v_add_f64 v[42:43], v[38:39], v[40:41]
	v_add_f64 v[38:39], v[42:43], -v[38:39]
	v_add_f64 v[38:39], v[40:41], -v[38:39]
	;; [unrolled: 1-line block ×4, first 2 shown]
	v_fma_f64 v[40:41], -v[32:33], v[46:47], 1.0
	v_fmac_f64_e32 v[46:47], v[40:41], v[46:47]
	v_fma_f64 v[40:41], -v[32:33], v[46:47], 1.0
	v_fmac_f64_e32 v[46:47], v[40:41], v[46:47]
	v_mul_f64 v[40:41], v[42:43], v[46:47]
	v_mul_f64 v[44:45], v[32:33], v[40:41]
	v_fma_f64 v[48:49], v[40:41], v[32:33], -v[44:45]
	v_fmac_f64_e32 v[48:49], v[40:41], v[30:31]
	v_add_f64 v[50:51], v[44:45], v[48:49]
	v_add_f64 v[52:53], v[42:43], -v[50:51]
	v_add_f64 v[42:43], v[42:43], -v[52:53]
	v_add_f64 v[44:45], v[50:51], -v[44:45]
	v_add_f64 v[42:43], v[42:43], -v[50:51]
	v_add_f64 v[38:39], v[38:39], v[42:43]
	v_add_f64 v[42:43], v[44:45], -v[48:49]
	v_add_f64 v[38:39], v[42:43], v[38:39]
	v_add_f64 v[42:43], v[52:53], v[38:39]
	v_add_f64 v[44:45], v[52:53], -v[42:43]
	v_add_f64 v[38:39], v[38:39], v[44:45]
	v_mul_f64 v[44:45], v[46:47], v[42:43]
	v_mul_f64 v[48:49], v[32:33], v[44:45]
	v_fma_f64 v[32:33], v[44:45], v[32:33], -v[48:49]
	v_fmac_f64_e32 v[32:33], v[44:45], v[30:31]
	v_add_f64 v[30:31], v[48:49], v[32:33]
	v_add_f64 v[50:51], v[42:43], -v[30:31]
	v_add_f64 v[42:43], v[42:43], -v[50:51]
	;; [unrolled: 1-line block ×4, first 2 shown]
	v_add_f64 v[30:31], v[38:39], v[30:31]
	v_add_f64 v[32:33], v[48:49], -v[32:33]
	v_add_f64 v[30:31], v[32:33], v[30:31]
	v_add_f64 v[32:33], v[40:41], v[44:45]
	;; [unrolled: 1-line block ×3, first 2 shown]
	v_add_f64 v[38:39], v[32:33], -v[40:41]
	v_mul_f64 v[30:31], v[46:47], v[30:31]
	v_add_f64 v[38:39], v[44:45], -v[38:39]
	v_add_f64 v[30:31], v[38:39], v[30:31]
	v_add_f64 v[38:39], v[32:33], v[30:31]
	v_add_f64 v[32:33], v[38:39], -v[32:33]
	s_mov_b32 s0, 0xbf559e2b
	v_add_f64 v[30:31], v[30:31], -v[32:33]
	v_mul_f64 v[32:33], v[38:39], v[38:39]
	v_mov_b32_e32 v40, 0x6b47b09a
	v_mov_b32_e32 v41, 0x3fc38538
	s_mov_b32 s1, 0x3fc3ab76
	v_fmac_f64_e32 v[40:41], s[0:1], v[32:33]
	v_mov_b32_e32 v42, 0xd7f4df2e
	v_mov_b32_e32 v43, 0x3fc7474d
	v_fmac_f64_e32 v[42:43], v[32:33], v[40:41]
	v_mov_b32_e32 v40, 0x16291751
	v_mov_b32_e32 v41, 0x3fcc71c0
	;; [unrolled: 3-line block ×5, first 2 shown]
	v_fmac_f64_e32 v[42:43], v[32:33], v[40:41]
	v_cvt_f64_i32_e32 v[40:41], v54
	v_mul_f64 v[44:45], v[40:41], s[34:35]
	v_fma_f64 v[46:47], v[40:41], s[34:35], -v[44:45]
	v_fmac_f64_e32 v[46:47], s[36:37], v[40:41]
	v_add_f64 v[40:41], v[44:45], v[46:47]
	v_add_f64 v[44:45], v[40:41], -v[44:45]
	v_mul_f64 v[32:33], v[38:39], v[32:33]
	v_add_f64 v[44:45], v[46:47], -v[44:45]
	v_ldexp_f64 v[46:47], v[38:39], 1
	v_mul_f64 v[32:33], v[32:33], v[42:43]
	v_add_f64 v[38:39], v[46:47], v[32:33]
	v_add_f64 v[42:43], v[38:39], -v[46:47]
	v_ldexp_f64 v[30:31], v[30:31], 1
	v_add_f64 v[32:33], v[32:33], -v[42:43]
	v_add_f64 v[30:31], v[30:31], v[32:33]
	v_add_f64 v[32:33], v[38:39], v[30:31]
	v_add_f64 v[38:39], v[32:33], -v[38:39]
	v_add_f64 v[30:31], v[30:31], -v[38:39]
	v_add_f64 v[38:39], v[40:41], v[32:33]
	v_add_f64 v[42:43], v[38:39], -v[40:41]
	v_add_f64 v[46:47], v[38:39], -v[42:43]
	;; [unrolled: 1-line block ×4, first 2 shown]
	v_add_f64 v[32:33], v[32:33], v[40:41]
	v_add_f64 v[40:41], v[44:45], v[30:31]
	v_add_f64 v[42:43], v[40:41], -v[44:45]
	v_add_f64 v[32:33], v[40:41], v[32:33]
	v_add_f64 v[46:47], v[40:41], -v[42:43]
	v_add_f64 v[40:41], v[38:39], v[32:33]
	v_add_f64 v[44:45], v[44:45], -v[46:47]
	v_add_f64 v[30:31], v[30:31], -v[42:43]
	v_add_f64 v[38:39], v[40:41], -v[38:39]
	v_add_f64 v[30:31], v[30:31], v[44:45]
	v_add_f64 v[32:33], v[32:33], -v[38:39]
	s_mov_b32 s0, 0
	v_add_f64 v[30:31], v[30:31], v[32:33]
	s_mov_b32 s1, 0x7ff00000
	v_add_f64 v[30:31], v[40:41], v[30:31]
	v_cmp_eq_f64_e64 s[0:1], s[0:1], v[8:9]
	v_mov_b32_e32 v32, 0x7ff80000
	s_nop 0
	v_cndmask_b32_e64 v30, v30, v8, s[0:1]
	v_cndmask_b32_e64 v31, v31, v9, s[0:1]
	v_cmp_ngt_f64_e64 s[0:1], -1.0, v[8:9]
	s_nop 1
	v_cndmask_b32_e64 v31, v32, v31, s[0:1]
	v_cmp_nge_f64_e64 s[0:1], -1.0, v[8:9]
	v_mov_b32_e32 v32, 0xfff00000
	s_nop 0
	v_cndmask_b32_e64 v30, 0, v30, s[0:1]
	v_cmp_neq_f64_e64 s[0:1], -1.0, v[8:9]
	s_nop 1
	v_cndmask_b32_e64 v31, v32, v31, s[0:1]
	v_add_f64 v[8:9], v[28:29], v[30:31]
.LBB40_130:
	s_or_b64 exec, exec, s[30:31]
	v_max_f64 v[28:29], v[8:9], v[8:9]
	v_min_f64 v[30:31], v[28:29], v[64:65]
	v_cmp_u_f64_e64 s[0:1], v[8:9], v[8:9]
	v_max_f64 v[28:29], v[28:29], v[64:65]
	s_nop 0
	v_cndmask_b32_e64 v30, v30, v8, s[0:1]
	v_cndmask_b32_e64 v31, v31, v9, s[0:1]
	;; [unrolled: 1-line block ×8, first 2 shown]
	v_cmp_neq_f64_e64 s[0:1], v[32:33], v[28:29]
	v_cmp_class_f64_e64 s[28:29], v[32:33], s33
	s_or_b64 s[0:1], s[0:1], s[28:29]
	v_mov_b64_e32 v[30:31], v[8:9]
	s_and_saveexec_b64 s[30:31], s[0:1]
	s_cbranch_execz .LBB40_132
; %bb.131:
	s_mov_b32 s0, 0x652b82fe
	v_add_f64 v[30:31], v[32:33], -v[28:29]
	s_mov_b32 s1, 0x3ff71547
	v_mul_f64 v[32:33], v[30:31], s[0:1]
	v_rndne_f64_e32 v[32:33], v[32:33]
	s_mov_b32 s35, 0xbfe62e42
	s_mov_b32 s34, 0xfefa39ef
	v_fma_f64 v[36:37], s[34:35], v[32:33], v[30:31]
	s_mov_b32 s37, 0xbc7abc9e
	s_mov_b32 s36, 0x3b39803f
	;; [unrolled: 1-line block ×3, first 2 shown]
	v_fmac_f64_e32 v[36:37], s[36:37], v[32:33]
	v_mov_b32_e32 v38, 0xfca7ab0c
	v_mov_b32_e32 v39, 0x3e928af3
	s_mov_b32 s1, 0x3e5ade15
	v_fmac_f64_e32 v[38:39], s[0:1], v[36:37]
	v_mov_b32_e32 v40, 0x623fde64
	v_mov_b32_e32 v41, 0x3ec71dee
	v_fmac_f64_e32 v[40:41], v[36:37], v[38:39]
	v_mov_b32_e32 v38, 0x7c89e6b0
	v_mov_b32_e32 v39, 0x3efa0199
	;; [unrolled: 3-line block ×8, first 2 shown]
	v_fmac_f64_e32 v[38:39], v[36:37], v[40:41]
	v_fma_f64 v[38:39], v[36:37], v[38:39], 1.0
	s_mov_b32 s0, 0
	s_mov_b32 s28, 0
	v_fma_f64 v[36:37], v[36:37], v[38:39], 1.0
	v_cvt_i32_f64_e32 v32, v[32:33]
	s_mov_b32 s1, 0x40900000
	s_mov_b32 s29, 0xc090cc00
	v_ldexp_f64 v[32:33], v[36:37], v32
	v_mov_b32_e32 v36, 0x7ff00000
	v_cmp_nlt_f64_e64 s[0:1], s[0:1], v[30:31]
	v_cmp_ngt_f64_e64 s[28:29], s[28:29], v[30:31]
	s_mov_b32 s35, 0x3fe62e42
	v_cndmask_b32_e64 v33, v36, v33, s[0:1]
	s_and_b64 s[0:1], s[28:29], s[0:1]
	v_cndmask_b32_e64 v31, 0, v33, s[28:29]
	v_cndmask_b32_e64 v30, 0, v32, s[0:1]
	v_add_f64 v[32:33], v[30:31], 1.0
	v_add_f64 v[36:37], v[32:33], -1.0
	v_add_f64 v[38:39], v[36:37], -v[32:33]
	v_add_f64 v[38:39], v[38:39], 1.0
	v_add_f64 v[36:37], v[30:31], -v[36:37]
	s_mov_b32 s0, 0x55555555
	v_add_f64 v[36:37], v[36:37], v[38:39]
	v_frexp_mant_f64_e32 v[38:39], v[32:33]
	s_mov_b32 s1, 0x3fe55555
	v_frexp_exp_i32_f64_e32 v40, v[32:33]
	v_cmp_gt_f64_e64 s[0:1], s[0:1], v[38:39]
	s_mov_b32 s37, 0x3c7abc9e
	s_nop 0
	v_subbrev_co_u32_e64 v54, s[0:1], 0, v40, s[0:1]
	v_sub_u32_e32 v38, 0, v54
	v_ldexp_f64 v[32:33], v[32:33], v38
	v_ldexp_f64 v[36:37], v[36:37], v38
	v_add_f64 v[38:39], v[32:33], -1.0
	v_add_f64 v[44:45], v[32:33], 1.0
	v_add_f64 v[40:41], v[38:39], 1.0
	v_add_f64 v[46:47], v[44:45], -1.0
	v_add_f64 v[40:41], v[32:33], -v[40:41]
	v_add_f64 v[32:33], v[32:33], -v[46:47]
	v_add_f64 v[32:33], v[36:37], v[32:33]
	v_add_f64 v[40:41], v[36:37], v[40:41]
	;; [unrolled: 1-line block ×3, first 2 shown]
	v_rcp_f64_e32 v[46:47], v[36:37]
	v_add_f64 v[42:43], v[38:39], v[40:41]
	v_add_f64 v[38:39], v[42:43], -v[38:39]
	v_add_f64 v[38:39], v[40:41], -v[38:39]
	;; [unrolled: 1-line block ×4, first 2 shown]
	v_fma_f64 v[40:41], -v[36:37], v[46:47], 1.0
	v_fmac_f64_e32 v[46:47], v[40:41], v[46:47]
	v_fma_f64 v[40:41], -v[36:37], v[46:47], 1.0
	v_fmac_f64_e32 v[46:47], v[40:41], v[46:47]
	v_mul_f64 v[40:41], v[42:43], v[46:47]
	v_mul_f64 v[44:45], v[36:37], v[40:41]
	v_fma_f64 v[48:49], v[40:41], v[36:37], -v[44:45]
	v_fmac_f64_e32 v[48:49], v[40:41], v[32:33]
	v_add_f64 v[50:51], v[44:45], v[48:49]
	v_add_f64 v[52:53], v[42:43], -v[50:51]
	v_add_f64 v[42:43], v[42:43], -v[52:53]
	;; [unrolled: 1-line block ×4, first 2 shown]
	v_add_f64 v[38:39], v[38:39], v[42:43]
	v_add_f64 v[42:43], v[44:45], -v[48:49]
	v_add_f64 v[38:39], v[42:43], v[38:39]
	v_add_f64 v[42:43], v[52:53], v[38:39]
	v_add_f64 v[44:45], v[52:53], -v[42:43]
	v_add_f64 v[38:39], v[38:39], v[44:45]
	v_mul_f64 v[44:45], v[46:47], v[42:43]
	v_mul_f64 v[48:49], v[36:37], v[44:45]
	v_fma_f64 v[36:37], v[44:45], v[36:37], -v[48:49]
	v_fmac_f64_e32 v[36:37], v[44:45], v[32:33]
	v_add_f64 v[32:33], v[48:49], v[36:37]
	v_add_f64 v[50:51], v[42:43], -v[32:33]
	v_add_f64 v[42:43], v[42:43], -v[50:51]
	;; [unrolled: 1-line block ×4, first 2 shown]
	v_add_f64 v[32:33], v[38:39], v[32:33]
	v_add_f64 v[36:37], v[48:49], -v[36:37]
	v_add_f64 v[32:33], v[36:37], v[32:33]
	v_add_f64 v[36:37], v[40:41], v[44:45]
	;; [unrolled: 1-line block ×3, first 2 shown]
	v_add_f64 v[38:39], v[36:37], -v[40:41]
	v_mul_f64 v[32:33], v[46:47], v[32:33]
	v_add_f64 v[38:39], v[44:45], -v[38:39]
	v_add_f64 v[32:33], v[38:39], v[32:33]
	v_add_f64 v[38:39], v[36:37], v[32:33]
	v_add_f64 v[36:37], v[38:39], -v[36:37]
	s_mov_b32 s0, 0xbf559e2b
	v_add_f64 v[32:33], v[32:33], -v[36:37]
	v_mul_f64 v[36:37], v[38:39], v[38:39]
	v_mov_b32_e32 v40, 0x6b47b09a
	v_mov_b32_e32 v41, 0x3fc38538
	s_mov_b32 s1, 0x3fc3ab76
	v_fmac_f64_e32 v[40:41], s[0:1], v[36:37]
	v_mov_b32_e32 v42, 0xd7f4df2e
	v_mov_b32_e32 v43, 0x3fc7474d
	v_fmac_f64_e32 v[42:43], v[36:37], v[40:41]
	v_mov_b32_e32 v40, 0x16291751
	v_mov_b32_e32 v41, 0x3fcc71c0
	;; [unrolled: 3-line block ×5, first 2 shown]
	v_fmac_f64_e32 v[42:43], v[36:37], v[40:41]
	v_cvt_f64_i32_e32 v[40:41], v54
	v_mul_f64 v[44:45], v[40:41], s[34:35]
	v_fma_f64 v[46:47], v[40:41], s[34:35], -v[44:45]
	v_fmac_f64_e32 v[46:47], s[36:37], v[40:41]
	v_add_f64 v[40:41], v[44:45], v[46:47]
	v_add_f64 v[44:45], v[40:41], -v[44:45]
	v_mul_f64 v[36:37], v[38:39], v[36:37]
	v_add_f64 v[44:45], v[46:47], -v[44:45]
	v_ldexp_f64 v[46:47], v[38:39], 1
	v_mul_f64 v[36:37], v[36:37], v[42:43]
	v_add_f64 v[38:39], v[46:47], v[36:37]
	v_add_f64 v[42:43], v[38:39], -v[46:47]
	v_ldexp_f64 v[32:33], v[32:33], 1
	v_add_f64 v[36:37], v[36:37], -v[42:43]
	v_add_f64 v[32:33], v[32:33], v[36:37]
	v_add_f64 v[36:37], v[38:39], v[32:33]
	v_add_f64 v[38:39], v[36:37], -v[38:39]
	v_add_f64 v[32:33], v[32:33], -v[38:39]
	v_add_f64 v[38:39], v[40:41], v[36:37]
	v_add_f64 v[42:43], v[38:39], -v[40:41]
	v_add_f64 v[46:47], v[38:39], -v[42:43]
	;; [unrolled: 1-line block ×4, first 2 shown]
	v_add_f64 v[36:37], v[36:37], v[40:41]
	v_add_f64 v[40:41], v[44:45], v[32:33]
	v_add_f64 v[42:43], v[40:41], -v[44:45]
	v_add_f64 v[36:37], v[40:41], v[36:37]
	v_add_f64 v[46:47], v[40:41], -v[42:43]
	;; [unrolled: 2-line block ×3, first 2 shown]
	v_add_f64 v[32:33], v[32:33], -v[42:43]
	v_add_f64 v[38:39], v[40:41], -v[38:39]
	v_add_f64 v[32:33], v[32:33], v[44:45]
	v_add_f64 v[36:37], v[36:37], -v[38:39]
	s_mov_b32 s0, 0
	v_add_f64 v[32:33], v[32:33], v[36:37]
	s_mov_b32 s1, 0x7ff00000
	v_add_f64 v[32:33], v[40:41], v[32:33]
	v_cmp_eq_f64_e64 s[0:1], s[0:1], v[30:31]
	v_mov_b32_e32 v36, 0x7ff80000
	s_nop 0
	v_cndmask_b32_e64 v32, v32, v30, s[0:1]
	v_cndmask_b32_e64 v33, v33, v31, s[0:1]
	v_cmp_ngt_f64_e64 s[0:1], -1.0, v[30:31]
	s_nop 1
	v_cndmask_b32_e64 v33, v36, v33, s[0:1]
	v_cmp_nge_f64_e64 s[0:1], -1.0, v[30:31]
	v_mov_b32_e32 v36, 0xfff00000
	s_nop 0
	v_cndmask_b32_e64 v32, 0, v32, s[0:1]
	v_cmp_neq_f64_e64 s[0:1], -1.0, v[30:31]
	s_nop 1
	v_cndmask_b32_e64 v33, v36, v33, s[0:1]
	v_add_f64 v[30:31], v[28:29], v[32:33]
.LBB40_132:
	s_or_b64 exec, exec, s[30:31]
	v_add_u32_e32 v28, v34, v35
	s_waitcnt lgkmcnt(0)
	s_barrier
	ds_write2_b64 v28, v[2:3], v[0:1] offset1:1
	ds_write2_b64 v28, v[4:5], v[26:27] offset0:2 offset1:3
	ds_write2_b64 v28, v[22:23], v[24:25] offset0:4 offset1:5
	;; [unrolled: 1-line block ×6, first 2 shown]
	ds_write_b64 v28, v[30:31] offset:112
	s_waitcnt lgkmcnt(0)
	s_barrier
	ds_read2st64_b64 v[24:27], v34 offset0:4 offset1:8
	ds_read2st64_b64 v[20:23], v34 offset0:12 offset1:16
	;; [unrolled: 1-line block ×7, first 2 shown]
	v_mov_b32_e32 v35, 0
	v_lshl_add_u64 v[28:29], s[62:63], 0, v[34:35]
	s_and_saveexec_b64 s[0:1], vcc
	s_cbranch_execnz .LBB40_148
; %bb.133:
	s_or_b64 exec, exec, s[0:1]
	s_and_saveexec_b64 s[0:1], s[58:59]
	s_cbranch_execnz .LBB40_149
.LBB40_134:
	s_or_b64 exec, exec, s[0:1]
	s_and_saveexec_b64 s[0:1], s[2:3]
	s_cbranch_execnz .LBB40_150
.LBB40_135:
	s_or_b64 exec, exec, s[0:1]
	s_and_saveexec_b64 s[0:1], s[4:5]
	s_cbranch_execnz .LBB40_151
.LBB40_136:
	s_or_b64 exec, exec, s[0:1]
	s_and_saveexec_b64 s[0:1], s[6:7]
	s_cbranch_execnz .LBB40_152
.LBB40_137:
	s_or_b64 exec, exec, s[0:1]
	s_and_saveexec_b64 s[0:1], s[8:9]
	s_cbranch_execnz .LBB40_153
.LBB40_138:
	s_or_b64 exec, exec, s[0:1]
	s_and_saveexec_b64 s[0:1], s[10:11]
	s_cbranch_execnz .LBB40_154
.LBB40_139:
	s_or_b64 exec, exec, s[0:1]
	s_and_saveexec_b64 s[0:1], s[12:13]
	s_cbranch_execnz .LBB40_155
.LBB40_140:
	s_or_b64 exec, exec, s[0:1]
	s_and_saveexec_b64 s[0:1], s[14:15]
	s_cbranch_execnz .LBB40_156
.LBB40_141:
	s_or_b64 exec, exec, s[0:1]
	s_and_saveexec_b64 s[0:1], s[16:17]
	s_cbranch_execnz .LBB40_157
.LBB40_142:
	s_or_b64 exec, exec, s[0:1]
	s_and_saveexec_b64 s[0:1], s[18:19]
	s_cbranch_execnz .LBB40_158
.LBB40_143:
	s_or_b64 exec, exec, s[0:1]
	s_and_saveexec_b64 s[0:1], s[20:21]
	s_cbranch_execnz .LBB40_159
.LBB40_144:
	s_or_b64 exec, exec, s[0:1]
	s_and_saveexec_b64 s[0:1], s[22:23]
	s_cbranch_execnz .LBB40_160
.LBB40_145:
	s_or_b64 exec, exec, s[0:1]
	s_and_saveexec_b64 s[0:1], s[24:25]
	s_cbranch_execnz .LBB40_161
.LBB40_146:
	s_or_b64 exec, exec, s[0:1]
	s_and_saveexec_b64 s[0:1], s[26:27]
	s_cbranch_execnz .LBB40_162
.LBB40_147:
	s_endpgm
.LBB40_148:
	ds_read_b64 v[30:31], v34
	s_waitcnt lgkmcnt(0)
	global_store_dwordx2 v[28:29], v[30:31], off
	s_or_b64 exec, exec, s[0:1]
	s_and_saveexec_b64 s[0:1], s[58:59]
	s_cbranch_execz .LBB40_134
.LBB40_149:
	s_waitcnt lgkmcnt(6)
	global_store_dwordx2 v[28:29], v[24:25], off offset:2048
	s_or_b64 exec, exec, s[0:1]
	s_and_saveexec_b64 s[0:1], s[2:3]
	s_cbranch_execz .LBB40_135
.LBB40_150:
	s_waitcnt lgkmcnt(6)
	v_add_co_u32_e32 v24, vcc, 0x1000, v28
	s_nop 1
	v_addc_co_u32_e32 v25, vcc, 0, v29, vcc
	global_store_dwordx2 v[24:25], v[26:27], off
	s_or_b64 exec, exec, s[0:1]
	s_and_saveexec_b64 s[0:1], s[4:5]
	s_cbranch_execz .LBB40_136
.LBB40_151:
	s_waitcnt lgkmcnt(6)
	v_add_co_u32_e32 v24, vcc, 0x1000, v28
	s_nop 1
	v_addc_co_u32_e32 v25, vcc, 0, v29, vcc
	s_waitcnt lgkmcnt(5)
	global_store_dwordx2 v[24:25], v[20:21], off offset:2048
	s_or_b64 exec, exec, s[0:1]
	s_and_saveexec_b64 s[0:1], s[6:7]
	s_cbranch_execz .LBB40_137
.LBB40_152:
	s_waitcnt lgkmcnt(5)
	v_add_co_u32_e32 v20, vcc, 0x2000, v28
	s_nop 1
	v_addc_co_u32_e32 v21, vcc, 0, v29, vcc
	global_store_dwordx2 v[20:21], v[22:23], off
	s_or_b64 exec, exec, s[0:1]
	s_and_saveexec_b64 s[0:1], s[8:9]
	s_cbranch_execz .LBB40_138
.LBB40_153:
	s_waitcnt lgkmcnt(5)
	v_add_co_u32_e32 v20, vcc, 0x2000, v28
	s_nop 1
	v_addc_co_u32_e32 v21, vcc, 0, v29, vcc
	s_waitcnt lgkmcnt(4)
	global_store_dwordx2 v[20:21], v[16:17], off offset:2048
	s_or_b64 exec, exec, s[0:1]
	s_and_saveexec_b64 s[0:1], s[10:11]
	s_cbranch_execz .LBB40_139
.LBB40_154:
	s_waitcnt lgkmcnt(4)
	v_add_co_u32_e32 v16, vcc, 0x3000, v28
	s_nop 1
	v_addc_co_u32_e32 v17, vcc, 0, v29, vcc
	global_store_dwordx2 v[16:17], v[18:19], off
	s_or_b64 exec, exec, s[0:1]
	s_and_saveexec_b64 s[0:1], s[12:13]
	s_cbranch_execz .LBB40_140
.LBB40_155:
	s_waitcnt lgkmcnt(4)
	v_add_co_u32_e32 v16, vcc, 0x3000, v28
	s_nop 1
	v_addc_co_u32_e32 v17, vcc, 0, v29, vcc
	s_waitcnt lgkmcnt(3)
	global_store_dwordx2 v[16:17], v[12:13], off offset:2048
	s_or_b64 exec, exec, s[0:1]
	s_and_saveexec_b64 s[0:1], s[14:15]
	s_cbranch_execz .LBB40_141
.LBB40_156:
	s_waitcnt lgkmcnt(3)
	v_add_co_u32_e32 v12, vcc, 0x4000, v28
	s_nop 1
	v_addc_co_u32_e32 v13, vcc, 0, v29, vcc
	global_store_dwordx2 v[12:13], v[14:15], off
	s_or_b64 exec, exec, s[0:1]
	s_and_saveexec_b64 s[0:1], s[16:17]
	s_cbranch_execz .LBB40_142
.LBB40_157:
	s_waitcnt lgkmcnt(3)
	v_add_co_u32_e32 v12, vcc, 0x4000, v28
	s_nop 1
	v_addc_co_u32_e32 v13, vcc, 0, v29, vcc
	s_waitcnt lgkmcnt(2)
	global_store_dwordx2 v[12:13], v[8:9], off offset:2048
	s_or_b64 exec, exec, s[0:1]
	s_and_saveexec_b64 s[0:1], s[18:19]
	s_cbranch_execz .LBB40_143
.LBB40_158:
	s_waitcnt lgkmcnt(2)
	v_add_co_u32_e32 v8, vcc, 0x5000, v28
	s_nop 1
	v_addc_co_u32_e32 v9, vcc, 0, v29, vcc
	global_store_dwordx2 v[8:9], v[10:11], off
	s_or_b64 exec, exec, s[0:1]
	s_and_saveexec_b64 s[0:1], s[20:21]
	s_cbranch_execz .LBB40_144
.LBB40_159:
	s_waitcnt lgkmcnt(2)
	v_add_co_u32_e32 v8, vcc, 0x5000, v28
	s_nop 1
	v_addc_co_u32_e32 v9, vcc, 0, v29, vcc
	s_waitcnt lgkmcnt(1)
	global_store_dwordx2 v[8:9], v[4:5], off offset:2048
	s_or_b64 exec, exec, s[0:1]
	s_and_saveexec_b64 s[0:1], s[22:23]
	s_cbranch_execz .LBB40_145
.LBB40_160:
	s_waitcnt lgkmcnt(1)
	v_add_co_u32_e32 v4, vcc, 0x6000, v28
	s_nop 1
	v_addc_co_u32_e32 v5, vcc, 0, v29, vcc
	global_store_dwordx2 v[4:5], v[6:7], off
	s_or_b64 exec, exec, s[0:1]
	s_and_saveexec_b64 s[0:1], s[24:25]
	s_cbranch_execz .LBB40_146
.LBB40_161:
	s_waitcnt lgkmcnt(1)
	v_add_co_u32_e32 v4, vcc, 0x6000, v28
	s_nop 1
	v_addc_co_u32_e32 v5, vcc, 0, v29, vcc
	s_waitcnt lgkmcnt(0)
	global_store_dwordx2 v[4:5], v[0:1], off offset:2048
	s_or_b64 exec, exec, s[0:1]
	s_and_saveexec_b64 s[0:1], s[26:27]
	s_cbranch_execz .LBB40_147
.LBB40_162:
	s_waitcnt lgkmcnt(0)
	v_add_co_u32_e32 v0, vcc, 0x7000, v28
	s_nop 1
	v_addc_co_u32_e32 v1, vcc, 0, v29, vcc
	global_store_dwordx2 v[0:1], v[2:3], off
	s_endpgm
	.section	.rodata,"a",@progbits
	.p2align	6, 0x0
	.amdhsa_kernel _ZN7rocprim17ROCPRIM_400000_NS6detail17trampoline_kernelINS0_14default_configENS1_20scan_config_selectorIdEEZZNS1_9scan_implILNS1_25lookback_scan_determinismE0ELb0ELb0ES3_PKdPddZZZN2at6native31launch_logcumsumexp_cuda_kernelERKNSB_10TensorBaseESF_lENKUlvE_clEvENKUlvE_clEvEUlddE_dEEDaPvRmT3_T4_T5_mT6_P12ihipStream_tbENKUlT_T0_E_clISt17integral_constantIbLb1EESW_EEDaSR_SS_EUlSR_E0_NS1_11comp_targetILNS1_3genE5ELNS1_11target_archE942ELNS1_3gpuE9ELNS1_3repE0EEENS1_30default_config_static_selectorELNS0_4arch9wavefront6targetE1EEEvT1_
		.amdhsa_group_segment_fixed_size 30720
		.amdhsa_private_segment_fixed_size 0
		.amdhsa_kernarg_size 40
		.amdhsa_user_sgpr_count 2
		.amdhsa_user_sgpr_dispatch_ptr 0
		.amdhsa_user_sgpr_queue_ptr 0
		.amdhsa_user_sgpr_kernarg_segment_ptr 1
		.amdhsa_user_sgpr_dispatch_id 0
		.amdhsa_user_sgpr_kernarg_preload_length 0
		.amdhsa_user_sgpr_kernarg_preload_offset 0
		.amdhsa_user_sgpr_private_segment_size 0
		.amdhsa_uses_dynamic_stack 0
		.amdhsa_enable_private_segment 0
		.amdhsa_system_sgpr_workgroup_id_x 1
		.amdhsa_system_sgpr_workgroup_id_y 0
		.amdhsa_system_sgpr_workgroup_id_z 0
		.amdhsa_system_sgpr_workgroup_info 0
		.amdhsa_system_vgpr_workitem_id 0
		.amdhsa_next_free_vgpr 100
		.amdhsa_next_free_sgpr 78
		.amdhsa_accum_offset 100
		.amdhsa_reserve_vcc 1
		.amdhsa_float_round_mode_32 0
		.amdhsa_float_round_mode_16_64 0
		.amdhsa_float_denorm_mode_32 3
		.amdhsa_float_denorm_mode_16_64 3
		.amdhsa_dx10_clamp 1
		.amdhsa_ieee_mode 1
		.amdhsa_fp16_overflow 0
		.amdhsa_tg_split 0
		.amdhsa_exception_fp_ieee_invalid_op 0
		.amdhsa_exception_fp_denorm_src 0
		.amdhsa_exception_fp_ieee_div_zero 0
		.amdhsa_exception_fp_ieee_overflow 0
		.amdhsa_exception_fp_ieee_underflow 0
		.amdhsa_exception_fp_ieee_inexact 0
		.amdhsa_exception_int_div_zero 0
	.end_amdhsa_kernel
	.section	.text._ZN7rocprim17ROCPRIM_400000_NS6detail17trampoline_kernelINS0_14default_configENS1_20scan_config_selectorIdEEZZNS1_9scan_implILNS1_25lookback_scan_determinismE0ELb0ELb0ES3_PKdPddZZZN2at6native31launch_logcumsumexp_cuda_kernelERKNSB_10TensorBaseESF_lENKUlvE_clEvENKUlvE_clEvEUlddE_dEEDaPvRmT3_T4_T5_mT6_P12ihipStream_tbENKUlT_T0_E_clISt17integral_constantIbLb1EESW_EEDaSR_SS_EUlSR_E0_NS1_11comp_targetILNS1_3genE5ELNS1_11target_archE942ELNS1_3gpuE9ELNS1_3repE0EEENS1_30default_config_static_selectorELNS0_4arch9wavefront6targetE1EEEvT1_,"axG",@progbits,_ZN7rocprim17ROCPRIM_400000_NS6detail17trampoline_kernelINS0_14default_configENS1_20scan_config_selectorIdEEZZNS1_9scan_implILNS1_25lookback_scan_determinismE0ELb0ELb0ES3_PKdPddZZZN2at6native31launch_logcumsumexp_cuda_kernelERKNSB_10TensorBaseESF_lENKUlvE_clEvENKUlvE_clEvEUlddE_dEEDaPvRmT3_T4_T5_mT6_P12ihipStream_tbENKUlT_T0_E_clISt17integral_constantIbLb1EESW_EEDaSR_SS_EUlSR_E0_NS1_11comp_targetILNS1_3genE5ELNS1_11target_archE942ELNS1_3gpuE9ELNS1_3repE0EEENS1_30default_config_static_selectorELNS0_4arch9wavefront6targetE1EEEvT1_,comdat
.Lfunc_end40:
	.size	_ZN7rocprim17ROCPRIM_400000_NS6detail17trampoline_kernelINS0_14default_configENS1_20scan_config_selectorIdEEZZNS1_9scan_implILNS1_25lookback_scan_determinismE0ELb0ELb0ES3_PKdPddZZZN2at6native31launch_logcumsumexp_cuda_kernelERKNSB_10TensorBaseESF_lENKUlvE_clEvENKUlvE_clEvEUlddE_dEEDaPvRmT3_T4_T5_mT6_P12ihipStream_tbENKUlT_T0_E_clISt17integral_constantIbLb1EESW_EEDaSR_SS_EUlSR_E0_NS1_11comp_targetILNS1_3genE5ELNS1_11target_archE942ELNS1_3gpuE9ELNS1_3repE0EEENS1_30default_config_static_selectorELNS0_4arch9wavefront6targetE1EEEvT1_, .Lfunc_end40-_ZN7rocprim17ROCPRIM_400000_NS6detail17trampoline_kernelINS0_14default_configENS1_20scan_config_selectorIdEEZZNS1_9scan_implILNS1_25lookback_scan_determinismE0ELb0ELb0ES3_PKdPddZZZN2at6native31launch_logcumsumexp_cuda_kernelERKNSB_10TensorBaseESF_lENKUlvE_clEvENKUlvE_clEvEUlddE_dEEDaPvRmT3_T4_T5_mT6_P12ihipStream_tbENKUlT_T0_E_clISt17integral_constantIbLb1EESW_EEDaSR_SS_EUlSR_E0_NS1_11comp_targetILNS1_3genE5ELNS1_11target_archE942ELNS1_3gpuE9ELNS1_3repE0EEENS1_30default_config_static_selectorELNS0_4arch9wavefront6targetE1EEEvT1_
                                        ; -- End function
	.section	.AMDGPU.csdata,"",@progbits
; Kernel info:
; codeLenInByte = 70192
; NumSgprs: 84
; NumVgprs: 100
; NumAgprs: 0
; TotalNumVgprs: 100
; ScratchSize: 0
; MemoryBound: 0
; FloatMode: 240
; IeeeMode: 1
; LDSByteSize: 30720 bytes/workgroup (compile time only)
; SGPRBlocks: 10
; VGPRBlocks: 12
; NumSGPRsForWavesPerEU: 84
; NumVGPRsForWavesPerEU: 100
; AccumOffset: 100
; Occupancy: 2
; WaveLimiterHint : 0
; COMPUTE_PGM_RSRC2:SCRATCH_EN: 0
; COMPUTE_PGM_RSRC2:USER_SGPR: 2
; COMPUTE_PGM_RSRC2:TRAP_HANDLER: 0
; COMPUTE_PGM_RSRC2:TGID_X_EN: 1
; COMPUTE_PGM_RSRC2:TGID_Y_EN: 0
; COMPUTE_PGM_RSRC2:TGID_Z_EN: 0
; COMPUTE_PGM_RSRC2:TIDIG_COMP_CNT: 0
; COMPUTE_PGM_RSRC3_GFX90A:ACCUM_OFFSET: 24
; COMPUTE_PGM_RSRC3_GFX90A:TG_SPLIT: 0
	.section	.text._ZN7rocprim17ROCPRIM_400000_NS6detail17trampoline_kernelINS0_14default_configENS1_20scan_config_selectorIdEEZZNS1_9scan_implILNS1_25lookback_scan_determinismE0ELb0ELb0ES3_PKdPddZZZN2at6native31launch_logcumsumexp_cuda_kernelERKNSB_10TensorBaseESF_lENKUlvE_clEvENKUlvE_clEvEUlddE_dEEDaPvRmT3_T4_T5_mT6_P12ihipStream_tbENKUlT_T0_E_clISt17integral_constantIbLb1EESW_EEDaSR_SS_EUlSR_E0_NS1_11comp_targetILNS1_3genE4ELNS1_11target_archE910ELNS1_3gpuE8ELNS1_3repE0EEENS1_30default_config_static_selectorELNS0_4arch9wavefront6targetE1EEEvT1_,"axG",@progbits,_ZN7rocprim17ROCPRIM_400000_NS6detail17trampoline_kernelINS0_14default_configENS1_20scan_config_selectorIdEEZZNS1_9scan_implILNS1_25lookback_scan_determinismE0ELb0ELb0ES3_PKdPddZZZN2at6native31launch_logcumsumexp_cuda_kernelERKNSB_10TensorBaseESF_lENKUlvE_clEvENKUlvE_clEvEUlddE_dEEDaPvRmT3_T4_T5_mT6_P12ihipStream_tbENKUlT_T0_E_clISt17integral_constantIbLb1EESW_EEDaSR_SS_EUlSR_E0_NS1_11comp_targetILNS1_3genE4ELNS1_11target_archE910ELNS1_3gpuE8ELNS1_3repE0EEENS1_30default_config_static_selectorELNS0_4arch9wavefront6targetE1EEEvT1_,comdat
	.globl	_ZN7rocprim17ROCPRIM_400000_NS6detail17trampoline_kernelINS0_14default_configENS1_20scan_config_selectorIdEEZZNS1_9scan_implILNS1_25lookback_scan_determinismE0ELb0ELb0ES3_PKdPddZZZN2at6native31launch_logcumsumexp_cuda_kernelERKNSB_10TensorBaseESF_lENKUlvE_clEvENKUlvE_clEvEUlddE_dEEDaPvRmT3_T4_T5_mT6_P12ihipStream_tbENKUlT_T0_E_clISt17integral_constantIbLb1EESW_EEDaSR_SS_EUlSR_E0_NS1_11comp_targetILNS1_3genE4ELNS1_11target_archE910ELNS1_3gpuE8ELNS1_3repE0EEENS1_30default_config_static_selectorELNS0_4arch9wavefront6targetE1EEEvT1_ ; -- Begin function _ZN7rocprim17ROCPRIM_400000_NS6detail17trampoline_kernelINS0_14default_configENS1_20scan_config_selectorIdEEZZNS1_9scan_implILNS1_25lookback_scan_determinismE0ELb0ELb0ES3_PKdPddZZZN2at6native31launch_logcumsumexp_cuda_kernelERKNSB_10TensorBaseESF_lENKUlvE_clEvENKUlvE_clEvEUlddE_dEEDaPvRmT3_T4_T5_mT6_P12ihipStream_tbENKUlT_T0_E_clISt17integral_constantIbLb1EESW_EEDaSR_SS_EUlSR_E0_NS1_11comp_targetILNS1_3genE4ELNS1_11target_archE910ELNS1_3gpuE8ELNS1_3repE0EEENS1_30default_config_static_selectorELNS0_4arch9wavefront6targetE1EEEvT1_
	.p2align	8
	.type	_ZN7rocprim17ROCPRIM_400000_NS6detail17trampoline_kernelINS0_14default_configENS1_20scan_config_selectorIdEEZZNS1_9scan_implILNS1_25lookback_scan_determinismE0ELb0ELb0ES3_PKdPddZZZN2at6native31launch_logcumsumexp_cuda_kernelERKNSB_10TensorBaseESF_lENKUlvE_clEvENKUlvE_clEvEUlddE_dEEDaPvRmT3_T4_T5_mT6_P12ihipStream_tbENKUlT_T0_E_clISt17integral_constantIbLb1EESW_EEDaSR_SS_EUlSR_E0_NS1_11comp_targetILNS1_3genE4ELNS1_11target_archE910ELNS1_3gpuE8ELNS1_3repE0EEENS1_30default_config_static_selectorELNS0_4arch9wavefront6targetE1EEEvT1_,@function
_ZN7rocprim17ROCPRIM_400000_NS6detail17trampoline_kernelINS0_14default_configENS1_20scan_config_selectorIdEEZZNS1_9scan_implILNS1_25lookback_scan_determinismE0ELb0ELb0ES3_PKdPddZZZN2at6native31launch_logcumsumexp_cuda_kernelERKNSB_10TensorBaseESF_lENKUlvE_clEvENKUlvE_clEvEUlddE_dEEDaPvRmT3_T4_T5_mT6_P12ihipStream_tbENKUlT_T0_E_clISt17integral_constantIbLb1EESW_EEDaSR_SS_EUlSR_E0_NS1_11comp_targetILNS1_3genE4ELNS1_11target_archE910ELNS1_3gpuE8ELNS1_3repE0EEENS1_30default_config_static_selectorELNS0_4arch9wavefront6targetE1EEEvT1_: ; @_ZN7rocprim17ROCPRIM_400000_NS6detail17trampoline_kernelINS0_14default_configENS1_20scan_config_selectorIdEEZZNS1_9scan_implILNS1_25lookback_scan_determinismE0ELb0ELb0ES3_PKdPddZZZN2at6native31launch_logcumsumexp_cuda_kernelERKNSB_10TensorBaseESF_lENKUlvE_clEvENKUlvE_clEvEUlddE_dEEDaPvRmT3_T4_T5_mT6_P12ihipStream_tbENKUlT_T0_E_clISt17integral_constantIbLb1EESW_EEDaSR_SS_EUlSR_E0_NS1_11comp_targetILNS1_3genE4ELNS1_11target_archE910ELNS1_3gpuE8ELNS1_3repE0EEENS1_30default_config_static_selectorELNS0_4arch9wavefront6targetE1EEEvT1_
; %bb.0:
	.section	.rodata,"a",@progbits
	.p2align	6, 0x0
	.amdhsa_kernel _ZN7rocprim17ROCPRIM_400000_NS6detail17trampoline_kernelINS0_14default_configENS1_20scan_config_selectorIdEEZZNS1_9scan_implILNS1_25lookback_scan_determinismE0ELb0ELb0ES3_PKdPddZZZN2at6native31launch_logcumsumexp_cuda_kernelERKNSB_10TensorBaseESF_lENKUlvE_clEvENKUlvE_clEvEUlddE_dEEDaPvRmT3_T4_T5_mT6_P12ihipStream_tbENKUlT_T0_E_clISt17integral_constantIbLb1EESW_EEDaSR_SS_EUlSR_E0_NS1_11comp_targetILNS1_3genE4ELNS1_11target_archE910ELNS1_3gpuE8ELNS1_3repE0EEENS1_30default_config_static_selectorELNS0_4arch9wavefront6targetE1EEEvT1_
		.amdhsa_group_segment_fixed_size 0
		.amdhsa_private_segment_fixed_size 0
		.amdhsa_kernarg_size 40
		.amdhsa_user_sgpr_count 2
		.amdhsa_user_sgpr_dispatch_ptr 0
		.amdhsa_user_sgpr_queue_ptr 0
		.amdhsa_user_sgpr_kernarg_segment_ptr 1
		.amdhsa_user_sgpr_dispatch_id 0
		.amdhsa_user_sgpr_kernarg_preload_length 0
		.amdhsa_user_sgpr_kernarg_preload_offset 0
		.amdhsa_user_sgpr_private_segment_size 0
		.amdhsa_uses_dynamic_stack 0
		.amdhsa_enable_private_segment 0
		.amdhsa_system_sgpr_workgroup_id_x 1
		.amdhsa_system_sgpr_workgroup_id_y 0
		.amdhsa_system_sgpr_workgroup_id_z 0
		.amdhsa_system_sgpr_workgroup_info 0
		.amdhsa_system_vgpr_workitem_id 0
		.amdhsa_next_free_vgpr 1
		.amdhsa_next_free_sgpr 0
		.amdhsa_accum_offset 4
		.amdhsa_reserve_vcc 0
		.amdhsa_float_round_mode_32 0
		.amdhsa_float_round_mode_16_64 0
		.amdhsa_float_denorm_mode_32 3
		.amdhsa_float_denorm_mode_16_64 3
		.amdhsa_dx10_clamp 1
		.amdhsa_ieee_mode 1
		.amdhsa_fp16_overflow 0
		.amdhsa_tg_split 0
		.amdhsa_exception_fp_ieee_invalid_op 0
		.amdhsa_exception_fp_denorm_src 0
		.amdhsa_exception_fp_ieee_div_zero 0
		.amdhsa_exception_fp_ieee_overflow 0
		.amdhsa_exception_fp_ieee_underflow 0
		.amdhsa_exception_fp_ieee_inexact 0
		.amdhsa_exception_int_div_zero 0
	.end_amdhsa_kernel
	.section	.text._ZN7rocprim17ROCPRIM_400000_NS6detail17trampoline_kernelINS0_14default_configENS1_20scan_config_selectorIdEEZZNS1_9scan_implILNS1_25lookback_scan_determinismE0ELb0ELb0ES3_PKdPddZZZN2at6native31launch_logcumsumexp_cuda_kernelERKNSB_10TensorBaseESF_lENKUlvE_clEvENKUlvE_clEvEUlddE_dEEDaPvRmT3_T4_T5_mT6_P12ihipStream_tbENKUlT_T0_E_clISt17integral_constantIbLb1EESW_EEDaSR_SS_EUlSR_E0_NS1_11comp_targetILNS1_3genE4ELNS1_11target_archE910ELNS1_3gpuE8ELNS1_3repE0EEENS1_30default_config_static_selectorELNS0_4arch9wavefront6targetE1EEEvT1_,"axG",@progbits,_ZN7rocprim17ROCPRIM_400000_NS6detail17trampoline_kernelINS0_14default_configENS1_20scan_config_selectorIdEEZZNS1_9scan_implILNS1_25lookback_scan_determinismE0ELb0ELb0ES3_PKdPddZZZN2at6native31launch_logcumsumexp_cuda_kernelERKNSB_10TensorBaseESF_lENKUlvE_clEvENKUlvE_clEvEUlddE_dEEDaPvRmT3_T4_T5_mT6_P12ihipStream_tbENKUlT_T0_E_clISt17integral_constantIbLb1EESW_EEDaSR_SS_EUlSR_E0_NS1_11comp_targetILNS1_3genE4ELNS1_11target_archE910ELNS1_3gpuE8ELNS1_3repE0EEENS1_30default_config_static_selectorELNS0_4arch9wavefront6targetE1EEEvT1_,comdat
.Lfunc_end41:
	.size	_ZN7rocprim17ROCPRIM_400000_NS6detail17trampoline_kernelINS0_14default_configENS1_20scan_config_selectorIdEEZZNS1_9scan_implILNS1_25lookback_scan_determinismE0ELb0ELb0ES3_PKdPddZZZN2at6native31launch_logcumsumexp_cuda_kernelERKNSB_10TensorBaseESF_lENKUlvE_clEvENKUlvE_clEvEUlddE_dEEDaPvRmT3_T4_T5_mT6_P12ihipStream_tbENKUlT_T0_E_clISt17integral_constantIbLb1EESW_EEDaSR_SS_EUlSR_E0_NS1_11comp_targetILNS1_3genE4ELNS1_11target_archE910ELNS1_3gpuE8ELNS1_3repE0EEENS1_30default_config_static_selectorELNS0_4arch9wavefront6targetE1EEEvT1_, .Lfunc_end41-_ZN7rocprim17ROCPRIM_400000_NS6detail17trampoline_kernelINS0_14default_configENS1_20scan_config_selectorIdEEZZNS1_9scan_implILNS1_25lookback_scan_determinismE0ELb0ELb0ES3_PKdPddZZZN2at6native31launch_logcumsumexp_cuda_kernelERKNSB_10TensorBaseESF_lENKUlvE_clEvENKUlvE_clEvEUlddE_dEEDaPvRmT3_T4_T5_mT6_P12ihipStream_tbENKUlT_T0_E_clISt17integral_constantIbLb1EESW_EEDaSR_SS_EUlSR_E0_NS1_11comp_targetILNS1_3genE4ELNS1_11target_archE910ELNS1_3gpuE8ELNS1_3repE0EEENS1_30default_config_static_selectorELNS0_4arch9wavefront6targetE1EEEvT1_
                                        ; -- End function
	.section	.AMDGPU.csdata,"",@progbits
; Kernel info:
; codeLenInByte = 0
; NumSgprs: 6
; NumVgprs: 0
; NumAgprs: 0
; TotalNumVgprs: 0
; ScratchSize: 0
; MemoryBound: 0
; FloatMode: 240
; IeeeMode: 1
; LDSByteSize: 0 bytes/workgroup (compile time only)
; SGPRBlocks: 0
; VGPRBlocks: 0
; NumSGPRsForWavesPerEU: 6
; NumVGPRsForWavesPerEU: 1
; AccumOffset: 4
; Occupancy: 8
; WaveLimiterHint : 0
; COMPUTE_PGM_RSRC2:SCRATCH_EN: 0
; COMPUTE_PGM_RSRC2:USER_SGPR: 2
; COMPUTE_PGM_RSRC2:TRAP_HANDLER: 0
; COMPUTE_PGM_RSRC2:TGID_X_EN: 1
; COMPUTE_PGM_RSRC2:TGID_Y_EN: 0
; COMPUTE_PGM_RSRC2:TGID_Z_EN: 0
; COMPUTE_PGM_RSRC2:TIDIG_COMP_CNT: 0
; COMPUTE_PGM_RSRC3_GFX90A:ACCUM_OFFSET: 0
; COMPUTE_PGM_RSRC3_GFX90A:TG_SPLIT: 0
	.section	.text._ZN7rocprim17ROCPRIM_400000_NS6detail17trampoline_kernelINS0_14default_configENS1_20scan_config_selectorIdEEZZNS1_9scan_implILNS1_25lookback_scan_determinismE0ELb0ELb0ES3_PKdPddZZZN2at6native31launch_logcumsumexp_cuda_kernelERKNSB_10TensorBaseESF_lENKUlvE_clEvENKUlvE_clEvEUlddE_dEEDaPvRmT3_T4_T5_mT6_P12ihipStream_tbENKUlT_T0_E_clISt17integral_constantIbLb1EESW_EEDaSR_SS_EUlSR_E0_NS1_11comp_targetILNS1_3genE3ELNS1_11target_archE908ELNS1_3gpuE7ELNS1_3repE0EEENS1_30default_config_static_selectorELNS0_4arch9wavefront6targetE1EEEvT1_,"axG",@progbits,_ZN7rocprim17ROCPRIM_400000_NS6detail17trampoline_kernelINS0_14default_configENS1_20scan_config_selectorIdEEZZNS1_9scan_implILNS1_25lookback_scan_determinismE0ELb0ELb0ES3_PKdPddZZZN2at6native31launch_logcumsumexp_cuda_kernelERKNSB_10TensorBaseESF_lENKUlvE_clEvENKUlvE_clEvEUlddE_dEEDaPvRmT3_T4_T5_mT6_P12ihipStream_tbENKUlT_T0_E_clISt17integral_constantIbLb1EESW_EEDaSR_SS_EUlSR_E0_NS1_11comp_targetILNS1_3genE3ELNS1_11target_archE908ELNS1_3gpuE7ELNS1_3repE0EEENS1_30default_config_static_selectorELNS0_4arch9wavefront6targetE1EEEvT1_,comdat
	.globl	_ZN7rocprim17ROCPRIM_400000_NS6detail17trampoline_kernelINS0_14default_configENS1_20scan_config_selectorIdEEZZNS1_9scan_implILNS1_25lookback_scan_determinismE0ELb0ELb0ES3_PKdPddZZZN2at6native31launch_logcumsumexp_cuda_kernelERKNSB_10TensorBaseESF_lENKUlvE_clEvENKUlvE_clEvEUlddE_dEEDaPvRmT3_T4_T5_mT6_P12ihipStream_tbENKUlT_T0_E_clISt17integral_constantIbLb1EESW_EEDaSR_SS_EUlSR_E0_NS1_11comp_targetILNS1_3genE3ELNS1_11target_archE908ELNS1_3gpuE7ELNS1_3repE0EEENS1_30default_config_static_selectorELNS0_4arch9wavefront6targetE1EEEvT1_ ; -- Begin function _ZN7rocprim17ROCPRIM_400000_NS6detail17trampoline_kernelINS0_14default_configENS1_20scan_config_selectorIdEEZZNS1_9scan_implILNS1_25lookback_scan_determinismE0ELb0ELb0ES3_PKdPddZZZN2at6native31launch_logcumsumexp_cuda_kernelERKNSB_10TensorBaseESF_lENKUlvE_clEvENKUlvE_clEvEUlddE_dEEDaPvRmT3_T4_T5_mT6_P12ihipStream_tbENKUlT_T0_E_clISt17integral_constantIbLb1EESW_EEDaSR_SS_EUlSR_E0_NS1_11comp_targetILNS1_3genE3ELNS1_11target_archE908ELNS1_3gpuE7ELNS1_3repE0EEENS1_30default_config_static_selectorELNS0_4arch9wavefront6targetE1EEEvT1_
	.p2align	8
	.type	_ZN7rocprim17ROCPRIM_400000_NS6detail17trampoline_kernelINS0_14default_configENS1_20scan_config_selectorIdEEZZNS1_9scan_implILNS1_25lookback_scan_determinismE0ELb0ELb0ES3_PKdPddZZZN2at6native31launch_logcumsumexp_cuda_kernelERKNSB_10TensorBaseESF_lENKUlvE_clEvENKUlvE_clEvEUlddE_dEEDaPvRmT3_T4_T5_mT6_P12ihipStream_tbENKUlT_T0_E_clISt17integral_constantIbLb1EESW_EEDaSR_SS_EUlSR_E0_NS1_11comp_targetILNS1_3genE3ELNS1_11target_archE908ELNS1_3gpuE7ELNS1_3repE0EEENS1_30default_config_static_selectorELNS0_4arch9wavefront6targetE1EEEvT1_,@function
_ZN7rocprim17ROCPRIM_400000_NS6detail17trampoline_kernelINS0_14default_configENS1_20scan_config_selectorIdEEZZNS1_9scan_implILNS1_25lookback_scan_determinismE0ELb0ELb0ES3_PKdPddZZZN2at6native31launch_logcumsumexp_cuda_kernelERKNSB_10TensorBaseESF_lENKUlvE_clEvENKUlvE_clEvEUlddE_dEEDaPvRmT3_T4_T5_mT6_P12ihipStream_tbENKUlT_T0_E_clISt17integral_constantIbLb1EESW_EEDaSR_SS_EUlSR_E0_NS1_11comp_targetILNS1_3genE3ELNS1_11target_archE908ELNS1_3gpuE7ELNS1_3repE0EEENS1_30default_config_static_selectorELNS0_4arch9wavefront6targetE1EEEvT1_: ; @_ZN7rocprim17ROCPRIM_400000_NS6detail17trampoline_kernelINS0_14default_configENS1_20scan_config_selectorIdEEZZNS1_9scan_implILNS1_25lookback_scan_determinismE0ELb0ELb0ES3_PKdPddZZZN2at6native31launch_logcumsumexp_cuda_kernelERKNSB_10TensorBaseESF_lENKUlvE_clEvENKUlvE_clEvEUlddE_dEEDaPvRmT3_T4_T5_mT6_P12ihipStream_tbENKUlT_T0_E_clISt17integral_constantIbLb1EESW_EEDaSR_SS_EUlSR_E0_NS1_11comp_targetILNS1_3genE3ELNS1_11target_archE908ELNS1_3gpuE7ELNS1_3repE0EEENS1_30default_config_static_selectorELNS0_4arch9wavefront6targetE1EEEvT1_
; %bb.0:
	.section	.rodata,"a",@progbits
	.p2align	6, 0x0
	.amdhsa_kernel _ZN7rocprim17ROCPRIM_400000_NS6detail17trampoline_kernelINS0_14default_configENS1_20scan_config_selectorIdEEZZNS1_9scan_implILNS1_25lookback_scan_determinismE0ELb0ELb0ES3_PKdPddZZZN2at6native31launch_logcumsumexp_cuda_kernelERKNSB_10TensorBaseESF_lENKUlvE_clEvENKUlvE_clEvEUlddE_dEEDaPvRmT3_T4_T5_mT6_P12ihipStream_tbENKUlT_T0_E_clISt17integral_constantIbLb1EESW_EEDaSR_SS_EUlSR_E0_NS1_11comp_targetILNS1_3genE3ELNS1_11target_archE908ELNS1_3gpuE7ELNS1_3repE0EEENS1_30default_config_static_selectorELNS0_4arch9wavefront6targetE1EEEvT1_
		.amdhsa_group_segment_fixed_size 0
		.amdhsa_private_segment_fixed_size 0
		.amdhsa_kernarg_size 40
		.amdhsa_user_sgpr_count 2
		.amdhsa_user_sgpr_dispatch_ptr 0
		.amdhsa_user_sgpr_queue_ptr 0
		.amdhsa_user_sgpr_kernarg_segment_ptr 1
		.amdhsa_user_sgpr_dispatch_id 0
		.amdhsa_user_sgpr_kernarg_preload_length 0
		.amdhsa_user_sgpr_kernarg_preload_offset 0
		.amdhsa_user_sgpr_private_segment_size 0
		.amdhsa_uses_dynamic_stack 0
		.amdhsa_enable_private_segment 0
		.amdhsa_system_sgpr_workgroup_id_x 1
		.amdhsa_system_sgpr_workgroup_id_y 0
		.amdhsa_system_sgpr_workgroup_id_z 0
		.amdhsa_system_sgpr_workgroup_info 0
		.amdhsa_system_vgpr_workitem_id 0
		.amdhsa_next_free_vgpr 1
		.amdhsa_next_free_sgpr 0
		.amdhsa_accum_offset 4
		.amdhsa_reserve_vcc 0
		.amdhsa_float_round_mode_32 0
		.amdhsa_float_round_mode_16_64 0
		.amdhsa_float_denorm_mode_32 3
		.amdhsa_float_denorm_mode_16_64 3
		.amdhsa_dx10_clamp 1
		.amdhsa_ieee_mode 1
		.amdhsa_fp16_overflow 0
		.amdhsa_tg_split 0
		.amdhsa_exception_fp_ieee_invalid_op 0
		.amdhsa_exception_fp_denorm_src 0
		.amdhsa_exception_fp_ieee_div_zero 0
		.amdhsa_exception_fp_ieee_overflow 0
		.amdhsa_exception_fp_ieee_underflow 0
		.amdhsa_exception_fp_ieee_inexact 0
		.amdhsa_exception_int_div_zero 0
	.end_amdhsa_kernel
	.section	.text._ZN7rocprim17ROCPRIM_400000_NS6detail17trampoline_kernelINS0_14default_configENS1_20scan_config_selectorIdEEZZNS1_9scan_implILNS1_25lookback_scan_determinismE0ELb0ELb0ES3_PKdPddZZZN2at6native31launch_logcumsumexp_cuda_kernelERKNSB_10TensorBaseESF_lENKUlvE_clEvENKUlvE_clEvEUlddE_dEEDaPvRmT3_T4_T5_mT6_P12ihipStream_tbENKUlT_T0_E_clISt17integral_constantIbLb1EESW_EEDaSR_SS_EUlSR_E0_NS1_11comp_targetILNS1_3genE3ELNS1_11target_archE908ELNS1_3gpuE7ELNS1_3repE0EEENS1_30default_config_static_selectorELNS0_4arch9wavefront6targetE1EEEvT1_,"axG",@progbits,_ZN7rocprim17ROCPRIM_400000_NS6detail17trampoline_kernelINS0_14default_configENS1_20scan_config_selectorIdEEZZNS1_9scan_implILNS1_25lookback_scan_determinismE0ELb0ELb0ES3_PKdPddZZZN2at6native31launch_logcumsumexp_cuda_kernelERKNSB_10TensorBaseESF_lENKUlvE_clEvENKUlvE_clEvEUlddE_dEEDaPvRmT3_T4_T5_mT6_P12ihipStream_tbENKUlT_T0_E_clISt17integral_constantIbLb1EESW_EEDaSR_SS_EUlSR_E0_NS1_11comp_targetILNS1_3genE3ELNS1_11target_archE908ELNS1_3gpuE7ELNS1_3repE0EEENS1_30default_config_static_selectorELNS0_4arch9wavefront6targetE1EEEvT1_,comdat
.Lfunc_end42:
	.size	_ZN7rocprim17ROCPRIM_400000_NS6detail17trampoline_kernelINS0_14default_configENS1_20scan_config_selectorIdEEZZNS1_9scan_implILNS1_25lookback_scan_determinismE0ELb0ELb0ES3_PKdPddZZZN2at6native31launch_logcumsumexp_cuda_kernelERKNSB_10TensorBaseESF_lENKUlvE_clEvENKUlvE_clEvEUlddE_dEEDaPvRmT3_T4_T5_mT6_P12ihipStream_tbENKUlT_T0_E_clISt17integral_constantIbLb1EESW_EEDaSR_SS_EUlSR_E0_NS1_11comp_targetILNS1_3genE3ELNS1_11target_archE908ELNS1_3gpuE7ELNS1_3repE0EEENS1_30default_config_static_selectorELNS0_4arch9wavefront6targetE1EEEvT1_, .Lfunc_end42-_ZN7rocprim17ROCPRIM_400000_NS6detail17trampoline_kernelINS0_14default_configENS1_20scan_config_selectorIdEEZZNS1_9scan_implILNS1_25lookback_scan_determinismE0ELb0ELb0ES3_PKdPddZZZN2at6native31launch_logcumsumexp_cuda_kernelERKNSB_10TensorBaseESF_lENKUlvE_clEvENKUlvE_clEvEUlddE_dEEDaPvRmT3_T4_T5_mT6_P12ihipStream_tbENKUlT_T0_E_clISt17integral_constantIbLb1EESW_EEDaSR_SS_EUlSR_E0_NS1_11comp_targetILNS1_3genE3ELNS1_11target_archE908ELNS1_3gpuE7ELNS1_3repE0EEENS1_30default_config_static_selectorELNS0_4arch9wavefront6targetE1EEEvT1_
                                        ; -- End function
	.section	.AMDGPU.csdata,"",@progbits
; Kernel info:
; codeLenInByte = 0
; NumSgprs: 6
; NumVgprs: 0
; NumAgprs: 0
; TotalNumVgprs: 0
; ScratchSize: 0
; MemoryBound: 0
; FloatMode: 240
; IeeeMode: 1
; LDSByteSize: 0 bytes/workgroup (compile time only)
; SGPRBlocks: 0
; VGPRBlocks: 0
; NumSGPRsForWavesPerEU: 6
; NumVGPRsForWavesPerEU: 1
; AccumOffset: 4
; Occupancy: 8
; WaveLimiterHint : 0
; COMPUTE_PGM_RSRC2:SCRATCH_EN: 0
; COMPUTE_PGM_RSRC2:USER_SGPR: 2
; COMPUTE_PGM_RSRC2:TRAP_HANDLER: 0
; COMPUTE_PGM_RSRC2:TGID_X_EN: 1
; COMPUTE_PGM_RSRC2:TGID_Y_EN: 0
; COMPUTE_PGM_RSRC2:TGID_Z_EN: 0
; COMPUTE_PGM_RSRC2:TIDIG_COMP_CNT: 0
; COMPUTE_PGM_RSRC3_GFX90A:ACCUM_OFFSET: 0
; COMPUTE_PGM_RSRC3_GFX90A:TG_SPLIT: 0
	.section	.text._ZN7rocprim17ROCPRIM_400000_NS6detail17trampoline_kernelINS0_14default_configENS1_20scan_config_selectorIdEEZZNS1_9scan_implILNS1_25lookback_scan_determinismE0ELb0ELb0ES3_PKdPddZZZN2at6native31launch_logcumsumexp_cuda_kernelERKNSB_10TensorBaseESF_lENKUlvE_clEvENKUlvE_clEvEUlddE_dEEDaPvRmT3_T4_T5_mT6_P12ihipStream_tbENKUlT_T0_E_clISt17integral_constantIbLb1EESW_EEDaSR_SS_EUlSR_E0_NS1_11comp_targetILNS1_3genE2ELNS1_11target_archE906ELNS1_3gpuE6ELNS1_3repE0EEENS1_30default_config_static_selectorELNS0_4arch9wavefront6targetE1EEEvT1_,"axG",@progbits,_ZN7rocprim17ROCPRIM_400000_NS6detail17trampoline_kernelINS0_14default_configENS1_20scan_config_selectorIdEEZZNS1_9scan_implILNS1_25lookback_scan_determinismE0ELb0ELb0ES3_PKdPddZZZN2at6native31launch_logcumsumexp_cuda_kernelERKNSB_10TensorBaseESF_lENKUlvE_clEvENKUlvE_clEvEUlddE_dEEDaPvRmT3_T4_T5_mT6_P12ihipStream_tbENKUlT_T0_E_clISt17integral_constantIbLb1EESW_EEDaSR_SS_EUlSR_E0_NS1_11comp_targetILNS1_3genE2ELNS1_11target_archE906ELNS1_3gpuE6ELNS1_3repE0EEENS1_30default_config_static_selectorELNS0_4arch9wavefront6targetE1EEEvT1_,comdat
	.globl	_ZN7rocprim17ROCPRIM_400000_NS6detail17trampoline_kernelINS0_14default_configENS1_20scan_config_selectorIdEEZZNS1_9scan_implILNS1_25lookback_scan_determinismE0ELb0ELb0ES3_PKdPddZZZN2at6native31launch_logcumsumexp_cuda_kernelERKNSB_10TensorBaseESF_lENKUlvE_clEvENKUlvE_clEvEUlddE_dEEDaPvRmT3_T4_T5_mT6_P12ihipStream_tbENKUlT_T0_E_clISt17integral_constantIbLb1EESW_EEDaSR_SS_EUlSR_E0_NS1_11comp_targetILNS1_3genE2ELNS1_11target_archE906ELNS1_3gpuE6ELNS1_3repE0EEENS1_30default_config_static_selectorELNS0_4arch9wavefront6targetE1EEEvT1_ ; -- Begin function _ZN7rocprim17ROCPRIM_400000_NS6detail17trampoline_kernelINS0_14default_configENS1_20scan_config_selectorIdEEZZNS1_9scan_implILNS1_25lookback_scan_determinismE0ELb0ELb0ES3_PKdPddZZZN2at6native31launch_logcumsumexp_cuda_kernelERKNSB_10TensorBaseESF_lENKUlvE_clEvENKUlvE_clEvEUlddE_dEEDaPvRmT3_T4_T5_mT6_P12ihipStream_tbENKUlT_T0_E_clISt17integral_constantIbLb1EESW_EEDaSR_SS_EUlSR_E0_NS1_11comp_targetILNS1_3genE2ELNS1_11target_archE906ELNS1_3gpuE6ELNS1_3repE0EEENS1_30default_config_static_selectorELNS0_4arch9wavefront6targetE1EEEvT1_
	.p2align	8
	.type	_ZN7rocprim17ROCPRIM_400000_NS6detail17trampoline_kernelINS0_14default_configENS1_20scan_config_selectorIdEEZZNS1_9scan_implILNS1_25lookback_scan_determinismE0ELb0ELb0ES3_PKdPddZZZN2at6native31launch_logcumsumexp_cuda_kernelERKNSB_10TensorBaseESF_lENKUlvE_clEvENKUlvE_clEvEUlddE_dEEDaPvRmT3_T4_T5_mT6_P12ihipStream_tbENKUlT_T0_E_clISt17integral_constantIbLb1EESW_EEDaSR_SS_EUlSR_E0_NS1_11comp_targetILNS1_3genE2ELNS1_11target_archE906ELNS1_3gpuE6ELNS1_3repE0EEENS1_30default_config_static_selectorELNS0_4arch9wavefront6targetE1EEEvT1_,@function
_ZN7rocprim17ROCPRIM_400000_NS6detail17trampoline_kernelINS0_14default_configENS1_20scan_config_selectorIdEEZZNS1_9scan_implILNS1_25lookback_scan_determinismE0ELb0ELb0ES3_PKdPddZZZN2at6native31launch_logcumsumexp_cuda_kernelERKNSB_10TensorBaseESF_lENKUlvE_clEvENKUlvE_clEvEUlddE_dEEDaPvRmT3_T4_T5_mT6_P12ihipStream_tbENKUlT_T0_E_clISt17integral_constantIbLb1EESW_EEDaSR_SS_EUlSR_E0_NS1_11comp_targetILNS1_3genE2ELNS1_11target_archE906ELNS1_3gpuE6ELNS1_3repE0EEENS1_30default_config_static_selectorELNS0_4arch9wavefront6targetE1EEEvT1_: ; @_ZN7rocprim17ROCPRIM_400000_NS6detail17trampoline_kernelINS0_14default_configENS1_20scan_config_selectorIdEEZZNS1_9scan_implILNS1_25lookback_scan_determinismE0ELb0ELb0ES3_PKdPddZZZN2at6native31launch_logcumsumexp_cuda_kernelERKNSB_10TensorBaseESF_lENKUlvE_clEvENKUlvE_clEvEUlddE_dEEDaPvRmT3_T4_T5_mT6_P12ihipStream_tbENKUlT_T0_E_clISt17integral_constantIbLb1EESW_EEDaSR_SS_EUlSR_E0_NS1_11comp_targetILNS1_3genE2ELNS1_11target_archE906ELNS1_3gpuE6ELNS1_3repE0EEENS1_30default_config_static_selectorELNS0_4arch9wavefront6targetE1EEEvT1_
; %bb.0:
	.section	.rodata,"a",@progbits
	.p2align	6, 0x0
	.amdhsa_kernel _ZN7rocprim17ROCPRIM_400000_NS6detail17trampoline_kernelINS0_14default_configENS1_20scan_config_selectorIdEEZZNS1_9scan_implILNS1_25lookback_scan_determinismE0ELb0ELb0ES3_PKdPddZZZN2at6native31launch_logcumsumexp_cuda_kernelERKNSB_10TensorBaseESF_lENKUlvE_clEvENKUlvE_clEvEUlddE_dEEDaPvRmT3_T4_T5_mT6_P12ihipStream_tbENKUlT_T0_E_clISt17integral_constantIbLb1EESW_EEDaSR_SS_EUlSR_E0_NS1_11comp_targetILNS1_3genE2ELNS1_11target_archE906ELNS1_3gpuE6ELNS1_3repE0EEENS1_30default_config_static_selectorELNS0_4arch9wavefront6targetE1EEEvT1_
		.amdhsa_group_segment_fixed_size 0
		.amdhsa_private_segment_fixed_size 0
		.amdhsa_kernarg_size 40
		.amdhsa_user_sgpr_count 2
		.amdhsa_user_sgpr_dispatch_ptr 0
		.amdhsa_user_sgpr_queue_ptr 0
		.amdhsa_user_sgpr_kernarg_segment_ptr 1
		.amdhsa_user_sgpr_dispatch_id 0
		.amdhsa_user_sgpr_kernarg_preload_length 0
		.amdhsa_user_sgpr_kernarg_preload_offset 0
		.amdhsa_user_sgpr_private_segment_size 0
		.amdhsa_uses_dynamic_stack 0
		.amdhsa_enable_private_segment 0
		.amdhsa_system_sgpr_workgroup_id_x 1
		.amdhsa_system_sgpr_workgroup_id_y 0
		.amdhsa_system_sgpr_workgroup_id_z 0
		.amdhsa_system_sgpr_workgroup_info 0
		.amdhsa_system_vgpr_workitem_id 0
		.amdhsa_next_free_vgpr 1
		.amdhsa_next_free_sgpr 0
		.amdhsa_accum_offset 4
		.amdhsa_reserve_vcc 0
		.amdhsa_float_round_mode_32 0
		.amdhsa_float_round_mode_16_64 0
		.amdhsa_float_denorm_mode_32 3
		.amdhsa_float_denorm_mode_16_64 3
		.amdhsa_dx10_clamp 1
		.amdhsa_ieee_mode 1
		.amdhsa_fp16_overflow 0
		.amdhsa_tg_split 0
		.amdhsa_exception_fp_ieee_invalid_op 0
		.amdhsa_exception_fp_denorm_src 0
		.amdhsa_exception_fp_ieee_div_zero 0
		.amdhsa_exception_fp_ieee_overflow 0
		.amdhsa_exception_fp_ieee_underflow 0
		.amdhsa_exception_fp_ieee_inexact 0
		.amdhsa_exception_int_div_zero 0
	.end_amdhsa_kernel
	.section	.text._ZN7rocprim17ROCPRIM_400000_NS6detail17trampoline_kernelINS0_14default_configENS1_20scan_config_selectorIdEEZZNS1_9scan_implILNS1_25lookback_scan_determinismE0ELb0ELb0ES3_PKdPddZZZN2at6native31launch_logcumsumexp_cuda_kernelERKNSB_10TensorBaseESF_lENKUlvE_clEvENKUlvE_clEvEUlddE_dEEDaPvRmT3_T4_T5_mT6_P12ihipStream_tbENKUlT_T0_E_clISt17integral_constantIbLb1EESW_EEDaSR_SS_EUlSR_E0_NS1_11comp_targetILNS1_3genE2ELNS1_11target_archE906ELNS1_3gpuE6ELNS1_3repE0EEENS1_30default_config_static_selectorELNS0_4arch9wavefront6targetE1EEEvT1_,"axG",@progbits,_ZN7rocprim17ROCPRIM_400000_NS6detail17trampoline_kernelINS0_14default_configENS1_20scan_config_selectorIdEEZZNS1_9scan_implILNS1_25lookback_scan_determinismE0ELb0ELb0ES3_PKdPddZZZN2at6native31launch_logcumsumexp_cuda_kernelERKNSB_10TensorBaseESF_lENKUlvE_clEvENKUlvE_clEvEUlddE_dEEDaPvRmT3_T4_T5_mT6_P12ihipStream_tbENKUlT_T0_E_clISt17integral_constantIbLb1EESW_EEDaSR_SS_EUlSR_E0_NS1_11comp_targetILNS1_3genE2ELNS1_11target_archE906ELNS1_3gpuE6ELNS1_3repE0EEENS1_30default_config_static_selectorELNS0_4arch9wavefront6targetE1EEEvT1_,comdat
.Lfunc_end43:
	.size	_ZN7rocprim17ROCPRIM_400000_NS6detail17trampoline_kernelINS0_14default_configENS1_20scan_config_selectorIdEEZZNS1_9scan_implILNS1_25lookback_scan_determinismE0ELb0ELb0ES3_PKdPddZZZN2at6native31launch_logcumsumexp_cuda_kernelERKNSB_10TensorBaseESF_lENKUlvE_clEvENKUlvE_clEvEUlddE_dEEDaPvRmT3_T4_T5_mT6_P12ihipStream_tbENKUlT_T0_E_clISt17integral_constantIbLb1EESW_EEDaSR_SS_EUlSR_E0_NS1_11comp_targetILNS1_3genE2ELNS1_11target_archE906ELNS1_3gpuE6ELNS1_3repE0EEENS1_30default_config_static_selectorELNS0_4arch9wavefront6targetE1EEEvT1_, .Lfunc_end43-_ZN7rocprim17ROCPRIM_400000_NS6detail17trampoline_kernelINS0_14default_configENS1_20scan_config_selectorIdEEZZNS1_9scan_implILNS1_25lookback_scan_determinismE0ELb0ELb0ES3_PKdPddZZZN2at6native31launch_logcumsumexp_cuda_kernelERKNSB_10TensorBaseESF_lENKUlvE_clEvENKUlvE_clEvEUlddE_dEEDaPvRmT3_T4_T5_mT6_P12ihipStream_tbENKUlT_T0_E_clISt17integral_constantIbLb1EESW_EEDaSR_SS_EUlSR_E0_NS1_11comp_targetILNS1_3genE2ELNS1_11target_archE906ELNS1_3gpuE6ELNS1_3repE0EEENS1_30default_config_static_selectorELNS0_4arch9wavefront6targetE1EEEvT1_
                                        ; -- End function
	.section	.AMDGPU.csdata,"",@progbits
; Kernel info:
; codeLenInByte = 0
; NumSgprs: 6
; NumVgprs: 0
; NumAgprs: 0
; TotalNumVgprs: 0
; ScratchSize: 0
; MemoryBound: 0
; FloatMode: 240
; IeeeMode: 1
; LDSByteSize: 0 bytes/workgroup (compile time only)
; SGPRBlocks: 0
; VGPRBlocks: 0
; NumSGPRsForWavesPerEU: 6
; NumVGPRsForWavesPerEU: 1
; AccumOffset: 4
; Occupancy: 8
; WaveLimiterHint : 0
; COMPUTE_PGM_RSRC2:SCRATCH_EN: 0
; COMPUTE_PGM_RSRC2:USER_SGPR: 2
; COMPUTE_PGM_RSRC2:TRAP_HANDLER: 0
; COMPUTE_PGM_RSRC2:TGID_X_EN: 1
; COMPUTE_PGM_RSRC2:TGID_Y_EN: 0
; COMPUTE_PGM_RSRC2:TGID_Z_EN: 0
; COMPUTE_PGM_RSRC2:TIDIG_COMP_CNT: 0
; COMPUTE_PGM_RSRC3_GFX90A:ACCUM_OFFSET: 0
; COMPUTE_PGM_RSRC3_GFX90A:TG_SPLIT: 0
	.section	.text._ZN7rocprim17ROCPRIM_400000_NS6detail17trampoline_kernelINS0_14default_configENS1_20scan_config_selectorIdEEZZNS1_9scan_implILNS1_25lookback_scan_determinismE0ELb0ELb0ES3_PKdPddZZZN2at6native31launch_logcumsumexp_cuda_kernelERKNSB_10TensorBaseESF_lENKUlvE_clEvENKUlvE_clEvEUlddE_dEEDaPvRmT3_T4_T5_mT6_P12ihipStream_tbENKUlT_T0_E_clISt17integral_constantIbLb1EESW_EEDaSR_SS_EUlSR_E0_NS1_11comp_targetILNS1_3genE10ELNS1_11target_archE1201ELNS1_3gpuE5ELNS1_3repE0EEENS1_30default_config_static_selectorELNS0_4arch9wavefront6targetE1EEEvT1_,"axG",@progbits,_ZN7rocprim17ROCPRIM_400000_NS6detail17trampoline_kernelINS0_14default_configENS1_20scan_config_selectorIdEEZZNS1_9scan_implILNS1_25lookback_scan_determinismE0ELb0ELb0ES3_PKdPddZZZN2at6native31launch_logcumsumexp_cuda_kernelERKNSB_10TensorBaseESF_lENKUlvE_clEvENKUlvE_clEvEUlddE_dEEDaPvRmT3_T4_T5_mT6_P12ihipStream_tbENKUlT_T0_E_clISt17integral_constantIbLb1EESW_EEDaSR_SS_EUlSR_E0_NS1_11comp_targetILNS1_3genE10ELNS1_11target_archE1201ELNS1_3gpuE5ELNS1_3repE0EEENS1_30default_config_static_selectorELNS0_4arch9wavefront6targetE1EEEvT1_,comdat
	.globl	_ZN7rocprim17ROCPRIM_400000_NS6detail17trampoline_kernelINS0_14default_configENS1_20scan_config_selectorIdEEZZNS1_9scan_implILNS1_25lookback_scan_determinismE0ELb0ELb0ES3_PKdPddZZZN2at6native31launch_logcumsumexp_cuda_kernelERKNSB_10TensorBaseESF_lENKUlvE_clEvENKUlvE_clEvEUlddE_dEEDaPvRmT3_T4_T5_mT6_P12ihipStream_tbENKUlT_T0_E_clISt17integral_constantIbLb1EESW_EEDaSR_SS_EUlSR_E0_NS1_11comp_targetILNS1_3genE10ELNS1_11target_archE1201ELNS1_3gpuE5ELNS1_3repE0EEENS1_30default_config_static_selectorELNS0_4arch9wavefront6targetE1EEEvT1_ ; -- Begin function _ZN7rocprim17ROCPRIM_400000_NS6detail17trampoline_kernelINS0_14default_configENS1_20scan_config_selectorIdEEZZNS1_9scan_implILNS1_25lookback_scan_determinismE0ELb0ELb0ES3_PKdPddZZZN2at6native31launch_logcumsumexp_cuda_kernelERKNSB_10TensorBaseESF_lENKUlvE_clEvENKUlvE_clEvEUlddE_dEEDaPvRmT3_T4_T5_mT6_P12ihipStream_tbENKUlT_T0_E_clISt17integral_constantIbLb1EESW_EEDaSR_SS_EUlSR_E0_NS1_11comp_targetILNS1_3genE10ELNS1_11target_archE1201ELNS1_3gpuE5ELNS1_3repE0EEENS1_30default_config_static_selectorELNS0_4arch9wavefront6targetE1EEEvT1_
	.p2align	8
	.type	_ZN7rocprim17ROCPRIM_400000_NS6detail17trampoline_kernelINS0_14default_configENS1_20scan_config_selectorIdEEZZNS1_9scan_implILNS1_25lookback_scan_determinismE0ELb0ELb0ES3_PKdPddZZZN2at6native31launch_logcumsumexp_cuda_kernelERKNSB_10TensorBaseESF_lENKUlvE_clEvENKUlvE_clEvEUlddE_dEEDaPvRmT3_T4_T5_mT6_P12ihipStream_tbENKUlT_T0_E_clISt17integral_constantIbLb1EESW_EEDaSR_SS_EUlSR_E0_NS1_11comp_targetILNS1_3genE10ELNS1_11target_archE1201ELNS1_3gpuE5ELNS1_3repE0EEENS1_30default_config_static_selectorELNS0_4arch9wavefront6targetE1EEEvT1_,@function
_ZN7rocprim17ROCPRIM_400000_NS6detail17trampoline_kernelINS0_14default_configENS1_20scan_config_selectorIdEEZZNS1_9scan_implILNS1_25lookback_scan_determinismE0ELb0ELb0ES3_PKdPddZZZN2at6native31launch_logcumsumexp_cuda_kernelERKNSB_10TensorBaseESF_lENKUlvE_clEvENKUlvE_clEvEUlddE_dEEDaPvRmT3_T4_T5_mT6_P12ihipStream_tbENKUlT_T0_E_clISt17integral_constantIbLb1EESW_EEDaSR_SS_EUlSR_E0_NS1_11comp_targetILNS1_3genE10ELNS1_11target_archE1201ELNS1_3gpuE5ELNS1_3repE0EEENS1_30default_config_static_selectorELNS0_4arch9wavefront6targetE1EEEvT1_: ; @_ZN7rocprim17ROCPRIM_400000_NS6detail17trampoline_kernelINS0_14default_configENS1_20scan_config_selectorIdEEZZNS1_9scan_implILNS1_25lookback_scan_determinismE0ELb0ELb0ES3_PKdPddZZZN2at6native31launch_logcumsumexp_cuda_kernelERKNSB_10TensorBaseESF_lENKUlvE_clEvENKUlvE_clEvEUlddE_dEEDaPvRmT3_T4_T5_mT6_P12ihipStream_tbENKUlT_T0_E_clISt17integral_constantIbLb1EESW_EEDaSR_SS_EUlSR_E0_NS1_11comp_targetILNS1_3genE10ELNS1_11target_archE1201ELNS1_3gpuE5ELNS1_3repE0EEENS1_30default_config_static_selectorELNS0_4arch9wavefront6targetE1EEEvT1_
; %bb.0:
	.section	.rodata,"a",@progbits
	.p2align	6, 0x0
	.amdhsa_kernel _ZN7rocprim17ROCPRIM_400000_NS6detail17trampoline_kernelINS0_14default_configENS1_20scan_config_selectorIdEEZZNS1_9scan_implILNS1_25lookback_scan_determinismE0ELb0ELb0ES3_PKdPddZZZN2at6native31launch_logcumsumexp_cuda_kernelERKNSB_10TensorBaseESF_lENKUlvE_clEvENKUlvE_clEvEUlddE_dEEDaPvRmT3_T4_T5_mT6_P12ihipStream_tbENKUlT_T0_E_clISt17integral_constantIbLb1EESW_EEDaSR_SS_EUlSR_E0_NS1_11comp_targetILNS1_3genE10ELNS1_11target_archE1201ELNS1_3gpuE5ELNS1_3repE0EEENS1_30default_config_static_selectorELNS0_4arch9wavefront6targetE1EEEvT1_
		.amdhsa_group_segment_fixed_size 0
		.amdhsa_private_segment_fixed_size 0
		.amdhsa_kernarg_size 40
		.amdhsa_user_sgpr_count 2
		.amdhsa_user_sgpr_dispatch_ptr 0
		.amdhsa_user_sgpr_queue_ptr 0
		.amdhsa_user_sgpr_kernarg_segment_ptr 1
		.amdhsa_user_sgpr_dispatch_id 0
		.amdhsa_user_sgpr_kernarg_preload_length 0
		.amdhsa_user_sgpr_kernarg_preload_offset 0
		.amdhsa_user_sgpr_private_segment_size 0
		.amdhsa_uses_dynamic_stack 0
		.amdhsa_enable_private_segment 0
		.amdhsa_system_sgpr_workgroup_id_x 1
		.amdhsa_system_sgpr_workgroup_id_y 0
		.amdhsa_system_sgpr_workgroup_id_z 0
		.amdhsa_system_sgpr_workgroup_info 0
		.amdhsa_system_vgpr_workitem_id 0
		.amdhsa_next_free_vgpr 1
		.amdhsa_next_free_sgpr 0
		.amdhsa_accum_offset 4
		.amdhsa_reserve_vcc 0
		.amdhsa_float_round_mode_32 0
		.amdhsa_float_round_mode_16_64 0
		.amdhsa_float_denorm_mode_32 3
		.amdhsa_float_denorm_mode_16_64 3
		.amdhsa_dx10_clamp 1
		.amdhsa_ieee_mode 1
		.amdhsa_fp16_overflow 0
		.amdhsa_tg_split 0
		.amdhsa_exception_fp_ieee_invalid_op 0
		.amdhsa_exception_fp_denorm_src 0
		.amdhsa_exception_fp_ieee_div_zero 0
		.amdhsa_exception_fp_ieee_overflow 0
		.amdhsa_exception_fp_ieee_underflow 0
		.amdhsa_exception_fp_ieee_inexact 0
		.amdhsa_exception_int_div_zero 0
	.end_amdhsa_kernel
	.section	.text._ZN7rocprim17ROCPRIM_400000_NS6detail17trampoline_kernelINS0_14default_configENS1_20scan_config_selectorIdEEZZNS1_9scan_implILNS1_25lookback_scan_determinismE0ELb0ELb0ES3_PKdPddZZZN2at6native31launch_logcumsumexp_cuda_kernelERKNSB_10TensorBaseESF_lENKUlvE_clEvENKUlvE_clEvEUlddE_dEEDaPvRmT3_T4_T5_mT6_P12ihipStream_tbENKUlT_T0_E_clISt17integral_constantIbLb1EESW_EEDaSR_SS_EUlSR_E0_NS1_11comp_targetILNS1_3genE10ELNS1_11target_archE1201ELNS1_3gpuE5ELNS1_3repE0EEENS1_30default_config_static_selectorELNS0_4arch9wavefront6targetE1EEEvT1_,"axG",@progbits,_ZN7rocprim17ROCPRIM_400000_NS6detail17trampoline_kernelINS0_14default_configENS1_20scan_config_selectorIdEEZZNS1_9scan_implILNS1_25lookback_scan_determinismE0ELb0ELb0ES3_PKdPddZZZN2at6native31launch_logcumsumexp_cuda_kernelERKNSB_10TensorBaseESF_lENKUlvE_clEvENKUlvE_clEvEUlddE_dEEDaPvRmT3_T4_T5_mT6_P12ihipStream_tbENKUlT_T0_E_clISt17integral_constantIbLb1EESW_EEDaSR_SS_EUlSR_E0_NS1_11comp_targetILNS1_3genE10ELNS1_11target_archE1201ELNS1_3gpuE5ELNS1_3repE0EEENS1_30default_config_static_selectorELNS0_4arch9wavefront6targetE1EEEvT1_,comdat
.Lfunc_end44:
	.size	_ZN7rocprim17ROCPRIM_400000_NS6detail17trampoline_kernelINS0_14default_configENS1_20scan_config_selectorIdEEZZNS1_9scan_implILNS1_25lookback_scan_determinismE0ELb0ELb0ES3_PKdPddZZZN2at6native31launch_logcumsumexp_cuda_kernelERKNSB_10TensorBaseESF_lENKUlvE_clEvENKUlvE_clEvEUlddE_dEEDaPvRmT3_T4_T5_mT6_P12ihipStream_tbENKUlT_T0_E_clISt17integral_constantIbLb1EESW_EEDaSR_SS_EUlSR_E0_NS1_11comp_targetILNS1_3genE10ELNS1_11target_archE1201ELNS1_3gpuE5ELNS1_3repE0EEENS1_30default_config_static_selectorELNS0_4arch9wavefront6targetE1EEEvT1_, .Lfunc_end44-_ZN7rocprim17ROCPRIM_400000_NS6detail17trampoline_kernelINS0_14default_configENS1_20scan_config_selectorIdEEZZNS1_9scan_implILNS1_25lookback_scan_determinismE0ELb0ELb0ES3_PKdPddZZZN2at6native31launch_logcumsumexp_cuda_kernelERKNSB_10TensorBaseESF_lENKUlvE_clEvENKUlvE_clEvEUlddE_dEEDaPvRmT3_T4_T5_mT6_P12ihipStream_tbENKUlT_T0_E_clISt17integral_constantIbLb1EESW_EEDaSR_SS_EUlSR_E0_NS1_11comp_targetILNS1_3genE10ELNS1_11target_archE1201ELNS1_3gpuE5ELNS1_3repE0EEENS1_30default_config_static_selectorELNS0_4arch9wavefront6targetE1EEEvT1_
                                        ; -- End function
	.section	.AMDGPU.csdata,"",@progbits
; Kernel info:
; codeLenInByte = 0
; NumSgprs: 6
; NumVgprs: 0
; NumAgprs: 0
; TotalNumVgprs: 0
; ScratchSize: 0
; MemoryBound: 0
; FloatMode: 240
; IeeeMode: 1
; LDSByteSize: 0 bytes/workgroup (compile time only)
; SGPRBlocks: 0
; VGPRBlocks: 0
; NumSGPRsForWavesPerEU: 6
; NumVGPRsForWavesPerEU: 1
; AccumOffset: 4
; Occupancy: 8
; WaveLimiterHint : 0
; COMPUTE_PGM_RSRC2:SCRATCH_EN: 0
; COMPUTE_PGM_RSRC2:USER_SGPR: 2
; COMPUTE_PGM_RSRC2:TRAP_HANDLER: 0
; COMPUTE_PGM_RSRC2:TGID_X_EN: 1
; COMPUTE_PGM_RSRC2:TGID_Y_EN: 0
; COMPUTE_PGM_RSRC2:TGID_Z_EN: 0
; COMPUTE_PGM_RSRC2:TIDIG_COMP_CNT: 0
; COMPUTE_PGM_RSRC3_GFX90A:ACCUM_OFFSET: 0
; COMPUTE_PGM_RSRC3_GFX90A:TG_SPLIT: 0
	.section	.text._ZN7rocprim17ROCPRIM_400000_NS6detail17trampoline_kernelINS0_14default_configENS1_20scan_config_selectorIdEEZZNS1_9scan_implILNS1_25lookback_scan_determinismE0ELb0ELb0ES3_PKdPddZZZN2at6native31launch_logcumsumexp_cuda_kernelERKNSB_10TensorBaseESF_lENKUlvE_clEvENKUlvE_clEvEUlddE_dEEDaPvRmT3_T4_T5_mT6_P12ihipStream_tbENKUlT_T0_E_clISt17integral_constantIbLb1EESW_EEDaSR_SS_EUlSR_E0_NS1_11comp_targetILNS1_3genE10ELNS1_11target_archE1200ELNS1_3gpuE4ELNS1_3repE0EEENS1_30default_config_static_selectorELNS0_4arch9wavefront6targetE1EEEvT1_,"axG",@progbits,_ZN7rocprim17ROCPRIM_400000_NS6detail17trampoline_kernelINS0_14default_configENS1_20scan_config_selectorIdEEZZNS1_9scan_implILNS1_25lookback_scan_determinismE0ELb0ELb0ES3_PKdPddZZZN2at6native31launch_logcumsumexp_cuda_kernelERKNSB_10TensorBaseESF_lENKUlvE_clEvENKUlvE_clEvEUlddE_dEEDaPvRmT3_T4_T5_mT6_P12ihipStream_tbENKUlT_T0_E_clISt17integral_constantIbLb1EESW_EEDaSR_SS_EUlSR_E0_NS1_11comp_targetILNS1_3genE10ELNS1_11target_archE1200ELNS1_3gpuE4ELNS1_3repE0EEENS1_30default_config_static_selectorELNS0_4arch9wavefront6targetE1EEEvT1_,comdat
	.globl	_ZN7rocprim17ROCPRIM_400000_NS6detail17trampoline_kernelINS0_14default_configENS1_20scan_config_selectorIdEEZZNS1_9scan_implILNS1_25lookback_scan_determinismE0ELb0ELb0ES3_PKdPddZZZN2at6native31launch_logcumsumexp_cuda_kernelERKNSB_10TensorBaseESF_lENKUlvE_clEvENKUlvE_clEvEUlddE_dEEDaPvRmT3_T4_T5_mT6_P12ihipStream_tbENKUlT_T0_E_clISt17integral_constantIbLb1EESW_EEDaSR_SS_EUlSR_E0_NS1_11comp_targetILNS1_3genE10ELNS1_11target_archE1200ELNS1_3gpuE4ELNS1_3repE0EEENS1_30default_config_static_selectorELNS0_4arch9wavefront6targetE1EEEvT1_ ; -- Begin function _ZN7rocprim17ROCPRIM_400000_NS6detail17trampoline_kernelINS0_14default_configENS1_20scan_config_selectorIdEEZZNS1_9scan_implILNS1_25lookback_scan_determinismE0ELb0ELb0ES3_PKdPddZZZN2at6native31launch_logcumsumexp_cuda_kernelERKNSB_10TensorBaseESF_lENKUlvE_clEvENKUlvE_clEvEUlddE_dEEDaPvRmT3_T4_T5_mT6_P12ihipStream_tbENKUlT_T0_E_clISt17integral_constantIbLb1EESW_EEDaSR_SS_EUlSR_E0_NS1_11comp_targetILNS1_3genE10ELNS1_11target_archE1200ELNS1_3gpuE4ELNS1_3repE0EEENS1_30default_config_static_selectorELNS0_4arch9wavefront6targetE1EEEvT1_
	.p2align	8
	.type	_ZN7rocprim17ROCPRIM_400000_NS6detail17trampoline_kernelINS0_14default_configENS1_20scan_config_selectorIdEEZZNS1_9scan_implILNS1_25lookback_scan_determinismE0ELb0ELb0ES3_PKdPddZZZN2at6native31launch_logcumsumexp_cuda_kernelERKNSB_10TensorBaseESF_lENKUlvE_clEvENKUlvE_clEvEUlddE_dEEDaPvRmT3_T4_T5_mT6_P12ihipStream_tbENKUlT_T0_E_clISt17integral_constantIbLb1EESW_EEDaSR_SS_EUlSR_E0_NS1_11comp_targetILNS1_3genE10ELNS1_11target_archE1200ELNS1_3gpuE4ELNS1_3repE0EEENS1_30default_config_static_selectorELNS0_4arch9wavefront6targetE1EEEvT1_,@function
_ZN7rocprim17ROCPRIM_400000_NS6detail17trampoline_kernelINS0_14default_configENS1_20scan_config_selectorIdEEZZNS1_9scan_implILNS1_25lookback_scan_determinismE0ELb0ELb0ES3_PKdPddZZZN2at6native31launch_logcumsumexp_cuda_kernelERKNSB_10TensorBaseESF_lENKUlvE_clEvENKUlvE_clEvEUlddE_dEEDaPvRmT3_T4_T5_mT6_P12ihipStream_tbENKUlT_T0_E_clISt17integral_constantIbLb1EESW_EEDaSR_SS_EUlSR_E0_NS1_11comp_targetILNS1_3genE10ELNS1_11target_archE1200ELNS1_3gpuE4ELNS1_3repE0EEENS1_30default_config_static_selectorELNS0_4arch9wavefront6targetE1EEEvT1_: ; @_ZN7rocprim17ROCPRIM_400000_NS6detail17trampoline_kernelINS0_14default_configENS1_20scan_config_selectorIdEEZZNS1_9scan_implILNS1_25lookback_scan_determinismE0ELb0ELb0ES3_PKdPddZZZN2at6native31launch_logcumsumexp_cuda_kernelERKNSB_10TensorBaseESF_lENKUlvE_clEvENKUlvE_clEvEUlddE_dEEDaPvRmT3_T4_T5_mT6_P12ihipStream_tbENKUlT_T0_E_clISt17integral_constantIbLb1EESW_EEDaSR_SS_EUlSR_E0_NS1_11comp_targetILNS1_3genE10ELNS1_11target_archE1200ELNS1_3gpuE4ELNS1_3repE0EEENS1_30default_config_static_selectorELNS0_4arch9wavefront6targetE1EEEvT1_
; %bb.0:
	.section	.rodata,"a",@progbits
	.p2align	6, 0x0
	.amdhsa_kernel _ZN7rocprim17ROCPRIM_400000_NS6detail17trampoline_kernelINS0_14default_configENS1_20scan_config_selectorIdEEZZNS1_9scan_implILNS1_25lookback_scan_determinismE0ELb0ELb0ES3_PKdPddZZZN2at6native31launch_logcumsumexp_cuda_kernelERKNSB_10TensorBaseESF_lENKUlvE_clEvENKUlvE_clEvEUlddE_dEEDaPvRmT3_T4_T5_mT6_P12ihipStream_tbENKUlT_T0_E_clISt17integral_constantIbLb1EESW_EEDaSR_SS_EUlSR_E0_NS1_11comp_targetILNS1_3genE10ELNS1_11target_archE1200ELNS1_3gpuE4ELNS1_3repE0EEENS1_30default_config_static_selectorELNS0_4arch9wavefront6targetE1EEEvT1_
		.amdhsa_group_segment_fixed_size 0
		.amdhsa_private_segment_fixed_size 0
		.amdhsa_kernarg_size 40
		.amdhsa_user_sgpr_count 2
		.amdhsa_user_sgpr_dispatch_ptr 0
		.amdhsa_user_sgpr_queue_ptr 0
		.amdhsa_user_sgpr_kernarg_segment_ptr 1
		.amdhsa_user_sgpr_dispatch_id 0
		.amdhsa_user_sgpr_kernarg_preload_length 0
		.amdhsa_user_sgpr_kernarg_preload_offset 0
		.amdhsa_user_sgpr_private_segment_size 0
		.amdhsa_uses_dynamic_stack 0
		.amdhsa_enable_private_segment 0
		.amdhsa_system_sgpr_workgroup_id_x 1
		.amdhsa_system_sgpr_workgroup_id_y 0
		.amdhsa_system_sgpr_workgroup_id_z 0
		.amdhsa_system_sgpr_workgroup_info 0
		.amdhsa_system_vgpr_workitem_id 0
		.amdhsa_next_free_vgpr 1
		.amdhsa_next_free_sgpr 0
		.amdhsa_accum_offset 4
		.amdhsa_reserve_vcc 0
		.amdhsa_float_round_mode_32 0
		.amdhsa_float_round_mode_16_64 0
		.amdhsa_float_denorm_mode_32 3
		.amdhsa_float_denorm_mode_16_64 3
		.amdhsa_dx10_clamp 1
		.amdhsa_ieee_mode 1
		.amdhsa_fp16_overflow 0
		.amdhsa_tg_split 0
		.amdhsa_exception_fp_ieee_invalid_op 0
		.amdhsa_exception_fp_denorm_src 0
		.amdhsa_exception_fp_ieee_div_zero 0
		.amdhsa_exception_fp_ieee_overflow 0
		.amdhsa_exception_fp_ieee_underflow 0
		.amdhsa_exception_fp_ieee_inexact 0
		.amdhsa_exception_int_div_zero 0
	.end_amdhsa_kernel
	.section	.text._ZN7rocprim17ROCPRIM_400000_NS6detail17trampoline_kernelINS0_14default_configENS1_20scan_config_selectorIdEEZZNS1_9scan_implILNS1_25lookback_scan_determinismE0ELb0ELb0ES3_PKdPddZZZN2at6native31launch_logcumsumexp_cuda_kernelERKNSB_10TensorBaseESF_lENKUlvE_clEvENKUlvE_clEvEUlddE_dEEDaPvRmT3_T4_T5_mT6_P12ihipStream_tbENKUlT_T0_E_clISt17integral_constantIbLb1EESW_EEDaSR_SS_EUlSR_E0_NS1_11comp_targetILNS1_3genE10ELNS1_11target_archE1200ELNS1_3gpuE4ELNS1_3repE0EEENS1_30default_config_static_selectorELNS0_4arch9wavefront6targetE1EEEvT1_,"axG",@progbits,_ZN7rocprim17ROCPRIM_400000_NS6detail17trampoline_kernelINS0_14default_configENS1_20scan_config_selectorIdEEZZNS1_9scan_implILNS1_25lookback_scan_determinismE0ELb0ELb0ES3_PKdPddZZZN2at6native31launch_logcumsumexp_cuda_kernelERKNSB_10TensorBaseESF_lENKUlvE_clEvENKUlvE_clEvEUlddE_dEEDaPvRmT3_T4_T5_mT6_P12ihipStream_tbENKUlT_T0_E_clISt17integral_constantIbLb1EESW_EEDaSR_SS_EUlSR_E0_NS1_11comp_targetILNS1_3genE10ELNS1_11target_archE1200ELNS1_3gpuE4ELNS1_3repE0EEENS1_30default_config_static_selectorELNS0_4arch9wavefront6targetE1EEEvT1_,comdat
.Lfunc_end45:
	.size	_ZN7rocprim17ROCPRIM_400000_NS6detail17trampoline_kernelINS0_14default_configENS1_20scan_config_selectorIdEEZZNS1_9scan_implILNS1_25lookback_scan_determinismE0ELb0ELb0ES3_PKdPddZZZN2at6native31launch_logcumsumexp_cuda_kernelERKNSB_10TensorBaseESF_lENKUlvE_clEvENKUlvE_clEvEUlddE_dEEDaPvRmT3_T4_T5_mT6_P12ihipStream_tbENKUlT_T0_E_clISt17integral_constantIbLb1EESW_EEDaSR_SS_EUlSR_E0_NS1_11comp_targetILNS1_3genE10ELNS1_11target_archE1200ELNS1_3gpuE4ELNS1_3repE0EEENS1_30default_config_static_selectorELNS0_4arch9wavefront6targetE1EEEvT1_, .Lfunc_end45-_ZN7rocprim17ROCPRIM_400000_NS6detail17trampoline_kernelINS0_14default_configENS1_20scan_config_selectorIdEEZZNS1_9scan_implILNS1_25lookback_scan_determinismE0ELb0ELb0ES3_PKdPddZZZN2at6native31launch_logcumsumexp_cuda_kernelERKNSB_10TensorBaseESF_lENKUlvE_clEvENKUlvE_clEvEUlddE_dEEDaPvRmT3_T4_T5_mT6_P12ihipStream_tbENKUlT_T0_E_clISt17integral_constantIbLb1EESW_EEDaSR_SS_EUlSR_E0_NS1_11comp_targetILNS1_3genE10ELNS1_11target_archE1200ELNS1_3gpuE4ELNS1_3repE0EEENS1_30default_config_static_selectorELNS0_4arch9wavefront6targetE1EEEvT1_
                                        ; -- End function
	.section	.AMDGPU.csdata,"",@progbits
; Kernel info:
; codeLenInByte = 0
; NumSgprs: 6
; NumVgprs: 0
; NumAgprs: 0
; TotalNumVgprs: 0
; ScratchSize: 0
; MemoryBound: 0
; FloatMode: 240
; IeeeMode: 1
; LDSByteSize: 0 bytes/workgroup (compile time only)
; SGPRBlocks: 0
; VGPRBlocks: 0
; NumSGPRsForWavesPerEU: 6
; NumVGPRsForWavesPerEU: 1
; AccumOffset: 4
; Occupancy: 8
; WaveLimiterHint : 0
; COMPUTE_PGM_RSRC2:SCRATCH_EN: 0
; COMPUTE_PGM_RSRC2:USER_SGPR: 2
; COMPUTE_PGM_RSRC2:TRAP_HANDLER: 0
; COMPUTE_PGM_RSRC2:TGID_X_EN: 1
; COMPUTE_PGM_RSRC2:TGID_Y_EN: 0
; COMPUTE_PGM_RSRC2:TGID_Z_EN: 0
; COMPUTE_PGM_RSRC2:TIDIG_COMP_CNT: 0
; COMPUTE_PGM_RSRC3_GFX90A:ACCUM_OFFSET: 0
; COMPUTE_PGM_RSRC3_GFX90A:TG_SPLIT: 0
	.section	.text._ZN7rocprim17ROCPRIM_400000_NS6detail17trampoline_kernelINS0_14default_configENS1_20scan_config_selectorIdEEZZNS1_9scan_implILNS1_25lookback_scan_determinismE0ELb0ELb0ES3_PKdPddZZZN2at6native31launch_logcumsumexp_cuda_kernelERKNSB_10TensorBaseESF_lENKUlvE_clEvENKUlvE_clEvEUlddE_dEEDaPvRmT3_T4_T5_mT6_P12ihipStream_tbENKUlT_T0_E_clISt17integral_constantIbLb1EESW_EEDaSR_SS_EUlSR_E0_NS1_11comp_targetILNS1_3genE9ELNS1_11target_archE1100ELNS1_3gpuE3ELNS1_3repE0EEENS1_30default_config_static_selectorELNS0_4arch9wavefront6targetE1EEEvT1_,"axG",@progbits,_ZN7rocprim17ROCPRIM_400000_NS6detail17trampoline_kernelINS0_14default_configENS1_20scan_config_selectorIdEEZZNS1_9scan_implILNS1_25lookback_scan_determinismE0ELb0ELb0ES3_PKdPddZZZN2at6native31launch_logcumsumexp_cuda_kernelERKNSB_10TensorBaseESF_lENKUlvE_clEvENKUlvE_clEvEUlddE_dEEDaPvRmT3_T4_T5_mT6_P12ihipStream_tbENKUlT_T0_E_clISt17integral_constantIbLb1EESW_EEDaSR_SS_EUlSR_E0_NS1_11comp_targetILNS1_3genE9ELNS1_11target_archE1100ELNS1_3gpuE3ELNS1_3repE0EEENS1_30default_config_static_selectorELNS0_4arch9wavefront6targetE1EEEvT1_,comdat
	.globl	_ZN7rocprim17ROCPRIM_400000_NS6detail17trampoline_kernelINS0_14default_configENS1_20scan_config_selectorIdEEZZNS1_9scan_implILNS1_25lookback_scan_determinismE0ELb0ELb0ES3_PKdPddZZZN2at6native31launch_logcumsumexp_cuda_kernelERKNSB_10TensorBaseESF_lENKUlvE_clEvENKUlvE_clEvEUlddE_dEEDaPvRmT3_T4_T5_mT6_P12ihipStream_tbENKUlT_T0_E_clISt17integral_constantIbLb1EESW_EEDaSR_SS_EUlSR_E0_NS1_11comp_targetILNS1_3genE9ELNS1_11target_archE1100ELNS1_3gpuE3ELNS1_3repE0EEENS1_30default_config_static_selectorELNS0_4arch9wavefront6targetE1EEEvT1_ ; -- Begin function _ZN7rocprim17ROCPRIM_400000_NS6detail17trampoline_kernelINS0_14default_configENS1_20scan_config_selectorIdEEZZNS1_9scan_implILNS1_25lookback_scan_determinismE0ELb0ELb0ES3_PKdPddZZZN2at6native31launch_logcumsumexp_cuda_kernelERKNSB_10TensorBaseESF_lENKUlvE_clEvENKUlvE_clEvEUlddE_dEEDaPvRmT3_T4_T5_mT6_P12ihipStream_tbENKUlT_T0_E_clISt17integral_constantIbLb1EESW_EEDaSR_SS_EUlSR_E0_NS1_11comp_targetILNS1_3genE9ELNS1_11target_archE1100ELNS1_3gpuE3ELNS1_3repE0EEENS1_30default_config_static_selectorELNS0_4arch9wavefront6targetE1EEEvT1_
	.p2align	8
	.type	_ZN7rocprim17ROCPRIM_400000_NS6detail17trampoline_kernelINS0_14default_configENS1_20scan_config_selectorIdEEZZNS1_9scan_implILNS1_25lookback_scan_determinismE0ELb0ELb0ES3_PKdPddZZZN2at6native31launch_logcumsumexp_cuda_kernelERKNSB_10TensorBaseESF_lENKUlvE_clEvENKUlvE_clEvEUlddE_dEEDaPvRmT3_T4_T5_mT6_P12ihipStream_tbENKUlT_T0_E_clISt17integral_constantIbLb1EESW_EEDaSR_SS_EUlSR_E0_NS1_11comp_targetILNS1_3genE9ELNS1_11target_archE1100ELNS1_3gpuE3ELNS1_3repE0EEENS1_30default_config_static_selectorELNS0_4arch9wavefront6targetE1EEEvT1_,@function
_ZN7rocprim17ROCPRIM_400000_NS6detail17trampoline_kernelINS0_14default_configENS1_20scan_config_selectorIdEEZZNS1_9scan_implILNS1_25lookback_scan_determinismE0ELb0ELb0ES3_PKdPddZZZN2at6native31launch_logcumsumexp_cuda_kernelERKNSB_10TensorBaseESF_lENKUlvE_clEvENKUlvE_clEvEUlddE_dEEDaPvRmT3_T4_T5_mT6_P12ihipStream_tbENKUlT_T0_E_clISt17integral_constantIbLb1EESW_EEDaSR_SS_EUlSR_E0_NS1_11comp_targetILNS1_3genE9ELNS1_11target_archE1100ELNS1_3gpuE3ELNS1_3repE0EEENS1_30default_config_static_selectorELNS0_4arch9wavefront6targetE1EEEvT1_: ; @_ZN7rocprim17ROCPRIM_400000_NS6detail17trampoline_kernelINS0_14default_configENS1_20scan_config_selectorIdEEZZNS1_9scan_implILNS1_25lookback_scan_determinismE0ELb0ELb0ES3_PKdPddZZZN2at6native31launch_logcumsumexp_cuda_kernelERKNSB_10TensorBaseESF_lENKUlvE_clEvENKUlvE_clEvEUlddE_dEEDaPvRmT3_T4_T5_mT6_P12ihipStream_tbENKUlT_T0_E_clISt17integral_constantIbLb1EESW_EEDaSR_SS_EUlSR_E0_NS1_11comp_targetILNS1_3genE9ELNS1_11target_archE1100ELNS1_3gpuE3ELNS1_3repE0EEENS1_30default_config_static_selectorELNS0_4arch9wavefront6targetE1EEEvT1_
; %bb.0:
	.section	.rodata,"a",@progbits
	.p2align	6, 0x0
	.amdhsa_kernel _ZN7rocprim17ROCPRIM_400000_NS6detail17trampoline_kernelINS0_14default_configENS1_20scan_config_selectorIdEEZZNS1_9scan_implILNS1_25lookback_scan_determinismE0ELb0ELb0ES3_PKdPddZZZN2at6native31launch_logcumsumexp_cuda_kernelERKNSB_10TensorBaseESF_lENKUlvE_clEvENKUlvE_clEvEUlddE_dEEDaPvRmT3_T4_T5_mT6_P12ihipStream_tbENKUlT_T0_E_clISt17integral_constantIbLb1EESW_EEDaSR_SS_EUlSR_E0_NS1_11comp_targetILNS1_3genE9ELNS1_11target_archE1100ELNS1_3gpuE3ELNS1_3repE0EEENS1_30default_config_static_selectorELNS0_4arch9wavefront6targetE1EEEvT1_
		.amdhsa_group_segment_fixed_size 0
		.amdhsa_private_segment_fixed_size 0
		.amdhsa_kernarg_size 40
		.amdhsa_user_sgpr_count 2
		.amdhsa_user_sgpr_dispatch_ptr 0
		.amdhsa_user_sgpr_queue_ptr 0
		.amdhsa_user_sgpr_kernarg_segment_ptr 1
		.amdhsa_user_sgpr_dispatch_id 0
		.amdhsa_user_sgpr_kernarg_preload_length 0
		.amdhsa_user_sgpr_kernarg_preload_offset 0
		.amdhsa_user_sgpr_private_segment_size 0
		.amdhsa_uses_dynamic_stack 0
		.amdhsa_enable_private_segment 0
		.amdhsa_system_sgpr_workgroup_id_x 1
		.amdhsa_system_sgpr_workgroup_id_y 0
		.amdhsa_system_sgpr_workgroup_id_z 0
		.amdhsa_system_sgpr_workgroup_info 0
		.amdhsa_system_vgpr_workitem_id 0
		.amdhsa_next_free_vgpr 1
		.amdhsa_next_free_sgpr 0
		.amdhsa_accum_offset 4
		.amdhsa_reserve_vcc 0
		.amdhsa_float_round_mode_32 0
		.amdhsa_float_round_mode_16_64 0
		.amdhsa_float_denorm_mode_32 3
		.amdhsa_float_denorm_mode_16_64 3
		.amdhsa_dx10_clamp 1
		.amdhsa_ieee_mode 1
		.amdhsa_fp16_overflow 0
		.amdhsa_tg_split 0
		.amdhsa_exception_fp_ieee_invalid_op 0
		.amdhsa_exception_fp_denorm_src 0
		.amdhsa_exception_fp_ieee_div_zero 0
		.amdhsa_exception_fp_ieee_overflow 0
		.amdhsa_exception_fp_ieee_underflow 0
		.amdhsa_exception_fp_ieee_inexact 0
		.amdhsa_exception_int_div_zero 0
	.end_amdhsa_kernel
	.section	.text._ZN7rocprim17ROCPRIM_400000_NS6detail17trampoline_kernelINS0_14default_configENS1_20scan_config_selectorIdEEZZNS1_9scan_implILNS1_25lookback_scan_determinismE0ELb0ELb0ES3_PKdPddZZZN2at6native31launch_logcumsumexp_cuda_kernelERKNSB_10TensorBaseESF_lENKUlvE_clEvENKUlvE_clEvEUlddE_dEEDaPvRmT3_T4_T5_mT6_P12ihipStream_tbENKUlT_T0_E_clISt17integral_constantIbLb1EESW_EEDaSR_SS_EUlSR_E0_NS1_11comp_targetILNS1_3genE9ELNS1_11target_archE1100ELNS1_3gpuE3ELNS1_3repE0EEENS1_30default_config_static_selectorELNS0_4arch9wavefront6targetE1EEEvT1_,"axG",@progbits,_ZN7rocprim17ROCPRIM_400000_NS6detail17trampoline_kernelINS0_14default_configENS1_20scan_config_selectorIdEEZZNS1_9scan_implILNS1_25lookback_scan_determinismE0ELb0ELb0ES3_PKdPddZZZN2at6native31launch_logcumsumexp_cuda_kernelERKNSB_10TensorBaseESF_lENKUlvE_clEvENKUlvE_clEvEUlddE_dEEDaPvRmT3_T4_T5_mT6_P12ihipStream_tbENKUlT_T0_E_clISt17integral_constantIbLb1EESW_EEDaSR_SS_EUlSR_E0_NS1_11comp_targetILNS1_3genE9ELNS1_11target_archE1100ELNS1_3gpuE3ELNS1_3repE0EEENS1_30default_config_static_selectorELNS0_4arch9wavefront6targetE1EEEvT1_,comdat
.Lfunc_end46:
	.size	_ZN7rocprim17ROCPRIM_400000_NS6detail17trampoline_kernelINS0_14default_configENS1_20scan_config_selectorIdEEZZNS1_9scan_implILNS1_25lookback_scan_determinismE0ELb0ELb0ES3_PKdPddZZZN2at6native31launch_logcumsumexp_cuda_kernelERKNSB_10TensorBaseESF_lENKUlvE_clEvENKUlvE_clEvEUlddE_dEEDaPvRmT3_T4_T5_mT6_P12ihipStream_tbENKUlT_T0_E_clISt17integral_constantIbLb1EESW_EEDaSR_SS_EUlSR_E0_NS1_11comp_targetILNS1_3genE9ELNS1_11target_archE1100ELNS1_3gpuE3ELNS1_3repE0EEENS1_30default_config_static_selectorELNS0_4arch9wavefront6targetE1EEEvT1_, .Lfunc_end46-_ZN7rocprim17ROCPRIM_400000_NS6detail17trampoline_kernelINS0_14default_configENS1_20scan_config_selectorIdEEZZNS1_9scan_implILNS1_25lookback_scan_determinismE0ELb0ELb0ES3_PKdPddZZZN2at6native31launch_logcumsumexp_cuda_kernelERKNSB_10TensorBaseESF_lENKUlvE_clEvENKUlvE_clEvEUlddE_dEEDaPvRmT3_T4_T5_mT6_P12ihipStream_tbENKUlT_T0_E_clISt17integral_constantIbLb1EESW_EEDaSR_SS_EUlSR_E0_NS1_11comp_targetILNS1_3genE9ELNS1_11target_archE1100ELNS1_3gpuE3ELNS1_3repE0EEENS1_30default_config_static_selectorELNS0_4arch9wavefront6targetE1EEEvT1_
                                        ; -- End function
	.section	.AMDGPU.csdata,"",@progbits
; Kernel info:
; codeLenInByte = 0
; NumSgprs: 6
; NumVgprs: 0
; NumAgprs: 0
; TotalNumVgprs: 0
; ScratchSize: 0
; MemoryBound: 0
; FloatMode: 240
; IeeeMode: 1
; LDSByteSize: 0 bytes/workgroup (compile time only)
; SGPRBlocks: 0
; VGPRBlocks: 0
; NumSGPRsForWavesPerEU: 6
; NumVGPRsForWavesPerEU: 1
; AccumOffset: 4
; Occupancy: 8
; WaveLimiterHint : 0
; COMPUTE_PGM_RSRC2:SCRATCH_EN: 0
; COMPUTE_PGM_RSRC2:USER_SGPR: 2
; COMPUTE_PGM_RSRC2:TRAP_HANDLER: 0
; COMPUTE_PGM_RSRC2:TGID_X_EN: 1
; COMPUTE_PGM_RSRC2:TGID_Y_EN: 0
; COMPUTE_PGM_RSRC2:TGID_Z_EN: 0
; COMPUTE_PGM_RSRC2:TIDIG_COMP_CNT: 0
; COMPUTE_PGM_RSRC3_GFX90A:ACCUM_OFFSET: 0
; COMPUTE_PGM_RSRC3_GFX90A:TG_SPLIT: 0
	.section	.text._ZN7rocprim17ROCPRIM_400000_NS6detail17trampoline_kernelINS0_14default_configENS1_20scan_config_selectorIdEEZZNS1_9scan_implILNS1_25lookback_scan_determinismE0ELb0ELb0ES3_PKdPddZZZN2at6native31launch_logcumsumexp_cuda_kernelERKNSB_10TensorBaseESF_lENKUlvE_clEvENKUlvE_clEvEUlddE_dEEDaPvRmT3_T4_T5_mT6_P12ihipStream_tbENKUlT_T0_E_clISt17integral_constantIbLb1EESW_EEDaSR_SS_EUlSR_E0_NS1_11comp_targetILNS1_3genE8ELNS1_11target_archE1030ELNS1_3gpuE2ELNS1_3repE0EEENS1_30default_config_static_selectorELNS0_4arch9wavefront6targetE1EEEvT1_,"axG",@progbits,_ZN7rocprim17ROCPRIM_400000_NS6detail17trampoline_kernelINS0_14default_configENS1_20scan_config_selectorIdEEZZNS1_9scan_implILNS1_25lookback_scan_determinismE0ELb0ELb0ES3_PKdPddZZZN2at6native31launch_logcumsumexp_cuda_kernelERKNSB_10TensorBaseESF_lENKUlvE_clEvENKUlvE_clEvEUlddE_dEEDaPvRmT3_T4_T5_mT6_P12ihipStream_tbENKUlT_T0_E_clISt17integral_constantIbLb1EESW_EEDaSR_SS_EUlSR_E0_NS1_11comp_targetILNS1_3genE8ELNS1_11target_archE1030ELNS1_3gpuE2ELNS1_3repE0EEENS1_30default_config_static_selectorELNS0_4arch9wavefront6targetE1EEEvT1_,comdat
	.globl	_ZN7rocprim17ROCPRIM_400000_NS6detail17trampoline_kernelINS0_14default_configENS1_20scan_config_selectorIdEEZZNS1_9scan_implILNS1_25lookback_scan_determinismE0ELb0ELb0ES3_PKdPddZZZN2at6native31launch_logcumsumexp_cuda_kernelERKNSB_10TensorBaseESF_lENKUlvE_clEvENKUlvE_clEvEUlddE_dEEDaPvRmT3_T4_T5_mT6_P12ihipStream_tbENKUlT_T0_E_clISt17integral_constantIbLb1EESW_EEDaSR_SS_EUlSR_E0_NS1_11comp_targetILNS1_3genE8ELNS1_11target_archE1030ELNS1_3gpuE2ELNS1_3repE0EEENS1_30default_config_static_selectorELNS0_4arch9wavefront6targetE1EEEvT1_ ; -- Begin function _ZN7rocprim17ROCPRIM_400000_NS6detail17trampoline_kernelINS0_14default_configENS1_20scan_config_selectorIdEEZZNS1_9scan_implILNS1_25lookback_scan_determinismE0ELb0ELb0ES3_PKdPddZZZN2at6native31launch_logcumsumexp_cuda_kernelERKNSB_10TensorBaseESF_lENKUlvE_clEvENKUlvE_clEvEUlddE_dEEDaPvRmT3_T4_T5_mT6_P12ihipStream_tbENKUlT_T0_E_clISt17integral_constantIbLb1EESW_EEDaSR_SS_EUlSR_E0_NS1_11comp_targetILNS1_3genE8ELNS1_11target_archE1030ELNS1_3gpuE2ELNS1_3repE0EEENS1_30default_config_static_selectorELNS0_4arch9wavefront6targetE1EEEvT1_
	.p2align	8
	.type	_ZN7rocprim17ROCPRIM_400000_NS6detail17trampoline_kernelINS0_14default_configENS1_20scan_config_selectorIdEEZZNS1_9scan_implILNS1_25lookback_scan_determinismE0ELb0ELb0ES3_PKdPddZZZN2at6native31launch_logcumsumexp_cuda_kernelERKNSB_10TensorBaseESF_lENKUlvE_clEvENKUlvE_clEvEUlddE_dEEDaPvRmT3_T4_T5_mT6_P12ihipStream_tbENKUlT_T0_E_clISt17integral_constantIbLb1EESW_EEDaSR_SS_EUlSR_E0_NS1_11comp_targetILNS1_3genE8ELNS1_11target_archE1030ELNS1_3gpuE2ELNS1_3repE0EEENS1_30default_config_static_selectorELNS0_4arch9wavefront6targetE1EEEvT1_,@function
_ZN7rocprim17ROCPRIM_400000_NS6detail17trampoline_kernelINS0_14default_configENS1_20scan_config_selectorIdEEZZNS1_9scan_implILNS1_25lookback_scan_determinismE0ELb0ELb0ES3_PKdPddZZZN2at6native31launch_logcumsumexp_cuda_kernelERKNSB_10TensorBaseESF_lENKUlvE_clEvENKUlvE_clEvEUlddE_dEEDaPvRmT3_T4_T5_mT6_P12ihipStream_tbENKUlT_T0_E_clISt17integral_constantIbLb1EESW_EEDaSR_SS_EUlSR_E0_NS1_11comp_targetILNS1_3genE8ELNS1_11target_archE1030ELNS1_3gpuE2ELNS1_3repE0EEENS1_30default_config_static_selectorELNS0_4arch9wavefront6targetE1EEEvT1_: ; @_ZN7rocprim17ROCPRIM_400000_NS6detail17trampoline_kernelINS0_14default_configENS1_20scan_config_selectorIdEEZZNS1_9scan_implILNS1_25lookback_scan_determinismE0ELb0ELb0ES3_PKdPddZZZN2at6native31launch_logcumsumexp_cuda_kernelERKNSB_10TensorBaseESF_lENKUlvE_clEvENKUlvE_clEvEUlddE_dEEDaPvRmT3_T4_T5_mT6_P12ihipStream_tbENKUlT_T0_E_clISt17integral_constantIbLb1EESW_EEDaSR_SS_EUlSR_E0_NS1_11comp_targetILNS1_3genE8ELNS1_11target_archE1030ELNS1_3gpuE2ELNS1_3repE0EEENS1_30default_config_static_selectorELNS0_4arch9wavefront6targetE1EEEvT1_
; %bb.0:
	.section	.rodata,"a",@progbits
	.p2align	6, 0x0
	.amdhsa_kernel _ZN7rocprim17ROCPRIM_400000_NS6detail17trampoline_kernelINS0_14default_configENS1_20scan_config_selectorIdEEZZNS1_9scan_implILNS1_25lookback_scan_determinismE0ELb0ELb0ES3_PKdPddZZZN2at6native31launch_logcumsumexp_cuda_kernelERKNSB_10TensorBaseESF_lENKUlvE_clEvENKUlvE_clEvEUlddE_dEEDaPvRmT3_T4_T5_mT6_P12ihipStream_tbENKUlT_T0_E_clISt17integral_constantIbLb1EESW_EEDaSR_SS_EUlSR_E0_NS1_11comp_targetILNS1_3genE8ELNS1_11target_archE1030ELNS1_3gpuE2ELNS1_3repE0EEENS1_30default_config_static_selectorELNS0_4arch9wavefront6targetE1EEEvT1_
		.amdhsa_group_segment_fixed_size 0
		.amdhsa_private_segment_fixed_size 0
		.amdhsa_kernarg_size 40
		.amdhsa_user_sgpr_count 2
		.amdhsa_user_sgpr_dispatch_ptr 0
		.amdhsa_user_sgpr_queue_ptr 0
		.amdhsa_user_sgpr_kernarg_segment_ptr 1
		.amdhsa_user_sgpr_dispatch_id 0
		.amdhsa_user_sgpr_kernarg_preload_length 0
		.amdhsa_user_sgpr_kernarg_preload_offset 0
		.amdhsa_user_sgpr_private_segment_size 0
		.amdhsa_uses_dynamic_stack 0
		.amdhsa_enable_private_segment 0
		.amdhsa_system_sgpr_workgroup_id_x 1
		.amdhsa_system_sgpr_workgroup_id_y 0
		.amdhsa_system_sgpr_workgroup_id_z 0
		.amdhsa_system_sgpr_workgroup_info 0
		.amdhsa_system_vgpr_workitem_id 0
		.amdhsa_next_free_vgpr 1
		.amdhsa_next_free_sgpr 0
		.amdhsa_accum_offset 4
		.amdhsa_reserve_vcc 0
		.amdhsa_float_round_mode_32 0
		.amdhsa_float_round_mode_16_64 0
		.amdhsa_float_denorm_mode_32 3
		.amdhsa_float_denorm_mode_16_64 3
		.amdhsa_dx10_clamp 1
		.amdhsa_ieee_mode 1
		.amdhsa_fp16_overflow 0
		.amdhsa_tg_split 0
		.amdhsa_exception_fp_ieee_invalid_op 0
		.amdhsa_exception_fp_denorm_src 0
		.amdhsa_exception_fp_ieee_div_zero 0
		.amdhsa_exception_fp_ieee_overflow 0
		.amdhsa_exception_fp_ieee_underflow 0
		.amdhsa_exception_fp_ieee_inexact 0
		.amdhsa_exception_int_div_zero 0
	.end_amdhsa_kernel
	.section	.text._ZN7rocprim17ROCPRIM_400000_NS6detail17trampoline_kernelINS0_14default_configENS1_20scan_config_selectorIdEEZZNS1_9scan_implILNS1_25lookback_scan_determinismE0ELb0ELb0ES3_PKdPddZZZN2at6native31launch_logcumsumexp_cuda_kernelERKNSB_10TensorBaseESF_lENKUlvE_clEvENKUlvE_clEvEUlddE_dEEDaPvRmT3_T4_T5_mT6_P12ihipStream_tbENKUlT_T0_E_clISt17integral_constantIbLb1EESW_EEDaSR_SS_EUlSR_E0_NS1_11comp_targetILNS1_3genE8ELNS1_11target_archE1030ELNS1_3gpuE2ELNS1_3repE0EEENS1_30default_config_static_selectorELNS0_4arch9wavefront6targetE1EEEvT1_,"axG",@progbits,_ZN7rocprim17ROCPRIM_400000_NS6detail17trampoline_kernelINS0_14default_configENS1_20scan_config_selectorIdEEZZNS1_9scan_implILNS1_25lookback_scan_determinismE0ELb0ELb0ES3_PKdPddZZZN2at6native31launch_logcumsumexp_cuda_kernelERKNSB_10TensorBaseESF_lENKUlvE_clEvENKUlvE_clEvEUlddE_dEEDaPvRmT3_T4_T5_mT6_P12ihipStream_tbENKUlT_T0_E_clISt17integral_constantIbLb1EESW_EEDaSR_SS_EUlSR_E0_NS1_11comp_targetILNS1_3genE8ELNS1_11target_archE1030ELNS1_3gpuE2ELNS1_3repE0EEENS1_30default_config_static_selectorELNS0_4arch9wavefront6targetE1EEEvT1_,comdat
.Lfunc_end47:
	.size	_ZN7rocprim17ROCPRIM_400000_NS6detail17trampoline_kernelINS0_14default_configENS1_20scan_config_selectorIdEEZZNS1_9scan_implILNS1_25lookback_scan_determinismE0ELb0ELb0ES3_PKdPddZZZN2at6native31launch_logcumsumexp_cuda_kernelERKNSB_10TensorBaseESF_lENKUlvE_clEvENKUlvE_clEvEUlddE_dEEDaPvRmT3_T4_T5_mT6_P12ihipStream_tbENKUlT_T0_E_clISt17integral_constantIbLb1EESW_EEDaSR_SS_EUlSR_E0_NS1_11comp_targetILNS1_3genE8ELNS1_11target_archE1030ELNS1_3gpuE2ELNS1_3repE0EEENS1_30default_config_static_selectorELNS0_4arch9wavefront6targetE1EEEvT1_, .Lfunc_end47-_ZN7rocprim17ROCPRIM_400000_NS6detail17trampoline_kernelINS0_14default_configENS1_20scan_config_selectorIdEEZZNS1_9scan_implILNS1_25lookback_scan_determinismE0ELb0ELb0ES3_PKdPddZZZN2at6native31launch_logcumsumexp_cuda_kernelERKNSB_10TensorBaseESF_lENKUlvE_clEvENKUlvE_clEvEUlddE_dEEDaPvRmT3_T4_T5_mT6_P12ihipStream_tbENKUlT_T0_E_clISt17integral_constantIbLb1EESW_EEDaSR_SS_EUlSR_E0_NS1_11comp_targetILNS1_3genE8ELNS1_11target_archE1030ELNS1_3gpuE2ELNS1_3repE0EEENS1_30default_config_static_selectorELNS0_4arch9wavefront6targetE1EEEvT1_
                                        ; -- End function
	.section	.AMDGPU.csdata,"",@progbits
; Kernel info:
; codeLenInByte = 0
; NumSgprs: 6
; NumVgprs: 0
; NumAgprs: 0
; TotalNumVgprs: 0
; ScratchSize: 0
; MemoryBound: 0
; FloatMode: 240
; IeeeMode: 1
; LDSByteSize: 0 bytes/workgroup (compile time only)
; SGPRBlocks: 0
; VGPRBlocks: 0
; NumSGPRsForWavesPerEU: 6
; NumVGPRsForWavesPerEU: 1
; AccumOffset: 4
; Occupancy: 8
; WaveLimiterHint : 0
; COMPUTE_PGM_RSRC2:SCRATCH_EN: 0
; COMPUTE_PGM_RSRC2:USER_SGPR: 2
; COMPUTE_PGM_RSRC2:TRAP_HANDLER: 0
; COMPUTE_PGM_RSRC2:TGID_X_EN: 1
; COMPUTE_PGM_RSRC2:TGID_Y_EN: 0
; COMPUTE_PGM_RSRC2:TGID_Z_EN: 0
; COMPUTE_PGM_RSRC2:TIDIG_COMP_CNT: 0
; COMPUTE_PGM_RSRC3_GFX90A:ACCUM_OFFSET: 0
; COMPUTE_PGM_RSRC3_GFX90A:TG_SPLIT: 0
	.section	.text._ZN7rocprim17ROCPRIM_400000_NS6detail31init_lookback_scan_state_kernelINS1_19lookback_scan_stateIdLb1ELb1EEENS1_16block_id_wrapperIjLb0EEEEEvT_jT0_jPNS7_10value_typeE,"axG",@progbits,_ZN7rocprim17ROCPRIM_400000_NS6detail31init_lookback_scan_state_kernelINS1_19lookback_scan_stateIdLb1ELb1EEENS1_16block_id_wrapperIjLb0EEEEEvT_jT0_jPNS7_10value_typeE,comdat
	.protected	_ZN7rocprim17ROCPRIM_400000_NS6detail31init_lookback_scan_state_kernelINS1_19lookback_scan_stateIdLb1ELb1EEENS1_16block_id_wrapperIjLb0EEEEEvT_jT0_jPNS7_10value_typeE ; -- Begin function _ZN7rocprim17ROCPRIM_400000_NS6detail31init_lookback_scan_state_kernelINS1_19lookback_scan_stateIdLb1ELb1EEENS1_16block_id_wrapperIjLb0EEEEEvT_jT0_jPNS7_10value_typeE
	.globl	_ZN7rocprim17ROCPRIM_400000_NS6detail31init_lookback_scan_state_kernelINS1_19lookback_scan_stateIdLb1ELb1EEENS1_16block_id_wrapperIjLb0EEEEEvT_jT0_jPNS7_10value_typeE
	.p2align	8
	.type	_ZN7rocprim17ROCPRIM_400000_NS6detail31init_lookback_scan_state_kernelINS1_19lookback_scan_stateIdLb1ELb1EEENS1_16block_id_wrapperIjLb0EEEEEvT_jT0_jPNS7_10value_typeE,@function
_ZN7rocprim17ROCPRIM_400000_NS6detail31init_lookback_scan_state_kernelINS1_19lookback_scan_stateIdLb1ELb1EEENS1_16block_id_wrapperIjLb0EEEEEvT_jT0_jPNS7_10value_typeE: ; @_ZN7rocprim17ROCPRIM_400000_NS6detail31init_lookback_scan_state_kernelINS1_19lookback_scan_stateIdLb1ELb1EEENS1_16block_id_wrapperIjLb0EEEEEvT_jT0_jPNS7_10value_typeE
; %bb.0:
	s_load_dword s3, s[0:1], 0x2c
	s_load_dwordx2 s[6:7], s[0:1], 0x18
	s_load_dwordx2 s[4:5], s[0:1], 0x0
	s_load_dword s12, s[0:1], 0x8
	s_waitcnt lgkmcnt(0)
	s_and_b32 s3, s3, 0xffff
	s_mul_i32 s2, s2, s3
	s_cmp_eq_u64 s[6:7], 0
	v_add_u32_e32 v0, s2, v0
	s_cbranch_scc1 .LBB48_10
; %bb.1:
	s_load_dword s2, s[0:1], 0x10
	s_mov_b32 s3, 0
	s_waitcnt lgkmcnt(0)
	s_cmp_lt_u32 s2, s12
	s_cselect_b32 s0, s2, 0
	v_cmp_eq_u32_e32 vcc, s0, v0
	s_and_saveexec_b64 s[0:1], vcc
	s_cbranch_execz .LBB48_9
; %bb.2:
	s_add_i32 s2, s2, 64
	s_lshl_b64 s[2:3], s[2:3], 4
	s_add_u32 s10, s4, s2
	s_addc_u32 s11, s5, s3
	v_mov_b64_e32 v[2:3], s[10:11]
	;;#ASMSTART
	global_load_dwordx4 v[2:5], v[2:3] off sc1	
s_waitcnt vmcnt(0)
	;;#ASMEND
	v_mov_b32_e32 v7, 0
	v_and_b32_e32 v6, 0xff, v4
	s_mov_b64 s[8:9], 0
	v_cmp_eq_u64_e32 vcc, 0, v[6:7]
	s_and_saveexec_b64 s[2:3], vcc
	s_cbranch_execz .LBB48_8
; %bb.3:
	s_mov_b32 s13, 1
	v_mov_b64_e32 v[8:9], s[10:11]
.LBB48_4:                               ; =>This Loop Header: Depth=1
                                        ;     Child Loop BB48_5 Depth 2
	s_max_u32 s10, s13, 1
.LBB48_5:                               ;   Parent Loop BB48_4 Depth=1
                                        ; =>  This Inner Loop Header: Depth=2
	s_add_i32 s10, s10, -1
	s_cmp_eq_u32 s10, 0
	s_sleep 1
	s_cbranch_scc0 .LBB48_5
; %bb.6:                                ;   in Loop: Header=BB48_4 Depth=1
	s_cmp_lt_u32 s13, 32
	s_cselect_b64 s[10:11], -1, 0
	s_cmp_lg_u64 s[10:11], 0
	;;#ASMSTART
	global_load_dwordx4 v[2:5], v[8:9] off sc1	
s_waitcnt vmcnt(0)
	;;#ASMEND
	s_addc_u32 s13, s13, 0
	v_and_b32_e32 v6, 0xff, v4
	v_cmp_ne_u64_e32 vcc, 0, v[6:7]
	s_or_b64 s[8:9], vcc, s[8:9]
	s_andn2_b64 exec, exec, s[8:9]
	s_cbranch_execnz .LBB48_4
; %bb.7:
	s_or_b64 exec, exec, s[8:9]
.LBB48_8:
	s_or_b64 exec, exec, s[2:3]
	v_mov_b32_e32 v1, 0
	global_store_dwordx2 v1, v[2:3], s[6:7]
.LBB48_9:
	s_or_b64 exec, exec, s[0:1]
.LBB48_10:
	v_cmp_gt_u32_e32 vcc, s12, v0
	s_and_saveexec_b64 s[0:1], vcc
	s_cbranch_execnz .LBB48_13
; %bb.11:
	s_or_b64 exec, exec, s[0:1]
	v_cmp_gt_u32_e32 vcc, 64, v0
	s_and_saveexec_b64 s[0:1], vcc
	s_cbranch_execnz .LBB48_14
.LBB48_12:
	s_endpgm
.LBB48_13:
	v_add_u32_e32 v2, 64, v0
	v_mov_b32_e32 v3, 0
	v_lshl_add_u64 v[6:7], v[2:3], 4, s[4:5]
	v_mov_b32_e32 v2, v3
	v_mov_b32_e32 v4, v3
	;; [unrolled: 1-line block ×3, first 2 shown]
	global_store_dwordx4 v[6:7], v[2:5], off
	s_or_b64 exec, exec, s[0:1]
	v_cmp_gt_u32_e32 vcc, 64, v0
	s_and_saveexec_b64 s[0:1], vcc
	s_cbranch_execz .LBB48_12
.LBB48_14:
	v_mov_b32_e32 v1, 0
	v_lshl_add_u64 v[4:5], v[0:1], 4, s[4:5]
	v_mov_b32_e32 v2, 0xff
	v_mov_b32_e32 v0, v1
	;; [unrolled: 1-line block ×3, first 2 shown]
	global_store_dwordx4 v[4:5], v[0:3], off
	s_endpgm
	.section	.rodata,"a",@progbits
	.p2align	6, 0x0
	.amdhsa_kernel _ZN7rocprim17ROCPRIM_400000_NS6detail31init_lookback_scan_state_kernelINS1_19lookback_scan_stateIdLb1ELb1EEENS1_16block_id_wrapperIjLb0EEEEEvT_jT0_jPNS7_10value_typeE
		.amdhsa_group_segment_fixed_size 0
		.amdhsa_private_segment_fixed_size 0
		.amdhsa_kernarg_size 288
		.amdhsa_user_sgpr_count 2
		.amdhsa_user_sgpr_dispatch_ptr 0
		.amdhsa_user_sgpr_queue_ptr 0
		.amdhsa_user_sgpr_kernarg_segment_ptr 1
		.amdhsa_user_sgpr_dispatch_id 0
		.amdhsa_user_sgpr_kernarg_preload_length 0
		.amdhsa_user_sgpr_kernarg_preload_offset 0
		.amdhsa_user_sgpr_private_segment_size 0
		.amdhsa_uses_dynamic_stack 0
		.amdhsa_enable_private_segment 0
		.amdhsa_system_sgpr_workgroup_id_x 1
		.amdhsa_system_sgpr_workgroup_id_y 0
		.amdhsa_system_sgpr_workgroup_id_z 0
		.amdhsa_system_sgpr_workgroup_info 0
		.amdhsa_system_vgpr_workitem_id 0
		.amdhsa_next_free_vgpr 10
		.amdhsa_next_free_sgpr 14
		.amdhsa_accum_offset 12
		.amdhsa_reserve_vcc 1
		.amdhsa_float_round_mode_32 0
		.amdhsa_float_round_mode_16_64 0
		.amdhsa_float_denorm_mode_32 3
		.amdhsa_float_denorm_mode_16_64 3
		.amdhsa_dx10_clamp 1
		.amdhsa_ieee_mode 1
		.amdhsa_fp16_overflow 0
		.amdhsa_tg_split 0
		.amdhsa_exception_fp_ieee_invalid_op 0
		.amdhsa_exception_fp_denorm_src 0
		.amdhsa_exception_fp_ieee_div_zero 0
		.amdhsa_exception_fp_ieee_overflow 0
		.amdhsa_exception_fp_ieee_underflow 0
		.amdhsa_exception_fp_ieee_inexact 0
		.amdhsa_exception_int_div_zero 0
	.end_amdhsa_kernel
	.section	.text._ZN7rocprim17ROCPRIM_400000_NS6detail31init_lookback_scan_state_kernelINS1_19lookback_scan_stateIdLb1ELb1EEENS1_16block_id_wrapperIjLb0EEEEEvT_jT0_jPNS7_10value_typeE,"axG",@progbits,_ZN7rocprim17ROCPRIM_400000_NS6detail31init_lookback_scan_state_kernelINS1_19lookback_scan_stateIdLb1ELb1EEENS1_16block_id_wrapperIjLb0EEEEEvT_jT0_jPNS7_10value_typeE,comdat
.Lfunc_end48:
	.size	_ZN7rocprim17ROCPRIM_400000_NS6detail31init_lookback_scan_state_kernelINS1_19lookback_scan_stateIdLb1ELb1EEENS1_16block_id_wrapperIjLb0EEEEEvT_jT0_jPNS7_10value_typeE, .Lfunc_end48-_ZN7rocprim17ROCPRIM_400000_NS6detail31init_lookback_scan_state_kernelINS1_19lookback_scan_stateIdLb1ELb1EEENS1_16block_id_wrapperIjLb0EEEEEvT_jT0_jPNS7_10value_typeE
                                        ; -- End function
	.section	.AMDGPU.csdata,"",@progbits
; Kernel info:
; codeLenInByte = 392
; NumSgprs: 20
; NumVgprs: 10
; NumAgprs: 0
; TotalNumVgprs: 10
; ScratchSize: 0
; MemoryBound: 0
; FloatMode: 240
; IeeeMode: 1
; LDSByteSize: 0 bytes/workgroup (compile time only)
; SGPRBlocks: 2
; VGPRBlocks: 1
; NumSGPRsForWavesPerEU: 20
; NumVGPRsForWavesPerEU: 10
; AccumOffset: 12
; Occupancy: 8
; WaveLimiterHint : 0
; COMPUTE_PGM_RSRC2:SCRATCH_EN: 0
; COMPUTE_PGM_RSRC2:USER_SGPR: 2
; COMPUTE_PGM_RSRC2:TRAP_HANDLER: 0
; COMPUTE_PGM_RSRC2:TGID_X_EN: 1
; COMPUTE_PGM_RSRC2:TGID_Y_EN: 0
; COMPUTE_PGM_RSRC2:TGID_Z_EN: 0
; COMPUTE_PGM_RSRC2:TIDIG_COMP_CNT: 0
; COMPUTE_PGM_RSRC3_GFX90A:ACCUM_OFFSET: 2
; COMPUTE_PGM_RSRC3_GFX90A:TG_SPLIT: 0
	.section	.text._ZN7rocprim17ROCPRIM_400000_NS6detail17trampoline_kernelINS0_14default_configENS1_20scan_config_selectorIdEEZZNS1_9scan_implILNS1_25lookback_scan_determinismE0ELb0ELb0ES3_PKdPddZZZN2at6native31launch_logcumsumexp_cuda_kernelERKNSB_10TensorBaseESF_lENKUlvE_clEvENKUlvE_clEvEUlddE_dEEDaPvRmT3_T4_T5_mT6_P12ihipStream_tbENKUlT_T0_E_clISt17integral_constantIbLb1EESV_IbLb0EEEEDaSR_SS_EUlSR_E_NS1_11comp_targetILNS1_3genE0ELNS1_11target_archE4294967295ELNS1_3gpuE0ELNS1_3repE0EEENS1_30default_config_static_selectorELNS0_4arch9wavefront6targetE1EEEvT1_,"axG",@progbits,_ZN7rocprim17ROCPRIM_400000_NS6detail17trampoline_kernelINS0_14default_configENS1_20scan_config_selectorIdEEZZNS1_9scan_implILNS1_25lookback_scan_determinismE0ELb0ELb0ES3_PKdPddZZZN2at6native31launch_logcumsumexp_cuda_kernelERKNSB_10TensorBaseESF_lENKUlvE_clEvENKUlvE_clEvEUlddE_dEEDaPvRmT3_T4_T5_mT6_P12ihipStream_tbENKUlT_T0_E_clISt17integral_constantIbLb1EESV_IbLb0EEEEDaSR_SS_EUlSR_E_NS1_11comp_targetILNS1_3genE0ELNS1_11target_archE4294967295ELNS1_3gpuE0ELNS1_3repE0EEENS1_30default_config_static_selectorELNS0_4arch9wavefront6targetE1EEEvT1_,comdat
	.globl	_ZN7rocprim17ROCPRIM_400000_NS6detail17trampoline_kernelINS0_14default_configENS1_20scan_config_selectorIdEEZZNS1_9scan_implILNS1_25lookback_scan_determinismE0ELb0ELb0ES3_PKdPddZZZN2at6native31launch_logcumsumexp_cuda_kernelERKNSB_10TensorBaseESF_lENKUlvE_clEvENKUlvE_clEvEUlddE_dEEDaPvRmT3_T4_T5_mT6_P12ihipStream_tbENKUlT_T0_E_clISt17integral_constantIbLb1EESV_IbLb0EEEEDaSR_SS_EUlSR_E_NS1_11comp_targetILNS1_3genE0ELNS1_11target_archE4294967295ELNS1_3gpuE0ELNS1_3repE0EEENS1_30default_config_static_selectorELNS0_4arch9wavefront6targetE1EEEvT1_ ; -- Begin function _ZN7rocprim17ROCPRIM_400000_NS6detail17trampoline_kernelINS0_14default_configENS1_20scan_config_selectorIdEEZZNS1_9scan_implILNS1_25lookback_scan_determinismE0ELb0ELb0ES3_PKdPddZZZN2at6native31launch_logcumsumexp_cuda_kernelERKNSB_10TensorBaseESF_lENKUlvE_clEvENKUlvE_clEvEUlddE_dEEDaPvRmT3_T4_T5_mT6_P12ihipStream_tbENKUlT_T0_E_clISt17integral_constantIbLb1EESV_IbLb0EEEEDaSR_SS_EUlSR_E_NS1_11comp_targetILNS1_3genE0ELNS1_11target_archE4294967295ELNS1_3gpuE0ELNS1_3repE0EEENS1_30default_config_static_selectorELNS0_4arch9wavefront6targetE1EEEvT1_
	.p2align	8
	.type	_ZN7rocprim17ROCPRIM_400000_NS6detail17trampoline_kernelINS0_14default_configENS1_20scan_config_selectorIdEEZZNS1_9scan_implILNS1_25lookback_scan_determinismE0ELb0ELb0ES3_PKdPddZZZN2at6native31launch_logcumsumexp_cuda_kernelERKNSB_10TensorBaseESF_lENKUlvE_clEvENKUlvE_clEvEUlddE_dEEDaPvRmT3_T4_T5_mT6_P12ihipStream_tbENKUlT_T0_E_clISt17integral_constantIbLb1EESV_IbLb0EEEEDaSR_SS_EUlSR_E_NS1_11comp_targetILNS1_3genE0ELNS1_11target_archE4294967295ELNS1_3gpuE0ELNS1_3repE0EEENS1_30default_config_static_selectorELNS0_4arch9wavefront6targetE1EEEvT1_,@function
_ZN7rocprim17ROCPRIM_400000_NS6detail17trampoline_kernelINS0_14default_configENS1_20scan_config_selectorIdEEZZNS1_9scan_implILNS1_25lookback_scan_determinismE0ELb0ELb0ES3_PKdPddZZZN2at6native31launch_logcumsumexp_cuda_kernelERKNSB_10TensorBaseESF_lENKUlvE_clEvENKUlvE_clEvEUlddE_dEEDaPvRmT3_T4_T5_mT6_P12ihipStream_tbENKUlT_T0_E_clISt17integral_constantIbLb1EESV_IbLb0EEEEDaSR_SS_EUlSR_E_NS1_11comp_targetILNS1_3genE0ELNS1_11target_archE4294967295ELNS1_3gpuE0ELNS1_3repE0EEENS1_30default_config_static_selectorELNS0_4arch9wavefront6targetE1EEEvT1_: ; @_ZN7rocprim17ROCPRIM_400000_NS6detail17trampoline_kernelINS0_14default_configENS1_20scan_config_selectorIdEEZZNS1_9scan_implILNS1_25lookback_scan_determinismE0ELb0ELb0ES3_PKdPddZZZN2at6native31launch_logcumsumexp_cuda_kernelERKNSB_10TensorBaseESF_lENKUlvE_clEvENKUlvE_clEvEUlddE_dEEDaPvRmT3_T4_T5_mT6_P12ihipStream_tbENKUlT_T0_E_clISt17integral_constantIbLb1EESV_IbLb0EEEEDaSR_SS_EUlSR_E_NS1_11comp_targetILNS1_3genE0ELNS1_11target_archE4294967295ELNS1_3gpuE0ELNS1_3repE0EEENS1_30default_config_static_selectorELNS0_4arch9wavefront6targetE1EEEvT1_
; %bb.0:
	.section	.rodata,"a",@progbits
	.p2align	6, 0x0
	.amdhsa_kernel _ZN7rocprim17ROCPRIM_400000_NS6detail17trampoline_kernelINS0_14default_configENS1_20scan_config_selectorIdEEZZNS1_9scan_implILNS1_25lookback_scan_determinismE0ELb0ELb0ES3_PKdPddZZZN2at6native31launch_logcumsumexp_cuda_kernelERKNSB_10TensorBaseESF_lENKUlvE_clEvENKUlvE_clEvEUlddE_dEEDaPvRmT3_T4_T5_mT6_P12ihipStream_tbENKUlT_T0_E_clISt17integral_constantIbLb1EESV_IbLb0EEEEDaSR_SS_EUlSR_E_NS1_11comp_targetILNS1_3genE0ELNS1_11target_archE4294967295ELNS1_3gpuE0ELNS1_3repE0EEENS1_30default_config_static_selectorELNS0_4arch9wavefront6targetE1EEEvT1_
		.amdhsa_group_segment_fixed_size 0
		.amdhsa_private_segment_fixed_size 0
		.amdhsa_kernarg_size 104
		.amdhsa_user_sgpr_count 2
		.amdhsa_user_sgpr_dispatch_ptr 0
		.amdhsa_user_sgpr_queue_ptr 0
		.amdhsa_user_sgpr_kernarg_segment_ptr 1
		.amdhsa_user_sgpr_dispatch_id 0
		.amdhsa_user_sgpr_kernarg_preload_length 0
		.amdhsa_user_sgpr_kernarg_preload_offset 0
		.amdhsa_user_sgpr_private_segment_size 0
		.amdhsa_uses_dynamic_stack 0
		.amdhsa_enable_private_segment 0
		.amdhsa_system_sgpr_workgroup_id_x 1
		.amdhsa_system_sgpr_workgroup_id_y 0
		.amdhsa_system_sgpr_workgroup_id_z 0
		.amdhsa_system_sgpr_workgroup_info 0
		.amdhsa_system_vgpr_workitem_id 0
		.amdhsa_next_free_vgpr 1
		.amdhsa_next_free_sgpr 0
		.amdhsa_accum_offset 4
		.amdhsa_reserve_vcc 0
		.amdhsa_float_round_mode_32 0
		.amdhsa_float_round_mode_16_64 0
		.amdhsa_float_denorm_mode_32 3
		.amdhsa_float_denorm_mode_16_64 3
		.amdhsa_dx10_clamp 1
		.amdhsa_ieee_mode 1
		.amdhsa_fp16_overflow 0
		.amdhsa_tg_split 0
		.amdhsa_exception_fp_ieee_invalid_op 0
		.amdhsa_exception_fp_denorm_src 0
		.amdhsa_exception_fp_ieee_div_zero 0
		.amdhsa_exception_fp_ieee_overflow 0
		.amdhsa_exception_fp_ieee_underflow 0
		.amdhsa_exception_fp_ieee_inexact 0
		.amdhsa_exception_int_div_zero 0
	.end_amdhsa_kernel
	.section	.text._ZN7rocprim17ROCPRIM_400000_NS6detail17trampoline_kernelINS0_14default_configENS1_20scan_config_selectorIdEEZZNS1_9scan_implILNS1_25lookback_scan_determinismE0ELb0ELb0ES3_PKdPddZZZN2at6native31launch_logcumsumexp_cuda_kernelERKNSB_10TensorBaseESF_lENKUlvE_clEvENKUlvE_clEvEUlddE_dEEDaPvRmT3_T4_T5_mT6_P12ihipStream_tbENKUlT_T0_E_clISt17integral_constantIbLb1EESV_IbLb0EEEEDaSR_SS_EUlSR_E_NS1_11comp_targetILNS1_3genE0ELNS1_11target_archE4294967295ELNS1_3gpuE0ELNS1_3repE0EEENS1_30default_config_static_selectorELNS0_4arch9wavefront6targetE1EEEvT1_,"axG",@progbits,_ZN7rocprim17ROCPRIM_400000_NS6detail17trampoline_kernelINS0_14default_configENS1_20scan_config_selectorIdEEZZNS1_9scan_implILNS1_25lookback_scan_determinismE0ELb0ELb0ES3_PKdPddZZZN2at6native31launch_logcumsumexp_cuda_kernelERKNSB_10TensorBaseESF_lENKUlvE_clEvENKUlvE_clEvEUlddE_dEEDaPvRmT3_T4_T5_mT6_P12ihipStream_tbENKUlT_T0_E_clISt17integral_constantIbLb1EESV_IbLb0EEEEDaSR_SS_EUlSR_E_NS1_11comp_targetILNS1_3genE0ELNS1_11target_archE4294967295ELNS1_3gpuE0ELNS1_3repE0EEENS1_30default_config_static_selectorELNS0_4arch9wavefront6targetE1EEEvT1_,comdat
.Lfunc_end49:
	.size	_ZN7rocprim17ROCPRIM_400000_NS6detail17trampoline_kernelINS0_14default_configENS1_20scan_config_selectorIdEEZZNS1_9scan_implILNS1_25lookback_scan_determinismE0ELb0ELb0ES3_PKdPddZZZN2at6native31launch_logcumsumexp_cuda_kernelERKNSB_10TensorBaseESF_lENKUlvE_clEvENKUlvE_clEvEUlddE_dEEDaPvRmT3_T4_T5_mT6_P12ihipStream_tbENKUlT_T0_E_clISt17integral_constantIbLb1EESV_IbLb0EEEEDaSR_SS_EUlSR_E_NS1_11comp_targetILNS1_3genE0ELNS1_11target_archE4294967295ELNS1_3gpuE0ELNS1_3repE0EEENS1_30default_config_static_selectorELNS0_4arch9wavefront6targetE1EEEvT1_, .Lfunc_end49-_ZN7rocprim17ROCPRIM_400000_NS6detail17trampoline_kernelINS0_14default_configENS1_20scan_config_selectorIdEEZZNS1_9scan_implILNS1_25lookback_scan_determinismE0ELb0ELb0ES3_PKdPddZZZN2at6native31launch_logcumsumexp_cuda_kernelERKNSB_10TensorBaseESF_lENKUlvE_clEvENKUlvE_clEvEUlddE_dEEDaPvRmT3_T4_T5_mT6_P12ihipStream_tbENKUlT_T0_E_clISt17integral_constantIbLb1EESV_IbLb0EEEEDaSR_SS_EUlSR_E_NS1_11comp_targetILNS1_3genE0ELNS1_11target_archE4294967295ELNS1_3gpuE0ELNS1_3repE0EEENS1_30default_config_static_selectorELNS0_4arch9wavefront6targetE1EEEvT1_
                                        ; -- End function
	.section	.AMDGPU.csdata,"",@progbits
; Kernel info:
; codeLenInByte = 0
; NumSgprs: 6
; NumVgprs: 0
; NumAgprs: 0
; TotalNumVgprs: 0
; ScratchSize: 0
; MemoryBound: 0
; FloatMode: 240
; IeeeMode: 1
; LDSByteSize: 0 bytes/workgroup (compile time only)
; SGPRBlocks: 0
; VGPRBlocks: 0
; NumSGPRsForWavesPerEU: 6
; NumVGPRsForWavesPerEU: 1
; AccumOffset: 4
; Occupancy: 8
; WaveLimiterHint : 0
; COMPUTE_PGM_RSRC2:SCRATCH_EN: 0
; COMPUTE_PGM_RSRC2:USER_SGPR: 2
; COMPUTE_PGM_RSRC2:TRAP_HANDLER: 0
; COMPUTE_PGM_RSRC2:TGID_X_EN: 1
; COMPUTE_PGM_RSRC2:TGID_Y_EN: 0
; COMPUTE_PGM_RSRC2:TGID_Z_EN: 0
; COMPUTE_PGM_RSRC2:TIDIG_COMP_CNT: 0
; COMPUTE_PGM_RSRC3_GFX90A:ACCUM_OFFSET: 0
; COMPUTE_PGM_RSRC3_GFX90A:TG_SPLIT: 0
	.text
	.p2align	2                               ; -- Begin function _ZZZN7rocprim17ROCPRIM_400000_NS6detail9scan_implILNS1_25lookback_scan_determinismE0ELb0ELb0ENS0_14default_configEPKdPddZZZN2at6native31launch_logcumsumexp_cuda_kernelERKNS8_10TensorBaseESC_lENKUlvE_clEvENKUlvE_clEvEUlddE_dEEDaPvRmT3_T4_T5_mT6_P12ihipStream_tbENKUlT_T0_E_clISt17integral_constantIbLb1EESS_IbLb0EEEEDaSO_SP_ENKUlSO_E_clINS1_13target_configIS4_NS1_20scan_config_selectorIdEENS1_11comp_targetILNS1_3genE5ELNS1_11target_archE942ELNS1_3gpuE9ELNS1_3repE0EEELNS0_4arch9wavefront6targetE1EEEEEDaSO_
	.type	_ZZZN7rocprim17ROCPRIM_400000_NS6detail9scan_implILNS1_25lookback_scan_determinismE0ELb0ELb0ENS0_14default_configEPKdPddZZZN2at6native31launch_logcumsumexp_cuda_kernelERKNS8_10TensorBaseESC_lENKUlvE_clEvENKUlvE_clEvEUlddE_dEEDaPvRmT3_T4_T5_mT6_P12ihipStream_tbENKUlT_T0_E_clISt17integral_constantIbLb1EESS_IbLb0EEEEDaSO_SP_ENKUlSO_E_clINS1_13target_configIS4_NS1_20scan_config_selectorIdEENS1_11comp_targetILNS1_3genE5ELNS1_11target_archE942ELNS1_3gpuE9ELNS1_3repE0EEELNS0_4arch9wavefront6targetE1EEEEEDaSO_,@function
_ZZZN7rocprim17ROCPRIM_400000_NS6detail9scan_implILNS1_25lookback_scan_determinismE0ELb0ELb0ENS0_14default_configEPKdPddZZZN2at6native31launch_logcumsumexp_cuda_kernelERKNS8_10TensorBaseESC_lENKUlvE_clEvENKUlvE_clEvEUlddE_dEEDaPvRmT3_T4_T5_mT6_P12ihipStream_tbENKUlT_T0_E_clISt17integral_constantIbLb1EESS_IbLb0EEEEDaSO_SP_ENKUlSO_E_clINS1_13target_configIS4_NS1_20scan_config_selectorIdEENS1_11comp_targetILNS1_3genE5ELNS1_11target_archE942ELNS1_3gpuE9ELNS1_3repE0EEELNS0_4arch9wavefront6targetE1EEEEEDaSO_: ; @_ZZZN7rocprim17ROCPRIM_400000_NS6detail9scan_implILNS1_25lookback_scan_determinismE0ELb0ELb0ENS0_14default_configEPKdPddZZZN2at6native31launch_logcumsumexp_cuda_kernelERKNS8_10TensorBaseESC_lENKUlvE_clEvENKUlvE_clEvEUlddE_dEEDaPvRmT3_T4_T5_mT6_P12ihipStream_tbENKUlT_T0_E_clISt17integral_constantIbLb1EESS_IbLb0EEEEDaSO_SP_ENKUlSO_E_clINS1_13target_configIS4_NS1_20scan_config_selectorIdEENS1_11comp_targetILNS1_3genE5ELNS1_11target_archE942ELNS1_3gpuE9ELNS1_3repE0EEELNS0_4arch9wavefront6targetE1EEEEEDaSO_
; %bb.0:
	s_waitcnt vmcnt(0) expcnt(0) lgkmcnt(0)
	s_or_saveexec_b64 s[0:1], -1
	scratch_store_dword off, v74, s32       ; 4-byte Folded Spill
	s_mov_b64 exec, s[0:1]
	v_writelane_b32 v74, s30, 0
	s_nop 1
	v_writelane_b32 v74, s31, 1
	flat_load_dwordx4 v[52:55], v[0:1]
	flat_load_dwordx3 v[116:118], v[0:1] offset:48
	flat_load_dwordx4 v[64:67], v[0:1] offset:16
	flat_load_dwordx4 v[36:39], v[0:1] offset:64
	;; [unrolled: 1-line block ×3, first 2 shown]
	s_movk_i32 s0, 0xf00
	s_mov_b32 s47, 0
	v_and_b32_e32 v70, 0x3ff, v31
	s_mul_i32 s46, s12, 0xf00
	s_waitcnt vmcnt(0) lgkmcnt(0)
	v_lshl_add_u64 v[0:1], v[54:55], 3, v[52:53]
	v_add_u32_e32 v2, -1, v118
	v_mul_lo_u32 v3, v2, s0
	v_sub_co_u32_e32 v118, vcc, v66, v3
	v_cmp_ne_u32_e64 s[0:1], s12, v2
	v_lshl_add_u64 v[0:1], s[46:47], 3, v[0:1]
	v_subbrev_co_u32_e32 v119, vcc, 0, v67, vcc
	v_lshlrev_b32_e32 v52, 3, v70
	s_and_saveexec_b64 s[2:3], s[0:1]
	s_xor_b64 s[2:3], exec, s[2:3]
	s_cbranch_execz .LBB50_2
; %bb.1:
	v_mov_b32_e32 v53, 0
	v_lshl_add_u64 v[0:1], v[0:1], 0, v[52:53]
	v_add_co_u32_e32 v2, vcc, 0x1000, v0
	s_nop 1
	v_addc_co_u32_e32 v3, vcc, 0, v1, vcc
	flat_load_dwordx2 v[4:5], v[0:1]
	flat_load_dwordx2 v[6:7], v[0:1] offset:2048
	flat_load_dwordx2 v[8:9], v[2:3]
	flat_load_dwordx2 v[10:11], v[2:3] offset:2048
	v_add_co_u32_e32 v2, vcc, 0x2000, v0
	s_nop 1
	v_addc_co_u32_e32 v3, vcc, 0, v1, vcc
	v_add_co_u32_e32 v12, vcc, 0x3000, v0
	s_nop 1
	v_addc_co_u32_e32 v13, vcc, 0, v1, vcc
	flat_load_dwordx2 v[14:15], v[2:3]
	flat_load_dwordx2 v[16:17], v[2:3] offset:2048
	flat_load_dwordx2 v[18:19], v[12:13]
	flat_load_dwordx2 v[20:21], v[12:13] offset:2048
	v_add_co_u32_e32 v2, vcc, 0x4000, v0
	s_nop 1
	v_addc_co_u32_e32 v3, vcc, 0, v1, vcc
	v_add_co_u32_e32 v12, vcc, 0x5000, v0
	s_nop 1
	v_addc_co_u32_e32 v13, vcc, 0, v1, vcc
	flat_load_dwordx2 v[22:23], v[2:3]
	flat_load_dwordx2 v[24:25], v[2:3] offset:2048
	flat_load_dwordx2 v[26:27], v[12:13]
	flat_load_dwordx2 v[28:29], v[12:13] offset:2048
	v_add_co_u32_e32 v2, vcc, 0x6000, v0
	s_nop 1
	v_addc_co_u32_e32 v3, vcc, 0, v1, vcc
	v_add_co_u32_e32 v0, vcc, 0x7000, v0
	s_nop 1
	v_addc_co_u32_e32 v1, vcc, 0, v1, vcc
	flat_load_dwordx2 v[12:13], v[2:3]
	flat_load_dwordx2 v[30:31], v[2:3] offset:2048
	flat_load_dwordx2 v[32:33], v[0:1]
                                        ; implicit-def: $vgpr0_vgpr1
	s_waitcnt vmcnt(0) lgkmcnt(0)
	ds_write2st64_b64 v52, v[4:5], v[6:7] offset1:4
	ds_write2st64_b64 v52, v[8:9], v[10:11] offset0:8 offset1:12
	ds_write2st64_b64 v52, v[14:15], v[16:17] offset0:16 offset1:20
	;; [unrolled: 1-line block ×6, first 2 shown]
	ds_write_b64 v52, v[32:33] offset:28672
	s_waitcnt lgkmcnt(0)
	s_barrier
.LBB50_2:
	s_andn2_saveexec_b64 s[2:3], s[2:3]
	s_cbranch_execz .LBB50_34
; %bb.3:
	flat_load_dwordx2 v[2:3], v[0:1]
	v_cmp_lt_u32_e32 vcc, v70, v118
	s_waitcnt vmcnt(0) lgkmcnt(0)
	v_mov_b32_e32 v4, v2
	v_mov_b32_e32 v5, v3
	;; [unrolled: 1-line block ×26, first 2 shown]
	v_mov_b64_e32 v[34:35], v[30:31]
	v_mov_b64_e32 v[32:33], v[28:29]
	;; [unrolled: 1-line block ×16, first 2 shown]
	s_and_saveexec_b64 s[4:5], vcc
	s_cbranch_execz .LBB50_5
; %bb.4:
	v_mov_b32_e32 v53, 0
	v_lshl_add_u64 v[4:5], v[0:1], 0, v[52:53]
	flat_load_dwordx2 v[66:67], v[4:5]
	v_mov_b32_e32 v4, v2
	v_mov_b32_e32 v5, v3
	;; [unrolled: 1-line block ×26, first 2 shown]
	v_mov_b64_e32 v[34:35], v[30:31]
	v_mov_b64_e32 v[32:33], v[28:29]
	;; [unrolled: 1-line block ×16, first 2 shown]
	s_waitcnt vmcnt(0) lgkmcnt(0)
	v_mov_b64_e32 v[2:3], v[66:67]
.LBB50_5:
	s_or_b64 exec, exec, s[4:5]
	v_add_u32_e32 v4, 0x100, v70
	v_cmp_lt_u32_e32 vcc, v4, v118
	s_and_saveexec_b64 s[4:5], vcc
	s_cbranch_execz .LBB50_7
; %bb.6:
	v_mov_b32_e32 v53, 0
	v_lshl_add_u64 v[4:5], v[0:1], 0, v[52:53]
	flat_load_dwordx2 v[6:7], v[4:5] offset:2048
.LBB50_7:
	s_or_b64 exec, exec, s[4:5]
	v_add_u32_e32 v4, 0x200, v70
	v_cmp_lt_u32_e32 vcc, v4, v118
	s_and_saveexec_b64 s[4:5], vcc
	s_cbranch_execz .LBB50_9
; %bb.8:
	v_lshlrev_b32_e32 v4, 3, v4
	v_mov_b32_e32 v5, 0
	v_lshl_add_u64 v[4:5], v[0:1], 0, v[4:5]
	flat_load_dwordx2 v[8:9], v[4:5]
.LBB50_9:
	s_or_b64 exec, exec, s[4:5]
	v_add_u32_e32 v4, 0x300, v70
	v_cmp_lt_u32_e32 vcc, v4, v118
	s_and_saveexec_b64 s[4:5], vcc
	s_cbranch_execz .LBB50_11
; %bb.10:
	v_lshlrev_b32_e32 v4, 3, v4
	v_mov_b32_e32 v5, 0
	v_lshl_add_u64 v[4:5], v[0:1], 0, v[4:5]
	flat_load_dwordx2 v[10:11], v[4:5]
.LBB50_11:
	s_or_b64 exec, exec, s[4:5]
	v_or_b32_e32 v4, 0x400, v70
	v_cmp_lt_u32_e32 vcc, v4, v118
	s_and_saveexec_b64 s[4:5], vcc
	s_cbranch_execz .LBB50_13
; %bb.12:
	v_lshlrev_b32_e32 v4, 3, v4
	v_mov_b32_e32 v5, 0
	v_lshl_add_u64 v[4:5], v[0:1], 0, v[4:5]
	flat_load_dwordx2 v[12:13], v[4:5]
.LBB50_13:
	s_or_b64 exec, exec, s[4:5]
	v_add_u32_e32 v4, 0x500, v70
	v_cmp_lt_u32_e32 vcc, v4, v118
	s_and_saveexec_b64 s[4:5], vcc
	s_cbranch_execz .LBB50_15
; %bb.14:
	v_lshlrev_b32_e32 v4, 3, v4
	v_mov_b32_e32 v5, 0
	v_lshl_add_u64 v[4:5], v[0:1], 0, v[4:5]
	flat_load_dwordx2 v[14:15], v[4:5]
.LBB50_15:
	s_or_b64 exec, exec, s[4:5]
	v_add_u32_e32 v4, 0x600, v70
	v_cmp_lt_u32_e32 vcc, v4, v118
	s_and_saveexec_b64 s[4:5], vcc
	s_cbranch_execz .LBB50_17
; %bb.16:
	v_lshlrev_b32_e32 v4, 3, v4
	v_mov_b32_e32 v5, 0
	v_lshl_add_u64 v[4:5], v[0:1], 0, v[4:5]
	flat_load_dwordx2 v[16:17], v[4:5]
.LBB50_17:
	s_or_b64 exec, exec, s[4:5]
	v_add_u32_e32 v4, 0x700, v70
	v_cmp_lt_u32_e32 vcc, v4, v118
	s_and_saveexec_b64 s[4:5], vcc
	s_cbranch_execz .LBB50_19
; %bb.18:
	v_lshlrev_b32_e32 v4, 3, v4
	v_mov_b32_e32 v5, 0
	v_lshl_add_u64 v[4:5], v[0:1], 0, v[4:5]
	flat_load_dwordx2 v[18:19], v[4:5]
.LBB50_19:
	s_or_b64 exec, exec, s[4:5]
	v_or_b32_e32 v4, 0x800, v70
	v_cmp_lt_u32_e32 vcc, v4, v118
	s_and_saveexec_b64 s[4:5], vcc
	s_cbranch_execz .LBB50_21
; %bb.20:
	v_lshlrev_b32_e32 v4, 3, v4
	v_mov_b32_e32 v5, 0
	v_lshl_add_u64 v[4:5], v[0:1], 0, v[4:5]
	flat_load_dwordx2 v[20:21], v[4:5]
.LBB50_21:
	s_or_b64 exec, exec, s[4:5]
	v_add_u32_e32 v4, 0x900, v70
	v_cmp_lt_u32_e32 vcc, v4, v118
	s_and_saveexec_b64 s[4:5], vcc
	s_cbranch_execz .LBB50_23
; %bb.22:
	v_lshlrev_b32_e32 v4, 3, v4
	v_mov_b32_e32 v5, 0
	v_lshl_add_u64 v[4:5], v[0:1], 0, v[4:5]
	flat_load_dwordx2 v[22:23], v[4:5]
.LBB50_23:
	;; [unrolled: 44-line block ×3, first 2 shown]
	s_or_b64 exec, exec, s[4:5]
	v_add_u32_e32 v4, 0xe00, v70
	v_cmp_lt_u32_e32 vcc, v4, v118
	s_and_saveexec_b64 s[4:5], vcc
	s_cbranch_execz .LBB50_33
; %bb.32:
	v_lshlrev_b32_e32 v4, 3, v4
	v_mov_b32_e32 v5, 0
	v_lshl_add_u64 v[0:1], v[0:1], 0, v[4:5]
	flat_load_dwordx2 v[32:33], v[0:1]
.LBB50_33:
	s_or_b64 exec, exec, s[4:5]
	s_waitcnt vmcnt(0) lgkmcnt(0)
	ds_write2st64_b64 v52, v[2:3], v[6:7] offset1:4
	ds_write2st64_b64 v52, v[8:9], v[10:11] offset0:8 offset1:12
	ds_write2st64_b64 v52, v[12:13], v[14:15] offset0:16 offset1:20
	;; [unrolled: 1-line block ×6, first 2 shown]
	ds_write_b64 v52, v[32:33] offset:28672
	s_waitcnt lgkmcnt(0)
	s_barrier
.LBB50_34:
	s_or_b64 exec, exec, s[2:3]
	v_mul_u32_u24_e32 v244, 15, v70
	v_lshlrev_b32_e32 v4, 3, v244
	ds_read2_b64 v[0:3], v4 offset1:1
	ds_read2_b64 v[112:115], v4 offset0:2 offset1:3
	ds_read2_b64 v[100:103], v4 offset0:4 offset1:5
	;; [unrolled: 1-line block ×6, first 2 shown]
	ds_read_b64 v[128:129], v4 offset:112
	s_cmp_lg_u32 s12, 0
	s_waitcnt lgkmcnt(7)
	v_cmp_u_f64_e64 s[2:3], v[2:3], v[2:3]
	v_max_f64 v[130:131], v[2:3], v[2:3]
	s_waitcnt lgkmcnt(0)
	s_barrier
	s_cbranch_scc0 .LBB50_136
; %bb.35:
	v_max_f64 v[132:133], v[0:1], v[0:1]
	v_min_f64 v[4:5], v[132:133], v[130:131]
	v_cmp_u_f64_e64 s[30:31], v[0:1], v[0:1]
	s_movk_i32 s13, 0x1f8
	v_mov_b64_e32 v[134:135], v[0:1]
	v_cndmask_b32_e64 v4, v4, v0, s[30:31]
	v_cndmask_b32_e64 v5, v5, v1, s[30:31]
	;; [unrolled: 1-line block ×4, first 2 shown]
	v_max_f64 v[4:5], v[132:133], v[130:131]
	v_cndmask_b32_e64 v4, v4, v0, s[30:31]
	v_cndmask_b32_e64 v5, v5, v1, s[30:31]
	;; [unrolled: 1-line block ×4, first 2 shown]
	v_cmp_neq_f64_e32 vcc, v[6:7], v[4:5]
	v_cmp_class_f64_e64 s[4:5], v[6:7], s13
	s_or_b64 s[4:5], vcc, s[4:5]
	s_and_saveexec_b64 s[6:7], s[4:5]
	s_cbranch_execz .LBB50_37
; %bb.36:
	s_mov_b32 s4, 0x652b82fe
	v_add_f64 v[6:7], v[6:7], -v[4:5]
	s_mov_b32 s5, 0x3ff71547
	v_mul_f64 v[8:9], v[6:7], s[4:5]
	v_rndne_f64_e32 v[8:9], v[8:9]
	s_mov_b32 s9, 0xbfe62e42
	s_mov_b32 s8, 0xfefa39ef
	v_fma_f64 v[10:11], s[8:9], v[8:9], v[6:7]
	s_mov_b32 s11, 0xbc7abc9e
	s_mov_b32 s10, 0x3b39803f
	;; [unrolled: 1-line block ×3, first 2 shown]
	v_fmac_f64_e32 v[10:11], s[10:11], v[8:9]
	v_mov_b32_e32 v12, 0xfca7ab0c
	v_mov_b32_e32 v13, 0x3e928af3
	s_mov_b32 s5, 0x3e5ade15
	v_fmac_f64_e32 v[12:13], s[4:5], v[10:11]
	v_mov_b32_e32 v14, 0x623fde64
	v_mov_b32_e32 v15, 0x3ec71dee
	v_fmac_f64_e32 v[14:15], v[10:11], v[12:13]
	v_mov_b32_e32 v12, 0x7c89e6b0
	v_mov_b32_e32 v13, 0x3efa0199
	;; [unrolled: 3-line block ×8, first 2 shown]
	s_mov_b32 s4, 0
	v_fmac_f64_e32 v[12:13], v[10:11], v[14:15]
	s_mov_b32 s5, 0x40900000
	v_fma_f64 v[12:13], v[10:11], v[12:13], 1.0
	v_cmp_nlt_f64_e32 vcc, s[4:5], v[6:7]
	s_mov_b32 s4, 0
	v_fma_f64 v[10:11], v[10:11], v[12:13], 1.0
	v_cvt_i32_f64_e32 v8, v[8:9]
	s_mov_b32 s5, 0xc090cc00
	v_ldexp_f64 v[8:9], v[10:11], v8
	v_mov_b32_e32 v10, 0x7ff00000
	v_cmp_ngt_f64_e64 s[4:5], s[4:5], v[6:7]
	v_cndmask_b32_e32 v9, v10, v9, vcc
	s_and_b64 vcc, s[4:5], vcc
	v_cndmask_b32_e64 v7, 0, v9, s[4:5]
	v_cndmask_b32_e32 v6, 0, v8, vcc
	v_add_f64 v[8:9], v[6:7], 1.0
	v_add_f64 v[10:11], v[8:9], -1.0
	v_add_f64 v[12:13], v[10:11], -v[8:9]
	v_add_f64 v[12:13], v[12:13], 1.0
	v_add_f64 v[10:11], v[6:7], -v[10:11]
	s_mov_b32 s4, 0x55555555
	v_add_f64 v[10:11], v[10:11], v[12:13]
	v_frexp_mant_f64_e32 v[12:13], v[8:9]
	s_mov_b32 s5, 0x3fe55555
	v_frexp_exp_i32_f64_e32 v14, v[8:9]
	v_cmp_gt_f64_e32 vcc, s[4:5], v[12:13]
	s_mov_b32 s4, 0xbf559e2b
	s_mov_b32 s5, 0x3fc3ab76
	v_subbrev_co_u32_e32 v28, vcc, 0, v14, vcc
	v_sub_u32_e32 v12, 0, v28
	v_ldexp_f64 v[8:9], v[8:9], v12
	v_ldexp_f64 v[10:11], v[10:11], v12
	v_add_f64 v[12:13], v[8:9], -1.0
	v_add_f64 v[18:19], v[8:9], 1.0
	v_add_f64 v[14:15], v[12:13], 1.0
	v_add_f64 v[20:21], v[18:19], -1.0
	v_add_f64 v[14:15], v[8:9], -v[14:15]
	v_add_f64 v[8:9], v[8:9], -v[20:21]
	v_add_f64 v[8:9], v[10:11], v[8:9]
	v_add_f64 v[14:15], v[10:11], v[14:15]
	;; [unrolled: 1-line block ×3, first 2 shown]
	v_rcp_f64_e32 v[20:21], v[10:11]
	v_add_f64 v[16:17], v[12:13], v[14:15]
	v_add_f64 v[12:13], v[16:17], -v[12:13]
	v_add_f64 v[12:13], v[14:15], -v[12:13]
	;; [unrolled: 1-line block ×4, first 2 shown]
	v_fma_f64 v[14:15], -v[10:11], v[20:21], 1.0
	v_fmac_f64_e32 v[20:21], v[14:15], v[20:21]
	v_fma_f64 v[14:15], -v[10:11], v[20:21], 1.0
	v_fmac_f64_e32 v[20:21], v[14:15], v[20:21]
	v_mul_f64 v[14:15], v[16:17], v[20:21]
	v_mul_f64 v[18:19], v[10:11], v[14:15]
	v_fma_f64 v[22:23], v[14:15], v[10:11], -v[18:19]
	v_fmac_f64_e32 v[22:23], v[14:15], v[8:9]
	v_add_f64 v[24:25], v[18:19], v[22:23]
	v_add_f64 v[26:27], v[16:17], -v[24:25]
	v_add_f64 v[16:17], v[16:17], -v[26:27]
	;; [unrolled: 1-line block ×4, first 2 shown]
	v_add_f64 v[12:13], v[12:13], v[16:17]
	v_add_f64 v[16:17], v[18:19], -v[22:23]
	v_add_f64 v[12:13], v[16:17], v[12:13]
	v_add_f64 v[16:17], v[26:27], v[12:13]
	v_add_f64 v[18:19], v[26:27], -v[16:17]
	v_add_f64 v[12:13], v[12:13], v[18:19]
	v_mul_f64 v[18:19], v[20:21], v[16:17]
	v_mul_f64 v[22:23], v[10:11], v[18:19]
	v_fma_f64 v[10:11], v[18:19], v[10:11], -v[22:23]
	v_fmac_f64_e32 v[10:11], v[18:19], v[8:9]
	v_add_f64 v[8:9], v[22:23], v[10:11]
	v_add_f64 v[24:25], v[16:17], -v[8:9]
	v_add_f64 v[16:17], v[16:17], -v[24:25]
	;; [unrolled: 1-line block ×4, first 2 shown]
	v_add_f64 v[8:9], v[12:13], v[8:9]
	v_add_f64 v[10:11], v[22:23], -v[10:11]
	v_add_f64 v[8:9], v[10:11], v[8:9]
	v_add_f64 v[10:11], v[14:15], v[18:19]
	;; [unrolled: 1-line block ×3, first 2 shown]
	v_add_f64 v[12:13], v[10:11], -v[14:15]
	v_mul_f64 v[8:9], v[20:21], v[8:9]
	v_add_f64 v[12:13], v[18:19], -v[12:13]
	v_add_f64 v[8:9], v[12:13], v[8:9]
	v_add_f64 v[12:13], v[10:11], v[8:9]
	v_add_f64 v[10:11], v[12:13], -v[10:11]
	v_add_f64 v[8:9], v[8:9], -v[10:11]
	v_mul_f64 v[10:11], v[12:13], v[12:13]
	v_mov_b32_e32 v14, 0x6b47b09a
	v_mov_b32_e32 v15, 0x3fc38538
	v_fmac_f64_e32 v[14:15], s[4:5], v[10:11]
	v_mov_b32_e32 v16, 0xd7f4df2e
	v_mov_b32_e32 v17, 0x3fc7474d
	v_fmac_f64_e32 v[16:17], v[10:11], v[14:15]
	;; [unrolled: 3-line block ×6, first 2 shown]
	v_cvt_f64_i32_e32 v[14:15], v28
	s_mov_b32 s9, 0x3fe62e42
	v_mul_f64 v[18:19], v[14:15], s[8:9]
	v_fma_f64 v[20:21], v[14:15], s[8:9], -v[18:19]
	s_mov_b32 s11, 0x3c7abc9e
	v_fmac_f64_e32 v[20:21], s[10:11], v[14:15]
	v_add_f64 v[14:15], v[18:19], v[20:21]
	v_add_f64 v[18:19], v[14:15], -v[18:19]
	v_mul_f64 v[10:11], v[12:13], v[10:11]
	v_add_f64 v[18:19], v[20:21], -v[18:19]
	v_ldexp_f64 v[20:21], v[12:13], 1
	v_mul_f64 v[10:11], v[10:11], v[16:17]
	v_add_f64 v[12:13], v[20:21], v[10:11]
	v_add_f64 v[16:17], v[12:13], -v[20:21]
	v_ldexp_f64 v[8:9], v[8:9], 1
	v_add_f64 v[10:11], v[10:11], -v[16:17]
	v_add_f64 v[8:9], v[8:9], v[10:11]
	v_add_f64 v[10:11], v[12:13], v[8:9]
	v_add_f64 v[12:13], v[10:11], -v[12:13]
	v_add_f64 v[8:9], v[8:9], -v[12:13]
	v_add_f64 v[12:13], v[14:15], v[10:11]
	v_add_f64 v[16:17], v[12:13], -v[14:15]
	v_add_f64 v[20:21], v[12:13], -v[16:17]
	;; [unrolled: 1-line block ×4, first 2 shown]
	v_add_f64 v[10:11], v[10:11], v[14:15]
	v_add_f64 v[14:15], v[18:19], v[8:9]
	v_add_f64 v[16:17], v[14:15], -v[18:19]
	v_add_f64 v[10:11], v[14:15], v[10:11]
	v_add_f64 v[20:21], v[14:15], -v[16:17]
	;; [unrolled: 2-line block ×3, first 2 shown]
	v_add_f64 v[8:9], v[8:9], -v[16:17]
	v_add_f64 v[12:13], v[14:15], -v[12:13]
	v_add_f64 v[8:9], v[8:9], v[18:19]
	v_add_f64 v[10:11], v[10:11], -v[12:13]
	s_mov_b32 s4, 0
	v_add_f64 v[8:9], v[8:9], v[10:11]
	s_mov_b32 s5, 0x7ff00000
	v_add_f64 v[8:9], v[14:15], v[8:9]
	v_cmp_eq_f64_e32 vcc, s[4:5], v[6:7]
	v_mov_b32_e32 v10, 0x7ff80000
	s_nop 0
	v_cndmask_b32_e32 v8, v8, v6, vcc
	v_cndmask_b32_e32 v9, v9, v7, vcc
	v_cmp_ngt_f64_e32 vcc, -1.0, v[6:7]
	s_nop 1
	v_cndmask_b32_e32 v9, v10, v9, vcc
	v_cmp_nge_f64_e32 vcc, -1.0, v[6:7]
	v_mov_b32_e32 v10, 0xfff00000
	s_nop 0
	v_cndmask_b32_e32 v8, 0, v8, vcc
	v_cmp_neq_f64_e32 vcc, -1.0, v[6:7]
	s_nop 1
	v_cndmask_b32_e32 v9, v10, v9, vcc
	v_add_f64 v[134:135], v[4:5], v[8:9]
.LBB50_37:
	s_or_b64 exec, exec, s[6:7]
	v_max_f64 v[10:11], v[112:113], v[112:113]
	v_max_f64 v[4:5], v[134:135], v[134:135]
	v_min_f64 v[6:7], v[4:5], v[10:11]
	v_cmp_u_f64_e32 vcc, v[134:135], v[134:135]
	v_max_f64 v[4:5], v[4:5], v[10:11]
	v_cmp_u_f64_e64 s[4:5], v[112:113], v[112:113]
	v_cndmask_b32_e32 v6, v6, v134, vcc
	v_cndmask_b32_e32 v7, v7, v135, vcc
	;; [unrolled: 1-line block ×4, first 2 shown]
	v_cndmask_b32_e64 v7, v7, v113, s[4:5]
	v_cndmask_b32_e64 v6, v6, v112, s[4:5]
	;; [unrolled: 1-line block ×4, first 2 shown]
	v_cmp_neq_f64_e32 vcc, v[6:7], v[4:5]
	v_cmp_class_f64_e64 s[6:7], v[6:7], s13
	s_or_b64 s[6:7], vcc, s[6:7]
	s_and_saveexec_b64 s[8:9], s[6:7]
	s_cbranch_execz .LBB50_39
; %bb.38:
	s_mov_b32 s6, 0x652b82fe
	v_add_f64 v[6:7], v[6:7], -v[4:5]
	s_mov_b32 s7, 0x3ff71547
	v_mul_f64 v[8:9], v[6:7], s[6:7]
	v_rndne_f64_e32 v[8:9], v[8:9]
	s_mov_b32 s11, 0xbfe62e42
	s_mov_b32 s10, 0xfefa39ef
	v_fma_f64 v[12:13], s[10:11], v[8:9], v[6:7]
	s_mov_b32 s15, 0xbc7abc9e
	s_mov_b32 s14, 0x3b39803f
	;; [unrolled: 1-line block ×3, first 2 shown]
	v_fmac_f64_e32 v[12:13], s[14:15], v[8:9]
	v_mov_b32_e32 v14, 0xfca7ab0c
	v_mov_b32_e32 v15, 0x3e928af3
	s_mov_b32 s7, 0x3e5ade15
	v_fmac_f64_e32 v[14:15], s[6:7], v[12:13]
	v_mov_b32_e32 v16, 0x623fde64
	v_mov_b32_e32 v17, 0x3ec71dee
	v_fmac_f64_e32 v[16:17], v[12:13], v[14:15]
	v_mov_b32_e32 v14, 0x7c89e6b0
	v_mov_b32_e32 v15, 0x3efa0199
	;; [unrolled: 3-line block ×8, first 2 shown]
	s_mov_b32 s6, 0
	v_fmac_f64_e32 v[14:15], v[12:13], v[16:17]
	s_mov_b32 s7, 0x40900000
	v_fma_f64 v[14:15], v[12:13], v[14:15], 1.0
	v_cmp_nlt_f64_e32 vcc, s[6:7], v[6:7]
	s_mov_b32 s6, 0
	v_fma_f64 v[12:13], v[12:13], v[14:15], 1.0
	v_cvt_i32_f64_e32 v8, v[8:9]
	s_mov_b32 s7, 0xc090cc00
	v_ldexp_f64 v[8:9], v[12:13], v8
	v_mov_b32_e32 v12, 0x7ff00000
	v_cmp_ngt_f64_e64 s[6:7], s[6:7], v[6:7]
	v_cndmask_b32_e32 v9, v12, v9, vcc
	s_and_b64 vcc, s[6:7], vcc
	v_cndmask_b32_e64 v7, 0, v9, s[6:7]
	v_cndmask_b32_e32 v6, 0, v8, vcc
	v_add_f64 v[8:9], v[6:7], 1.0
	v_add_f64 v[12:13], v[8:9], -1.0
	v_add_f64 v[14:15], v[12:13], -v[8:9]
	v_add_f64 v[14:15], v[14:15], 1.0
	v_add_f64 v[12:13], v[6:7], -v[12:13]
	s_mov_b32 s6, 0x55555555
	v_add_f64 v[12:13], v[12:13], v[14:15]
	v_frexp_mant_f64_e32 v[14:15], v[8:9]
	s_mov_b32 s7, 0x3fe55555
	v_frexp_exp_i32_f64_e32 v16, v[8:9]
	v_cmp_gt_f64_e32 vcc, s[6:7], v[14:15]
	s_mov_b32 s6, 0xbf559e2b
	s_mov_b32 s7, 0x3fc3ab76
	v_subbrev_co_u32_e32 v30, vcc, 0, v16, vcc
	v_sub_u32_e32 v14, 0, v30
	v_ldexp_f64 v[8:9], v[8:9], v14
	v_ldexp_f64 v[12:13], v[12:13], v14
	v_add_f64 v[14:15], v[8:9], -1.0
	v_add_f64 v[20:21], v[8:9], 1.0
	v_add_f64 v[16:17], v[14:15], 1.0
	v_add_f64 v[22:23], v[20:21], -1.0
	v_add_f64 v[16:17], v[8:9], -v[16:17]
	v_add_f64 v[8:9], v[8:9], -v[22:23]
	v_add_f64 v[8:9], v[12:13], v[8:9]
	v_add_f64 v[16:17], v[12:13], v[16:17]
	;; [unrolled: 1-line block ×3, first 2 shown]
	v_rcp_f64_e32 v[22:23], v[12:13]
	v_add_f64 v[18:19], v[14:15], v[16:17]
	v_add_f64 v[14:15], v[18:19], -v[14:15]
	v_add_f64 v[14:15], v[16:17], -v[14:15]
	;; [unrolled: 1-line block ×4, first 2 shown]
	v_fma_f64 v[16:17], -v[12:13], v[22:23], 1.0
	v_fmac_f64_e32 v[22:23], v[16:17], v[22:23]
	v_fma_f64 v[16:17], -v[12:13], v[22:23], 1.0
	v_fmac_f64_e32 v[22:23], v[16:17], v[22:23]
	v_mul_f64 v[16:17], v[18:19], v[22:23]
	v_mul_f64 v[20:21], v[12:13], v[16:17]
	v_fma_f64 v[24:25], v[16:17], v[12:13], -v[20:21]
	v_fmac_f64_e32 v[24:25], v[16:17], v[8:9]
	v_add_f64 v[26:27], v[20:21], v[24:25]
	v_add_f64 v[28:29], v[18:19], -v[26:27]
	v_add_f64 v[18:19], v[18:19], -v[28:29]
	;; [unrolled: 1-line block ×4, first 2 shown]
	v_add_f64 v[14:15], v[14:15], v[18:19]
	v_add_f64 v[18:19], v[20:21], -v[24:25]
	v_add_f64 v[14:15], v[18:19], v[14:15]
	v_add_f64 v[18:19], v[28:29], v[14:15]
	v_add_f64 v[20:21], v[28:29], -v[18:19]
	v_add_f64 v[14:15], v[14:15], v[20:21]
	v_mul_f64 v[20:21], v[22:23], v[18:19]
	v_mul_f64 v[24:25], v[12:13], v[20:21]
	v_fma_f64 v[12:13], v[20:21], v[12:13], -v[24:25]
	v_fmac_f64_e32 v[12:13], v[20:21], v[8:9]
	v_add_f64 v[8:9], v[24:25], v[12:13]
	v_add_f64 v[26:27], v[18:19], -v[8:9]
	v_add_f64 v[18:19], v[18:19], -v[26:27]
	;; [unrolled: 1-line block ×4, first 2 shown]
	v_add_f64 v[8:9], v[14:15], v[8:9]
	v_add_f64 v[12:13], v[24:25], -v[12:13]
	v_add_f64 v[8:9], v[12:13], v[8:9]
	v_add_f64 v[12:13], v[16:17], v[20:21]
	;; [unrolled: 1-line block ×3, first 2 shown]
	v_add_f64 v[14:15], v[12:13], -v[16:17]
	v_mul_f64 v[8:9], v[22:23], v[8:9]
	v_add_f64 v[14:15], v[20:21], -v[14:15]
	v_add_f64 v[8:9], v[14:15], v[8:9]
	v_add_f64 v[14:15], v[12:13], v[8:9]
	v_add_f64 v[12:13], v[14:15], -v[12:13]
	v_add_f64 v[8:9], v[8:9], -v[12:13]
	v_mul_f64 v[12:13], v[14:15], v[14:15]
	v_mov_b32_e32 v16, 0x6b47b09a
	v_mov_b32_e32 v17, 0x3fc38538
	v_fmac_f64_e32 v[16:17], s[6:7], v[12:13]
	v_mov_b32_e32 v18, 0xd7f4df2e
	v_mov_b32_e32 v19, 0x3fc7474d
	v_fmac_f64_e32 v[18:19], v[12:13], v[16:17]
	;; [unrolled: 3-line block ×6, first 2 shown]
	v_cvt_f64_i32_e32 v[16:17], v30
	s_mov_b32 s11, 0x3fe62e42
	v_mul_f64 v[20:21], v[16:17], s[10:11]
	v_fma_f64 v[22:23], v[16:17], s[10:11], -v[20:21]
	s_mov_b32 s15, 0x3c7abc9e
	v_fmac_f64_e32 v[22:23], s[14:15], v[16:17]
	v_add_f64 v[16:17], v[20:21], v[22:23]
	v_add_f64 v[20:21], v[16:17], -v[20:21]
	v_mul_f64 v[12:13], v[14:15], v[12:13]
	v_add_f64 v[20:21], v[22:23], -v[20:21]
	v_ldexp_f64 v[22:23], v[14:15], 1
	v_mul_f64 v[12:13], v[12:13], v[18:19]
	v_add_f64 v[14:15], v[22:23], v[12:13]
	v_add_f64 v[18:19], v[14:15], -v[22:23]
	v_ldexp_f64 v[8:9], v[8:9], 1
	v_add_f64 v[12:13], v[12:13], -v[18:19]
	v_add_f64 v[8:9], v[8:9], v[12:13]
	v_add_f64 v[12:13], v[14:15], v[8:9]
	v_add_f64 v[14:15], v[12:13], -v[14:15]
	v_add_f64 v[8:9], v[8:9], -v[14:15]
	v_add_f64 v[14:15], v[16:17], v[12:13]
	v_add_f64 v[18:19], v[14:15], -v[16:17]
	v_add_f64 v[22:23], v[14:15], -v[18:19]
	;; [unrolled: 1-line block ×4, first 2 shown]
	v_add_f64 v[12:13], v[12:13], v[16:17]
	v_add_f64 v[16:17], v[20:21], v[8:9]
	v_add_f64 v[18:19], v[16:17], -v[20:21]
	v_add_f64 v[12:13], v[16:17], v[12:13]
	v_add_f64 v[22:23], v[16:17], -v[18:19]
	;; [unrolled: 2-line block ×3, first 2 shown]
	v_add_f64 v[8:9], v[8:9], -v[18:19]
	v_add_f64 v[14:15], v[16:17], -v[14:15]
	v_add_f64 v[8:9], v[8:9], v[20:21]
	v_add_f64 v[12:13], v[12:13], -v[14:15]
	s_mov_b32 s6, 0
	v_add_f64 v[8:9], v[8:9], v[12:13]
	s_mov_b32 s7, 0x7ff00000
	v_add_f64 v[8:9], v[16:17], v[8:9]
	v_cmp_eq_f64_e32 vcc, s[6:7], v[6:7]
	v_mov_b32_e32 v12, 0x7ff80000
	s_nop 0
	v_cndmask_b32_e32 v8, v8, v6, vcc
	v_cndmask_b32_e32 v9, v9, v7, vcc
	v_cmp_ngt_f64_e32 vcc, -1.0, v[6:7]
	s_nop 1
	v_cndmask_b32_e32 v9, v12, v9, vcc
	v_cmp_nge_f64_e32 vcc, -1.0, v[6:7]
	v_mov_b32_e32 v12, 0xfff00000
	s_nop 0
	v_cndmask_b32_e32 v8, 0, v8, vcc
	v_cmp_neq_f64_e32 vcc, -1.0, v[6:7]
	s_nop 1
	v_cndmask_b32_e32 v9, v12, v9, vcc
	v_add_f64 v[134:135], v[4:5], v[8:9]
.LBB50_39:
	s_or_b64 exec, exec, s[8:9]
	v_max_f64 v[12:13], v[114:115], v[114:115]
	v_max_f64 v[4:5], v[134:135], v[134:135]
	v_min_f64 v[6:7], v[4:5], v[12:13]
	v_cmp_u_f64_e32 vcc, v[134:135], v[134:135]
	v_max_f64 v[4:5], v[4:5], v[12:13]
	v_cmp_u_f64_e64 s[6:7], v[114:115], v[114:115]
	v_cndmask_b32_e32 v6, v6, v134, vcc
	v_cndmask_b32_e32 v7, v7, v135, vcc
	;; [unrolled: 1-line block ×4, first 2 shown]
	v_cndmask_b32_e64 v7, v7, v115, s[6:7]
	v_cndmask_b32_e64 v6, v6, v114, s[6:7]
	;; [unrolled: 1-line block ×4, first 2 shown]
	v_cmp_neq_f64_e32 vcc, v[6:7], v[4:5]
	v_cmp_class_f64_e64 s[8:9], v[6:7], s13
	s_or_b64 s[8:9], vcc, s[8:9]
	s_and_saveexec_b64 s[10:11], s[8:9]
	s_cbranch_execz .LBB50_41
; %bb.40:
	s_mov_b32 s8, 0x652b82fe
	v_add_f64 v[6:7], v[6:7], -v[4:5]
	s_mov_b32 s9, 0x3ff71547
	v_mul_f64 v[8:9], v[6:7], s[8:9]
	v_rndne_f64_e32 v[8:9], v[8:9]
	s_mov_b32 s15, 0xbfe62e42
	s_mov_b32 s14, 0xfefa39ef
	v_fma_f64 v[14:15], s[14:15], v[8:9], v[6:7]
	s_mov_b32 s17, 0xbc7abc9e
	s_mov_b32 s16, 0x3b39803f
	;; [unrolled: 1-line block ×3, first 2 shown]
	v_fmac_f64_e32 v[14:15], s[16:17], v[8:9]
	v_mov_b32_e32 v16, 0xfca7ab0c
	v_mov_b32_e32 v17, 0x3e928af3
	s_mov_b32 s9, 0x3e5ade15
	v_fmac_f64_e32 v[16:17], s[8:9], v[14:15]
	v_mov_b32_e32 v18, 0x623fde64
	v_mov_b32_e32 v19, 0x3ec71dee
	v_fmac_f64_e32 v[18:19], v[14:15], v[16:17]
	v_mov_b32_e32 v16, 0x7c89e6b0
	v_mov_b32_e32 v17, 0x3efa0199
	;; [unrolled: 3-line block ×8, first 2 shown]
	s_mov_b32 s8, 0
	v_fmac_f64_e32 v[16:17], v[14:15], v[18:19]
	s_mov_b32 s9, 0x40900000
	v_fma_f64 v[16:17], v[14:15], v[16:17], 1.0
	v_cmp_nlt_f64_e32 vcc, s[8:9], v[6:7]
	s_mov_b32 s8, 0
	v_fma_f64 v[14:15], v[14:15], v[16:17], 1.0
	v_cvt_i32_f64_e32 v8, v[8:9]
	s_mov_b32 s9, 0xc090cc00
	v_ldexp_f64 v[8:9], v[14:15], v8
	v_mov_b32_e32 v14, 0x7ff00000
	v_cmp_ngt_f64_e64 s[8:9], s[8:9], v[6:7]
	v_cndmask_b32_e32 v9, v14, v9, vcc
	s_and_b64 vcc, s[8:9], vcc
	v_cndmask_b32_e64 v7, 0, v9, s[8:9]
	v_cndmask_b32_e32 v6, 0, v8, vcc
	v_add_f64 v[8:9], v[6:7], 1.0
	v_add_f64 v[14:15], v[8:9], -1.0
	v_add_f64 v[16:17], v[14:15], -v[8:9]
	v_add_f64 v[16:17], v[16:17], 1.0
	v_add_f64 v[14:15], v[6:7], -v[14:15]
	s_mov_b32 s8, 0x55555555
	v_add_f64 v[14:15], v[14:15], v[16:17]
	v_frexp_mant_f64_e32 v[16:17], v[8:9]
	s_mov_b32 s9, 0x3fe55555
	v_frexp_exp_i32_f64_e32 v18, v[8:9]
	v_cmp_gt_f64_e32 vcc, s[8:9], v[16:17]
	s_mov_b32 s8, 0xbf559e2b
	s_mov_b32 s9, 0x3fc3ab76
	v_subbrev_co_u32_e32 v32, vcc, 0, v18, vcc
	v_sub_u32_e32 v16, 0, v32
	v_ldexp_f64 v[8:9], v[8:9], v16
	v_ldexp_f64 v[14:15], v[14:15], v16
	v_add_f64 v[16:17], v[8:9], -1.0
	v_add_f64 v[22:23], v[8:9], 1.0
	v_add_f64 v[18:19], v[16:17], 1.0
	v_add_f64 v[24:25], v[22:23], -1.0
	v_add_f64 v[18:19], v[8:9], -v[18:19]
	v_add_f64 v[8:9], v[8:9], -v[24:25]
	v_add_f64 v[8:9], v[14:15], v[8:9]
	v_add_f64 v[18:19], v[14:15], v[18:19]
	;; [unrolled: 1-line block ×3, first 2 shown]
	v_rcp_f64_e32 v[24:25], v[14:15]
	v_add_f64 v[20:21], v[16:17], v[18:19]
	v_add_f64 v[16:17], v[20:21], -v[16:17]
	v_add_f64 v[16:17], v[18:19], -v[16:17]
	;; [unrolled: 1-line block ×4, first 2 shown]
	v_fma_f64 v[18:19], -v[14:15], v[24:25], 1.0
	v_fmac_f64_e32 v[24:25], v[18:19], v[24:25]
	v_fma_f64 v[18:19], -v[14:15], v[24:25], 1.0
	v_fmac_f64_e32 v[24:25], v[18:19], v[24:25]
	v_mul_f64 v[18:19], v[20:21], v[24:25]
	v_mul_f64 v[22:23], v[14:15], v[18:19]
	v_fma_f64 v[26:27], v[18:19], v[14:15], -v[22:23]
	v_fmac_f64_e32 v[26:27], v[18:19], v[8:9]
	v_add_f64 v[28:29], v[22:23], v[26:27]
	v_add_f64 v[30:31], v[20:21], -v[28:29]
	v_add_f64 v[20:21], v[20:21], -v[30:31]
	;; [unrolled: 1-line block ×4, first 2 shown]
	v_add_f64 v[16:17], v[16:17], v[20:21]
	v_add_f64 v[20:21], v[22:23], -v[26:27]
	v_add_f64 v[16:17], v[20:21], v[16:17]
	v_add_f64 v[20:21], v[30:31], v[16:17]
	v_add_f64 v[22:23], v[30:31], -v[20:21]
	v_add_f64 v[16:17], v[16:17], v[22:23]
	v_mul_f64 v[22:23], v[24:25], v[20:21]
	v_mul_f64 v[26:27], v[14:15], v[22:23]
	v_fma_f64 v[14:15], v[22:23], v[14:15], -v[26:27]
	v_fmac_f64_e32 v[14:15], v[22:23], v[8:9]
	v_add_f64 v[8:9], v[26:27], v[14:15]
	v_add_f64 v[28:29], v[20:21], -v[8:9]
	v_add_f64 v[20:21], v[20:21], -v[28:29]
	;; [unrolled: 1-line block ×4, first 2 shown]
	v_add_f64 v[8:9], v[16:17], v[8:9]
	v_add_f64 v[14:15], v[26:27], -v[14:15]
	v_add_f64 v[8:9], v[14:15], v[8:9]
	v_add_f64 v[14:15], v[18:19], v[22:23]
	;; [unrolled: 1-line block ×3, first 2 shown]
	v_add_f64 v[16:17], v[14:15], -v[18:19]
	v_mul_f64 v[8:9], v[24:25], v[8:9]
	v_add_f64 v[16:17], v[22:23], -v[16:17]
	v_add_f64 v[8:9], v[16:17], v[8:9]
	v_add_f64 v[16:17], v[14:15], v[8:9]
	v_add_f64 v[14:15], v[16:17], -v[14:15]
	v_add_f64 v[8:9], v[8:9], -v[14:15]
	v_mul_f64 v[14:15], v[16:17], v[16:17]
	v_mov_b32_e32 v18, 0x6b47b09a
	v_mov_b32_e32 v19, 0x3fc38538
	v_fmac_f64_e32 v[18:19], s[8:9], v[14:15]
	v_mov_b32_e32 v20, 0xd7f4df2e
	v_mov_b32_e32 v21, 0x3fc7474d
	v_fmac_f64_e32 v[20:21], v[14:15], v[18:19]
	;; [unrolled: 3-line block ×6, first 2 shown]
	v_cvt_f64_i32_e32 v[18:19], v32
	s_mov_b32 s15, 0x3fe62e42
	v_mul_f64 v[22:23], v[18:19], s[14:15]
	v_fma_f64 v[24:25], v[18:19], s[14:15], -v[22:23]
	s_mov_b32 s17, 0x3c7abc9e
	v_fmac_f64_e32 v[24:25], s[16:17], v[18:19]
	v_add_f64 v[18:19], v[22:23], v[24:25]
	v_add_f64 v[22:23], v[18:19], -v[22:23]
	v_mul_f64 v[14:15], v[16:17], v[14:15]
	v_add_f64 v[22:23], v[24:25], -v[22:23]
	v_ldexp_f64 v[24:25], v[16:17], 1
	v_mul_f64 v[14:15], v[14:15], v[20:21]
	v_add_f64 v[16:17], v[24:25], v[14:15]
	v_add_f64 v[20:21], v[16:17], -v[24:25]
	v_ldexp_f64 v[8:9], v[8:9], 1
	v_add_f64 v[14:15], v[14:15], -v[20:21]
	v_add_f64 v[8:9], v[8:9], v[14:15]
	v_add_f64 v[14:15], v[16:17], v[8:9]
	v_add_f64 v[16:17], v[14:15], -v[16:17]
	v_add_f64 v[8:9], v[8:9], -v[16:17]
	v_add_f64 v[16:17], v[18:19], v[14:15]
	v_add_f64 v[20:21], v[16:17], -v[18:19]
	v_add_f64 v[24:25], v[16:17], -v[20:21]
	;; [unrolled: 1-line block ×4, first 2 shown]
	v_add_f64 v[14:15], v[14:15], v[18:19]
	v_add_f64 v[18:19], v[22:23], v[8:9]
	v_add_f64 v[20:21], v[18:19], -v[22:23]
	v_add_f64 v[14:15], v[18:19], v[14:15]
	v_add_f64 v[24:25], v[18:19], -v[20:21]
	;; [unrolled: 2-line block ×3, first 2 shown]
	v_add_f64 v[8:9], v[8:9], -v[20:21]
	v_add_f64 v[16:17], v[18:19], -v[16:17]
	v_add_f64 v[8:9], v[8:9], v[22:23]
	v_add_f64 v[14:15], v[14:15], -v[16:17]
	s_mov_b32 s8, 0
	v_add_f64 v[8:9], v[8:9], v[14:15]
	s_mov_b32 s9, 0x7ff00000
	v_add_f64 v[8:9], v[18:19], v[8:9]
	v_cmp_eq_f64_e32 vcc, s[8:9], v[6:7]
	v_mov_b32_e32 v14, 0x7ff80000
	s_nop 0
	v_cndmask_b32_e32 v8, v8, v6, vcc
	v_cndmask_b32_e32 v9, v9, v7, vcc
	v_cmp_ngt_f64_e32 vcc, -1.0, v[6:7]
	s_nop 1
	v_cndmask_b32_e32 v9, v14, v9, vcc
	v_cmp_nge_f64_e32 vcc, -1.0, v[6:7]
	v_mov_b32_e32 v14, 0xfff00000
	s_nop 0
	v_cndmask_b32_e32 v8, 0, v8, vcc
	v_cmp_neq_f64_e32 vcc, -1.0, v[6:7]
	s_nop 1
	v_cndmask_b32_e32 v9, v14, v9, vcc
	v_add_f64 v[134:135], v[4:5], v[8:9]
.LBB50_41:
	s_or_b64 exec, exec, s[10:11]
	v_max_f64 v[14:15], v[100:101], v[100:101]
	v_max_f64 v[4:5], v[134:135], v[134:135]
	v_min_f64 v[6:7], v[4:5], v[14:15]
	v_cmp_u_f64_e32 vcc, v[134:135], v[134:135]
	v_max_f64 v[4:5], v[4:5], v[14:15]
	v_cmp_u_f64_e64 s[8:9], v[100:101], v[100:101]
	v_cndmask_b32_e32 v6, v6, v134, vcc
	v_cndmask_b32_e32 v7, v7, v135, vcc
	;; [unrolled: 1-line block ×4, first 2 shown]
	v_cndmask_b32_e64 v7, v7, v101, s[8:9]
	v_cndmask_b32_e64 v6, v6, v100, s[8:9]
	;; [unrolled: 1-line block ×4, first 2 shown]
	v_cmp_neq_f64_e32 vcc, v[6:7], v[4:5]
	v_cmp_class_f64_e64 s[10:11], v[6:7], s13
	s_or_b64 s[10:11], vcc, s[10:11]
	s_and_saveexec_b64 s[14:15], s[10:11]
	s_cbranch_execz .LBB50_43
; %bb.42:
	s_mov_b32 s10, 0x652b82fe
	v_add_f64 v[6:7], v[6:7], -v[4:5]
	s_mov_b32 s11, 0x3ff71547
	v_mul_f64 v[8:9], v[6:7], s[10:11]
	v_rndne_f64_e32 v[8:9], v[8:9]
	s_mov_b32 s17, 0xbfe62e42
	s_mov_b32 s16, 0xfefa39ef
	v_fma_f64 v[16:17], s[16:17], v[8:9], v[6:7]
	s_mov_b32 s19, 0xbc7abc9e
	s_mov_b32 s18, 0x3b39803f
	;; [unrolled: 1-line block ×3, first 2 shown]
	v_fmac_f64_e32 v[16:17], s[18:19], v[8:9]
	v_mov_b32_e32 v18, 0xfca7ab0c
	v_mov_b32_e32 v19, 0x3e928af3
	s_mov_b32 s11, 0x3e5ade15
	v_fmac_f64_e32 v[18:19], s[10:11], v[16:17]
	v_mov_b32_e32 v20, 0x623fde64
	v_mov_b32_e32 v21, 0x3ec71dee
	v_fmac_f64_e32 v[20:21], v[16:17], v[18:19]
	v_mov_b32_e32 v18, 0x7c89e6b0
	v_mov_b32_e32 v19, 0x3efa0199
	;; [unrolled: 3-line block ×8, first 2 shown]
	s_mov_b32 s10, 0
	v_fmac_f64_e32 v[18:19], v[16:17], v[20:21]
	s_mov_b32 s11, 0x40900000
	v_fma_f64 v[18:19], v[16:17], v[18:19], 1.0
	v_cmp_nlt_f64_e32 vcc, s[10:11], v[6:7]
	s_mov_b32 s10, 0
	v_fma_f64 v[16:17], v[16:17], v[18:19], 1.0
	v_cvt_i32_f64_e32 v8, v[8:9]
	s_mov_b32 s11, 0xc090cc00
	v_ldexp_f64 v[8:9], v[16:17], v8
	v_mov_b32_e32 v16, 0x7ff00000
	v_cmp_ngt_f64_e64 s[10:11], s[10:11], v[6:7]
	v_cndmask_b32_e32 v9, v16, v9, vcc
	s_and_b64 vcc, s[10:11], vcc
	v_cndmask_b32_e64 v7, 0, v9, s[10:11]
	v_cndmask_b32_e32 v6, 0, v8, vcc
	v_add_f64 v[8:9], v[6:7], 1.0
	v_add_f64 v[16:17], v[8:9], -1.0
	v_add_f64 v[18:19], v[16:17], -v[8:9]
	v_add_f64 v[18:19], v[18:19], 1.0
	v_add_f64 v[16:17], v[6:7], -v[16:17]
	s_mov_b32 s10, 0x55555555
	v_add_f64 v[16:17], v[16:17], v[18:19]
	v_frexp_mant_f64_e32 v[18:19], v[8:9]
	s_mov_b32 s11, 0x3fe55555
	v_frexp_exp_i32_f64_e32 v20, v[8:9]
	v_cmp_gt_f64_e32 vcc, s[10:11], v[18:19]
	s_mov_b32 s10, 0xbf559e2b
	s_mov_b32 s11, 0x3fc3ab76
	v_subbrev_co_u32_e32 v34, vcc, 0, v20, vcc
	v_sub_u32_e32 v18, 0, v34
	v_ldexp_f64 v[8:9], v[8:9], v18
	v_ldexp_f64 v[16:17], v[16:17], v18
	v_add_f64 v[18:19], v[8:9], -1.0
	v_add_f64 v[24:25], v[8:9], 1.0
	v_add_f64 v[20:21], v[18:19], 1.0
	v_add_f64 v[26:27], v[24:25], -1.0
	v_add_f64 v[20:21], v[8:9], -v[20:21]
	v_add_f64 v[8:9], v[8:9], -v[26:27]
	v_add_f64 v[8:9], v[16:17], v[8:9]
	v_add_f64 v[20:21], v[16:17], v[20:21]
	;; [unrolled: 1-line block ×3, first 2 shown]
	v_rcp_f64_e32 v[26:27], v[16:17]
	v_add_f64 v[22:23], v[18:19], v[20:21]
	v_add_f64 v[18:19], v[22:23], -v[18:19]
	v_add_f64 v[18:19], v[20:21], -v[18:19]
	;; [unrolled: 1-line block ×4, first 2 shown]
	v_fma_f64 v[20:21], -v[16:17], v[26:27], 1.0
	v_fmac_f64_e32 v[26:27], v[20:21], v[26:27]
	v_fma_f64 v[20:21], -v[16:17], v[26:27], 1.0
	v_fmac_f64_e32 v[26:27], v[20:21], v[26:27]
	v_mul_f64 v[20:21], v[22:23], v[26:27]
	v_mul_f64 v[24:25], v[16:17], v[20:21]
	v_fma_f64 v[28:29], v[20:21], v[16:17], -v[24:25]
	v_fmac_f64_e32 v[28:29], v[20:21], v[8:9]
	v_add_f64 v[30:31], v[24:25], v[28:29]
	v_add_f64 v[32:33], v[22:23], -v[30:31]
	v_add_f64 v[22:23], v[22:23], -v[32:33]
	;; [unrolled: 1-line block ×4, first 2 shown]
	v_add_f64 v[18:19], v[18:19], v[22:23]
	v_add_f64 v[22:23], v[24:25], -v[28:29]
	v_add_f64 v[18:19], v[22:23], v[18:19]
	v_add_f64 v[22:23], v[32:33], v[18:19]
	v_add_f64 v[24:25], v[32:33], -v[22:23]
	v_add_f64 v[18:19], v[18:19], v[24:25]
	v_mul_f64 v[24:25], v[26:27], v[22:23]
	v_mul_f64 v[28:29], v[16:17], v[24:25]
	v_fma_f64 v[16:17], v[24:25], v[16:17], -v[28:29]
	v_fmac_f64_e32 v[16:17], v[24:25], v[8:9]
	v_add_f64 v[8:9], v[28:29], v[16:17]
	v_add_f64 v[30:31], v[22:23], -v[8:9]
	v_add_f64 v[22:23], v[22:23], -v[30:31]
	v_add_f64 v[28:29], v[8:9], -v[28:29]
	v_add_f64 v[8:9], v[22:23], -v[8:9]
	v_add_f64 v[8:9], v[18:19], v[8:9]
	v_add_f64 v[16:17], v[28:29], -v[16:17]
	v_add_f64 v[8:9], v[16:17], v[8:9]
	v_add_f64 v[16:17], v[20:21], v[24:25]
	;; [unrolled: 1-line block ×3, first 2 shown]
	v_add_f64 v[18:19], v[16:17], -v[20:21]
	v_mul_f64 v[8:9], v[26:27], v[8:9]
	v_add_f64 v[18:19], v[24:25], -v[18:19]
	v_add_f64 v[8:9], v[18:19], v[8:9]
	v_add_f64 v[18:19], v[16:17], v[8:9]
	v_add_f64 v[16:17], v[18:19], -v[16:17]
	v_add_f64 v[8:9], v[8:9], -v[16:17]
	v_mul_f64 v[16:17], v[18:19], v[18:19]
	v_mov_b32_e32 v20, 0x6b47b09a
	v_mov_b32_e32 v21, 0x3fc38538
	v_fmac_f64_e32 v[20:21], s[10:11], v[16:17]
	v_mov_b32_e32 v22, 0xd7f4df2e
	v_mov_b32_e32 v23, 0x3fc7474d
	v_fmac_f64_e32 v[22:23], v[16:17], v[20:21]
	;; [unrolled: 3-line block ×6, first 2 shown]
	v_cvt_f64_i32_e32 v[20:21], v34
	s_mov_b32 s17, 0x3fe62e42
	v_mul_f64 v[24:25], v[20:21], s[16:17]
	v_fma_f64 v[26:27], v[20:21], s[16:17], -v[24:25]
	s_mov_b32 s19, 0x3c7abc9e
	v_fmac_f64_e32 v[26:27], s[18:19], v[20:21]
	v_add_f64 v[20:21], v[24:25], v[26:27]
	v_add_f64 v[24:25], v[20:21], -v[24:25]
	v_mul_f64 v[16:17], v[18:19], v[16:17]
	v_add_f64 v[24:25], v[26:27], -v[24:25]
	v_ldexp_f64 v[26:27], v[18:19], 1
	v_mul_f64 v[16:17], v[16:17], v[22:23]
	v_add_f64 v[18:19], v[26:27], v[16:17]
	v_add_f64 v[22:23], v[18:19], -v[26:27]
	v_ldexp_f64 v[8:9], v[8:9], 1
	v_add_f64 v[16:17], v[16:17], -v[22:23]
	v_add_f64 v[8:9], v[8:9], v[16:17]
	v_add_f64 v[16:17], v[18:19], v[8:9]
	v_add_f64 v[18:19], v[16:17], -v[18:19]
	v_add_f64 v[8:9], v[8:9], -v[18:19]
	v_add_f64 v[18:19], v[20:21], v[16:17]
	v_add_f64 v[22:23], v[18:19], -v[20:21]
	v_add_f64 v[26:27], v[18:19], -v[22:23]
	;; [unrolled: 1-line block ×4, first 2 shown]
	v_add_f64 v[16:17], v[16:17], v[20:21]
	v_add_f64 v[20:21], v[24:25], v[8:9]
	v_add_f64 v[22:23], v[20:21], -v[24:25]
	v_add_f64 v[16:17], v[20:21], v[16:17]
	v_add_f64 v[26:27], v[20:21], -v[22:23]
	;; [unrolled: 2-line block ×3, first 2 shown]
	v_add_f64 v[8:9], v[8:9], -v[22:23]
	v_add_f64 v[18:19], v[20:21], -v[18:19]
	v_add_f64 v[8:9], v[8:9], v[24:25]
	v_add_f64 v[16:17], v[16:17], -v[18:19]
	s_mov_b32 s10, 0
	v_add_f64 v[8:9], v[8:9], v[16:17]
	s_mov_b32 s11, 0x7ff00000
	v_add_f64 v[8:9], v[20:21], v[8:9]
	v_cmp_eq_f64_e32 vcc, s[10:11], v[6:7]
	v_mov_b32_e32 v16, 0x7ff80000
	s_nop 0
	v_cndmask_b32_e32 v8, v8, v6, vcc
	v_cndmask_b32_e32 v9, v9, v7, vcc
	v_cmp_ngt_f64_e32 vcc, -1.0, v[6:7]
	s_nop 1
	v_cndmask_b32_e32 v9, v16, v9, vcc
	v_cmp_nge_f64_e32 vcc, -1.0, v[6:7]
	v_mov_b32_e32 v16, 0xfff00000
	s_nop 0
	v_cndmask_b32_e32 v8, 0, v8, vcc
	v_cmp_neq_f64_e32 vcc, -1.0, v[6:7]
	s_nop 1
	v_cndmask_b32_e32 v9, v16, v9, vcc
	v_add_f64 v[134:135], v[4:5], v[8:9]
.LBB50_43:
	s_or_b64 exec, exec, s[14:15]
	v_max_f64 v[16:17], v[102:103], v[102:103]
	v_max_f64 v[4:5], v[134:135], v[134:135]
	v_min_f64 v[6:7], v[4:5], v[16:17]
	v_cmp_u_f64_e32 vcc, v[134:135], v[134:135]
	v_max_f64 v[4:5], v[4:5], v[16:17]
	v_cmp_u_f64_e64 s[10:11], v[102:103], v[102:103]
	v_cndmask_b32_e32 v6, v6, v134, vcc
	v_cndmask_b32_e32 v7, v7, v135, vcc
	;; [unrolled: 1-line block ×4, first 2 shown]
	v_cndmask_b32_e64 v7, v7, v103, s[10:11]
	v_cndmask_b32_e64 v6, v6, v102, s[10:11]
	;; [unrolled: 1-line block ×4, first 2 shown]
	v_cmp_neq_f64_e32 vcc, v[6:7], v[4:5]
	v_cmp_class_f64_e64 s[14:15], v[6:7], s13
	s_or_b64 s[14:15], vcc, s[14:15]
	s_and_saveexec_b64 s[16:17], s[14:15]
	s_cbranch_execz .LBB50_45
; %bb.44:
	s_mov_b32 s14, 0x652b82fe
	v_add_f64 v[6:7], v[6:7], -v[4:5]
	s_mov_b32 s15, 0x3ff71547
	v_mul_f64 v[8:9], v[6:7], s[14:15]
	v_rndne_f64_e32 v[8:9], v[8:9]
	s_mov_b32 s19, 0xbfe62e42
	s_mov_b32 s18, 0xfefa39ef
	v_fma_f64 v[18:19], s[18:19], v[8:9], v[6:7]
	s_mov_b32 s21, 0xbc7abc9e
	s_mov_b32 s20, 0x3b39803f
	;; [unrolled: 1-line block ×3, first 2 shown]
	v_fmac_f64_e32 v[18:19], s[20:21], v[8:9]
	v_mov_b32_e32 v20, 0xfca7ab0c
	v_mov_b32_e32 v21, 0x3e928af3
	s_mov_b32 s15, 0x3e5ade15
	v_fmac_f64_e32 v[20:21], s[14:15], v[18:19]
	v_mov_b32_e32 v22, 0x623fde64
	v_mov_b32_e32 v23, 0x3ec71dee
	v_fmac_f64_e32 v[22:23], v[18:19], v[20:21]
	v_mov_b32_e32 v20, 0x7c89e6b0
	v_mov_b32_e32 v21, 0x3efa0199
	;; [unrolled: 3-line block ×8, first 2 shown]
	s_mov_b32 s14, 0
	v_fmac_f64_e32 v[20:21], v[18:19], v[22:23]
	s_mov_b32 s15, 0x40900000
	v_fma_f64 v[20:21], v[18:19], v[20:21], 1.0
	v_cmp_nlt_f64_e32 vcc, s[14:15], v[6:7]
	s_mov_b32 s14, 0
	v_fma_f64 v[18:19], v[18:19], v[20:21], 1.0
	v_cvt_i32_f64_e32 v8, v[8:9]
	s_mov_b32 s15, 0xc090cc00
	v_ldexp_f64 v[8:9], v[18:19], v8
	v_mov_b32_e32 v18, 0x7ff00000
	v_cmp_ngt_f64_e64 s[14:15], s[14:15], v[6:7]
	v_cndmask_b32_e32 v9, v18, v9, vcc
	s_and_b64 vcc, s[14:15], vcc
	v_cndmask_b32_e64 v7, 0, v9, s[14:15]
	v_cndmask_b32_e32 v6, 0, v8, vcc
	v_add_f64 v[8:9], v[6:7], 1.0
	v_add_f64 v[18:19], v[8:9], -1.0
	v_add_f64 v[20:21], v[18:19], -v[8:9]
	v_add_f64 v[20:21], v[20:21], 1.0
	v_add_f64 v[18:19], v[6:7], -v[18:19]
	s_mov_b32 s14, 0x55555555
	v_add_f64 v[18:19], v[18:19], v[20:21]
	v_frexp_mant_f64_e32 v[20:21], v[8:9]
	s_mov_b32 s15, 0x3fe55555
	v_frexp_exp_i32_f64_e32 v22, v[8:9]
	v_cmp_gt_f64_e32 vcc, s[14:15], v[20:21]
	s_mov_b32 s14, 0xbf559e2b
	s_mov_b32 s15, 0x3fc3ab76
	v_subbrev_co_u32_e32 v53, vcc, 0, v22, vcc
	v_sub_u32_e32 v20, 0, v53
	v_ldexp_f64 v[8:9], v[8:9], v20
	v_ldexp_f64 v[18:19], v[18:19], v20
	v_add_f64 v[20:21], v[8:9], -1.0
	v_add_f64 v[26:27], v[8:9], 1.0
	v_add_f64 v[22:23], v[20:21], 1.0
	v_add_f64 v[28:29], v[26:27], -1.0
	v_add_f64 v[22:23], v[8:9], -v[22:23]
	v_add_f64 v[8:9], v[8:9], -v[28:29]
	v_add_f64 v[8:9], v[18:19], v[8:9]
	v_add_f64 v[22:23], v[18:19], v[22:23]
	;; [unrolled: 1-line block ×3, first 2 shown]
	v_rcp_f64_e32 v[28:29], v[18:19]
	v_add_f64 v[24:25], v[20:21], v[22:23]
	v_add_f64 v[20:21], v[24:25], -v[20:21]
	v_add_f64 v[20:21], v[22:23], -v[20:21]
	;; [unrolled: 1-line block ×4, first 2 shown]
	v_fma_f64 v[22:23], -v[18:19], v[28:29], 1.0
	v_fmac_f64_e32 v[28:29], v[22:23], v[28:29]
	v_fma_f64 v[22:23], -v[18:19], v[28:29], 1.0
	v_fmac_f64_e32 v[28:29], v[22:23], v[28:29]
	v_mul_f64 v[22:23], v[24:25], v[28:29]
	v_mul_f64 v[26:27], v[18:19], v[22:23]
	v_fma_f64 v[30:31], v[22:23], v[18:19], -v[26:27]
	v_fmac_f64_e32 v[30:31], v[22:23], v[8:9]
	v_add_f64 v[32:33], v[26:27], v[30:31]
	v_add_f64 v[34:35], v[24:25], -v[32:33]
	v_add_f64 v[24:25], v[24:25], -v[34:35]
	;; [unrolled: 1-line block ×4, first 2 shown]
	v_add_f64 v[20:21], v[20:21], v[24:25]
	v_add_f64 v[24:25], v[26:27], -v[30:31]
	v_add_f64 v[20:21], v[24:25], v[20:21]
	v_add_f64 v[24:25], v[34:35], v[20:21]
	v_add_f64 v[26:27], v[34:35], -v[24:25]
	v_add_f64 v[20:21], v[20:21], v[26:27]
	v_mul_f64 v[26:27], v[28:29], v[24:25]
	v_mul_f64 v[30:31], v[18:19], v[26:27]
	v_fma_f64 v[18:19], v[26:27], v[18:19], -v[30:31]
	v_fmac_f64_e32 v[18:19], v[26:27], v[8:9]
	v_add_f64 v[8:9], v[30:31], v[18:19]
	v_add_f64 v[32:33], v[24:25], -v[8:9]
	v_add_f64 v[24:25], v[24:25], -v[32:33]
	;; [unrolled: 1-line block ×4, first 2 shown]
	v_add_f64 v[8:9], v[20:21], v[8:9]
	v_add_f64 v[18:19], v[30:31], -v[18:19]
	v_add_f64 v[8:9], v[18:19], v[8:9]
	v_add_f64 v[18:19], v[22:23], v[26:27]
	v_add_f64 v[8:9], v[32:33], v[8:9]
	v_add_f64 v[20:21], v[18:19], -v[22:23]
	v_mul_f64 v[8:9], v[28:29], v[8:9]
	v_add_f64 v[20:21], v[26:27], -v[20:21]
	v_add_f64 v[8:9], v[20:21], v[8:9]
	v_add_f64 v[20:21], v[18:19], v[8:9]
	v_add_f64 v[18:19], v[20:21], -v[18:19]
	v_add_f64 v[8:9], v[8:9], -v[18:19]
	v_mul_f64 v[18:19], v[20:21], v[20:21]
	v_mov_b32_e32 v22, 0x6b47b09a
	v_mov_b32_e32 v23, 0x3fc38538
	v_fmac_f64_e32 v[22:23], s[14:15], v[18:19]
	v_mov_b32_e32 v24, 0xd7f4df2e
	v_mov_b32_e32 v25, 0x3fc7474d
	v_fmac_f64_e32 v[24:25], v[18:19], v[22:23]
	;; [unrolled: 3-line block ×6, first 2 shown]
	v_cvt_f64_i32_e32 v[22:23], v53
	s_mov_b32 s19, 0x3fe62e42
	v_mul_f64 v[26:27], v[22:23], s[18:19]
	v_fma_f64 v[28:29], v[22:23], s[18:19], -v[26:27]
	s_mov_b32 s21, 0x3c7abc9e
	v_fmac_f64_e32 v[28:29], s[20:21], v[22:23]
	v_add_f64 v[22:23], v[26:27], v[28:29]
	v_add_f64 v[26:27], v[22:23], -v[26:27]
	v_mul_f64 v[18:19], v[20:21], v[18:19]
	v_add_f64 v[26:27], v[28:29], -v[26:27]
	v_ldexp_f64 v[28:29], v[20:21], 1
	v_mul_f64 v[18:19], v[18:19], v[24:25]
	v_add_f64 v[20:21], v[28:29], v[18:19]
	v_add_f64 v[24:25], v[20:21], -v[28:29]
	v_ldexp_f64 v[8:9], v[8:9], 1
	v_add_f64 v[18:19], v[18:19], -v[24:25]
	v_add_f64 v[8:9], v[8:9], v[18:19]
	v_add_f64 v[18:19], v[20:21], v[8:9]
	v_add_f64 v[20:21], v[18:19], -v[20:21]
	v_add_f64 v[8:9], v[8:9], -v[20:21]
	v_add_f64 v[20:21], v[22:23], v[18:19]
	v_add_f64 v[24:25], v[20:21], -v[22:23]
	v_add_f64 v[28:29], v[20:21], -v[24:25]
	;; [unrolled: 1-line block ×4, first 2 shown]
	v_add_f64 v[18:19], v[18:19], v[22:23]
	v_add_f64 v[22:23], v[26:27], v[8:9]
	v_add_f64 v[24:25], v[22:23], -v[26:27]
	v_add_f64 v[18:19], v[22:23], v[18:19]
	v_add_f64 v[28:29], v[22:23], -v[24:25]
	;; [unrolled: 2-line block ×3, first 2 shown]
	v_add_f64 v[8:9], v[8:9], -v[24:25]
	v_add_f64 v[20:21], v[22:23], -v[20:21]
	v_add_f64 v[8:9], v[8:9], v[26:27]
	v_add_f64 v[18:19], v[18:19], -v[20:21]
	s_mov_b32 s14, 0
	v_add_f64 v[8:9], v[8:9], v[18:19]
	s_mov_b32 s15, 0x7ff00000
	v_add_f64 v[8:9], v[22:23], v[8:9]
	v_cmp_eq_f64_e32 vcc, s[14:15], v[6:7]
	v_mov_b32_e32 v18, 0x7ff80000
	s_nop 0
	v_cndmask_b32_e32 v8, v8, v6, vcc
	v_cndmask_b32_e32 v9, v9, v7, vcc
	v_cmp_ngt_f64_e32 vcc, -1.0, v[6:7]
	s_nop 1
	v_cndmask_b32_e32 v9, v18, v9, vcc
	v_cmp_nge_f64_e32 vcc, -1.0, v[6:7]
	v_mov_b32_e32 v18, 0xfff00000
	s_nop 0
	v_cndmask_b32_e32 v8, 0, v8, vcc
	v_cmp_neq_f64_e32 vcc, -1.0, v[6:7]
	s_nop 1
	v_cndmask_b32_e32 v9, v18, v9, vcc
	v_add_f64 v[134:135], v[4:5], v[8:9]
.LBB50_45:
	s_or_b64 exec, exec, s[16:17]
	v_max_f64 v[18:19], v[96:97], v[96:97]
	v_max_f64 v[4:5], v[134:135], v[134:135]
	v_min_f64 v[6:7], v[4:5], v[18:19]
	v_cmp_u_f64_e32 vcc, v[134:135], v[134:135]
	v_max_f64 v[4:5], v[4:5], v[18:19]
	v_cmp_u_f64_e64 s[42:43], v[96:97], v[96:97]
	v_cndmask_b32_e32 v6, v6, v134, vcc
	v_cndmask_b32_e32 v7, v7, v135, vcc
	;; [unrolled: 1-line block ×4, first 2 shown]
	v_cndmask_b32_e64 v7, v7, v97, s[42:43]
	v_cndmask_b32_e64 v6, v6, v96, s[42:43]
	;; [unrolled: 1-line block ×4, first 2 shown]
	v_cmp_neq_f64_e32 vcc, v[6:7], v[4:5]
	v_cmp_class_f64_e64 s[14:15], v[6:7], s13
	s_or_b64 s[14:15], vcc, s[14:15]
	s_and_saveexec_b64 s[16:17], s[14:15]
	s_cbranch_execz .LBB50_47
; %bb.46:
	s_mov_b32 s14, 0x652b82fe
	v_add_f64 v[6:7], v[6:7], -v[4:5]
	s_mov_b32 s15, 0x3ff71547
	v_mul_f64 v[8:9], v[6:7], s[14:15]
	v_rndne_f64_e32 v[8:9], v[8:9]
	s_mov_b32 s19, 0xbfe62e42
	s_mov_b32 s18, 0xfefa39ef
	v_fma_f64 v[20:21], s[18:19], v[8:9], v[6:7]
	s_mov_b32 s21, 0xbc7abc9e
	s_mov_b32 s20, 0x3b39803f
	;; [unrolled: 1-line block ×3, first 2 shown]
	v_fmac_f64_e32 v[20:21], s[20:21], v[8:9]
	v_mov_b32_e32 v22, 0xfca7ab0c
	v_mov_b32_e32 v23, 0x3e928af3
	s_mov_b32 s15, 0x3e5ade15
	v_fmac_f64_e32 v[22:23], s[14:15], v[20:21]
	v_mov_b32_e32 v24, 0x623fde64
	v_mov_b32_e32 v25, 0x3ec71dee
	v_fmac_f64_e32 v[24:25], v[20:21], v[22:23]
	v_mov_b32_e32 v22, 0x7c89e6b0
	v_mov_b32_e32 v23, 0x3efa0199
	;; [unrolled: 3-line block ×8, first 2 shown]
	s_mov_b32 s14, 0
	v_fmac_f64_e32 v[22:23], v[20:21], v[24:25]
	s_mov_b32 s15, 0x40900000
	v_fma_f64 v[22:23], v[20:21], v[22:23], 1.0
	v_cmp_nlt_f64_e32 vcc, s[14:15], v[6:7]
	s_mov_b32 s14, 0
	v_fma_f64 v[20:21], v[20:21], v[22:23], 1.0
	v_cvt_i32_f64_e32 v8, v[8:9]
	s_mov_b32 s15, 0xc090cc00
	v_ldexp_f64 v[8:9], v[20:21], v8
	v_mov_b32_e32 v20, 0x7ff00000
	v_cmp_ngt_f64_e64 s[14:15], s[14:15], v[6:7]
	v_cndmask_b32_e32 v9, v20, v9, vcc
	s_and_b64 vcc, s[14:15], vcc
	v_cndmask_b32_e64 v7, 0, v9, s[14:15]
	v_cndmask_b32_e32 v6, 0, v8, vcc
	v_add_f64 v[8:9], v[6:7], 1.0
	v_add_f64 v[20:21], v[8:9], -1.0
	v_add_f64 v[22:23], v[20:21], -v[8:9]
	v_add_f64 v[22:23], v[22:23], 1.0
	v_add_f64 v[20:21], v[6:7], -v[20:21]
	s_mov_b32 s14, 0x55555555
	v_add_f64 v[20:21], v[20:21], v[22:23]
	v_frexp_mant_f64_e32 v[22:23], v[8:9]
	s_mov_b32 s15, 0x3fe55555
	v_frexp_exp_i32_f64_e32 v24, v[8:9]
	v_cmp_gt_f64_e32 vcc, s[14:15], v[22:23]
	s_mov_b32 s14, 0xbf559e2b
	s_mov_b32 s15, 0x3fc3ab76
	v_subbrev_co_u32_e32 v53, vcc, 0, v24, vcc
	v_sub_u32_e32 v22, 0, v53
	v_ldexp_f64 v[8:9], v[8:9], v22
	v_ldexp_f64 v[20:21], v[20:21], v22
	v_add_f64 v[22:23], v[8:9], -1.0
	v_add_f64 v[28:29], v[8:9], 1.0
	v_add_f64 v[24:25], v[22:23], 1.0
	v_add_f64 v[30:31], v[28:29], -1.0
	v_add_f64 v[24:25], v[8:9], -v[24:25]
	v_add_f64 v[8:9], v[8:9], -v[30:31]
	v_add_f64 v[8:9], v[20:21], v[8:9]
	v_add_f64 v[24:25], v[20:21], v[24:25]
	;; [unrolled: 1-line block ×3, first 2 shown]
	v_rcp_f64_e32 v[30:31], v[20:21]
	v_add_f64 v[26:27], v[22:23], v[24:25]
	v_add_f64 v[22:23], v[26:27], -v[22:23]
	v_add_f64 v[22:23], v[24:25], -v[22:23]
	v_add_f64 v[24:25], v[20:21], -v[28:29]
	v_add_f64 v[8:9], v[8:9], -v[24:25]
	v_fma_f64 v[24:25], -v[20:21], v[30:31], 1.0
	v_fmac_f64_e32 v[30:31], v[24:25], v[30:31]
	v_fma_f64 v[24:25], -v[20:21], v[30:31], 1.0
	v_fmac_f64_e32 v[30:31], v[24:25], v[30:31]
	v_mul_f64 v[24:25], v[26:27], v[30:31]
	v_mul_f64 v[28:29], v[20:21], v[24:25]
	v_fma_f64 v[32:33], v[24:25], v[20:21], -v[28:29]
	v_fmac_f64_e32 v[32:33], v[24:25], v[8:9]
	v_add_f64 v[34:35], v[28:29], v[32:33]
	v_add_f64 v[134:135], v[26:27], -v[34:35]
	v_add_f64 v[26:27], v[26:27], -v[134:135]
	;; [unrolled: 1-line block ×4, first 2 shown]
	v_add_f64 v[22:23], v[22:23], v[26:27]
	v_add_f64 v[26:27], v[28:29], -v[32:33]
	v_add_f64 v[22:23], v[26:27], v[22:23]
	v_add_f64 v[26:27], v[134:135], v[22:23]
	v_add_f64 v[28:29], v[134:135], -v[26:27]
	v_add_f64 v[22:23], v[22:23], v[28:29]
	v_mul_f64 v[28:29], v[30:31], v[26:27]
	v_mul_f64 v[32:33], v[20:21], v[28:29]
	v_fma_f64 v[20:21], v[28:29], v[20:21], -v[32:33]
	v_fmac_f64_e32 v[20:21], v[28:29], v[8:9]
	v_add_f64 v[8:9], v[32:33], v[20:21]
	v_add_f64 v[34:35], v[26:27], -v[8:9]
	v_add_f64 v[26:27], v[26:27], -v[34:35]
	;; [unrolled: 1-line block ×4, first 2 shown]
	v_add_f64 v[8:9], v[22:23], v[8:9]
	v_add_f64 v[20:21], v[32:33], -v[20:21]
	v_add_f64 v[8:9], v[20:21], v[8:9]
	v_add_f64 v[20:21], v[24:25], v[28:29]
	;; [unrolled: 1-line block ×3, first 2 shown]
	v_add_f64 v[22:23], v[20:21], -v[24:25]
	v_mul_f64 v[8:9], v[30:31], v[8:9]
	v_add_f64 v[22:23], v[28:29], -v[22:23]
	v_add_f64 v[8:9], v[22:23], v[8:9]
	v_add_f64 v[22:23], v[20:21], v[8:9]
	v_add_f64 v[20:21], v[22:23], -v[20:21]
	v_add_f64 v[8:9], v[8:9], -v[20:21]
	v_mul_f64 v[20:21], v[22:23], v[22:23]
	v_mov_b32_e32 v24, 0x6b47b09a
	v_mov_b32_e32 v25, 0x3fc38538
	v_fmac_f64_e32 v[24:25], s[14:15], v[20:21]
	v_mov_b32_e32 v26, 0xd7f4df2e
	v_mov_b32_e32 v27, 0x3fc7474d
	v_fmac_f64_e32 v[26:27], v[20:21], v[24:25]
	;; [unrolled: 3-line block ×6, first 2 shown]
	v_cvt_f64_i32_e32 v[24:25], v53
	s_mov_b32 s19, 0x3fe62e42
	v_mul_f64 v[28:29], v[24:25], s[18:19]
	v_fma_f64 v[30:31], v[24:25], s[18:19], -v[28:29]
	s_mov_b32 s21, 0x3c7abc9e
	v_fmac_f64_e32 v[30:31], s[20:21], v[24:25]
	v_add_f64 v[24:25], v[28:29], v[30:31]
	v_add_f64 v[28:29], v[24:25], -v[28:29]
	v_mul_f64 v[20:21], v[22:23], v[20:21]
	v_add_f64 v[28:29], v[30:31], -v[28:29]
	v_ldexp_f64 v[30:31], v[22:23], 1
	v_mul_f64 v[20:21], v[20:21], v[26:27]
	v_add_f64 v[22:23], v[30:31], v[20:21]
	v_add_f64 v[26:27], v[22:23], -v[30:31]
	v_ldexp_f64 v[8:9], v[8:9], 1
	v_add_f64 v[20:21], v[20:21], -v[26:27]
	v_add_f64 v[8:9], v[8:9], v[20:21]
	v_add_f64 v[20:21], v[22:23], v[8:9]
	v_add_f64 v[22:23], v[20:21], -v[22:23]
	v_add_f64 v[8:9], v[8:9], -v[22:23]
	v_add_f64 v[22:23], v[24:25], v[20:21]
	v_add_f64 v[26:27], v[22:23], -v[24:25]
	v_add_f64 v[30:31], v[22:23], -v[26:27]
	;; [unrolled: 1-line block ×4, first 2 shown]
	v_add_f64 v[20:21], v[20:21], v[24:25]
	v_add_f64 v[24:25], v[28:29], v[8:9]
	v_add_f64 v[26:27], v[24:25], -v[28:29]
	v_add_f64 v[20:21], v[24:25], v[20:21]
	v_add_f64 v[30:31], v[24:25], -v[26:27]
	;; [unrolled: 2-line block ×3, first 2 shown]
	v_add_f64 v[8:9], v[8:9], -v[26:27]
	v_add_f64 v[22:23], v[24:25], -v[22:23]
	v_add_f64 v[8:9], v[8:9], v[28:29]
	v_add_f64 v[20:21], v[20:21], -v[22:23]
	s_mov_b32 s14, 0
	v_add_f64 v[8:9], v[8:9], v[20:21]
	s_mov_b32 s15, 0x7ff00000
	v_add_f64 v[8:9], v[24:25], v[8:9]
	v_cmp_eq_f64_e32 vcc, s[14:15], v[6:7]
	v_mov_b32_e32 v20, 0x7ff80000
	s_nop 0
	v_cndmask_b32_e32 v8, v8, v6, vcc
	v_cndmask_b32_e32 v9, v9, v7, vcc
	v_cmp_ngt_f64_e32 vcc, -1.0, v[6:7]
	s_nop 1
	v_cndmask_b32_e32 v9, v20, v9, vcc
	v_cmp_nge_f64_e32 vcc, -1.0, v[6:7]
	v_mov_b32_e32 v20, 0xfff00000
	s_nop 0
	v_cndmask_b32_e32 v8, 0, v8, vcc
	v_cmp_neq_f64_e32 vcc, -1.0, v[6:7]
	s_nop 1
	v_cndmask_b32_e32 v9, v20, v9, vcc
	v_add_f64 v[134:135], v[4:5], v[8:9]
.LBB50_47:
	s_or_b64 exec, exec, s[16:17]
	v_max_f64 v[20:21], v[98:99], v[98:99]
	v_max_f64 v[4:5], v[134:135], v[134:135]
	v_min_f64 v[6:7], v[4:5], v[20:21]
	v_cmp_u_f64_e32 vcc, v[134:135], v[134:135]
	v_max_f64 v[4:5], v[4:5], v[20:21]
	v_cmp_u_f64_e64 s[14:15], v[98:99], v[98:99]
	v_cndmask_b32_e32 v6, v6, v134, vcc
	v_cndmask_b32_e32 v7, v7, v135, vcc
	;; [unrolled: 1-line block ×4, first 2 shown]
	v_cndmask_b32_e64 v7, v7, v99, s[14:15]
	v_cndmask_b32_e64 v6, v6, v98, s[14:15]
	;; [unrolled: 1-line block ×4, first 2 shown]
	v_cmp_neq_f64_e32 vcc, v[6:7], v[4:5]
	v_cmp_class_f64_e64 s[16:17], v[6:7], s13
	s_or_b64 s[16:17], vcc, s[16:17]
	s_and_saveexec_b64 s[18:19], s[16:17]
	s_cbranch_execz .LBB50_49
; %bb.48:
	s_mov_b32 s16, 0x652b82fe
	v_add_f64 v[6:7], v[6:7], -v[4:5]
	s_mov_b32 s17, 0x3ff71547
	v_mul_f64 v[8:9], v[6:7], s[16:17]
	v_rndne_f64_e32 v[8:9], v[8:9]
	s_mov_b32 s21, 0xbfe62e42
	s_mov_b32 s20, 0xfefa39ef
	v_fma_f64 v[22:23], s[20:21], v[8:9], v[6:7]
	s_mov_b32 s23, 0xbc7abc9e
	s_mov_b32 s22, 0x3b39803f
	;; [unrolled: 1-line block ×3, first 2 shown]
	v_fmac_f64_e32 v[22:23], s[22:23], v[8:9]
	v_mov_b32_e32 v24, 0xfca7ab0c
	v_mov_b32_e32 v25, 0x3e928af3
	s_mov_b32 s17, 0x3e5ade15
	v_fmac_f64_e32 v[24:25], s[16:17], v[22:23]
	v_mov_b32_e32 v26, 0x623fde64
	v_mov_b32_e32 v27, 0x3ec71dee
	v_fmac_f64_e32 v[26:27], v[22:23], v[24:25]
	v_mov_b32_e32 v24, 0x7c89e6b0
	v_mov_b32_e32 v25, 0x3efa0199
	;; [unrolled: 3-line block ×8, first 2 shown]
	s_mov_b32 s16, 0
	v_fmac_f64_e32 v[24:25], v[22:23], v[26:27]
	s_mov_b32 s17, 0x40900000
	v_fma_f64 v[24:25], v[22:23], v[24:25], 1.0
	v_cmp_nlt_f64_e32 vcc, s[16:17], v[6:7]
	s_mov_b32 s16, 0
	v_fma_f64 v[22:23], v[22:23], v[24:25], 1.0
	v_cvt_i32_f64_e32 v8, v[8:9]
	s_mov_b32 s17, 0xc090cc00
	v_ldexp_f64 v[8:9], v[22:23], v8
	v_mov_b32_e32 v22, 0x7ff00000
	v_cmp_ngt_f64_e64 s[16:17], s[16:17], v[6:7]
	v_cndmask_b32_e32 v9, v22, v9, vcc
	s_and_b64 vcc, s[16:17], vcc
	v_cndmask_b32_e64 v7, 0, v9, s[16:17]
	v_cndmask_b32_e32 v6, 0, v8, vcc
	v_add_f64 v[8:9], v[6:7], 1.0
	v_add_f64 v[22:23], v[8:9], -1.0
	v_add_f64 v[24:25], v[22:23], -v[8:9]
	v_add_f64 v[24:25], v[24:25], 1.0
	v_add_f64 v[22:23], v[6:7], -v[22:23]
	s_mov_b32 s16, 0x55555555
	v_add_f64 v[22:23], v[22:23], v[24:25]
	v_frexp_mant_f64_e32 v[24:25], v[8:9]
	s_mov_b32 s17, 0x3fe55555
	v_frexp_exp_i32_f64_e32 v26, v[8:9]
	v_cmp_gt_f64_e32 vcc, s[16:17], v[24:25]
	s_mov_b32 s16, 0xbf559e2b
	s_mov_b32 s17, 0x3fc3ab76
	v_subbrev_co_u32_e32 v53, vcc, 0, v26, vcc
	v_sub_u32_e32 v24, 0, v53
	v_ldexp_f64 v[8:9], v[8:9], v24
	v_ldexp_f64 v[22:23], v[22:23], v24
	v_add_f64 v[24:25], v[8:9], -1.0
	v_add_f64 v[30:31], v[8:9], 1.0
	v_add_f64 v[26:27], v[24:25], 1.0
	v_add_f64 v[32:33], v[30:31], -1.0
	v_add_f64 v[26:27], v[8:9], -v[26:27]
	v_add_f64 v[8:9], v[8:9], -v[32:33]
	v_add_f64 v[8:9], v[22:23], v[8:9]
	v_add_f64 v[26:27], v[22:23], v[26:27]
	;; [unrolled: 1-line block ×3, first 2 shown]
	v_rcp_f64_e32 v[32:33], v[22:23]
	v_add_f64 v[28:29], v[24:25], v[26:27]
	v_add_f64 v[24:25], v[28:29], -v[24:25]
	v_add_f64 v[24:25], v[26:27], -v[24:25]
	;; [unrolled: 1-line block ×4, first 2 shown]
	v_fma_f64 v[26:27], -v[22:23], v[32:33], 1.0
	v_fmac_f64_e32 v[32:33], v[26:27], v[32:33]
	v_fma_f64 v[26:27], -v[22:23], v[32:33], 1.0
	v_fmac_f64_e32 v[32:33], v[26:27], v[32:33]
	v_mul_f64 v[26:27], v[28:29], v[32:33]
	v_mul_f64 v[30:31], v[22:23], v[26:27]
	v_fma_f64 v[34:35], v[26:27], v[22:23], -v[30:31]
	v_fmac_f64_e32 v[34:35], v[26:27], v[8:9]
	v_add_f64 v[134:135], v[30:31], v[34:35]
	v_add_f64 v[144:145], v[28:29], -v[134:135]
	v_add_f64 v[28:29], v[28:29], -v[144:145]
	;; [unrolled: 1-line block ×4, first 2 shown]
	v_add_f64 v[24:25], v[24:25], v[28:29]
	v_add_f64 v[28:29], v[30:31], -v[34:35]
	v_add_f64 v[24:25], v[28:29], v[24:25]
	v_add_f64 v[28:29], v[144:145], v[24:25]
	v_add_f64 v[30:31], v[144:145], -v[28:29]
	v_add_f64 v[24:25], v[24:25], v[30:31]
	v_mul_f64 v[30:31], v[32:33], v[28:29]
	v_mul_f64 v[34:35], v[22:23], v[30:31]
	v_fma_f64 v[22:23], v[30:31], v[22:23], -v[34:35]
	v_fmac_f64_e32 v[22:23], v[30:31], v[8:9]
	v_add_f64 v[8:9], v[34:35], v[22:23]
	v_add_f64 v[134:135], v[28:29], -v[8:9]
	v_add_f64 v[28:29], v[28:29], -v[134:135]
	;; [unrolled: 1-line block ×4, first 2 shown]
	v_add_f64 v[8:9], v[24:25], v[8:9]
	v_add_f64 v[22:23], v[34:35], -v[22:23]
	v_add_f64 v[8:9], v[22:23], v[8:9]
	v_add_f64 v[22:23], v[26:27], v[30:31]
	;; [unrolled: 1-line block ×3, first 2 shown]
	v_add_f64 v[24:25], v[22:23], -v[26:27]
	v_mul_f64 v[8:9], v[32:33], v[8:9]
	v_add_f64 v[24:25], v[30:31], -v[24:25]
	v_add_f64 v[8:9], v[24:25], v[8:9]
	v_add_f64 v[24:25], v[22:23], v[8:9]
	v_add_f64 v[22:23], v[24:25], -v[22:23]
	v_add_f64 v[8:9], v[8:9], -v[22:23]
	v_mul_f64 v[22:23], v[24:25], v[24:25]
	v_mov_b32_e32 v26, 0x6b47b09a
	v_mov_b32_e32 v27, 0x3fc38538
	v_fmac_f64_e32 v[26:27], s[16:17], v[22:23]
	v_mov_b32_e32 v28, 0xd7f4df2e
	v_mov_b32_e32 v29, 0x3fc7474d
	v_fmac_f64_e32 v[28:29], v[22:23], v[26:27]
	;; [unrolled: 3-line block ×6, first 2 shown]
	v_cvt_f64_i32_e32 v[26:27], v53
	s_mov_b32 s21, 0x3fe62e42
	v_mul_f64 v[30:31], v[26:27], s[20:21]
	v_fma_f64 v[32:33], v[26:27], s[20:21], -v[30:31]
	s_mov_b32 s23, 0x3c7abc9e
	v_fmac_f64_e32 v[32:33], s[22:23], v[26:27]
	v_add_f64 v[26:27], v[30:31], v[32:33]
	v_add_f64 v[30:31], v[26:27], -v[30:31]
	v_mul_f64 v[22:23], v[24:25], v[22:23]
	v_add_f64 v[30:31], v[32:33], -v[30:31]
	v_ldexp_f64 v[32:33], v[24:25], 1
	v_mul_f64 v[22:23], v[22:23], v[28:29]
	v_add_f64 v[24:25], v[32:33], v[22:23]
	v_add_f64 v[28:29], v[24:25], -v[32:33]
	v_ldexp_f64 v[8:9], v[8:9], 1
	v_add_f64 v[22:23], v[22:23], -v[28:29]
	v_add_f64 v[8:9], v[8:9], v[22:23]
	v_add_f64 v[22:23], v[24:25], v[8:9]
	v_add_f64 v[24:25], v[22:23], -v[24:25]
	v_add_f64 v[8:9], v[8:9], -v[24:25]
	v_add_f64 v[24:25], v[26:27], v[22:23]
	v_add_f64 v[28:29], v[24:25], -v[26:27]
	v_add_f64 v[32:33], v[24:25], -v[28:29]
	;; [unrolled: 1-line block ×4, first 2 shown]
	v_add_f64 v[22:23], v[22:23], v[26:27]
	v_add_f64 v[26:27], v[30:31], v[8:9]
	v_add_f64 v[28:29], v[26:27], -v[30:31]
	v_add_f64 v[22:23], v[26:27], v[22:23]
	v_add_f64 v[32:33], v[26:27], -v[28:29]
	;; [unrolled: 2-line block ×3, first 2 shown]
	v_add_f64 v[8:9], v[8:9], -v[28:29]
	v_add_f64 v[24:25], v[26:27], -v[24:25]
	v_add_f64 v[8:9], v[8:9], v[30:31]
	v_add_f64 v[22:23], v[22:23], -v[24:25]
	s_mov_b32 s16, 0
	v_add_f64 v[8:9], v[8:9], v[22:23]
	s_mov_b32 s17, 0x7ff00000
	v_add_f64 v[8:9], v[26:27], v[8:9]
	v_cmp_eq_f64_e32 vcc, s[16:17], v[6:7]
	v_mov_b32_e32 v22, 0x7ff80000
	s_nop 0
	v_cndmask_b32_e32 v8, v8, v6, vcc
	v_cndmask_b32_e32 v9, v9, v7, vcc
	v_cmp_ngt_f64_e32 vcc, -1.0, v[6:7]
	s_nop 1
	v_cndmask_b32_e32 v9, v22, v9, vcc
	v_cmp_nge_f64_e32 vcc, -1.0, v[6:7]
	v_mov_b32_e32 v22, 0xfff00000
	s_nop 0
	v_cndmask_b32_e32 v8, 0, v8, vcc
	v_cmp_neq_f64_e32 vcc, -1.0, v[6:7]
	s_nop 1
	v_cndmask_b32_e32 v9, v22, v9, vcc
	v_add_f64 v[134:135], v[4:5], v[8:9]
.LBB50_49:
	s_or_b64 exec, exec, s[18:19]
	v_max_f64 v[22:23], v[84:85], v[84:85]
	v_max_f64 v[4:5], v[134:135], v[134:135]
	v_min_f64 v[6:7], v[4:5], v[22:23]
	v_cmp_u_f64_e32 vcc, v[134:135], v[134:135]
	v_max_f64 v[4:5], v[4:5], v[22:23]
	v_cmp_u_f64_e64 s[16:17], v[84:85], v[84:85]
	v_cndmask_b32_e32 v6, v6, v134, vcc
	v_cndmask_b32_e32 v7, v7, v135, vcc
	;; [unrolled: 1-line block ×4, first 2 shown]
	v_cndmask_b32_e64 v7, v7, v85, s[16:17]
	v_cndmask_b32_e64 v6, v6, v84, s[16:17]
	;; [unrolled: 1-line block ×4, first 2 shown]
	v_cmp_neq_f64_e32 vcc, v[6:7], v[4:5]
	v_cmp_class_f64_e64 s[18:19], v[6:7], s13
	s_or_b64 s[18:19], vcc, s[18:19]
	s_and_saveexec_b64 s[20:21], s[18:19]
	s_cbranch_execz .LBB50_51
; %bb.50:
	s_mov_b32 s18, 0x652b82fe
	v_add_f64 v[6:7], v[6:7], -v[4:5]
	s_mov_b32 s19, 0x3ff71547
	v_mul_f64 v[8:9], v[6:7], s[18:19]
	v_rndne_f64_e32 v[8:9], v[8:9]
	s_mov_b32 s23, 0xbfe62e42
	s_mov_b32 s22, 0xfefa39ef
	v_fma_f64 v[24:25], s[22:23], v[8:9], v[6:7]
	s_mov_b32 s25, 0xbc7abc9e
	s_mov_b32 s24, 0x3b39803f
	;; [unrolled: 1-line block ×3, first 2 shown]
	v_fmac_f64_e32 v[24:25], s[24:25], v[8:9]
	v_mov_b32_e32 v26, 0xfca7ab0c
	v_mov_b32_e32 v27, 0x3e928af3
	s_mov_b32 s19, 0x3e5ade15
	v_fmac_f64_e32 v[26:27], s[18:19], v[24:25]
	v_mov_b32_e32 v28, 0x623fde64
	v_mov_b32_e32 v29, 0x3ec71dee
	v_fmac_f64_e32 v[28:29], v[24:25], v[26:27]
	v_mov_b32_e32 v26, 0x7c89e6b0
	v_mov_b32_e32 v27, 0x3efa0199
	;; [unrolled: 3-line block ×8, first 2 shown]
	s_mov_b32 s18, 0
	v_fmac_f64_e32 v[26:27], v[24:25], v[28:29]
	s_mov_b32 s19, 0x40900000
	v_fma_f64 v[26:27], v[24:25], v[26:27], 1.0
	v_cmp_nlt_f64_e32 vcc, s[18:19], v[6:7]
	s_mov_b32 s18, 0
	v_fma_f64 v[24:25], v[24:25], v[26:27], 1.0
	v_cvt_i32_f64_e32 v8, v[8:9]
	s_mov_b32 s19, 0xc090cc00
	v_ldexp_f64 v[8:9], v[24:25], v8
	v_mov_b32_e32 v24, 0x7ff00000
	v_cmp_ngt_f64_e64 s[18:19], s[18:19], v[6:7]
	v_cndmask_b32_e32 v9, v24, v9, vcc
	s_and_b64 vcc, s[18:19], vcc
	v_cndmask_b32_e64 v7, 0, v9, s[18:19]
	v_cndmask_b32_e32 v6, 0, v8, vcc
	v_add_f64 v[8:9], v[6:7], 1.0
	v_add_f64 v[24:25], v[8:9], -1.0
	v_add_f64 v[26:27], v[24:25], -v[8:9]
	v_add_f64 v[26:27], v[26:27], 1.0
	v_add_f64 v[24:25], v[6:7], -v[24:25]
	s_mov_b32 s18, 0x55555555
	v_add_f64 v[24:25], v[24:25], v[26:27]
	v_frexp_mant_f64_e32 v[26:27], v[8:9]
	s_mov_b32 s19, 0x3fe55555
	v_frexp_exp_i32_f64_e32 v28, v[8:9]
	v_cmp_gt_f64_e32 vcc, s[18:19], v[26:27]
	s_mov_b32 s18, 0xbf559e2b
	s_mov_b32 s19, 0x3fc3ab76
	v_subbrev_co_u32_e32 v53, vcc, 0, v28, vcc
	v_sub_u32_e32 v26, 0, v53
	v_ldexp_f64 v[8:9], v[8:9], v26
	v_ldexp_f64 v[24:25], v[24:25], v26
	v_add_f64 v[26:27], v[8:9], -1.0
	v_add_f64 v[32:33], v[8:9], 1.0
	v_add_f64 v[28:29], v[26:27], 1.0
	v_add_f64 v[34:35], v[32:33], -1.0
	v_add_f64 v[28:29], v[8:9], -v[28:29]
	v_add_f64 v[8:9], v[8:9], -v[34:35]
	v_add_f64 v[8:9], v[24:25], v[8:9]
	v_add_f64 v[28:29], v[24:25], v[28:29]
	v_add_f64 v[24:25], v[32:33], v[8:9]
	v_rcp_f64_e32 v[34:35], v[24:25]
	v_add_f64 v[30:31], v[26:27], v[28:29]
	v_add_f64 v[26:27], v[30:31], -v[26:27]
	v_add_f64 v[26:27], v[28:29], -v[26:27]
	;; [unrolled: 1-line block ×4, first 2 shown]
	v_fma_f64 v[28:29], -v[24:25], v[34:35], 1.0
	v_fmac_f64_e32 v[34:35], v[28:29], v[34:35]
	v_fma_f64 v[28:29], -v[24:25], v[34:35], 1.0
	v_fmac_f64_e32 v[34:35], v[28:29], v[34:35]
	v_mul_f64 v[28:29], v[30:31], v[34:35]
	v_mul_f64 v[32:33], v[24:25], v[28:29]
	v_fma_f64 v[134:135], v[28:29], v[24:25], -v[32:33]
	v_fmac_f64_e32 v[134:135], v[28:29], v[8:9]
	v_add_f64 v[144:145], v[32:33], v[134:135]
	v_add_f64 v[146:147], v[30:31], -v[144:145]
	v_add_f64 v[30:31], v[30:31], -v[146:147]
	;; [unrolled: 1-line block ×4, first 2 shown]
	v_add_f64 v[26:27], v[26:27], v[30:31]
	v_add_f64 v[30:31], v[32:33], -v[134:135]
	v_add_f64 v[26:27], v[30:31], v[26:27]
	v_add_f64 v[30:31], v[146:147], v[26:27]
	v_add_f64 v[32:33], v[146:147], -v[30:31]
	v_add_f64 v[26:27], v[26:27], v[32:33]
	v_mul_f64 v[32:33], v[34:35], v[30:31]
	v_mul_f64 v[134:135], v[24:25], v[32:33]
	v_fma_f64 v[24:25], v[32:33], v[24:25], -v[134:135]
	v_fmac_f64_e32 v[24:25], v[32:33], v[8:9]
	v_add_f64 v[8:9], v[134:135], v[24:25]
	v_add_f64 v[144:145], v[30:31], -v[8:9]
	v_add_f64 v[30:31], v[30:31], -v[144:145]
	v_add_f64 v[134:135], v[8:9], -v[134:135]
	v_add_f64 v[8:9], v[30:31], -v[8:9]
	v_add_f64 v[8:9], v[26:27], v[8:9]
	v_add_f64 v[24:25], v[134:135], -v[24:25]
	v_add_f64 v[8:9], v[24:25], v[8:9]
	v_add_f64 v[24:25], v[28:29], v[32:33]
	;; [unrolled: 1-line block ×3, first 2 shown]
	v_add_f64 v[26:27], v[24:25], -v[28:29]
	v_mul_f64 v[8:9], v[34:35], v[8:9]
	v_add_f64 v[26:27], v[32:33], -v[26:27]
	v_add_f64 v[8:9], v[26:27], v[8:9]
	v_add_f64 v[26:27], v[24:25], v[8:9]
	v_add_f64 v[24:25], v[26:27], -v[24:25]
	v_add_f64 v[8:9], v[8:9], -v[24:25]
	v_mul_f64 v[24:25], v[26:27], v[26:27]
	v_mov_b32_e32 v28, 0x6b47b09a
	v_mov_b32_e32 v29, 0x3fc38538
	v_fmac_f64_e32 v[28:29], s[18:19], v[24:25]
	v_mov_b32_e32 v30, 0xd7f4df2e
	v_mov_b32_e32 v31, 0x3fc7474d
	v_fmac_f64_e32 v[30:31], v[24:25], v[28:29]
	;; [unrolled: 3-line block ×6, first 2 shown]
	v_cvt_f64_i32_e32 v[28:29], v53
	s_mov_b32 s23, 0x3fe62e42
	v_mul_f64 v[32:33], v[28:29], s[22:23]
	v_fma_f64 v[34:35], v[28:29], s[22:23], -v[32:33]
	s_mov_b32 s25, 0x3c7abc9e
	v_fmac_f64_e32 v[34:35], s[24:25], v[28:29]
	v_add_f64 v[28:29], v[32:33], v[34:35]
	v_add_f64 v[32:33], v[28:29], -v[32:33]
	v_mul_f64 v[24:25], v[26:27], v[24:25]
	v_add_f64 v[32:33], v[34:35], -v[32:33]
	v_ldexp_f64 v[34:35], v[26:27], 1
	v_mul_f64 v[24:25], v[24:25], v[30:31]
	v_add_f64 v[26:27], v[34:35], v[24:25]
	v_add_f64 v[30:31], v[26:27], -v[34:35]
	v_ldexp_f64 v[8:9], v[8:9], 1
	v_add_f64 v[24:25], v[24:25], -v[30:31]
	v_add_f64 v[8:9], v[8:9], v[24:25]
	v_add_f64 v[24:25], v[26:27], v[8:9]
	v_add_f64 v[26:27], v[24:25], -v[26:27]
	v_add_f64 v[8:9], v[8:9], -v[26:27]
	v_add_f64 v[26:27], v[28:29], v[24:25]
	v_add_f64 v[30:31], v[26:27], -v[28:29]
	v_add_f64 v[34:35], v[26:27], -v[30:31]
	;; [unrolled: 1-line block ×4, first 2 shown]
	v_add_f64 v[24:25], v[24:25], v[28:29]
	v_add_f64 v[28:29], v[32:33], v[8:9]
	v_add_f64 v[30:31], v[28:29], -v[32:33]
	v_add_f64 v[24:25], v[28:29], v[24:25]
	v_add_f64 v[34:35], v[28:29], -v[30:31]
	;; [unrolled: 2-line block ×3, first 2 shown]
	v_add_f64 v[8:9], v[8:9], -v[30:31]
	v_add_f64 v[26:27], v[28:29], -v[26:27]
	v_add_f64 v[8:9], v[8:9], v[32:33]
	v_add_f64 v[24:25], v[24:25], -v[26:27]
	s_mov_b32 s18, 0
	v_add_f64 v[8:9], v[8:9], v[24:25]
	s_mov_b32 s19, 0x7ff00000
	v_add_f64 v[8:9], v[28:29], v[8:9]
	v_cmp_eq_f64_e32 vcc, s[18:19], v[6:7]
	v_mov_b32_e32 v24, 0x7ff80000
	s_nop 0
	v_cndmask_b32_e32 v8, v8, v6, vcc
	v_cndmask_b32_e32 v9, v9, v7, vcc
	v_cmp_ngt_f64_e32 vcc, -1.0, v[6:7]
	s_nop 1
	v_cndmask_b32_e32 v9, v24, v9, vcc
	v_cmp_nge_f64_e32 vcc, -1.0, v[6:7]
	v_mov_b32_e32 v24, 0xfff00000
	s_nop 0
	v_cndmask_b32_e32 v8, 0, v8, vcc
	v_cmp_neq_f64_e32 vcc, -1.0, v[6:7]
	s_nop 1
	v_cndmask_b32_e32 v9, v24, v9, vcc
	v_add_f64 v[134:135], v[4:5], v[8:9]
.LBB50_51:
	s_or_b64 exec, exec, s[20:21]
	v_max_f64 v[24:25], v[86:87], v[86:87]
	v_max_f64 v[4:5], v[134:135], v[134:135]
	v_min_f64 v[6:7], v[4:5], v[24:25]
	v_cmp_u_f64_e32 vcc, v[134:135], v[134:135]
	v_max_f64 v[4:5], v[4:5], v[24:25]
	v_cmp_u_f64_e64 s[18:19], v[86:87], v[86:87]
	v_cndmask_b32_e32 v6, v6, v134, vcc
	v_cndmask_b32_e32 v7, v7, v135, vcc
	;; [unrolled: 1-line block ×4, first 2 shown]
	v_cndmask_b32_e64 v7, v7, v87, s[18:19]
	v_cndmask_b32_e64 v6, v6, v86, s[18:19]
	;; [unrolled: 1-line block ×4, first 2 shown]
	v_cmp_neq_f64_e32 vcc, v[6:7], v[4:5]
	v_cmp_class_f64_e64 s[20:21], v[6:7], s13
	s_or_b64 s[20:21], vcc, s[20:21]
	s_and_saveexec_b64 s[22:23], s[20:21]
	s_cbranch_execz .LBB50_53
; %bb.52:
	s_mov_b32 s20, 0x652b82fe
	v_add_f64 v[6:7], v[6:7], -v[4:5]
	s_mov_b32 s21, 0x3ff71547
	v_mul_f64 v[8:9], v[6:7], s[20:21]
	v_rndne_f64_e32 v[8:9], v[8:9]
	s_mov_b32 s25, 0xbfe62e42
	s_mov_b32 s24, 0xfefa39ef
	v_fma_f64 v[26:27], s[24:25], v[8:9], v[6:7]
	s_mov_b32 s27, 0xbc7abc9e
	s_mov_b32 s26, 0x3b39803f
	s_mov_b32 s20, 0x6a5dcb37
	v_fmac_f64_e32 v[26:27], s[26:27], v[8:9]
	v_mov_b32_e32 v28, 0xfca7ab0c
	v_mov_b32_e32 v29, 0x3e928af3
	s_mov_b32 s21, 0x3e5ade15
	v_fmac_f64_e32 v[28:29], s[20:21], v[26:27]
	v_mov_b32_e32 v30, 0x623fde64
	v_mov_b32_e32 v31, 0x3ec71dee
	v_fmac_f64_e32 v[30:31], v[26:27], v[28:29]
	v_mov_b32_e32 v28, 0x7c89e6b0
	v_mov_b32_e32 v29, 0x3efa0199
	;; [unrolled: 3-line block ×8, first 2 shown]
	s_mov_b32 s20, 0
	v_fmac_f64_e32 v[28:29], v[26:27], v[30:31]
	s_mov_b32 s21, 0x40900000
	v_fma_f64 v[28:29], v[26:27], v[28:29], 1.0
	v_cmp_nlt_f64_e32 vcc, s[20:21], v[6:7]
	s_mov_b32 s20, 0
	v_fma_f64 v[26:27], v[26:27], v[28:29], 1.0
	v_cvt_i32_f64_e32 v8, v[8:9]
	s_mov_b32 s21, 0xc090cc00
	v_ldexp_f64 v[8:9], v[26:27], v8
	v_mov_b32_e32 v26, 0x7ff00000
	v_cmp_ngt_f64_e64 s[20:21], s[20:21], v[6:7]
	v_cndmask_b32_e32 v9, v26, v9, vcc
	s_and_b64 vcc, s[20:21], vcc
	v_cndmask_b32_e64 v7, 0, v9, s[20:21]
	v_cndmask_b32_e32 v6, 0, v8, vcc
	v_add_f64 v[8:9], v[6:7], 1.0
	v_add_f64 v[26:27], v[8:9], -1.0
	v_add_f64 v[28:29], v[26:27], -v[8:9]
	v_add_f64 v[28:29], v[28:29], 1.0
	v_add_f64 v[26:27], v[6:7], -v[26:27]
	s_mov_b32 s20, 0x55555555
	v_add_f64 v[26:27], v[26:27], v[28:29]
	v_frexp_mant_f64_e32 v[28:29], v[8:9]
	s_mov_b32 s21, 0x3fe55555
	v_frexp_exp_i32_f64_e32 v30, v[8:9]
	v_cmp_gt_f64_e32 vcc, s[20:21], v[28:29]
	s_mov_b32 s20, 0xbf559e2b
	s_mov_b32 s21, 0x3fc3ab76
	v_subbrev_co_u32_e32 v53, vcc, 0, v30, vcc
	v_sub_u32_e32 v28, 0, v53
	v_ldexp_f64 v[8:9], v[8:9], v28
	v_ldexp_f64 v[26:27], v[26:27], v28
	v_add_f64 v[28:29], v[8:9], -1.0
	v_add_f64 v[34:35], v[8:9], 1.0
	v_add_f64 v[30:31], v[28:29], 1.0
	v_add_f64 v[134:135], v[34:35], -1.0
	v_add_f64 v[30:31], v[8:9], -v[30:31]
	v_add_f64 v[8:9], v[8:9], -v[134:135]
	v_add_f64 v[8:9], v[26:27], v[8:9]
	v_add_f64 v[30:31], v[26:27], v[30:31]
	;; [unrolled: 1-line block ×3, first 2 shown]
	v_rcp_f64_e32 v[134:135], v[26:27]
	v_add_f64 v[32:33], v[28:29], v[30:31]
	v_add_f64 v[28:29], v[32:33], -v[28:29]
	v_add_f64 v[28:29], v[30:31], -v[28:29]
	;; [unrolled: 1-line block ×4, first 2 shown]
	v_fma_f64 v[30:31], -v[26:27], v[134:135], 1.0
	v_fmac_f64_e32 v[134:135], v[30:31], v[134:135]
	v_fma_f64 v[30:31], -v[26:27], v[134:135], 1.0
	v_fmac_f64_e32 v[134:135], v[30:31], v[134:135]
	v_mul_f64 v[30:31], v[32:33], v[134:135]
	v_mul_f64 v[34:35], v[26:27], v[30:31]
	v_fma_f64 v[144:145], v[30:31], v[26:27], -v[34:35]
	v_fmac_f64_e32 v[144:145], v[30:31], v[8:9]
	v_add_f64 v[146:147], v[34:35], v[144:145]
	v_add_f64 v[148:149], v[32:33], -v[146:147]
	v_add_f64 v[32:33], v[32:33], -v[148:149]
	;; [unrolled: 1-line block ×4, first 2 shown]
	v_add_f64 v[28:29], v[28:29], v[32:33]
	v_add_f64 v[32:33], v[34:35], -v[144:145]
	v_add_f64 v[28:29], v[32:33], v[28:29]
	v_add_f64 v[32:33], v[148:149], v[28:29]
	v_add_f64 v[34:35], v[148:149], -v[32:33]
	v_add_f64 v[28:29], v[28:29], v[34:35]
	v_mul_f64 v[34:35], v[134:135], v[32:33]
	v_mul_f64 v[144:145], v[26:27], v[34:35]
	v_fma_f64 v[26:27], v[34:35], v[26:27], -v[144:145]
	v_fmac_f64_e32 v[26:27], v[34:35], v[8:9]
	v_add_f64 v[8:9], v[144:145], v[26:27]
	v_add_f64 v[146:147], v[32:33], -v[8:9]
	v_add_f64 v[32:33], v[32:33], -v[146:147]
	;; [unrolled: 1-line block ×4, first 2 shown]
	v_add_f64 v[8:9], v[28:29], v[8:9]
	v_add_f64 v[26:27], v[144:145], -v[26:27]
	v_add_f64 v[8:9], v[26:27], v[8:9]
	v_add_f64 v[26:27], v[30:31], v[34:35]
	;; [unrolled: 1-line block ×3, first 2 shown]
	v_add_f64 v[28:29], v[26:27], -v[30:31]
	v_mul_f64 v[8:9], v[134:135], v[8:9]
	v_add_f64 v[28:29], v[34:35], -v[28:29]
	v_add_f64 v[8:9], v[28:29], v[8:9]
	v_add_f64 v[28:29], v[26:27], v[8:9]
	v_add_f64 v[26:27], v[28:29], -v[26:27]
	v_add_f64 v[8:9], v[8:9], -v[26:27]
	v_mul_f64 v[26:27], v[28:29], v[28:29]
	v_mov_b32_e32 v30, 0x6b47b09a
	v_mov_b32_e32 v31, 0x3fc38538
	v_fmac_f64_e32 v[30:31], s[20:21], v[26:27]
	v_mov_b32_e32 v32, 0xd7f4df2e
	v_mov_b32_e32 v33, 0x3fc7474d
	v_fmac_f64_e32 v[32:33], v[26:27], v[30:31]
	;; [unrolled: 3-line block ×6, first 2 shown]
	v_cvt_f64_i32_e32 v[30:31], v53
	s_mov_b32 s25, 0x3fe62e42
	v_mul_f64 v[34:35], v[30:31], s[24:25]
	v_fma_f64 v[134:135], v[30:31], s[24:25], -v[34:35]
	s_mov_b32 s27, 0x3c7abc9e
	v_fmac_f64_e32 v[134:135], s[26:27], v[30:31]
	v_add_f64 v[30:31], v[34:35], v[134:135]
	v_add_f64 v[34:35], v[30:31], -v[34:35]
	v_mul_f64 v[26:27], v[28:29], v[26:27]
	v_add_f64 v[34:35], v[134:135], -v[34:35]
	v_ldexp_f64 v[134:135], v[28:29], 1
	v_mul_f64 v[26:27], v[26:27], v[32:33]
	v_add_f64 v[28:29], v[134:135], v[26:27]
	v_add_f64 v[32:33], v[28:29], -v[134:135]
	v_ldexp_f64 v[8:9], v[8:9], 1
	v_add_f64 v[26:27], v[26:27], -v[32:33]
	v_add_f64 v[8:9], v[8:9], v[26:27]
	v_add_f64 v[26:27], v[28:29], v[8:9]
	v_add_f64 v[28:29], v[26:27], -v[28:29]
	v_add_f64 v[8:9], v[8:9], -v[28:29]
	v_add_f64 v[28:29], v[30:31], v[26:27]
	v_add_f64 v[32:33], v[28:29], -v[30:31]
	v_add_f64 v[134:135], v[28:29], -v[32:33]
	;; [unrolled: 1-line block ×4, first 2 shown]
	v_add_f64 v[26:27], v[26:27], v[30:31]
	v_add_f64 v[30:31], v[34:35], v[8:9]
	v_add_f64 v[32:33], v[30:31], -v[34:35]
	v_add_f64 v[26:27], v[30:31], v[26:27]
	v_add_f64 v[134:135], v[30:31], -v[32:33]
	;; [unrolled: 2-line block ×3, first 2 shown]
	v_add_f64 v[8:9], v[8:9], -v[32:33]
	v_add_f64 v[28:29], v[30:31], -v[28:29]
	v_add_f64 v[8:9], v[8:9], v[34:35]
	v_add_f64 v[26:27], v[26:27], -v[28:29]
	s_mov_b32 s20, 0
	v_add_f64 v[8:9], v[8:9], v[26:27]
	s_mov_b32 s21, 0x7ff00000
	v_add_f64 v[8:9], v[30:31], v[8:9]
	v_cmp_eq_f64_e32 vcc, s[20:21], v[6:7]
	v_mov_b32_e32 v26, 0x7ff80000
	s_nop 0
	v_cndmask_b32_e32 v8, v8, v6, vcc
	v_cndmask_b32_e32 v9, v9, v7, vcc
	v_cmp_ngt_f64_e32 vcc, -1.0, v[6:7]
	s_nop 1
	v_cndmask_b32_e32 v9, v26, v9, vcc
	v_cmp_nge_f64_e32 vcc, -1.0, v[6:7]
	v_mov_b32_e32 v26, 0xfff00000
	s_nop 0
	v_cndmask_b32_e32 v8, 0, v8, vcc
	v_cmp_neq_f64_e32 vcc, -1.0, v[6:7]
	s_nop 1
	v_cndmask_b32_e32 v9, v26, v9, vcc
	v_add_f64 v[134:135], v[4:5], v[8:9]
.LBB50_53:
	s_or_b64 exec, exec, s[22:23]
	v_max_f64 v[26:27], v[80:81], v[80:81]
	v_max_f64 v[4:5], v[134:135], v[134:135]
	v_min_f64 v[6:7], v[4:5], v[26:27]
	v_cmp_u_f64_e32 vcc, v[134:135], v[134:135]
	v_max_f64 v[4:5], v[4:5], v[26:27]
	v_cmp_u_f64_e64 s[20:21], v[80:81], v[80:81]
	v_cndmask_b32_e32 v6, v6, v134, vcc
	v_cndmask_b32_e32 v7, v7, v135, vcc
	;; [unrolled: 1-line block ×4, first 2 shown]
	v_cndmask_b32_e64 v7, v7, v81, s[20:21]
	v_cndmask_b32_e64 v6, v6, v80, s[20:21]
	;; [unrolled: 1-line block ×4, first 2 shown]
	v_cmp_neq_f64_e32 vcc, v[6:7], v[4:5]
	v_cmp_class_f64_e64 s[22:23], v[6:7], s13
	s_or_b64 s[22:23], vcc, s[22:23]
	s_and_saveexec_b64 s[24:25], s[22:23]
	s_cbranch_execz .LBB50_55
; %bb.54:
	s_mov_b32 s22, 0x652b82fe
	v_add_f64 v[6:7], v[6:7], -v[4:5]
	s_mov_b32 s23, 0x3ff71547
	v_mul_f64 v[8:9], v[6:7], s[22:23]
	v_rndne_f64_e32 v[8:9], v[8:9]
	s_mov_b32 s27, 0xbfe62e42
	s_mov_b32 s26, 0xfefa39ef
	v_fma_f64 v[28:29], s[26:27], v[8:9], v[6:7]
	s_mov_b32 s29, 0xbc7abc9e
	s_mov_b32 s28, 0x3b39803f
	;; [unrolled: 1-line block ×3, first 2 shown]
	v_fmac_f64_e32 v[28:29], s[28:29], v[8:9]
	v_mov_b32_e32 v30, 0xfca7ab0c
	v_mov_b32_e32 v31, 0x3e928af3
	s_mov_b32 s23, 0x3e5ade15
	v_fmac_f64_e32 v[30:31], s[22:23], v[28:29]
	v_mov_b32_e32 v32, 0x623fde64
	v_mov_b32_e32 v33, 0x3ec71dee
	v_fmac_f64_e32 v[32:33], v[28:29], v[30:31]
	v_mov_b32_e32 v30, 0x7c89e6b0
	v_mov_b32_e32 v31, 0x3efa0199
	;; [unrolled: 3-line block ×8, first 2 shown]
	s_mov_b32 s22, 0
	v_fmac_f64_e32 v[30:31], v[28:29], v[32:33]
	s_mov_b32 s23, 0x40900000
	v_fma_f64 v[30:31], v[28:29], v[30:31], 1.0
	v_cmp_nlt_f64_e32 vcc, s[22:23], v[6:7]
	s_mov_b32 s22, 0
	v_fma_f64 v[28:29], v[28:29], v[30:31], 1.0
	v_cvt_i32_f64_e32 v8, v[8:9]
	s_mov_b32 s23, 0xc090cc00
	v_ldexp_f64 v[8:9], v[28:29], v8
	v_mov_b32_e32 v28, 0x7ff00000
	v_cmp_ngt_f64_e64 s[22:23], s[22:23], v[6:7]
	v_cndmask_b32_e32 v9, v28, v9, vcc
	s_and_b64 vcc, s[22:23], vcc
	v_cndmask_b32_e64 v7, 0, v9, s[22:23]
	v_cndmask_b32_e32 v6, 0, v8, vcc
	v_add_f64 v[8:9], v[6:7], 1.0
	v_add_f64 v[28:29], v[8:9], -1.0
	v_add_f64 v[30:31], v[28:29], -v[8:9]
	v_add_f64 v[30:31], v[30:31], 1.0
	v_add_f64 v[28:29], v[6:7], -v[28:29]
	s_mov_b32 s22, 0x55555555
	v_add_f64 v[28:29], v[28:29], v[30:31]
	v_frexp_mant_f64_e32 v[30:31], v[8:9]
	s_mov_b32 s23, 0x3fe55555
	v_frexp_exp_i32_f64_e32 v32, v[8:9]
	v_cmp_gt_f64_e32 vcc, s[22:23], v[30:31]
	s_mov_b32 s22, 0xbf559e2b
	s_mov_b32 s23, 0x3fc3ab76
	v_subbrev_co_u32_e32 v53, vcc, 0, v32, vcc
	v_sub_u32_e32 v30, 0, v53
	v_ldexp_f64 v[8:9], v[8:9], v30
	v_ldexp_f64 v[28:29], v[28:29], v30
	v_add_f64 v[30:31], v[8:9], -1.0
	v_add_f64 v[134:135], v[8:9], 1.0
	v_add_f64 v[32:33], v[30:31], 1.0
	v_add_f64 v[144:145], v[134:135], -1.0
	v_add_f64 v[32:33], v[8:9], -v[32:33]
	v_add_f64 v[8:9], v[8:9], -v[144:145]
	v_add_f64 v[8:9], v[28:29], v[8:9]
	v_add_f64 v[32:33], v[28:29], v[32:33]
	;; [unrolled: 1-line block ×3, first 2 shown]
	v_rcp_f64_e32 v[144:145], v[28:29]
	v_add_f64 v[34:35], v[30:31], v[32:33]
	v_add_f64 v[30:31], v[34:35], -v[30:31]
	v_add_f64 v[30:31], v[32:33], -v[30:31]
	;; [unrolled: 1-line block ×4, first 2 shown]
	v_fma_f64 v[32:33], -v[28:29], v[144:145], 1.0
	v_fmac_f64_e32 v[144:145], v[32:33], v[144:145]
	v_fma_f64 v[32:33], -v[28:29], v[144:145], 1.0
	v_fmac_f64_e32 v[144:145], v[32:33], v[144:145]
	v_mul_f64 v[32:33], v[34:35], v[144:145]
	v_mul_f64 v[134:135], v[28:29], v[32:33]
	v_fma_f64 v[146:147], v[32:33], v[28:29], -v[134:135]
	v_fmac_f64_e32 v[146:147], v[32:33], v[8:9]
	v_add_f64 v[148:149], v[134:135], v[146:147]
	v_add_f64 v[150:151], v[34:35], -v[148:149]
	v_add_f64 v[34:35], v[34:35], -v[150:151]
	v_add_f64 v[134:135], v[148:149], -v[134:135]
	v_add_f64 v[34:35], v[34:35], -v[148:149]
	v_add_f64 v[30:31], v[30:31], v[34:35]
	v_add_f64 v[34:35], v[134:135], -v[146:147]
	v_add_f64 v[30:31], v[34:35], v[30:31]
	v_add_f64 v[34:35], v[150:151], v[30:31]
	v_add_f64 v[134:135], v[150:151], -v[34:35]
	v_add_f64 v[30:31], v[30:31], v[134:135]
	v_mul_f64 v[134:135], v[144:145], v[34:35]
	v_mul_f64 v[146:147], v[28:29], v[134:135]
	v_fma_f64 v[28:29], v[134:135], v[28:29], -v[146:147]
	v_fmac_f64_e32 v[28:29], v[134:135], v[8:9]
	v_add_f64 v[8:9], v[146:147], v[28:29]
	v_add_f64 v[148:149], v[34:35], -v[8:9]
	v_add_f64 v[34:35], v[34:35], -v[148:149]
	;; [unrolled: 1-line block ×4, first 2 shown]
	v_add_f64 v[8:9], v[30:31], v[8:9]
	v_add_f64 v[28:29], v[146:147], -v[28:29]
	v_add_f64 v[8:9], v[28:29], v[8:9]
	v_add_f64 v[28:29], v[32:33], v[134:135]
	;; [unrolled: 1-line block ×3, first 2 shown]
	v_add_f64 v[30:31], v[28:29], -v[32:33]
	v_mul_f64 v[8:9], v[144:145], v[8:9]
	v_add_f64 v[30:31], v[134:135], -v[30:31]
	v_add_f64 v[8:9], v[30:31], v[8:9]
	v_add_f64 v[30:31], v[28:29], v[8:9]
	v_add_f64 v[28:29], v[30:31], -v[28:29]
	v_add_f64 v[8:9], v[8:9], -v[28:29]
	v_mul_f64 v[28:29], v[30:31], v[30:31]
	v_mov_b32_e32 v32, 0x6b47b09a
	v_mov_b32_e32 v33, 0x3fc38538
	v_fmac_f64_e32 v[32:33], s[22:23], v[28:29]
	v_mov_b32_e32 v34, 0xd7f4df2e
	v_mov_b32_e32 v35, 0x3fc7474d
	v_fmac_f64_e32 v[34:35], v[28:29], v[32:33]
	;; [unrolled: 3-line block ×6, first 2 shown]
	v_cvt_f64_i32_e32 v[32:33], v53
	s_mov_b32 s27, 0x3fe62e42
	v_mul_f64 v[134:135], v[32:33], s[26:27]
	v_fma_f64 v[144:145], v[32:33], s[26:27], -v[134:135]
	s_mov_b32 s29, 0x3c7abc9e
	v_fmac_f64_e32 v[144:145], s[28:29], v[32:33]
	v_add_f64 v[32:33], v[134:135], v[144:145]
	v_add_f64 v[134:135], v[32:33], -v[134:135]
	v_mul_f64 v[28:29], v[30:31], v[28:29]
	v_add_f64 v[134:135], v[144:145], -v[134:135]
	v_ldexp_f64 v[144:145], v[30:31], 1
	v_mul_f64 v[28:29], v[28:29], v[34:35]
	v_add_f64 v[30:31], v[144:145], v[28:29]
	v_add_f64 v[34:35], v[30:31], -v[144:145]
	v_ldexp_f64 v[8:9], v[8:9], 1
	v_add_f64 v[28:29], v[28:29], -v[34:35]
	v_add_f64 v[8:9], v[8:9], v[28:29]
	v_add_f64 v[28:29], v[30:31], v[8:9]
	v_add_f64 v[30:31], v[28:29], -v[30:31]
	v_add_f64 v[8:9], v[8:9], -v[30:31]
	v_add_f64 v[30:31], v[32:33], v[28:29]
	v_add_f64 v[34:35], v[30:31], -v[32:33]
	v_add_f64 v[144:145], v[30:31], -v[34:35]
	;; [unrolled: 1-line block ×4, first 2 shown]
	v_add_f64 v[28:29], v[28:29], v[32:33]
	v_add_f64 v[32:33], v[134:135], v[8:9]
	v_add_f64 v[34:35], v[32:33], -v[134:135]
	v_add_f64 v[28:29], v[32:33], v[28:29]
	v_add_f64 v[144:145], v[32:33], -v[34:35]
	v_add_f64 v[32:33], v[30:31], v[28:29]
	v_add_f64 v[134:135], v[134:135], -v[144:145]
	v_add_f64 v[8:9], v[8:9], -v[34:35]
	v_add_f64 v[30:31], v[32:33], -v[30:31]
	v_add_f64 v[8:9], v[8:9], v[134:135]
	v_add_f64 v[28:29], v[28:29], -v[30:31]
	s_mov_b32 s22, 0
	v_add_f64 v[8:9], v[8:9], v[28:29]
	s_mov_b32 s23, 0x7ff00000
	v_add_f64 v[8:9], v[32:33], v[8:9]
	v_cmp_eq_f64_e32 vcc, s[22:23], v[6:7]
	v_mov_b32_e32 v28, 0x7ff80000
	s_nop 0
	v_cndmask_b32_e32 v8, v8, v6, vcc
	v_cndmask_b32_e32 v9, v9, v7, vcc
	v_cmp_ngt_f64_e32 vcc, -1.0, v[6:7]
	s_nop 1
	v_cndmask_b32_e32 v9, v28, v9, vcc
	v_cmp_nge_f64_e32 vcc, -1.0, v[6:7]
	v_mov_b32_e32 v28, 0xfff00000
	s_nop 0
	v_cndmask_b32_e32 v8, 0, v8, vcc
	v_cmp_neq_f64_e32 vcc, -1.0, v[6:7]
	s_nop 1
	v_cndmask_b32_e32 v9, v28, v9, vcc
	v_add_f64 v[134:135], v[4:5], v[8:9]
.LBB50_55:
	s_or_b64 exec, exec, s[24:25]
	v_max_f64 v[28:29], v[82:83], v[82:83]
	v_max_f64 v[4:5], v[134:135], v[134:135]
	v_min_f64 v[6:7], v[4:5], v[28:29]
	v_cmp_u_f64_e32 vcc, v[134:135], v[134:135]
	v_max_f64 v[4:5], v[4:5], v[28:29]
	v_cmp_u_f64_e64 s[22:23], v[82:83], v[82:83]
	v_cndmask_b32_e32 v6, v6, v134, vcc
	v_cndmask_b32_e32 v7, v7, v135, vcc
	;; [unrolled: 1-line block ×4, first 2 shown]
	v_cndmask_b32_e64 v7, v7, v83, s[22:23]
	v_cndmask_b32_e64 v6, v6, v82, s[22:23]
	;; [unrolled: 1-line block ×4, first 2 shown]
	v_cmp_neq_f64_e32 vcc, v[6:7], v[4:5]
	v_cmp_class_f64_e64 s[24:25], v[6:7], s13
	s_or_b64 s[24:25], vcc, s[24:25]
	s_and_saveexec_b64 s[26:27], s[24:25]
	s_cbranch_execz .LBB50_57
; %bb.56:
	s_mov_b32 s24, 0x652b82fe
	v_add_f64 v[6:7], v[6:7], -v[4:5]
	s_mov_b32 s25, 0x3ff71547
	v_mul_f64 v[8:9], v[6:7], s[24:25]
	v_rndne_f64_e32 v[8:9], v[8:9]
	s_mov_b32 s29, 0xbfe62e42
	s_mov_b32 s28, 0xfefa39ef
	v_fma_f64 v[30:31], s[28:29], v[8:9], v[6:7]
	s_mov_b32 s35, 0xbc7abc9e
	s_mov_b32 s34, 0x3b39803f
	;; [unrolled: 1-line block ×3, first 2 shown]
	v_fmac_f64_e32 v[30:31], s[34:35], v[8:9]
	v_mov_b32_e32 v32, 0xfca7ab0c
	v_mov_b32_e32 v33, 0x3e928af3
	s_mov_b32 s25, 0x3e5ade15
	v_fmac_f64_e32 v[32:33], s[24:25], v[30:31]
	v_mov_b32_e32 v34, 0x623fde64
	v_mov_b32_e32 v35, 0x3ec71dee
	v_fmac_f64_e32 v[34:35], v[30:31], v[32:33]
	v_mov_b32_e32 v32, 0x7c89e6b0
	v_mov_b32_e32 v33, 0x3efa0199
	;; [unrolled: 3-line block ×8, first 2 shown]
	s_mov_b32 s24, 0
	v_fmac_f64_e32 v[32:33], v[30:31], v[34:35]
	s_mov_b32 s25, 0x40900000
	v_fma_f64 v[32:33], v[30:31], v[32:33], 1.0
	v_cmp_nlt_f64_e32 vcc, s[24:25], v[6:7]
	s_mov_b32 s24, 0
	v_fma_f64 v[30:31], v[30:31], v[32:33], 1.0
	v_cvt_i32_f64_e32 v8, v[8:9]
	s_mov_b32 s25, 0xc090cc00
	v_ldexp_f64 v[8:9], v[30:31], v8
	v_mov_b32_e32 v30, 0x7ff00000
	v_cmp_ngt_f64_e64 s[24:25], s[24:25], v[6:7]
	v_cndmask_b32_e32 v9, v30, v9, vcc
	s_and_b64 vcc, s[24:25], vcc
	v_cndmask_b32_e64 v7, 0, v9, s[24:25]
	v_cndmask_b32_e32 v6, 0, v8, vcc
	v_add_f64 v[8:9], v[6:7], 1.0
	v_add_f64 v[30:31], v[8:9], -1.0
	v_add_f64 v[32:33], v[30:31], -v[8:9]
	v_add_f64 v[32:33], v[32:33], 1.0
	v_add_f64 v[30:31], v[6:7], -v[30:31]
	s_mov_b32 s24, 0x55555555
	v_add_f64 v[30:31], v[30:31], v[32:33]
	v_frexp_mant_f64_e32 v[32:33], v[8:9]
	s_mov_b32 s25, 0x3fe55555
	v_frexp_exp_i32_f64_e32 v34, v[8:9]
	v_cmp_gt_f64_e32 vcc, s[24:25], v[32:33]
	s_mov_b32 s24, 0xbf559e2b
	s_mov_b32 s25, 0x3fc3ab76
	v_subbrev_co_u32_e32 v53, vcc, 0, v34, vcc
	v_sub_u32_e32 v32, 0, v53
	v_ldexp_f64 v[8:9], v[8:9], v32
	v_ldexp_f64 v[30:31], v[30:31], v32
	v_add_f64 v[32:33], v[8:9], -1.0
	v_add_f64 v[144:145], v[8:9], 1.0
	v_add_f64 v[34:35], v[32:33], 1.0
	v_add_f64 v[146:147], v[144:145], -1.0
	v_add_f64 v[34:35], v[8:9], -v[34:35]
	v_add_f64 v[8:9], v[8:9], -v[146:147]
	v_add_f64 v[8:9], v[30:31], v[8:9]
	v_add_f64 v[34:35], v[30:31], v[34:35]
	;; [unrolled: 1-line block ×3, first 2 shown]
	v_rcp_f64_e32 v[146:147], v[30:31]
	v_add_f64 v[134:135], v[32:33], v[34:35]
	v_add_f64 v[32:33], v[134:135], -v[32:33]
	v_add_f64 v[32:33], v[34:35], -v[32:33]
	;; [unrolled: 1-line block ×4, first 2 shown]
	v_fma_f64 v[34:35], -v[30:31], v[146:147], 1.0
	v_fmac_f64_e32 v[146:147], v[34:35], v[146:147]
	v_fma_f64 v[34:35], -v[30:31], v[146:147], 1.0
	v_fmac_f64_e32 v[146:147], v[34:35], v[146:147]
	v_mul_f64 v[34:35], v[134:135], v[146:147]
	v_mul_f64 v[144:145], v[30:31], v[34:35]
	v_fma_f64 v[148:149], v[34:35], v[30:31], -v[144:145]
	v_fmac_f64_e32 v[148:149], v[34:35], v[8:9]
	v_add_f64 v[150:151], v[144:145], v[148:149]
	v_add_f64 v[160:161], v[134:135], -v[150:151]
	v_add_f64 v[134:135], v[134:135], -v[160:161]
	;; [unrolled: 1-line block ×4, first 2 shown]
	v_add_f64 v[32:33], v[32:33], v[134:135]
	v_add_f64 v[134:135], v[144:145], -v[148:149]
	v_add_f64 v[32:33], v[134:135], v[32:33]
	v_add_f64 v[134:135], v[160:161], v[32:33]
	v_add_f64 v[144:145], v[160:161], -v[134:135]
	v_add_f64 v[32:33], v[32:33], v[144:145]
	v_mul_f64 v[144:145], v[146:147], v[134:135]
	v_mul_f64 v[148:149], v[30:31], v[144:145]
	v_fma_f64 v[30:31], v[144:145], v[30:31], -v[148:149]
	v_fmac_f64_e32 v[30:31], v[144:145], v[8:9]
	v_add_f64 v[8:9], v[148:149], v[30:31]
	v_add_f64 v[150:151], v[134:135], -v[8:9]
	v_add_f64 v[134:135], v[134:135], -v[150:151]
	v_add_f64 v[148:149], v[8:9], -v[148:149]
	v_add_f64 v[8:9], v[134:135], -v[8:9]
	v_add_f64 v[8:9], v[32:33], v[8:9]
	v_add_f64 v[30:31], v[148:149], -v[30:31]
	v_add_f64 v[8:9], v[30:31], v[8:9]
	v_add_f64 v[30:31], v[34:35], v[144:145]
	;; [unrolled: 1-line block ×3, first 2 shown]
	v_add_f64 v[32:33], v[30:31], -v[34:35]
	v_mul_f64 v[8:9], v[146:147], v[8:9]
	v_add_f64 v[32:33], v[144:145], -v[32:33]
	v_add_f64 v[8:9], v[32:33], v[8:9]
	v_add_f64 v[32:33], v[30:31], v[8:9]
	v_add_f64 v[30:31], v[32:33], -v[30:31]
	v_add_f64 v[8:9], v[8:9], -v[30:31]
	v_mul_f64 v[30:31], v[32:33], v[32:33]
	v_mov_b32_e32 v34, 0x6b47b09a
	v_mov_b32_e32 v35, 0x3fc38538
	v_fmac_f64_e32 v[34:35], s[24:25], v[30:31]
	v_mov_b32_e32 v134, 0xd7f4df2e
	v_mov_b32_e32 v135, 0x3fc7474d
	v_fmac_f64_e32 v[134:135], v[30:31], v[34:35]
	;; [unrolled: 3-line block ×6, first 2 shown]
	v_cvt_f64_i32_e32 v[34:35], v53
	s_mov_b32 s29, 0x3fe62e42
	v_mul_f64 v[144:145], v[34:35], s[28:29]
	v_fma_f64 v[146:147], v[34:35], s[28:29], -v[144:145]
	s_mov_b32 s35, 0x3c7abc9e
	v_fmac_f64_e32 v[146:147], s[34:35], v[34:35]
	v_add_f64 v[34:35], v[144:145], v[146:147]
	v_add_f64 v[144:145], v[34:35], -v[144:145]
	v_mul_f64 v[30:31], v[32:33], v[30:31]
	v_add_f64 v[144:145], v[146:147], -v[144:145]
	v_ldexp_f64 v[146:147], v[32:33], 1
	v_mul_f64 v[30:31], v[30:31], v[134:135]
	v_add_f64 v[32:33], v[146:147], v[30:31]
	v_add_f64 v[134:135], v[32:33], -v[146:147]
	v_ldexp_f64 v[8:9], v[8:9], 1
	v_add_f64 v[30:31], v[30:31], -v[134:135]
	v_add_f64 v[8:9], v[8:9], v[30:31]
	v_add_f64 v[30:31], v[32:33], v[8:9]
	v_add_f64 v[32:33], v[30:31], -v[32:33]
	v_add_f64 v[8:9], v[8:9], -v[32:33]
	v_add_f64 v[32:33], v[34:35], v[30:31]
	v_add_f64 v[134:135], v[32:33], -v[34:35]
	v_add_f64 v[146:147], v[32:33], -v[134:135]
	;; [unrolled: 1-line block ×4, first 2 shown]
	v_add_f64 v[30:31], v[30:31], v[34:35]
	v_add_f64 v[34:35], v[144:145], v[8:9]
	v_add_f64 v[134:135], v[34:35], -v[144:145]
	v_add_f64 v[30:31], v[34:35], v[30:31]
	v_add_f64 v[146:147], v[34:35], -v[134:135]
	;; [unrolled: 2-line block ×3, first 2 shown]
	v_add_f64 v[8:9], v[8:9], -v[134:135]
	v_add_f64 v[32:33], v[34:35], -v[32:33]
	v_add_f64 v[8:9], v[8:9], v[144:145]
	v_add_f64 v[30:31], v[30:31], -v[32:33]
	s_mov_b32 s24, 0
	v_add_f64 v[8:9], v[8:9], v[30:31]
	s_mov_b32 s25, 0x7ff00000
	v_add_f64 v[8:9], v[34:35], v[8:9]
	v_cmp_eq_f64_e32 vcc, s[24:25], v[6:7]
	v_mov_b32_e32 v30, 0x7ff80000
	s_nop 0
	v_cndmask_b32_e32 v8, v8, v6, vcc
	v_cndmask_b32_e32 v9, v9, v7, vcc
	v_cmp_ngt_f64_e32 vcc, -1.0, v[6:7]
	s_nop 1
	v_cndmask_b32_e32 v9, v30, v9, vcc
	v_cmp_nge_f64_e32 vcc, -1.0, v[6:7]
	v_mov_b32_e32 v30, 0xfff00000
	s_nop 0
	v_cndmask_b32_e32 v8, 0, v8, vcc
	v_cmp_neq_f64_e32 vcc, -1.0, v[6:7]
	s_nop 1
	v_cndmask_b32_e32 v9, v30, v9, vcc
	v_add_f64 v[134:135], v[4:5], v[8:9]
.LBB50_57:
	s_or_b64 exec, exec, s[26:27]
	v_max_f64 v[30:31], v[66:67], v[66:67]
	v_max_f64 v[4:5], v[134:135], v[134:135]
	v_min_f64 v[6:7], v[4:5], v[30:31]
	v_cmp_u_f64_e32 vcc, v[134:135], v[134:135]
	v_max_f64 v[4:5], v[4:5], v[30:31]
	v_cmp_u_f64_e64 s[24:25], v[66:67], v[66:67]
	v_cndmask_b32_e32 v6, v6, v134, vcc
	v_cndmask_b32_e32 v7, v7, v135, vcc
	;; [unrolled: 1-line block ×4, first 2 shown]
	v_cndmask_b32_e64 v7, v7, v67, s[24:25]
	v_cndmask_b32_e64 v6, v6, v66, s[24:25]
	v_cndmask_b32_e64 v5, v5, v67, s[24:25]
	v_cndmask_b32_e64 v4, v4, v66, s[24:25]
	v_cmp_neq_f64_e32 vcc, v[6:7], v[4:5]
	v_cmp_class_f64_e64 s[26:27], v[6:7], s13
	s_or_b64 s[26:27], vcc, s[26:27]
	s_and_saveexec_b64 s[28:29], s[26:27]
	s_cbranch_execz .LBB50_59
; %bb.58:
	s_mov_b32 s26, 0x652b82fe
	v_add_f64 v[6:7], v[6:7], -v[4:5]
	s_mov_b32 s27, 0x3ff71547
	v_mul_f64 v[8:9], v[6:7], s[26:27]
	v_rndne_f64_e32 v[8:9], v[8:9]
	s_mov_b32 s35, 0xbfe62e42
	s_mov_b32 s34, 0xfefa39ef
	v_fma_f64 v[32:33], s[34:35], v[8:9], v[6:7]
	s_mov_b32 s37, 0xbc7abc9e
	s_mov_b32 s36, 0x3b39803f
	;; [unrolled: 1-line block ×3, first 2 shown]
	v_fmac_f64_e32 v[32:33], s[36:37], v[8:9]
	v_mov_b32_e32 v34, 0xfca7ab0c
	v_mov_b32_e32 v35, 0x3e928af3
	s_mov_b32 s27, 0x3e5ade15
	v_fmac_f64_e32 v[34:35], s[26:27], v[32:33]
	v_mov_b32_e32 v134, 0x623fde64
	v_mov_b32_e32 v135, 0x3ec71dee
	v_fmac_f64_e32 v[134:135], v[32:33], v[34:35]
	v_mov_b32_e32 v34, 0x7c89e6b0
	v_mov_b32_e32 v35, 0x3efa0199
	;; [unrolled: 3-line block ×8, first 2 shown]
	s_mov_b32 s26, 0
	v_fmac_f64_e32 v[34:35], v[32:33], v[134:135]
	s_mov_b32 s27, 0x40900000
	v_fma_f64 v[34:35], v[32:33], v[34:35], 1.0
	v_cmp_nlt_f64_e32 vcc, s[26:27], v[6:7]
	s_mov_b32 s26, 0
	v_fma_f64 v[32:33], v[32:33], v[34:35], 1.0
	v_cvt_i32_f64_e32 v8, v[8:9]
	s_mov_b32 s27, 0xc090cc00
	v_ldexp_f64 v[8:9], v[32:33], v8
	v_mov_b32_e32 v32, 0x7ff00000
	v_cmp_ngt_f64_e64 s[26:27], s[26:27], v[6:7]
	v_cndmask_b32_e32 v9, v32, v9, vcc
	s_and_b64 vcc, s[26:27], vcc
	v_cndmask_b32_e64 v7, 0, v9, s[26:27]
	v_cndmask_b32_e32 v6, 0, v8, vcc
	v_add_f64 v[8:9], v[6:7], 1.0
	v_add_f64 v[32:33], v[8:9], -1.0
	v_add_f64 v[34:35], v[32:33], -v[8:9]
	v_add_f64 v[34:35], v[34:35], 1.0
	v_add_f64 v[32:33], v[6:7], -v[32:33]
	s_mov_b32 s26, 0x55555555
	v_add_f64 v[32:33], v[32:33], v[34:35]
	v_frexp_mant_f64_e32 v[34:35], v[8:9]
	s_mov_b32 s27, 0x3fe55555
	v_frexp_exp_i32_f64_e32 v53, v[8:9]
	v_cmp_gt_f64_e32 vcc, s[26:27], v[34:35]
	s_mov_b32 s26, 0xbf559e2b
	s_mov_b32 s27, 0x3fc3ab76
	v_subbrev_co_u32_e32 v53, vcc, 0, v53, vcc
	v_sub_u32_e32 v34, 0, v53
	v_ldexp_f64 v[8:9], v[8:9], v34
	v_ldexp_f64 v[32:33], v[32:33], v34
	v_add_f64 v[34:35], v[8:9], -1.0
	v_add_f64 v[146:147], v[8:9], 1.0
	v_add_f64 v[134:135], v[34:35], 1.0
	v_add_f64 v[148:149], v[146:147], -1.0
	v_add_f64 v[134:135], v[8:9], -v[134:135]
	v_add_f64 v[8:9], v[8:9], -v[148:149]
	v_add_f64 v[8:9], v[32:33], v[8:9]
	v_add_f64 v[134:135], v[32:33], v[134:135]
	;; [unrolled: 1-line block ×3, first 2 shown]
	v_rcp_f64_e32 v[148:149], v[32:33]
	v_add_f64 v[144:145], v[34:35], v[134:135]
	v_add_f64 v[34:35], v[144:145], -v[34:35]
	v_add_f64 v[34:35], v[134:135], -v[34:35]
	;; [unrolled: 1-line block ×4, first 2 shown]
	v_fma_f64 v[134:135], -v[32:33], v[148:149], 1.0
	v_fmac_f64_e32 v[148:149], v[134:135], v[148:149]
	v_fma_f64 v[134:135], -v[32:33], v[148:149], 1.0
	v_fmac_f64_e32 v[148:149], v[134:135], v[148:149]
	v_mul_f64 v[134:135], v[144:145], v[148:149]
	v_mul_f64 v[146:147], v[32:33], v[134:135]
	v_fma_f64 v[150:151], v[134:135], v[32:33], -v[146:147]
	v_fmac_f64_e32 v[150:151], v[134:135], v[8:9]
	v_add_f64 v[160:161], v[146:147], v[150:151]
	v_add_f64 v[162:163], v[144:145], -v[160:161]
	v_add_f64 v[144:145], v[144:145], -v[162:163]
	;; [unrolled: 1-line block ×4, first 2 shown]
	v_add_f64 v[34:35], v[34:35], v[144:145]
	v_add_f64 v[144:145], v[146:147], -v[150:151]
	v_add_f64 v[34:35], v[144:145], v[34:35]
	v_add_f64 v[144:145], v[162:163], v[34:35]
	v_add_f64 v[146:147], v[162:163], -v[144:145]
	v_add_f64 v[34:35], v[34:35], v[146:147]
	v_mul_f64 v[146:147], v[148:149], v[144:145]
	v_mul_f64 v[150:151], v[32:33], v[146:147]
	v_fma_f64 v[32:33], v[146:147], v[32:33], -v[150:151]
	v_fmac_f64_e32 v[32:33], v[146:147], v[8:9]
	v_add_f64 v[8:9], v[150:151], v[32:33]
	v_add_f64 v[160:161], v[144:145], -v[8:9]
	v_add_f64 v[144:145], v[144:145], -v[160:161]
	;; [unrolled: 1-line block ×4, first 2 shown]
	v_add_f64 v[8:9], v[34:35], v[8:9]
	v_add_f64 v[32:33], v[150:151], -v[32:33]
	v_add_f64 v[8:9], v[32:33], v[8:9]
	v_add_f64 v[32:33], v[134:135], v[146:147]
	v_add_f64 v[8:9], v[160:161], v[8:9]
	v_add_f64 v[34:35], v[32:33], -v[134:135]
	v_mul_f64 v[8:9], v[148:149], v[8:9]
	v_add_f64 v[34:35], v[146:147], -v[34:35]
	v_add_f64 v[8:9], v[34:35], v[8:9]
	v_add_f64 v[34:35], v[32:33], v[8:9]
	v_add_f64 v[32:33], v[34:35], -v[32:33]
	v_add_f64 v[8:9], v[8:9], -v[32:33]
	v_mul_f64 v[32:33], v[34:35], v[34:35]
	v_mov_b32_e32 v134, 0x6b47b09a
	v_mov_b32_e32 v135, 0x3fc38538
	v_fmac_f64_e32 v[134:135], s[26:27], v[32:33]
	v_mov_b32_e32 v144, 0xd7f4df2e
	v_mov_b32_e32 v145, 0x3fc7474d
	v_fmac_f64_e32 v[144:145], v[32:33], v[134:135]
	;; [unrolled: 3-line block ×6, first 2 shown]
	v_cvt_f64_i32_e32 v[134:135], v53
	s_mov_b32 s35, 0x3fe62e42
	v_mul_f64 v[146:147], v[134:135], s[34:35]
	v_fma_f64 v[148:149], v[134:135], s[34:35], -v[146:147]
	s_mov_b32 s37, 0x3c7abc9e
	v_fmac_f64_e32 v[148:149], s[36:37], v[134:135]
	v_add_f64 v[134:135], v[146:147], v[148:149]
	v_add_f64 v[146:147], v[134:135], -v[146:147]
	v_mul_f64 v[32:33], v[34:35], v[32:33]
	v_add_f64 v[146:147], v[148:149], -v[146:147]
	v_ldexp_f64 v[148:149], v[34:35], 1
	v_mul_f64 v[32:33], v[32:33], v[144:145]
	v_add_f64 v[34:35], v[148:149], v[32:33]
	v_add_f64 v[144:145], v[34:35], -v[148:149]
	v_ldexp_f64 v[8:9], v[8:9], 1
	v_add_f64 v[32:33], v[32:33], -v[144:145]
	v_add_f64 v[8:9], v[8:9], v[32:33]
	v_add_f64 v[32:33], v[34:35], v[8:9]
	v_add_f64 v[34:35], v[32:33], -v[34:35]
	v_add_f64 v[8:9], v[8:9], -v[34:35]
	v_add_f64 v[34:35], v[134:135], v[32:33]
	v_add_f64 v[144:145], v[34:35], -v[134:135]
	v_add_f64 v[148:149], v[34:35], -v[144:145]
	;; [unrolled: 1-line block ×4, first 2 shown]
	v_add_f64 v[32:33], v[32:33], v[134:135]
	v_add_f64 v[134:135], v[146:147], v[8:9]
	v_add_f64 v[144:145], v[134:135], -v[146:147]
	v_add_f64 v[32:33], v[134:135], v[32:33]
	v_add_f64 v[148:149], v[134:135], -v[144:145]
	;; [unrolled: 2-line block ×3, first 2 shown]
	v_add_f64 v[8:9], v[8:9], -v[144:145]
	v_add_f64 v[34:35], v[134:135], -v[34:35]
	v_add_f64 v[8:9], v[8:9], v[146:147]
	v_add_f64 v[32:33], v[32:33], -v[34:35]
	s_mov_b32 s26, 0
	v_add_f64 v[8:9], v[8:9], v[32:33]
	s_mov_b32 s27, 0x7ff00000
	v_add_f64 v[8:9], v[134:135], v[8:9]
	v_cmp_eq_f64_e32 vcc, s[26:27], v[6:7]
	v_mov_b32_e32 v32, 0x7ff80000
	s_nop 0
	v_cndmask_b32_e32 v8, v8, v6, vcc
	v_cndmask_b32_e32 v9, v9, v7, vcc
	v_cmp_ngt_f64_e32 vcc, -1.0, v[6:7]
	s_nop 1
	v_cndmask_b32_e32 v9, v32, v9, vcc
	v_cmp_nge_f64_e32 vcc, -1.0, v[6:7]
	v_mov_b32_e32 v32, 0xfff00000
	s_nop 0
	v_cndmask_b32_e32 v8, 0, v8, vcc
	v_cmp_neq_f64_e32 vcc, -1.0, v[6:7]
	s_nop 1
	v_cndmask_b32_e32 v9, v32, v9, vcc
	v_add_f64 v[134:135], v[4:5], v[8:9]
.LBB50_59:
	s_or_b64 exec, exec, s[28:29]
	v_max_f64 v[32:33], v[68:69], v[68:69]
	v_max_f64 v[4:5], v[134:135], v[134:135]
	v_min_f64 v[6:7], v[4:5], v[32:33]
	v_cmp_u_f64_e32 vcc, v[134:135], v[134:135]
	v_max_f64 v[4:5], v[4:5], v[32:33]
	v_cmp_u_f64_e64 s[26:27], v[68:69], v[68:69]
	v_cndmask_b32_e32 v6, v6, v134, vcc
	v_cndmask_b32_e32 v7, v7, v135, vcc
	v_cndmask_b32_e32 v4, v4, v134, vcc
	v_cndmask_b32_e32 v5, v5, v135, vcc
	v_cndmask_b32_e64 v7, v7, v69, s[26:27]
	v_cndmask_b32_e64 v6, v6, v68, s[26:27]
	;; [unrolled: 1-line block ×4, first 2 shown]
	v_cmp_neq_f64_e32 vcc, v[6:7], v[4:5]
	v_cmp_class_f64_e64 s[28:29], v[6:7], s13
	s_or_b64 s[28:29], vcc, s[28:29]
	s_and_saveexec_b64 s[34:35], s[28:29]
	s_cbranch_execz .LBB50_61
; %bb.60:
	s_mov_b32 s28, 0x652b82fe
	v_add_f64 v[6:7], v[6:7], -v[4:5]
	s_mov_b32 s29, 0x3ff71547
	v_mul_f64 v[8:9], v[6:7], s[28:29]
	v_rndne_f64_e32 v[8:9], v[8:9]
	s_mov_b32 s37, 0xbfe62e42
	s_mov_b32 s36, 0xfefa39ef
	v_fma_f64 v[34:35], s[36:37], v[8:9], v[6:7]
	s_mov_b32 s39, 0xbc7abc9e
	s_mov_b32 s38, 0x3b39803f
	;; [unrolled: 1-line block ×3, first 2 shown]
	v_fmac_f64_e32 v[34:35], s[38:39], v[8:9]
	v_mov_b32_e32 v134, 0xfca7ab0c
	v_mov_b32_e32 v135, 0x3e928af3
	s_mov_b32 s29, 0x3e5ade15
	v_fmac_f64_e32 v[134:135], s[28:29], v[34:35]
	v_mov_b32_e32 v144, 0x623fde64
	v_mov_b32_e32 v145, 0x3ec71dee
	v_fmac_f64_e32 v[144:145], v[34:35], v[134:135]
	v_mov_b32_e32 v134, 0x7c89e6b0
	v_mov_b32_e32 v135, 0x3efa0199
	;; [unrolled: 3-line block ×8, first 2 shown]
	s_mov_b32 s28, 0
	v_fmac_f64_e32 v[134:135], v[34:35], v[144:145]
	s_mov_b32 s29, 0x40900000
	v_fma_f64 v[134:135], v[34:35], v[134:135], 1.0
	v_cmp_nlt_f64_e32 vcc, s[28:29], v[6:7]
	s_mov_b32 s28, 0
	v_fma_f64 v[34:35], v[34:35], v[134:135], 1.0
	v_cvt_i32_f64_e32 v8, v[8:9]
	s_mov_b32 s29, 0xc090cc00
	v_ldexp_f64 v[8:9], v[34:35], v8
	v_mov_b32_e32 v34, 0x7ff00000
	v_cmp_ngt_f64_e64 s[28:29], s[28:29], v[6:7]
	v_cndmask_b32_e32 v9, v34, v9, vcc
	s_and_b64 vcc, s[28:29], vcc
	v_cndmask_b32_e64 v7, 0, v9, s[28:29]
	v_cndmask_b32_e32 v6, 0, v8, vcc
	v_add_f64 v[8:9], v[6:7], 1.0
	v_add_f64 v[34:35], v[8:9], -1.0
	v_add_f64 v[134:135], v[34:35], -v[8:9]
	v_add_f64 v[134:135], v[134:135], 1.0
	v_add_f64 v[34:35], v[6:7], -v[34:35]
	s_mov_b32 s28, 0x55555555
	v_add_f64 v[34:35], v[34:35], v[134:135]
	v_frexp_mant_f64_e32 v[134:135], v[8:9]
	s_mov_b32 s29, 0x3fe55555
	v_frexp_exp_i32_f64_e32 v53, v[8:9]
	v_cmp_gt_f64_e32 vcc, s[28:29], v[134:135]
	s_mov_b32 s28, 0xbf559e2b
	s_mov_b32 s29, 0x3fc3ab76
	v_subbrev_co_u32_e32 v53, vcc, 0, v53, vcc
	v_sub_u32_e32 v71, 0, v53
	v_ldexp_f64 v[8:9], v[8:9], v71
	v_add_f64 v[134:135], v[8:9], -1.0
	v_add_f64 v[148:149], v[8:9], 1.0
	v_add_f64 v[144:145], v[134:135], 1.0
	v_add_f64 v[150:151], v[148:149], -1.0
	v_ldexp_f64 v[34:35], v[34:35], v71
	v_add_f64 v[144:145], v[8:9], -v[144:145]
	v_add_f64 v[8:9], v[8:9], -v[150:151]
	v_add_f64 v[8:9], v[34:35], v[8:9]
	v_add_f64 v[144:145], v[34:35], v[144:145]
	;; [unrolled: 1-line block ×3, first 2 shown]
	v_rcp_f64_e32 v[150:151], v[34:35]
	v_add_f64 v[146:147], v[134:135], v[144:145]
	v_add_f64 v[134:135], v[146:147], -v[134:135]
	v_add_f64 v[134:135], v[144:145], -v[134:135]
	;; [unrolled: 1-line block ×4, first 2 shown]
	v_fma_f64 v[144:145], -v[34:35], v[150:151], 1.0
	v_fmac_f64_e32 v[150:151], v[144:145], v[150:151]
	v_fma_f64 v[144:145], -v[34:35], v[150:151], 1.0
	v_fmac_f64_e32 v[150:151], v[144:145], v[150:151]
	v_mul_f64 v[144:145], v[146:147], v[150:151]
	v_mul_f64 v[148:149], v[34:35], v[144:145]
	v_fma_f64 v[160:161], v[144:145], v[34:35], -v[148:149]
	v_fmac_f64_e32 v[160:161], v[144:145], v[8:9]
	v_add_f64 v[162:163], v[148:149], v[160:161]
	v_add_f64 v[164:165], v[146:147], -v[162:163]
	v_add_f64 v[146:147], v[146:147], -v[164:165]
	;; [unrolled: 1-line block ×4, first 2 shown]
	v_add_f64 v[134:135], v[134:135], v[146:147]
	v_add_f64 v[146:147], v[148:149], -v[160:161]
	v_add_f64 v[134:135], v[146:147], v[134:135]
	v_add_f64 v[146:147], v[164:165], v[134:135]
	v_add_f64 v[148:149], v[164:165], -v[146:147]
	v_add_f64 v[134:135], v[134:135], v[148:149]
	v_mul_f64 v[148:149], v[150:151], v[146:147]
	v_mul_f64 v[160:161], v[34:35], v[148:149]
	v_fma_f64 v[34:35], v[148:149], v[34:35], -v[160:161]
	v_fmac_f64_e32 v[34:35], v[148:149], v[8:9]
	v_add_f64 v[8:9], v[160:161], v[34:35]
	v_add_f64 v[162:163], v[146:147], -v[8:9]
	v_add_f64 v[146:147], v[146:147], -v[162:163]
	v_add_f64 v[160:161], v[8:9], -v[160:161]
	v_add_f64 v[8:9], v[146:147], -v[8:9]
	v_add_f64 v[8:9], v[134:135], v[8:9]
	v_add_f64 v[34:35], v[160:161], -v[34:35]
	v_add_f64 v[8:9], v[34:35], v[8:9]
	v_add_f64 v[34:35], v[144:145], v[148:149]
	;; [unrolled: 1-line block ×3, first 2 shown]
	v_add_f64 v[134:135], v[34:35], -v[144:145]
	v_mul_f64 v[8:9], v[150:151], v[8:9]
	v_add_f64 v[134:135], v[148:149], -v[134:135]
	v_add_f64 v[8:9], v[134:135], v[8:9]
	v_add_f64 v[134:135], v[34:35], v[8:9]
	v_add_f64 v[34:35], v[134:135], -v[34:35]
	v_add_f64 v[8:9], v[8:9], -v[34:35]
	v_mul_f64 v[34:35], v[134:135], v[134:135]
	v_mov_b32_e32 v144, 0x6b47b09a
	v_mov_b32_e32 v145, 0x3fc38538
	v_fmac_f64_e32 v[144:145], s[28:29], v[34:35]
	v_mov_b32_e32 v146, 0xd7f4df2e
	v_mov_b32_e32 v147, 0x3fc7474d
	v_fmac_f64_e32 v[146:147], v[34:35], v[144:145]
	;; [unrolled: 3-line block ×6, first 2 shown]
	v_cvt_f64_i32_e32 v[144:145], v53
	s_mov_b32 s37, 0x3fe62e42
	v_mul_f64 v[148:149], v[144:145], s[36:37]
	v_fma_f64 v[150:151], v[144:145], s[36:37], -v[148:149]
	s_mov_b32 s39, 0x3c7abc9e
	v_fmac_f64_e32 v[150:151], s[38:39], v[144:145]
	v_add_f64 v[144:145], v[148:149], v[150:151]
	v_add_f64 v[148:149], v[144:145], -v[148:149]
	v_mul_f64 v[34:35], v[134:135], v[34:35]
	v_add_f64 v[148:149], v[150:151], -v[148:149]
	v_ldexp_f64 v[150:151], v[134:135], 1
	v_mul_f64 v[34:35], v[34:35], v[146:147]
	v_add_f64 v[134:135], v[150:151], v[34:35]
	v_add_f64 v[146:147], v[134:135], -v[150:151]
	v_ldexp_f64 v[8:9], v[8:9], 1
	v_add_f64 v[34:35], v[34:35], -v[146:147]
	v_add_f64 v[8:9], v[8:9], v[34:35]
	v_add_f64 v[34:35], v[134:135], v[8:9]
	v_add_f64 v[134:135], v[34:35], -v[134:135]
	v_add_f64 v[8:9], v[8:9], -v[134:135]
	v_add_f64 v[134:135], v[144:145], v[34:35]
	v_add_f64 v[146:147], v[134:135], -v[144:145]
	v_add_f64 v[150:151], v[134:135], -v[146:147]
	v_add_f64 v[144:145], v[144:145], -v[150:151]
	v_add_f64 v[34:35], v[34:35], -v[146:147]
	v_add_f64 v[34:35], v[34:35], v[144:145]
	v_add_f64 v[144:145], v[148:149], v[8:9]
	v_add_f64 v[146:147], v[144:145], -v[148:149]
	v_add_f64 v[34:35], v[144:145], v[34:35]
	v_add_f64 v[150:151], v[144:145], -v[146:147]
	;; [unrolled: 2-line block ×3, first 2 shown]
	v_add_f64 v[8:9], v[8:9], -v[146:147]
	v_add_f64 v[134:135], v[144:145], -v[134:135]
	v_add_f64 v[8:9], v[8:9], v[148:149]
	v_add_f64 v[34:35], v[34:35], -v[134:135]
	s_mov_b32 s28, 0
	v_add_f64 v[8:9], v[8:9], v[34:35]
	s_mov_b32 s29, 0x7ff00000
	v_add_f64 v[8:9], v[144:145], v[8:9]
	v_cmp_eq_f64_e32 vcc, s[28:29], v[6:7]
	v_mov_b32_e32 v34, 0x7ff80000
	s_nop 0
	v_cndmask_b32_e32 v8, v8, v6, vcc
	v_cndmask_b32_e32 v9, v9, v7, vcc
	v_cmp_ngt_f64_e32 vcc, -1.0, v[6:7]
	s_nop 1
	v_cndmask_b32_e32 v9, v34, v9, vcc
	v_cmp_nge_f64_e32 vcc, -1.0, v[6:7]
	v_mov_b32_e32 v34, 0xfff00000
	s_nop 0
	v_cndmask_b32_e32 v8, 0, v8, vcc
	v_cmp_neq_f64_e32 vcc, -1.0, v[6:7]
	s_nop 1
	v_cndmask_b32_e32 v9, v34, v9, vcc
	v_add_f64 v[134:135], v[4:5], v[8:9]
.LBB50_61:
	s_or_b64 exec, exec, s[34:35]
	v_max_f64 v[34:35], v[128:129], v[128:129]
	v_max_f64 v[4:5], v[134:135], v[134:135]
	v_min_f64 v[6:7], v[4:5], v[34:35]
	v_cmp_u_f64_e32 vcc, v[134:135], v[134:135]
	v_max_f64 v[4:5], v[4:5], v[34:35]
	v_cmp_u_f64_e64 s[28:29], v[128:129], v[128:129]
	v_cndmask_b32_e32 v6, v6, v134, vcc
	v_cndmask_b32_e32 v7, v7, v135, vcc
	;; [unrolled: 1-line block ×4, first 2 shown]
	v_cndmask_b32_e64 v7, v7, v129, s[28:29]
	v_cndmask_b32_e64 v6, v6, v128, s[28:29]
	;; [unrolled: 1-line block ×4, first 2 shown]
	v_cmp_neq_f64_e32 vcc, v[6:7], v[4:5]
	v_cmp_class_f64_e64 s[34:35], v[6:7], s13
	s_or_b64 vcc, vcc, s[34:35]
	s_and_saveexec_b64 s[36:37], vcc
	s_cbranch_execz .LBB50_63
; %bb.62:
	s_mov_b32 vcc_lo, 0x652b82fe
	v_add_f64 v[6:7], v[6:7], -v[4:5]
	s_mov_b32 vcc_hi, 0x3ff71547
	v_mul_f64 v[8:9], v[6:7], vcc
	v_rndne_f64_e32 v[8:9], v[8:9]
	s_mov_b32 s39, 0xbfe62e42
	s_mov_b32 s38, 0xfefa39ef
	v_fma_f64 v[134:135], s[38:39], v[8:9], v[6:7]
	s_mov_b32 s41, 0xbc7abc9e
	s_mov_b32 s40, 0x3b39803f
	s_mov_b32 vcc_lo, 0x6a5dcb37
	v_fmac_f64_e32 v[134:135], s[40:41], v[8:9]
	v_mov_b32_e32 v144, 0xfca7ab0c
	v_mov_b32_e32 v145, 0x3e928af3
	s_mov_b32 vcc_hi, 0x3e5ade15
	v_fmac_f64_e32 v[144:145], vcc, v[134:135]
	v_mov_b32_e32 v146, 0x623fde64
	v_mov_b32_e32 v147, 0x3ec71dee
	v_fmac_f64_e32 v[146:147], v[134:135], v[144:145]
	v_mov_b32_e32 v144, 0x7c89e6b0
	v_mov_b32_e32 v145, 0x3efa0199
	v_fmac_f64_e32 v[144:145], v[134:135], v[146:147]
	v_mov_b32_e32 v146, 0x14761f6e
	v_mov_b32_e32 v147, 0x3f2a01a0
	v_fmac_f64_e32 v[146:147], v[134:135], v[144:145]
	v_mov_b32_e32 v144, 0x1852b7b0
	v_mov_b32_e32 v145, 0x3f56c16c
	v_fmac_f64_e32 v[144:145], v[134:135], v[146:147]
	v_mov_b32_e32 v146, 0x11122322
	v_mov_b32_e32 v147, 0x3f811111
	v_fmac_f64_e32 v[146:147], v[134:135], v[144:145]
	v_mov_b32_e32 v144, 0x555502a1
	v_mov_b32_e32 v145, 0x3fa55555
	v_fmac_f64_e32 v[144:145], v[134:135], v[146:147]
	v_mov_b32_e32 v146, 0x55555511
	v_mov_b32_e32 v147, 0x3fc55555
	v_fmac_f64_e32 v[146:147], v[134:135], v[144:145]
	v_mov_b32_e32 v144, 11
	v_mov_b32_e32 v145, 0x3fe00000
	v_fmac_f64_e32 v[144:145], v[134:135], v[146:147]
	v_fma_f64 v[144:145], v[134:135], v[144:145], 1.0
	s_mov_b32 vcc_lo, 0
	s_mov_b32 s34, 0
	v_fma_f64 v[134:135], v[134:135], v[144:145], 1.0
	v_cvt_i32_f64_e32 v8, v[8:9]
	s_mov_b32 vcc_hi, 0x40900000
	s_mov_b32 s35, 0xc090cc00
	v_ldexp_f64 v[8:9], v[134:135], v8
	v_mov_b32_e32 v53, 0x7ff00000
	v_cmp_nlt_f64_e32 vcc, vcc, v[6:7]
	v_cmp_ngt_f64_e64 s[34:35], s[34:35], v[6:7]
	s_mov_b32 s39, 0x3fe62e42
	v_cndmask_b32_e32 v9, v53, v9, vcc
	s_and_b64 vcc, s[34:35], vcc
	v_cndmask_b32_e64 v7, 0, v9, s[34:35]
	v_cndmask_b32_e32 v6, 0, v8, vcc
	v_add_f64 v[8:9], v[6:7], 1.0
	v_add_f64 v[134:135], v[8:9], -1.0
	v_add_f64 v[144:145], v[134:135], -v[8:9]
	v_add_f64 v[144:145], v[144:145], 1.0
	v_add_f64 v[134:135], v[6:7], -v[134:135]
	s_mov_b32 vcc_lo, 0x55555555
	v_add_f64 v[134:135], v[134:135], v[144:145]
	v_frexp_mant_f64_e32 v[144:145], v[8:9]
	s_mov_b32 vcc_hi, 0x3fe55555
	v_frexp_exp_i32_f64_e32 v53, v[8:9]
	v_cmp_gt_f64_e32 vcc, vcc, v[144:145]
	s_mov_b32 s41, 0x3c7abc9e
	s_nop 0
	v_subbrev_co_u32_e32 v53, vcc, 0, v53, vcc
	v_sub_u32_e32 v71, 0, v53
	v_ldexp_f64 v[8:9], v[8:9], v71
	v_add_f64 v[144:145], v[8:9], -1.0
	v_add_f64 v[150:151], v[8:9], 1.0
	v_add_f64 v[146:147], v[144:145], 1.0
	v_add_f64 v[160:161], v[150:151], -1.0
	v_ldexp_f64 v[134:135], v[134:135], v71
	v_add_f64 v[146:147], v[8:9], -v[146:147]
	v_add_f64 v[8:9], v[8:9], -v[160:161]
	v_add_f64 v[8:9], v[134:135], v[8:9]
	v_add_f64 v[146:147], v[134:135], v[146:147]
	v_add_f64 v[134:135], v[150:151], v[8:9]
	v_rcp_f64_e32 v[160:161], v[134:135]
	v_add_f64 v[148:149], v[144:145], v[146:147]
	v_add_f64 v[144:145], v[148:149], -v[144:145]
	v_add_f64 v[144:145], v[146:147], -v[144:145]
	;; [unrolled: 1-line block ×4, first 2 shown]
	v_fma_f64 v[146:147], -v[134:135], v[160:161], 1.0
	v_fmac_f64_e32 v[160:161], v[146:147], v[160:161]
	v_fma_f64 v[146:147], -v[134:135], v[160:161], 1.0
	v_fmac_f64_e32 v[160:161], v[146:147], v[160:161]
	v_mul_f64 v[146:147], v[148:149], v[160:161]
	v_mul_f64 v[150:151], v[134:135], v[146:147]
	v_fma_f64 v[162:163], v[146:147], v[134:135], -v[150:151]
	v_fmac_f64_e32 v[162:163], v[146:147], v[8:9]
	v_add_f64 v[164:165], v[150:151], v[162:163]
	v_add_f64 v[166:167], v[148:149], -v[164:165]
	v_add_f64 v[148:149], v[148:149], -v[166:167]
	;; [unrolled: 1-line block ×4, first 2 shown]
	v_add_f64 v[144:145], v[144:145], v[148:149]
	v_add_f64 v[148:149], v[150:151], -v[162:163]
	v_add_f64 v[144:145], v[148:149], v[144:145]
	v_add_f64 v[148:149], v[166:167], v[144:145]
	v_add_f64 v[150:151], v[166:167], -v[148:149]
	v_add_f64 v[144:145], v[144:145], v[150:151]
	v_mul_f64 v[150:151], v[160:161], v[148:149]
	v_mul_f64 v[162:163], v[134:135], v[150:151]
	v_fma_f64 v[134:135], v[150:151], v[134:135], -v[162:163]
	v_fmac_f64_e32 v[134:135], v[150:151], v[8:9]
	v_add_f64 v[8:9], v[162:163], v[134:135]
	v_add_f64 v[164:165], v[148:149], -v[8:9]
	v_add_f64 v[148:149], v[148:149], -v[164:165]
	;; [unrolled: 1-line block ×4, first 2 shown]
	v_add_f64 v[8:9], v[144:145], v[8:9]
	v_add_f64 v[134:135], v[162:163], -v[134:135]
	v_add_f64 v[8:9], v[134:135], v[8:9]
	v_add_f64 v[134:135], v[146:147], v[150:151]
	;; [unrolled: 1-line block ×3, first 2 shown]
	v_add_f64 v[144:145], v[134:135], -v[146:147]
	v_mul_f64 v[8:9], v[160:161], v[8:9]
	v_add_f64 v[144:145], v[150:151], -v[144:145]
	v_add_f64 v[8:9], v[144:145], v[8:9]
	v_add_f64 v[144:145], v[134:135], v[8:9]
	v_add_f64 v[134:135], v[144:145], -v[134:135]
	s_mov_b32 vcc_lo, 0xbf559e2b
	v_add_f64 v[8:9], v[8:9], -v[134:135]
	v_mul_f64 v[134:135], v[144:145], v[144:145]
	v_mov_b32_e32 v146, 0x6b47b09a
	v_mov_b32_e32 v147, 0x3fc38538
	s_mov_b32 vcc_hi, 0x3fc3ab76
	v_fmac_f64_e32 v[146:147], vcc, v[134:135]
	v_mov_b32_e32 v148, 0xd7f4df2e
	v_mov_b32_e32 v149, 0x3fc7474d
	v_fmac_f64_e32 v[148:149], v[134:135], v[146:147]
	v_mov_b32_e32 v146, 0x16291751
	v_mov_b32_e32 v147, 0x3fcc71c0
	v_fmac_f64_e32 v[146:147], v[134:135], v[148:149]
	v_mov_b32_e32 v148, 0x9b27acf1
	v_mov_b32_e32 v149, 0x3fd24924
	v_fmac_f64_e32 v[148:149], v[134:135], v[146:147]
	v_mov_b32_e32 v146, 0x998ef7b6
	v_mov_b32_e32 v147, 0x3fd99999
	v_fmac_f64_e32 v[146:147], v[134:135], v[148:149]
	v_mov_b32_e32 v148, 0x55555780
	v_mov_b32_e32 v149, 0x3fe55555
	v_fmac_f64_e32 v[148:149], v[134:135], v[146:147]
	v_cvt_f64_i32_e32 v[146:147], v53
	v_mul_f64 v[150:151], v[146:147], s[38:39]
	v_fma_f64 v[160:161], v[146:147], s[38:39], -v[150:151]
	v_fmac_f64_e32 v[160:161], s[40:41], v[146:147]
	v_add_f64 v[146:147], v[150:151], v[160:161]
	v_add_f64 v[150:151], v[146:147], -v[150:151]
	v_mul_f64 v[134:135], v[144:145], v[134:135]
	v_add_f64 v[150:151], v[160:161], -v[150:151]
	v_ldexp_f64 v[160:161], v[144:145], 1
	v_mul_f64 v[134:135], v[134:135], v[148:149]
	v_add_f64 v[144:145], v[160:161], v[134:135]
	v_add_f64 v[148:149], v[144:145], -v[160:161]
	v_ldexp_f64 v[8:9], v[8:9], 1
	v_add_f64 v[134:135], v[134:135], -v[148:149]
	v_add_f64 v[8:9], v[8:9], v[134:135]
	v_add_f64 v[134:135], v[144:145], v[8:9]
	v_add_f64 v[144:145], v[134:135], -v[144:145]
	v_add_f64 v[8:9], v[8:9], -v[144:145]
	v_add_f64 v[144:145], v[146:147], v[134:135]
	v_add_f64 v[148:149], v[144:145], -v[146:147]
	v_add_f64 v[160:161], v[144:145], -v[148:149]
	;; [unrolled: 1-line block ×4, first 2 shown]
	v_add_f64 v[134:135], v[134:135], v[146:147]
	v_add_f64 v[146:147], v[150:151], v[8:9]
	v_add_f64 v[148:149], v[146:147], -v[150:151]
	v_add_f64 v[134:135], v[146:147], v[134:135]
	v_add_f64 v[160:161], v[146:147], -v[148:149]
	;; [unrolled: 2-line block ×3, first 2 shown]
	v_add_f64 v[8:9], v[8:9], -v[148:149]
	v_add_f64 v[144:145], v[146:147], -v[144:145]
	v_add_f64 v[8:9], v[8:9], v[150:151]
	v_add_f64 v[134:135], v[134:135], -v[144:145]
	s_mov_b32 vcc_lo, 0
	v_add_f64 v[8:9], v[8:9], v[134:135]
	s_mov_b32 vcc_hi, 0x7ff00000
	v_add_f64 v[8:9], v[146:147], v[8:9]
	v_cmp_eq_f64_e32 vcc, vcc, v[6:7]
	v_mov_b32_e32 v53, 0x7ff80000
	s_nop 0
	v_cndmask_b32_e32 v8, v8, v6, vcc
	v_cndmask_b32_e32 v9, v9, v7, vcc
	v_cmp_ngt_f64_e32 vcc, -1.0, v[6:7]
	s_nop 1
	v_cndmask_b32_e32 v9, v53, v9, vcc
	v_cmp_nge_f64_e32 vcc, -1.0, v[6:7]
	v_mov_b32_e32 v53, 0xfff00000
	s_nop 0
	v_cndmask_b32_e32 v8, 0, v8, vcc
	v_cmp_neq_f64_e32 vcc, -1.0, v[6:7]
	s_nop 1
	v_cndmask_b32_e32 v9, v53, v9, vcc
	v_add_f64 v[134:135], v[4:5], v[8:9]
.LBB50_63:
	s_or_b64 exec, exec, s[36:37]
	v_lshrrev_b32_e32 v4, 5, v70
	v_add_lshl_u32 v4, v4, v70, 3
	v_cmp_gt_u32_e32 vcc, 64, v70
	ds_write_b64 v4, v[134:135]
	s_waitcnt lgkmcnt(0)
	s_barrier
	s_and_saveexec_b64 s[40:41], vcc
	s_cbranch_execz .LBB50_103
; %bb.64:
	v_lshlrev_b32_e32 v4, 2, v70
	v_lshrrev_b32_e32 v5, 3, v70
	v_add_lshl_u32 v53, v5, v4, 3
	ds_read2_b64 v[4:7], v53 offset1:1
	s_waitcnt lgkmcnt(0)
	v_max_f64 v[144:145], v[6:7], v[6:7]
	v_max_f64 v[8:9], v[4:5], v[4:5]
	v_min_f64 v[146:147], v[8:9], v[144:145]
	v_cmp_u_f64_e64 s[34:35], v[4:5], v[4:5]
	v_cmp_u_f64_e64 s[36:37], v[6:7], v[6:7]
	v_max_f64 v[144:145], v[8:9], v[144:145]
	v_cndmask_b32_e64 v71, v146, v4, s[34:35]
	v_cndmask_b32_e64 v146, v147, v5, s[34:35]
	;; [unrolled: 1-line block ×8, first 2 shown]
	v_cmp_neq_f64_e64 s[36:37], v[146:147], v[144:145]
	v_cmp_class_f64_e64 s[38:39], v[146:147], s13
	s_or_b64 s[36:37], s[36:37], s[38:39]
	v_mov_b64_e32 v[6:7], v[4:5]
	s_and_saveexec_b64 s[44:45], s[36:37]
	s_cbranch_execz .LBB50_66
; %bb.65:
	s_mov_b32 s36, 0x652b82fe
	v_add_f64 v[6:7], v[146:147], -v[144:145]
	s_mov_b32 s37, 0x3ff71547
	v_mul_f64 v[146:147], v[6:7], s[36:37]
	v_rndne_f64_e32 v[146:147], v[146:147]
	s_mov_b32 s49, 0xbfe62e42
	s_mov_b32 s48, 0xfefa39ef
	v_fma_f64 v[148:149], s[48:49], v[146:147], v[6:7]
	s_mov_b32 s51, 0xbc7abc9e
	s_mov_b32 s50, 0x3b39803f
	;; [unrolled: 1-line block ×3, first 2 shown]
	v_fmac_f64_e32 v[148:149], s[50:51], v[146:147]
	v_mov_b32_e32 v150, 0xfca7ab0c
	v_mov_b32_e32 v151, 0x3e928af3
	s_mov_b32 s37, 0x3e5ade15
	v_fmac_f64_e32 v[150:151], s[36:37], v[148:149]
	v_mov_b32_e32 v160, 0x623fde64
	v_mov_b32_e32 v161, 0x3ec71dee
	v_fmac_f64_e32 v[160:161], v[148:149], v[150:151]
	v_mov_b32_e32 v150, 0x7c89e6b0
	v_mov_b32_e32 v151, 0x3efa0199
	;; [unrolled: 3-line block ×8, first 2 shown]
	v_fmac_f64_e32 v[150:151], v[148:149], v[160:161]
	v_fma_f64 v[150:151], v[148:149], v[150:151], 1.0
	s_mov_b32 s36, 0
	s_mov_b32 s38, 0
	v_fma_f64 v[148:149], v[148:149], v[150:151], 1.0
	v_cvt_i32_f64_e32 v71, v[146:147]
	s_mov_b32 s37, 0x40900000
	s_mov_b32 s39, 0xc090cc00
	v_ldexp_f64 v[146:147], v[148:149], v71
	v_mov_b32_e32 v71, 0x7ff00000
	v_cmp_nlt_f64_e64 s[36:37], s[36:37], v[6:7]
	v_cmp_ngt_f64_e64 s[38:39], s[38:39], v[6:7]
	s_mov_b32 s49, 0x3fe62e42
	v_cndmask_b32_e64 v71, v71, v147, s[36:37]
	s_and_b64 s[36:37], s[38:39], s[36:37]
	v_cndmask_b32_e64 v7, 0, v71, s[38:39]
	v_cndmask_b32_e64 v6, 0, v146, s[36:37]
	v_add_f64 v[146:147], v[6:7], 1.0
	v_add_f64 v[148:149], v[146:147], -1.0
	v_add_f64 v[150:151], v[148:149], -v[146:147]
	v_add_f64 v[150:151], v[150:151], 1.0
	v_add_f64 v[148:149], v[6:7], -v[148:149]
	s_mov_b32 s36, 0x55555555
	v_add_f64 v[148:149], v[148:149], v[150:151]
	v_frexp_mant_f64_e32 v[150:151], v[146:147]
	s_mov_b32 s37, 0x3fe55555
	v_frexp_exp_i32_f64_e32 v71, v[146:147]
	v_cmp_gt_f64_e64 s[36:37], s[36:37], v[150:151]
	s_mov_b32 s51, 0x3c7abc9e
	s_nop 0
	v_subbrev_co_u32_e64 v71, s[36:37], 0, v71, s[36:37]
	v_sub_u32_e32 v150, 0, v71
	v_ldexp_f64 v[146:147], v[146:147], v150
	v_ldexp_f64 v[148:149], v[148:149], v150
	v_add_f64 v[150:151], v[146:147], -1.0
	v_add_f64 v[164:165], v[146:147], 1.0
	v_add_f64 v[160:161], v[150:151], 1.0
	v_add_f64 v[166:167], v[164:165], -1.0
	v_add_f64 v[160:161], v[146:147], -v[160:161]
	v_add_f64 v[146:147], v[146:147], -v[166:167]
	v_add_f64 v[146:147], v[148:149], v[146:147]
	v_add_f64 v[160:161], v[148:149], v[160:161]
	;; [unrolled: 1-line block ×3, first 2 shown]
	v_rcp_f64_e32 v[166:167], v[148:149]
	v_add_f64 v[162:163], v[150:151], v[160:161]
	v_add_f64 v[150:151], v[162:163], -v[150:151]
	v_add_f64 v[150:151], v[160:161], -v[150:151]
	v_add_f64 v[160:161], v[148:149], -v[164:165]
	v_add_f64 v[146:147], v[146:147], -v[160:161]
	v_fma_f64 v[160:161], -v[148:149], v[166:167], 1.0
	v_fmac_f64_e32 v[166:167], v[160:161], v[166:167]
	v_fma_f64 v[160:161], -v[148:149], v[166:167], 1.0
	v_fmac_f64_e32 v[166:167], v[160:161], v[166:167]
	v_mul_f64 v[160:161], v[162:163], v[166:167]
	v_mul_f64 v[164:165], v[148:149], v[160:161]
	v_fma_f64 v[176:177], v[160:161], v[148:149], -v[164:165]
	v_fmac_f64_e32 v[176:177], v[160:161], v[146:147]
	v_add_f64 v[178:179], v[164:165], v[176:177]
	v_add_f64 v[180:181], v[162:163], -v[178:179]
	v_add_f64 v[162:163], v[162:163], -v[180:181]
	;; [unrolled: 1-line block ×4, first 2 shown]
	v_add_f64 v[150:151], v[150:151], v[162:163]
	v_add_f64 v[162:163], v[164:165], -v[176:177]
	v_add_f64 v[150:151], v[162:163], v[150:151]
	v_add_f64 v[162:163], v[180:181], v[150:151]
	v_add_f64 v[164:165], v[180:181], -v[162:163]
	v_add_f64 v[150:151], v[150:151], v[164:165]
	v_mul_f64 v[164:165], v[166:167], v[162:163]
	v_mul_f64 v[176:177], v[148:149], v[164:165]
	v_fma_f64 v[148:149], v[164:165], v[148:149], -v[176:177]
	v_fmac_f64_e32 v[148:149], v[164:165], v[146:147]
	v_add_f64 v[146:147], v[176:177], v[148:149]
	v_add_f64 v[178:179], v[162:163], -v[146:147]
	v_add_f64 v[162:163], v[162:163], -v[178:179]
	;; [unrolled: 1-line block ×4, first 2 shown]
	v_add_f64 v[146:147], v[150:151], v[146:147]
	v_add_f64 v[148:149], v[176:177], -v[148:149]
	v_add_f64 v[146:147], v[148:149], v[146:147]
	v_add_f64 v[148:149], v[160:161], v[164:165]
	;; [unrolled: 1-line block ×3, first 2 shown]
	v_add_f64 v[150:151], v[148:149], -v[160:161]
	v_mul_f64 v[146:147], v[166:167], v[146:147]
	v_add_f64 v[150:151], v[164:165], -v[150:151]
	v_add_f64 v[146:147], v[150:151], v[146:147]
	v_add_f64 v[150:151], v[148:149], v[146:147]
	v_add_f64 v[148:149], v[150:151], -v[148:149]
	s_mov_b32 s36, 0xbf559e2b
	v_add_f64 v[146:147], v[146:147], -v[148:149]
	v_mul_f64 v[148:149], v[150:151], v[150:151]
	v_mov_b32_e32 v160, 0x6b47b09a
	v_mov_b32_e32 v161, 0x3fc38538
	s_mov_b32 s37, 0x3fc3ab76
	v_fmac_f64_e32 v[160:161], s[36:37], v[148:149]
	v_mov_b32_e32 v162, 0xd7f4df2e
	v_mov_b32_e32 v163, 0x3fc7474d
	v_fmac_f64_e32 v[162:163], v[148:149], v[160:161]
	v_mov_b32_e32 v160, 0x16291751
	v_mov_b32_e32 v161, 0x3fcc71c0
	;; [unrolled: 3-line block ×5, first 2 shown]
	v_fmac_f64_e32 v[162:163], v[148:149], v[160:161]
	v_cvt_f64_i32_e32 v[160:161], v71
	v_mul_f64 v[164:165], v[160:161], s[48:49]
	v_fma_f64 v[166:167], v[160:161], s[48:49], -v[164:165]
	v_fmac_f64_e32 v[166:167], s[50:51], v[160:161]
	v_add_f64 v[160:161], v[164:165], v[166:167]
	v_add_f64 v[164:165], v[160:161], -v[164:165]
	v_mul_f64 v[148:149], v[150:151], v[148:149]
	v_add_f64 v[164:165], v[166:167], -v[164:165]
	v_ldexp_f64 v[166:167], v[150:151], 1
	v_mul_f64 v[148:149], v[148:149], v[162:163]
	v_add_f64 v[150:151], v[166:167], v[148:149]
	v_add_f64 v[162:163], v[150:151], -v[166:167]
	v_ldexp_f64 v[146:147], v[146:147], 1
	v_add_f64 v[148:149], v[148:149], -v[162:163]
	v_add_f64 v[146:147], v[146:147], v[148:149]
	v_add_f64 v[148:149], v[150:151], v[146:147]
	v_add_f64 v[150:151], v[148:149], -v[150:151]
	v_add_f64 v[146:147], v[146:147], -v[150:151]
	v_add_f64 v[150:151], v[160:161], v[148:149]
	v_add_f64 v[162:163], v[150:151], -v[160:161]
	v_add_f64 v[166:167], v[150:151], -v[162:163]
	;; [unrolled: 1-line block ×4, first 2 shown]
	v_add_f64 v[148:149], v[148:149], v[160:161]
	v_add_f64 v[160:161], v[164:165], v[146:147]
	v_add_f64 v[162:163], v[160:161], -v[164:165]
	v_add_f64 v[148:149], v[160:161], v[148:149]
	v_add_f64 v[166:167], v[160:161], -v[162:163]
	;; [unrolled: 2-line block ×3, first 2 shown]
	v_add_f64 v[146:147], v[146:147], -v[162:163]
	v_add_f64 v[150:151], v[160:161], -v[150:151]
	v_add_f64 v[146:147], v[146:147], v[164:165]
	v_add_f64 v[148:149], v[148:149], -v[150:151]
	s_mov_b32 s36, 0
	v_add_f64 v[146:147], v[146:147], v[148:149]
	s_mov_b32 s37, 0x7ff00000
	v_add_f64 v[146:147], v[160:161], v[146:147]
	v_cmp_eq_f64_e64 s[36:37], s[36:37], v[6:7]
	s_nop 1
	v_cndmask_b32_e64 v71, v146, v6, s[36:37]
	v_cndmask_b32_e64 v146, v147, v7, s[36:37]
	v_mov_b32_e32 v147, 0x7ff80000
	v_cmp_ngt_f64_e64 s[36:37], -1.0, v[6:7]
	s_nop 1
	v_cndmask_b32_e64 v147, v147, v146, s[36:37]
	v_cmp_nge_f64_e64 s[36:37], -1.0, v[6:7]
	s_nop 1
	v_cndmask_b32_e64 v146, 0, v71, s[36:37]
	v_mov_b32_e32 v71, 0xfff00000
	v_cmp_neq_f64_e64 s[36:37], -1.0, v[6:7]
	s_nop 1
	v_cndmask_b32_e64 v147, v71, v147, s[36:37]
	v_add_f64 v[6:7], v[144:145], v[146:147]
.LBB50_66:
	s_or_b64 exec, exec, s[44:45]
	ds_read_b64 v[144:145], v53 offset:16
	v_max_f64 v[148:149], v[6:7], v[6:7]
	v_cmp_u_f64_e64 s[36:37], v[6:7], v[6:7]
	s_waitcnt lgkmcnt(0)
	v_max_f64 v[150:151], v[144:145], v[144:145]
	v_min_f64 v[146:147], v[148:149], v[150:151]
	v_cndmask_b32_e64 v71, v146, v6, s[36:37]
	v_cndmask_b32_e64 v146, v147, v7, s[36:37]
	v_cmp_u_f64_e64 s[38:39], v[144:145], v[144:145]
	v_max_f64 v[148:149], v[148:149], v[150:151]
	s_nop 0
	v_cndmask_b32_e64 v147, v146, v145, s[38:39]
	v_cndmask_b32_e64 v146, v71, v144, s[38:39]
	;; [unrolled: 1-line block ×6, first 2 shown]
	v_cmp_neq_f64_e64 s[36:37], v[146:147], v[144:145]
	v_cmp_class_f64_e64 s[38:39], v[146:147], s13
	s_or_b64 s[36:37], s[36:37], s[38:39]
	s_and_saveexec_b64 s[44:45], s[36:37]
	s_cbranch_execz .LBB50_68
; %bb.67:
	s_mov_b32 s36, 0x652b82fe
	v_add_f64 v[6:7], v[146:147], -v[144:145]
	s_mov_b32 s37, 0x3ff71547
	v_mul_f64 v[146:147], v[6:7], s[36:37]
	v_rndne_f64_e32 v[146:147], v[146:147]
	s_mov_b32 s49, 0xbfe62e42
	s_mov_b32 s48, 0xfefa39ef
	v_fma_f64 v[148:149], s[48:49], v[146:147], v[6:7]
	s_mov_b32 s51, 0xbc7abc9e
	s_mov_b32 s50, 0x3b39803f
	;; [unrolled: 1-line block ×3, first 2 shown]
	v_fmac_f64_e32 v[148:149], s[50:51], v[146:147]
	v_mov_b32_e32 v150, 0xfca7ab0c
	v_mov_b32_e32 v151, 0x3e928af3
	s_mov_b32 s37, 0x3e5ade15
	v_fmac_f64_e32 v[150:151], s[36:37], v[148:149]
	v_mov_b32_e32 v160, 0x623fde64
	v_mov_b32_e32 v161, 0x3ec71dee
	v_fmac_f64_e32 v[160:161], v[148:149], v[150:151]
	v_mov_b32_e32 v150, 0x7c89e6b0
	v_mov_b32_e32 v151, 0x3efa0199
	;; [unrolled: 3-line block ×8, first 2 shown]
	v_fmac_f64_e32 v[150:151], v[148:149], v[160:161]
	v_fma_f64 v[150:151], v[148:149], v[150:151], 1.0
	s_mov_b32 s36, 0
	s_mov_b32 s38, 0
	v_fma_f64 v[148:149], v[148:149], v[150:151], 1.0
	v_cvt_i32_f64_e32 v71, v[146:147]
	s_mov_b32 s37, 0x40900000
	s_mov_b32 s39, 0xc090cc00
	v_ldexp_f64 v[146:147], v[148:149], v71
	v_mov_b32_e32 v71, 0x7ff00000
	v_cmp_nlt_f64_e64 s[36:37], s[36:37], v[6:7]
	v_cmp_ngt_f64_e64 s[38:39], s[38:39], v[6:7]
	s_mov_b32 s49, 0x3fe62e42
	v_cndmask_b32_e64 v71, v71, v147, s[36:37]
	s_and_b64 s[36:37], s[38:39], s[36:37]
	v_cndmask_b32_e64 v7, 0, v71, s[38:39]
	v_cndmask_b32_e64 v6, 0, v146, s[36:37]
	v_add_f64 v[146:147], v[6:7], 1.0
	v_add_f64 v[148:149], v[146:147], -1.0
	v_add_f64 v[150:151], v[148:149], -v[146:147]
	v_add_f64 v[150:151], v[150:151], 1.0
	v_add_f64 v[148:149], v[6:7], -v[148:149]
	s_mov_b32 s36, 0x55555555
	v_add_f64 v[148:149], v[148:149], v[150:151]
	v_frexp_mant_f64_e32 v[150:151], v[146:147]
	s_mov_b32 s37, 0x3fe55555
	v_frexp_exp_i32_f64_e32 v71, v[146:147]
	v_cmp_gt_f64_e64 s[36:37], s[36:37], v[150:151]
	s_mov_b32 s51, 0x3c7abc9e
	s_nop 0
	v_subbrev_co_u32_e64 v71, s[36:37], 0, v71, s[36:37]
	v_sub_u32_e32 v150, 0, v71
	v_ldexp_f64 v[146:147], v[146:147], v150
	v_ldexp_f64 v[148:149], v[148:149], v150
	v_add_f64 v[150:151], v[146:147], -1.0
	v_add_f64 v[164:165], v[146:147], 1.0
	v_add_f64 v[160:161], v[150:151], 1.0
	v_add_f64 v[166:167], v[164:165], -1.0
	v_add_f64 v[160:161], v[146:147], -v[160:161]
	v_add_f64 v[146:147], v[146:147], -v[166:167]
	v_add_f64 v[146:147], v[148:149], v[146:147]
	v_add_f64 v[160:161], v[148:149], v[160:161]
	v_add_f64 v[148:149], v[164:165], v[146:147]
	v_rcp_f64_e32 v[166:167], v[148:149]
	v_add_f64 v[162:163], v[150:151], v[160:161]
	v_add_f64 v[150:151], v[162:163], -v[150:151]
	v_add_f64 v[150:151], v[160:161], -v[150:151]
	;; [unrolled: 1-line block ×4, first 2 shown]
	v_fma_f64 v[160:161], -v[148:149], v[166:167], 1.0
	v_fmac_f64_e32 v[166:167], v[160:161], v[166:167]
	v_fma_f64 v[160:161], -v[148:149], v[166:167], 1.0
	v_fmac_f64_e32 v[166:167], v[160:161], v[166:167]
	v_mul_f64 v[160:161], v[162:163], v[166:167]
	v_mul_f64 v[164:165], v[148:149], v[160:161]
	v_fma_f64 v[176:177], v[160:161], v[148:149], -v[164:165]
	v_fmac_f64_e32 v[176:177], v[160:161], v[146:147]
	v_add_f64 v[178:179], v[164:165], v[176:177]
	v_add_f64 v[180:181], v[162:163], -v[178:179]
	v_add_f64 v[162:163], v[162:163], -v[180:181]
	;; [unrolled: 1-line block ×4, first 2 shown]
	v_add_f64 v[150:151], v[150:151], v[162:163]
	v_add_f64 v[162:163], v[164:165], -v[176:177]
	v_add_f64 v[150:151], v[162:163], v[150:151]
	v_add_f64 v[162:163], v[180:181], v[150:151]
	v_add_f64 v[164:165], v[180:181], -v[162:163]
	v_add_f64 v[150:151], v[150:151], v[164:165]
	v_mul_f64 v[164:165], v[166:167], v[162:163]
	v_mul_f64 v[176:177], v[148:149], v[164:165]
	v_fma_f64 v[148:149], v[164:165], v[148:149], -v[176:177]
	v_fmac_f64_e32 v[148:149], v[164:165], v[146:147]
	v_add_f64 v[146:147], v[176:177], v[148:149]
	v_add_f64 v[178:179], v[162:163], -v[146:147]
	v_add_f64 v[162:163], v[162:163], -v[178:179]
	;; [unrolled: 1-line block ×4, first 2 shown]
	v_add_f64 v[146:147], v[150:151], v[146:147]
	v_add_f64 v[148:149], v[176:177], -v[148:149]
	v_add_f64 v[146:147], v[148:149], v[146:147]
	v_add_f64 v[148:149], v[160:161], v[164:165]
	;; [unrolled: 1-line block ×3, first 2 shown]
	v_add_f64 v[150:151], v[148:149], -v[160:161]
	v_mul_f64 v[146:147], v[166:167], v[146:147]
	v_add_f64 v[150:151], v[164:165], -v[150:151]
	v_add_f64 v[146:147], v[150:151], v[146:147]
	v_add_f64 v[150:151], v[148:149], v[146:147]
	v_add_f64 v[148:149], v[150:151], -v[148:149]
	s_mov_b32 s36, 0xbf559e2b
	v_add_f64 v[146:147], v[146:147], -v[148:149]
	v_mul_f64 v[148:149], v[150:151], v[150:151]
	v_mov_b32_e32 v160, 0x6b47b09a
	v_mov_b32_e32 v161, 0x3fc38538
	s_mov_b32 s37, 0x3fc3ab76
	v_fmac_f64_e32 v[160:161], s[36:37], v[148:149]
	v_mov_b32_e32 v162, 0xd7f4df2e
	v_mov_b32_e32 v163, 0x3fc7474d
	v_fmac_f64_e32 v[162:163], v[148:149], v[160:161]
	v_mov_b32_e32 v160, 0x16291751
	v_mov_b32_e32 v161, 0x3fcc71c0
	v_fmac_f64_e32 v[160:161], v[148:149], v[162:163]
	v_mov_b32_e32 v162, 0x9b27acf1
	v_mov_b32_e32 v163, 0x3fd24924
	v_fmac_f64_e32 v[162:163], v[148:149], v[160:161]
	v_mov_b32_e32 v160, 0x998ef7b6
	v_mov_b32_e32 v161, 0x3fd99999
	v_fmac_f64_e32 v[160:161], v[148:149], v[162:163]
	v_mov_b32_e32 v162, 0x55555780
	v_mov_b32_e32 v163, 0x3fe55555
	v_fmac_f64_e32 v[162:163], v[148:149], v[160:161]
	v_cvt_f64_i32_e32 v[160:161], v71
	v_mul_f64 v[164:165], v[160:161], s[48:49]
	v_fma_f64 v[166:167], v[160:161], s[48:49], -v[164:165]
	v_fmac_f64_e32 v[166:167], s[50:51], v[160:161]
	v_add_f64 v[160:161], v[164:165], v[166:167]
	v_add_f64 v[164:165], v[160:161], -v[164:165]
	v_mul_f64 v[148:149], v[150:151], v[148:149]
	v_add_f64 v[164:165], v[166:167], -v[164:165]
	v_ldexp_f64 v[166:167], v[150:151], 1
	v_mul_f64 v[148:149], v[148:149], v[162:163]
	v_add_f64 v[150:151], v[166:167], v[148:149]
	v_add_f64 v[162:163], v[150:151], -v[166:167]
	v_ldexp_f64 v[146:147], v[146:147], 1
	v_add_f64 v[148:149], v[148:149], -v[162:163]
	v_add_f64 v[146:147], v[146:147], v[148:149]
	v_add_f64 v[148:149], v[150:151], v[146:147]
	v_add_f64 v[150:151], v[148:149], -v[150:151]
	v_add_f64 v[146:147], v[146:147], -v[150:151]
	v_add_f64 v[150:151], v[160:161], v[148:149]
	v_add_f64 v[162:163], v[150:151], -v[160:161]
	v_add_f64 v[166:167], v[150:151], -v[162:163]
	;; [unrolled: 1-line block ×4, first 2 shown]
	v_add_f64 v[148:149], v[148:149], v[160:161]
	v_add_f64 v[160:161], v[164:165], v[146:147]
	v_add_f64 v[162:163], v[160:161], -v[164:165]
	v_add_f64 v[148:149], v[160:161], v[148:149]
	v_add_f64 v[166:167], v[160:161], -v[162:163]
	;; [unrolled: 2-line block ×3, first 2 shown]
	v_add_f64 v[146:147], v[146:147], -v[162:163]
	v_add_f64 v[150:151], v[160:161], -v[150:151]
	v_add_f64 v[146:147], v[146:147], v[164:165]
	v_add_f64 v[148:149], v[148:149], -v[150:151]
	s_mov_b32 s36, 0
	v_add_f64 v[146:147], v[146:147], v[148:149]
	s_mov_b32 s37, 0x7ff00000
	v_add_f64 v[146:147], v[160:161], v[146:147]
	v_cmp_eq_f64_e64 s[36:37], s[36:37], v[6:7]
	s_nop 1
	v_cndmask_b32_e64 v71, v146, v6, s[36:37]
	v_cndmask_b32_e64 v146, v147, v7, s[36:37]
	v_mov_b32_e32 v147, 0x7ff80000
	v_cmp_ngt_f64_e64 s[36:37], -1.0, v[6:7]
	s_nop 1
	v_cndmask_b32_e64 v147, v147, v146, s[36:37]
	v_cmp_nge_f64_e64 s[36:37], -1.0, v[6:7]
	s_nop 1
	v_cndmask_b32_e64 v146, 0, v71, s[36:37]
	v_mov_b32_e32 v71, 0xfff00000
	v_cmp_neq_f64_e64 s[36:37], -1.0, v[6:7]
	s_nop 1
	v_cndmask_b32_e64 v147, v71, v147, s[36:37]
	v_add_f64 v[6:7], v[144:145], v[146:147]
.LBB50_68:
	s_or_b64 exec, exec, s[44:45]
	ds_read_b64 v[144:145], v53 offset:24
	v_max_f64 v[148:149], v[6:7], v[6:7]
	v_cmp_u_f64_e64 s[36:37], v[6:7], v[6:7]
	s_waitcnt lgkmcnt(0)
	v_max_f64 v[150:151], v[144:145], v[144:145]
	v_min_f64 v[146:147], v[148:149], v[150:151]
	v_cndmask_b32_e64 v71, v146, v6, s[36:37]
	v_cndmask_b32_e64 v146, v147, v7, s[36:37]
	v_cmp_u_f64_e64 s[38:39], v[144:145], v[144:145]
	v_max_f64 v[148:149], v[148:149], v[150:151]
	s_nop 0
	v_cndmask_b32_e64 v147, v146, v145, s[38:39]
	v_cndmask_b32_e64 v146, v71, v144, s[38:39]
	;; [unrolled: 1-line block ×6, first 2 shown]
	v_cmp_neq_f64_e64 s[36:37], v[146:147], v[144:145]
	v_cmp_class_f64_e64 s[38:39], v[146:147], s13
	s_or_b64 s[36:37], s[36:37], s[38:39]
	s_and_saveexec_b64 s[44:45], s[36:37]
	s_cbranch_execz .LBB50_70
; %bb.69:
	s_mov_b32 s36, 0x652b82fe
	v_add_f64 v[6:7], v[146:147], -v[144:145]
	s_mov_b32 s37, 0x3ff71547
	v_mul_f64 v[146:147], v[6:7], s[36:37]
	v_rndne_f64_e32 v[146:147], v[146:147]
	s_mov_b32 s49, 0xbfe62e42
	s_mov_b32 s48, 0xfefa39ef
	v_fma_f64 v[148:149], s[48:49], v[146:147], v[6:7]
	s_mov_b32 s51, 0xbc7abc9e
	s_mov_b32 s50, 0x3b39803f
	;; [unrolled: 1-line block ×3, first 2 shown]
	v_fmac_f64_e32 v[148:149], s[50:51], v[146:147]
	v_mov_b32_e32 v150, 0xfca7ab0c
	v_mov_b32_e32 v151, 0x3e928af3
	s_mov_b32 s37, 0x3e5ade15
	v_fmac_f64_e32 v[150:151], s[36:37], v[148:149]
	v_mov_b32_e32 v160, 0x623fde64
	v_mov_b32_e32 v161, 0x3ec71dee
	v_fmac_f64_e32 v[160:161], v[148:149], v[150:151]
	v_mov_b32_e32 v150, 0x7c89e6b0
	v_mov_b32_e32 v151, 0x3efa0199
	;; [unrolled: 3-line block ×8, first 2 shown]
	v_fmac_f64_e32 v[150:151], v[148:149], v[160:161]
	v_fma_f64 v[150:151], v[148:149], v[150:151], 1.0
	s_mov_b32 s36, 0
	s_mov_b32 s38, 0
	v_fma_f64 v[148:149], v[148:149], v[150:151], 1.0
	v_cvt_i32_f64_e32 v71, v[146:147]
	s_mov_b32 s37, 0x40900000
	s_mov_b32 s39, 0xc090cc00
	v_ldexp_f64 v[146:147], v[148:149], v71
	v_mov_b32_e32 v71, 0x7ff00000
	v_cmp_nlt_f64_e64 s[36:37], s[36:37], v[6:7]
	v_cmp_ngt_f64_e64 s[38:39], s[38:39], v[6:7]
	s_mov_b32 s49, 0x3fe62e42
	v_cndmask_b32_e64 v71, v71, v147, s[36:37]
	s_and_b64 s[36:37], s[38:39], s[36:37]
	v_cndmask_b32_e64 v7, 0, v71, s[38:39]
	v_cndmask_b32_e64 v6, 0, v146, s[36:37]
	v_add_f64 v[146:147], v[6:7], 1.0
	v_add_f64 v[148:149], v[146:147], -1.0
	v_add_f64 v[150:151], v[148:149], -v[146:147]
	v_add_f64 v[150:151], v[150:151], 1.0
	v_add_f64 v[148:149], v[6:7], -v[148:149]
	s_mov_b32 s36, 0x55555555
	v_add_f64 v[148:149], v[148:149], v[150:151]
	v_frexp_mant_f64_e32 v[150:151], v[146:147]
	s_mov_b32 s37, 0x3fe55555
	v_frexp_exp_i32_f64_e32 v71, v[146:147]
	v_cmp_gt_f64_e64 s[36:37], s[36:37], v[150:151]
	s_mov_b32 s51, 0x3c7abc9e
	s_nop 0
	v_subbrev_co_u32_e64 v71, s[36:37], 0, v71, s[36:37]
	v_sub_u32_e32 v150, 0, v71
	v_ldexp_f64 v[146:147], v[146:147], v150
	v_ldexp_f64 v[148:149], v[148:149], v150
	v_add_f64 v[150:151], v[146:147], -1.0
	v_add_f64 v[164:165], v[146:147], 1.0
	v_add_f64 v[160:161], v[150:151], 1.0
	v_add_f64 v[166:167], v[164:165], -1.0
	v_add_f64 v[160:161], v[146:147], -v[160:161]
	v_add_f64 v[146:147], v[146:147], -v[166:167]
	v_add_f64 v[146:147], v[148:149], v[146:147]
	v_add_f64 v[160:161], v[148:149], v[160:161]
	;; [unrolled: 1-line block ×3, first 2 shown]
	v_rcp_f64_e32 v[166:167], v[148:149]
	v_add_f64 v[162:163], v[150:151], v[160:161]
	v_add_f64 v[150:151], v[162:163], -v[150:151]
	v_add_f64 v[150:151], v[160:161], -v[150:151]
	;; [unrolled: 1-line block ×4, first 2 shown]
	v_fma_f64 v[160:161], -v[148:149], v[166:167], 1.0
	v_fmac_f64_e32 v[166:167], v[160:161], v[166:167]
	v_fma_f64 v[160:161], -v[148:149], v[166:167], 1.0
	v_fmac_f64_e32 v[166:167], v[160:161], v[166:167]
	v_mul_f64 v[160:161], v[162:163], v[166:167]
	v_mul_f64 v[164:165], v[148:149], v[160:161]
	v_fma_f64 v[176:177], v[160:161], v[148:149], -v[164:165]
	v_fmac_f64_e32 v[176:177], v[160:161], v[146:147]
	v_add_f64 v[178:179], v[164:165], v[176:177]
	v_add_f64 v[180:181], v[162:163], -v[178:179]
	v_add_f64 v[162:163], v[162:163], -v[180:181]
	v_add_f64 v[164:165], v[178:179], -v[164:165]
	v_add_f64 v[162:163], v[162:163], -v[178:179]
	v_add_f64 v[150:151], v[150:151], v[162:163]
	v_add_f64 v[162:163], v[164:165], -v[176:177]
	v_add_f64 v[150:151], v[162:163], v[150:151]
	v_add_f64 v[162:163], v[180:181], v[150:151]
	v_add_f64 v[164:165], v[180:181], -v[162:163]
	v_add_f64 v[150:151], v[150:151], v[164:165]
	v_mul_f64 v[164:165], v[166:167], v[162:163]
	v_mul_f64 v[176:177], v[148:149], v[164:165]
	v_fma_f64 v[148:149], v[164:165], v[148:149], -v[176:177]
	v_fmac_f64_e32 v[148:149], v[164:165], v[146:147]
	v_add_f64 v[146:147], v[176:177], v[148:149]
	v_add_f64 v[178:179], v[162:163], -v[146:147]
	v_add_f64 v[162:163], v[162:163], -v[178:179]
	;; [unrolled: 1-line block ×4, first 2 shown]
	v_add_f64 v[146:147], v[150:151], v[146:147]
	v_add_f64 v[148:149], v[176:177], -v[148:149]
	v_add_f64 v[146:147], v[148:149], v[146:147]
	v_add_f64 v[148:149], v[160:161], v[164:165]
	;; [unrolled: 1-line block ×3, first 2 shown]
	v_add_f64 v[150:151], v[148:149], -v[160:161]
	v_mul_f64 v[146:147], v[166:167], v[146:147]
	v_add_f64 v[150:151], v[164:165], -v[150:151]
	v_add_f64 v[146:147], v[150:151], v[146:147]
	v_add_f64 v[150:151], v[148:149], v[146:147]
	v_add_f64 v[148:149], v[150:151], -v[148:149]
	s_mov_b32 s36, 0xbf559e2b
	v_add_f64 v[146:147], v[146:147], -v[148:149]
	v_mul_f64 v[148:149], v[150:151], v[150:151]
	v_mov_b32_e32 v160, 0x6b47b09a
	v_mov_b32_e32 v161, 0x3fc38538
	s_mov_b32 s37, 0x3fc3ab76
	v_fmac_f64_e32 v[160:161], s[36:37], v[148:149]
	v_mov_b32_e32 v162, 0xd7f4df2e
	v_mov_b32_e32 v163, 0x3fc7474d
	v_fmac_f64_e32 v[162:163], v[148:149], v[160:161]
	v_mov_b32_e32 v160, 0x16291751
	v_mov_b32_e32 v161, 0x3fcc71c0
	;; [unrolled: 3-line block ×5, first 2 shown]
	v_fmac_f64_e32 v[162:163], v[148:149], v[160:161]
	v_cvt_f64_i32_e32 v[160:161], v71
	v_mul_f64 v[164:165], v[160:161], s[48:49]
	v_fma_f64 v[166:167], v[160:161], s[48:49], -v[164:165]
	v_fmac_f64_e32 v[166:167], s[50:51], v[160:161]
	v_add_f64 v[160:161], v[164:165], v[166:167]
	v_add_f64 v[164:165], v[160:161], -v[164:165]
	v_mul_f64 v[148:149], v[150:151], v[148:149]
	v_add_f64 v[164:165], v[166:167], -v[164:165]
	v_ldexp_f64 v[166:167], v[150:151], 1
	v_mul_f64 v[148:149], v[148:149], v[162:163]
	v_add_f64 v[150:151], v[166:167], v[148:149]
	v_add_f64 v[162:163], v[150:151], -v[166:167]
	v_ldexp_f64 v[146:147], v[146:147], 1
	v_add_f64 v[148:149], v[148:149], -v[162:163]
	v_add_f64 v[146:147], v[146:147], v[148:149]
	v_add_f64 v[148:149], v[150:151], v[146:147]
	v_add_f64 v[150:151], v[148:149], -v[150:151]
	v_add_f64 v[146:147], v[146:147], -v[150:151]
	v_add_f64 v[150:151], v[160:161], v[148:149]
	v_add_f64 v[162:163], v[150:151], -v[160:161]
	v_add_f64 v[166:167], v[150:151], -v[162:163]
	;; [unrolled: 1-line block ×4, first 2 shown]
	v_add_f64 v[148:149], v[148:149], v[160:161]
	v_add_f64 v[160:161], v[164:165], v[146:147]
	v_add_f64 v[162:163], v[160:161], -v[164:165]
	v_add_f64 v[148:149], v[160:161], v[148:149]
	v_add_f64 v[166:167], v[160:161], -v[162:163]
	;; [unrolled: 2-line block ×3, first 2 shown]
	v_add_f64 v[146:147], v[146:147], -v[162:163]
	v_add_f64 v[150:151], v[160:161], -v[150:151]
	v_add_f64 v[146:147], v[146:147], v[164:165]
	v_add_f64 v[148:149], v[148:149], -v[150:151]
	s_mov_b32 s36, 0
	v_add_f64 v[146:147], v[146:147], v[148:149]
	s_mov_b32 s37, 0x7ff00000
	v_add_f64 v[146:147], v[160:161], v[146:147]
	v_cmp_eq_f64_e64 s[36:37], s[36:37], v[6:7]
	s_nop 1
	v_cndmask_b32_e64 v71, v146, v6, s[36:37]
	v_cndmask_b32_e64 v146, v147, v7, s[36:37]
	v_mov_b32_e32 v147, 0x7ff80000
	v_cmp_ngt_f64_e64 s[36:37], -1.0, v[6:7]
	s_nop 1
	v_cndmask_b32_e64 v147, v147, v146, s[36:37]
	v_cmp_nge_f64_e64 s[36:37], -1.0, v[6:7]
	s_nop 1
	v_cndmask_b32_e64 v146, 0, v71, s[36:37]
	v_mov_b32_e32 v71, 0xfff00000
	v_cmp_neq_f64_e64 s[36:37], -1.0, v[6:7]
	s_nop 1
	v_cndmask_b32_e64 v147, v71, v147, s[36:37]
	v_add_f64 v[6:7], v[144:145], v[146:147]
.LBB50_70:
	s_or_b64 exec, exec, s[44:45]
	v_mbcnt_lo_u32_b32 v71, -1, 0
	v_mbcnt_hi_u32_b32 v71, -1, v71
	v_and_b32_e32 v148, 15, v71
	v_mov_b32_dpp v144, v6 row_shr:1 row_mask:0xf bank_mask:0xf
	v_mov_b32_dpp v145, v7 row_shr:1 row_mask:0xf bank_mask:0xf
	v_cmp_ne_u32_e64 s[36:37], 0, v148
	v_mov_b32_e32 v146, v6
	v_mov_b32_e32 v147, v7
	s_and_saveexec_b64 s[38:39], s[36:37]
	s_xor_b64 s[44:45], exec, s[38:39]
	s_cbranch_execz .LBB50_74
; %bb.71:
	v_max_f64 v[150:151], v[144:145], v[144:145]
	v_max_f64 v[160:161], v[6:7], v[6:7]
	v_min_f64 v[146:147], v[150:151], v[160:161]
	v_cmp_u_f64_e64 s[36:37], v[144:145], v[144:145]
	v_max_f64 v[150:151], v[150:151], v[160:161]
	v_cmp_u_f64_e64 s[38:39], v[6:7], v[6:7]
	v_cndmask_b32_e64 v146, v146, v144, s[36:37]
	v_cndmask_b32_e64 v147, v147, v145, s[36:37]
	;; [unrolled: 1-line block ×8, first 2 shown]
	v_cmp_neq_f64_e64 s[36:37], v[146:147], v[6:7]
	v_cmp_class_f64_e64 s[38:39], v[146:147], s13
	s_or_b64 s[36:37], s[36:37], s[38:39]
	s_and_saveexec_b64 s[48:49], s[36:37]
	s_cbranch_execz .LBB50_73
; %bb.72:
	s_mov_b32 s36, 0x652b82fe
	v_add_f64 v[144:145], v[146:147], -v[6:7]
	s_mov_b32 s37, 0x3ff71547
	v_mul_f64 v[146:147], v[144:145], s[36:37]
	v_rndne_f64_e32 v[146:147], v[146:147]
	s_mov_b32 s51, 0xbfe62e42
	s_mov_b32 s50, 0xfefa39ef
	v_fma_f64 v[150:151], s[50:51], v[146:147], v[144:145]
	s_mov_b32 s53, 0xbc7abc9e
	s_mov_b32 s52, 0x3b39803f
	;; [unrolled: 1-line block ×3, first 2 shown]
	v_fmac_f64_e32 v[150:151], s[52:53], v[146:147]
	v_mov_b32_e32 v160, 0xfca7ab0c
	v_mov_b32_e32 v161, 0x3e928af3
	s_mov_b32 s37, 0x3e5ade15
	v_fmac_f64_e32 v[160:161], s[36:37], v[150:151]
	v_mov_b32_e32 v162, 0x623fde64
	v_mov_b32_e32 v163, 0x3ec71dee
	v_fmac_f64_e32 v[162:163], v[150:151], v[160:161]
	v_mov_b32_e32 v160, 0x7c89e6b0
	v_mov_b32_e32 v161, 0x3efa0199
	;; [unrolled: 3-line block ×8, first 2 shown]
	v_fmac_f64_e32 v[160:161], v[150:151], v[162:163]
	v_fma_f64 v[160:161], v[150:151], v[160:161], 1.0
	s_mov_b32 s36, 0
	s_mov_b32 s38, 0
	v_fma_f64 v[150:151], v[150:151], v[160:161], 1.0
	v_cvt_i32_f64_e32 v146, v[146:147]
	s_mov_b32 s37, 0x40900000
	s_mov_b32 s39, 0xc090cc00
	v_ldexp_f64 v[146:147], v[150:151], v146
	v_mov_b32_e32 v149, 0x7ff00000
	v_cmp_nlt_f64_e64 s[36:37], s[36:37], v[144:145]
	v_cmp_ngt_f64_e64 s[38:39], s[38:39], v[144:145]
	s_mov_b32 s51, 0x3fe62e42
	v_cndmask_b32_e64 v147, v149, v147, s[36:37]
	s_and_b64 s[36:37], s[38:39], s[36:37]
	v_cndmask_b32_e64 v145, 0, v147, s[38:39]
	v_cndmask_b32_e64 v144, 0, v146, s[36:37]
	v_add_f64 v[146:147], v[144:145], 1.0
	v_add_f64 v[150:151], v[146:147], -1.0
	v_add_f64 v[160:161], v[150:151], -v[146:147]
	v_add_f64 v[160:161], v[160:161], 1.0
	v_add_f64 v[150:151], v[144:145], -v[150:151]
	s_mov_b32 s36, 0x55555555
	v_add_f64 v[150:151], v[150:151], v[160:161]
	v_frexp_mant_f64_e32 v[160:161], v[146:147]
	s_mov_b32 s37, 0x3fe55555
	v_frexp_exp_i32_f64_e32 v149, v[146:147]
	v_cmp_gt_f64_e64 s[36:37], s[36:37], v[160:161]
	s_mov_b32 s53, 0x3c7abc9e
	s_nop 0
	v_subbrev_co_u32_e64 v149, s[36:37], 0, v149, s[36:37]
	v_sub_u32_e32 v160, 0, v149
	v_ldexp_f64 v[146:147], v[146:147], v160
	v_ldexp_f64 v[150:151], v[150:151], v160
	v_add_f64 v[160:161], v[146:147], -1.0
	v_add_f64 v[166:167], v[146:147], 1.0
	v_add_f64 v[162:163], v[160:161], 1.0
	v_add_f64 v[176:177], v[166:167], -1.0
	v_add_f64 v[162:163], v[146:147], -v[162:163]
	v_add_f64 v[146:147], v[146:147], -v[176:177]
	v_add_f64 v[146:147], v[150:151], v[146:147]
	v_add_f64 v[162:163], v[150:151], v[162:163]
	;; [unrolled: 1-line block ×3, first 2 shown]
	v_rcp_f64_e32 v[176:177], v[150:151]
	v_add_f64 v[164:165], v[160:161], v[162:163]
	v_add_f64 v[160:161], v[164:165], -v[160:161]
	v_add_f64 v[160:161], v[162:163], -v[160:161]
	;; [unrolled: 1-line block ×4, first 2 shown]
	v_fma_f64 v[162:163], -v[150:151], v[176:177], 1.0
	v_fmac_f64_e32 v[176:177], v[162:163], v[176:177]
	v_fma_f64 v[162:163], -v[150:151], v[176:177], 1.0
	v_fmac_f64_e32 v[176:177], v[162:163], v[176:177]
	v_mul_f64 v[162:163], v[164:165], v[176:177]
	v_mul_f64 v[166:167], v[150:151], v[162:163]
	v_fma_f64 v[178:179], v[162:163], v[150:151], -v[166:167]
	v_fmac_f64_e32 v[178:179], v[162:163], v[146:147]
	v_add_f64 v[180:181], v[166:167], v[178:179]
	v_add_f64 v[182:183], v[164:165], -v[180:181]
	v_add_f64 v[164:165], v[164:165], -v[182:183]
	;; [unrolled: 1-line block ×4, first 2 shown]
	v_add_f64 v[160:161], v[160:161], v[164:165]
	v_add_f64 v[164:165], v[166:167], -v[178:179]
	v_add_f64 v[160:161], v[164:165], v[160:161]
	v_add_f64 v[164:165], v[182:183], v[160:161]
	v_add_f64 v[166:167], v[182:183], -v[164:165]
	v_add_f64 v[160:161], v[160:161], v[166:167]
	v_mul_f64 v[166:167], v[176:177], v[164:165]
	v_mul_f64 v[178:179], v[150:151], v[166:167]
	v_fma_f64 v[150:151], v[166:167], v[150:151], -v[178:179]
	v_fmac_f64_e32 v[150:151], v[166:167], v[146:147]
	v_add_f64 v[146:147], v[178:179], v[150:151]
	v_add_f64 v[180:181], v[164:165], -v[146:147]
	v_add_f64 v[164:165], v[164:165], -v[180:181]
	v_add_f64 v[178:179], v[146:147], -v[178:179]
	v_add_f64 v[146:147], v[164:165], -v[146:147]
	v_add_f64 v[146:147], v[160:161], v[146:147]
	v_add_f64 v[150:151], v[178:179], -v[150:151]
	v_add_f64 v[146:147], v[150:151], v[146:147]
	v_add_f64 v[150:151], v[162:163], v[166:167]
	;; [unrolled: 1-line block ×3, first 2 shown]
	v_add_f64 v[160:161], v[150:151], -v[162:163]
	v_mul_f64 v[146:147], v[176:177], v[146:147]
	v_add_f64 v[160:161], v[166:167], -v[160:161]
	v_add_f64 v[146:147], v[160:161], v[146:147]
	v_add_f64 v[160:161], v[150:151], v[146:147]
	v_add_f64 v[150:151], v[160:161], -v[150:151]
	s_mov_b32 s36, 0xbf559e2b
	v_add_f64 v[146:147], v[146:147], -v[150:151]
	v_mul_f64 v[150:151], v[160:161], v[160:161]
	v_mov_b32_e32 v162, 0x6b47b09a
	v_mov_b32_e32 v163, 0x3fc38538
	s_mov_b32 s37, 0x3fc3ab76
	v_fmac_f64_e32 v[162:163], s[36:37], v[150:151]
	v_mov_b32_e32 v164, 0xd7f4df2e
	v_mov_b32_e32 v165, 0x3fc7474d
	v_fmac_f64_e32 v[164:165], v[150:151], v[162:163]
	v_mov_b32_e32 v162, 0x16291751
	v_mov_b32_e32 v163, 0x3fcc71c0
	;; [unrolled: 3-line block ×5, first 2 shown]
	v_fmac_f64_e32 v[164:165], v[150:151], v[162:163]
	v_cvt_f64_i32_e32 v[162:163], v149
	v_mul_f64 v[166:167], v[162:163], s[50:51]
	v_fma_f64 v[176:177], v[162:163], s[50:51], -v[166:167]
	v_fmac_f64_e32 v[176:177], s[52:53], v[162:163]
	v_add_f64 v[162:163], v[166:167], v[176:177]
	v_add_f64 v[166:167], v[162:163], -v[166:167]
	v_mul_f64 v[150:151], v[160:161], v[150:151]
	v_add_f64 v[166:167], v[176:177], -v[166:167]
	v_ldexp_f64 v[176:177], v[160:161], 1
	v_mul_f64 v[150:151], v[150:151], v[164:165]
	v_add_f64 v[160:161], v[176:177], v[150:151]
	v_add_f64 v[164:165], v[160:161], -v[176:177]
	v_ldexp_f64 v[146:147], v[146:147], 1
	v_add_f64 v[150:151], v[150:151], -v[164:165]
	v_add_f64 v[146:147], v[146:147], v[150:151]
	v_add_f64 v[150:151], v[160:161], v[146:147]
	v_add_f64 v[160:161], v[150:151], -v[160:161]
	v_add_f64 v[146:147], v[146:147], -v[160:161]
	v_add_f64 v[160:161], v[162:163], v[150:151]
	v_add_f64 v[164:165], v[160:161], -v[162:163]
	v_add_f64 v[176:177], v[160:161], -v[164:165]
	;; [unrolled: 1-line block ×4, first 2 shown]
	v_add_f64 v[150:151], v[150:151], v[162:163]
	v_add_f64 v[162:163], v[166:167], v[146:147]
	v_add_f64 v[164:165], v[162:163], -v[166:167]
	v_add_f64 v[150:151], v[162:163], v[150:151]
	v_add_f64 v[176:177], v[162:163], -v[164:165]
	;; [unrolled: 2-line block ×3, first 2 shown]
	v_add_f64 v[146:147], v[146:147], -v[164:165]
	v_add_f64 v[160:161], v[162:163], -v[160:161]
	v_add_f64 v[146:147], v[146:147], v[166:167]
	v_add_f64 v[150:151], v[150:151], -v[160:161]
	s_mov_b32 s36, 0
	v_add_f64 v[146:147], v[146:147], v[150:151]
	s_mov_b32 s37, 0x7ff00000
	v_add_f64 v[146:147], v[162:163], v[146:147]
	v_cmp_eq_f64_e64 s[36:37], s[36:37], v[144:145]
	v_mov_b32_e32 v149, 0x7ff80000
	s_nop 0
	v_cndmask_b32_e64 v146, v146, v144, s[36:37]
	v_cndmask_b32_e64 v147, v147, v145, s[36:37]
	v_cmp_ngt_f64_e64 s[36:37], -1.0, v[144:145]
	s_nop 1
	v_cndmask_b32_e64 v147, v149, v147, s[36:37]
	v_cmp_nge_f64_e64 s[36:37], -1.0, v[144:145]
	v_mov_b32_e32 v149, 0xfff00000
	s_nop 0
	v_cndmask_b32_e64 v146, 0, v146, s[36:37]
	v_cmp_neq_f64_e64 s[36:37], -1.0, v[144:145]
	s_nop 1
	v_cndmask_b32_e64 v147, v149, v147, s[36:37]
	v_add_f64 v[144:145], v[6:7], v[146:147]
.LBB50_73:
	s_or_b64 exec, exec, s[48:49]
	v_mov_b32_e32 v146, v144
	v_mov_b32_e32 v147, v145
	v_mov_b64_e32 v[6:7], v[144:145]
.LBB50_74:
	s_or_b64 exec, exec, s[44:45]
	v_mov_b32_dpp v144, v146 row_shr:2 row_mask:0xf bank_mask:0xf
	v_mov_b32_dpp v145, v147 row_shr:2 row_mask:0xf bank_mask:0xf
	v_cmp_lt_u32_e64 s[36:37], 1, v148
	s_and_saveexec_b64 s[44:45], s[36:37]
	s_cbranch_execz .LBB50_78
; %bb.75:
	v_max_f64 v[150:151], v[144:145], v[144:145]
	v_max_f64 v[160:161], v[6:7], v[6:7]
	v_min_f64 v[146:147], v[150:151], v[160:161]
	v_cmp_u_f64_e64 s[36:37], v[144:145], v[144:145]
	v_max_f64 v[150:151], v[150:151], v[160:161]
	v_cmp_u_f64_e64 s[38:39], v[6:7], v[6:7]
	v_cndmask_b32_e64 v146, v146, v144, s[36:37]
	v_cndmask_b32_e64 v147, v147, v145, s[36:37]
	;; [unrolled: 1-line block ×8, first 2 shown]
	v_cmp_neq_f64_e64 s[36:37], v[146:147], v[6:7]
	v_cmp_class_f64_e64 s[38:39], v[146:147], s13
	s_or_b64 s[36:37], s[36:37], s[38:39]
	s_and_saveexec_b64 s[48:49], s[36:37]
	s_cbranch_execz .LBB50_77
; %bb.76:
	s_mov_b32 s36, 0x652b82fe
	v_add_f64 v[144:145], v[146:147], -v[6:7]
	s_mov_b32 s37, 0x3ff71547
	v_mul_f64 v[146:147], v[144:145], s[36:37]
	v_rndne_f64_e32 v[146:147], v[146:147]
	s_mov_b32 s51, 0xbfe62e42
	s_mov_b32 s50, 0xfefa39ef
	v_fma_f64 v[150:151], s[50:51], v[146:147], v[144:145]
	s_mov_b32 s53, 0xbc7abc9e
	s_mov_b32 s52, 0x3b39803f
	;; [unrolled: 1-line block ×3, first 2 shown]
	v_fmac_f64_e32 v[150:151], s[52:53], v[146:147]
	v_mov_b32_e32 v160, 0xfca7ab0c
	v_mov_b32_e32 v161, 0x3e928af3
	s_mov_b32 s37, 0x3e5ade15
	v_fmac_f64_e32 v[160:161], s[36:37], v[150:151]
	v_mov_b32_e32 v162, 0x623fde64
	v_mov_b32_e32 v163, 0x3ec71dee
	v_fmac_f64_e32 v[162:163], v[150:151], v[160:161]
	v_mov_b32_e32 v160, 0x7c89e6b0
	v_mov_b32_e32 v161, 0x3efa0199
	;; [unrolled: 3-line block ×8, first 2 shown]
	v_fmac_f64_e32 v[160:161], v[150:151], v[162:163]
	v_fma_f64 v[160:161], v[150:151], v[160:161], 1.0
	s_mov_b32 s36, 0
	s_mov_b32 s38, 0
	v_fma_f64 v[150:151], v[150:151], v[160:161], 1.0
	v_cvt_i32_f64_e32 v146, v[146:147]
	s_mov_b32 s37, 0x40900000
	s_mov_b32 s39, 0xc090cc00
	v_ldexp_f64 v[146:147], v[150:151], v146
	v_mov_b32_e32 v149, 0x7ff00000
	v_cmp_nlt_f64_e64 s[36:37], s[36:37], v[144:145]
	v_cmp_ngt_f64_e64 s[38:39], s[38:39], v[144:145]
	s_mov_b32 s51, 0x3fe62e42
	v_cndmask_b32_e64 v147, v149, v147, s[36:37]
	s_and_b64 s[36:37], s[38:39], s[36:37]
	v_cndmask_b32_e64 v145, 0, v147, s[38:39]
	v_cndmask_b32_e64 v144, 0, v146, s[36:37]
	v_add_f64 v[146:147], v[144:145], 1.0
	v_add_f64 v[150:151], v[146:147], -1.0
	v_add_f64 v[160:161], v[150:151], -v[146:147]
	v_add_f64 v[160:161], v[160:161], 1.0
	v_add_f64 v[150:151], v[144:145], -v[150:151]
	s_mov_b32 s36, 0x55555555
	v_add_f64 v[150:151], v[150:151], v[160:161]
	v_frexp_mant_f64_e32 v[160:161], v[146:147]
	s_mov_b32 s37, 0x3fe55555
	v_frexp_exp_i32_f64_e32 v149, v[146:147]
	v_cmp_gt_f64_e64 s[36:37], s[36:37], v[160:161]
	s_mov_b32 s53, 0x3c7abc9e
	s_nop 0
	v_subbrev_co_u32_e64 v149, s[36:37], 0, v149, s[36:37]
	v_sub_u32_e32 v160, 0, v149
	v_ldexp_f64 v[146:147], v[146:147], v160
	v_ldexp_f64 v[150:151], v[150:151], v160
	v_add_f64 v[160:161], v[146:147], -1.0
	v_add_f64 v[166:167], v[146:147], 1.0
	v_add_f64 v[162:163], v[160:161], 1.0
	v_add_f64 v[176:177], v[166:167], -1.0
	v_add_f64 v[162:163], v[146:147], -v[162:163]
	v_add_f64 v[146:147], v[146:147], -v[176:177]
	v_add_f64 v[146:147], v[150:151], v[146:147]
	v_add_f64 v[162:163], v[150:151], v[162:163]
	;; [unrolled: 1-line block ×3, first 2 shown]
	v_rcp_f64_e32 v[176:177], v[150:151]
	v_add_f64 v[164:165], v[160:161], v[162:163]
	v_add_f64 v[160:161], v[164:165], -v[160:161]
	v_add_f64 v[160:161], v[162:163], -v[160:161]
	v_add_f64 v[162:163], v[150:151], -v[166:167]
	v_add_f64 v[146:147], v[146:147], -v[162:163]
	v_fma_f64 v[162:163], -v[150:151], v[176:177], 1.0
	v_fmac_f64_e32 v[176:177], v[162:163], v[176:177]
	v_fma_f64 v[162:163], -v[150:151], v[176:177], 1.0
	v_fmac_f64_e32 v[176:177], v[162:163], v[176:177]
	v_mul_f64 v[162:163], v[164:165], v[176:177]
	v_mul_f64 v[166:167], v[150:151], v[162:163]
	v_fma_f64 v[178:179], v[162:163], v[150:151], -v[166:167]
	v_fmac_f64_e32 v[178:179], v[162:163], v[146:147]
	v_add_f64 v[180:181], v[166:167], v[178:179]
	v_add_f64 v[182:183], v[164:165], -v[180:181]
	v_add_f64 v[164:165], v[164:165], -v[182:183]
	v_add_f64 v[166:167], v[180:181], -v[166:167]
	v_add_f64 v[164:165], v[164:165], -v[180:181]
	v_add_f64 v[160:161], v[160:161], v[164:165]
	v_add_f64 v[164:165], v[166:167], -v[178:179]
	v_add_f64 v[160:161], v[164:165], v[160:161]
	v_add_f64 v[164:165], v[182:183], v[160:161]
	v_add_f64 v[166:167], v[182:183], -v[164:165]
	v_add_f64 v[160:161], v[160:161], v[166:167]
	v_mul_f64 v[166:167], v[176:177], v[164:165]
	v_mul_f64 v[178:179], v[150:151], v[166:167]
	v_fma_f64 v[150:151], v[166:167], v[150:151], -v[178:179]
	v_fmac_f64_e32 v[150:151], v[166:167], v[146:147]
	v_add_f64 v[146:147], v[178:179], v[150:151]
	v_add_f64 v[180:181], v[164:165], -v[146:147]
	v_add_f64 v[164:165], v[164:165], -v[180:181]
	;; [unrolled: 1-line block ×4, first 2 shown]
	v_add_f64 v[146:147], v[160:161], v[146:147]
	v_add_f64 v[150:151], v[178:179], -v[150:151]
	v_add_f64 v[146:147], v[150:151], v[146:147]
	v_add_f64 v[150:151], v[162:163], v[166:167]
	;; [unrolled: 1-line block ×3, first 2 shown]
	v_add_f64 v[160:161], v[150:151], -v[162:163]
	v_mul_f64 v[146:147], v[176:177], v[146:147]
	v_add_f64 v[160:161], v[166:167], -v[160:161]
	v_add_f64 v[146:147], v[160:161], v[146:147]
	v_add_f64 v[160:161], v[150:151], v[146:147]
	v_add_f64 v[150:151], v[160:161], -v[150:151]
	s_mov_b32 s36, 0xbf559e2b
	v_add_f64 v[146:147], v[146:147], -v[150:151]
	v_mul_f64 v[150:151], v[160:161], v[160:161]
	v_mov_b32_e32 v162, 0x6b47b09a
	v_mov_b32_e32 v163, 0x3fc38538
	s_mov_b32 s37, 0x3fc3ab76
	v_fmac_f64_e32 v[162:163], s[36:37], v[150:151]
	v_mov_b32_e32 v164, 0xd7f4df2e
	v_mov_b32_e32 v165, 0x3fc7474d
	v_fmac_f64_e32 v[164:165], v[150:151], v[162:163]
	v_mov_b32_e32 v162, 0x16291751
	v_mov_b32_e32 v163, 0x3fcc71c0
	;; [unrolled: 3-line block ×5, first 2 shown]
	v_fmac_f64_e32 v[164:165], v[150:151], v[162:163]
	v_cvt_f64_i32_e32 v[162:163], v149
	v_mul_f64 v[166:167], v[162:163], s[50:51]
	v_fma_f64 v[176:177], v[162:163], s[50:51], -v[166:167]
	v_fmac_f64_e32 v[176:177], s[52:53], v[162:163]
	v_add_f64 v[162:163], v[166:167], v[176:177]
	v_add_f64 v[166:167], v[162:163], -v[166:167]
	v_mul_f64 v[150:151], v[160:161], v[150:151]
	v_add_f64 v[166:167], v[176:177], -v[166:167]
	v_ldexp_f64 v[176:177], v[160:161], 1
	v_mul_f64 v[150:151], v[150:151], v[164:165]
	v_add_f64 v[160:161], v[176:177], v[150:151]
	v_add_f64 v[164:165], v[160:161], -v[176:177]
	v_ldexp_f64 v[146:147], v[146:147], 1
	v_add_f64 v[150:151], v[150:151], -v[164:165]
	v_add_f64 v[146:147], v[146:147], v[150:151]
	v_add_f64 v[150:151], v[160:161], v[146:147]
	v_add_f64 v[160:161], v[150:151], -v[160:161]
	v_add_f64 v[146:147], v[146:147], -v[160:161]
	v_add_f64 v[160:161], v[162:163], v[150:151]
	v_add_f64 v[164:165], v[160:161], -v[162:163]
	v_add_f64 v[176:177], v[160:161], -v[164:165]
	;; [unrolled: 1-line block ×4, first 2 shown]
	v_add_f64 v[150:151], v[150:151], v[162:163]
	v_add_f64 v[162:163], v[166:167], v[146:147]
	v_add_f64 v[164:165], v[162:163], -v[166:167]
	v_add_f64 v[150:151], v[162:163], v[150:151]
	v_add_f64 v[176:177], v[162:163], -v[164:165]
	;; [unrolled: 2-line block ×3, first 2 shown]
	v_add_f64 v[146:147], v[146:147], -v[164:165]
	v_add_f64 v[160:161], v[162:163], -v[160:161]
	v_add_f64 v[146:147], v[146:147], v[166:167]
	v_add_f64 v[150:151], v[150:151], -v[160:161]
	s_mov_b32 s36, 0
	v_add_f64 v[146:147], v[146:147], v[150:151]
	s_mov_b32 s37, 0x7ff00000
	v_add_f64 v[146:147], v[162:163], v[146:147]
	v_cmp_eq_f64_e64 s[36:37], s[36:37], v[144:145]
	v_mov_b32_e32 v149, 0x7ff80000
	s_nop 0
	v_cndmask_b32_e64 v146, v146, v144, s[36:37]
	v_cndmask_b32_e64 v147, v147, v145, s[36:37]
	v_cmp_ngt_f64_e64 s[36:37], -1.0, v[144:145]
	s_nop 1
	v_cndmask_b32_e64 v147, v149, v147, s[36:37]
	v_cmp_nge_f64_e64 s[36:37], -1.0, v[144:145]
	v_mov_b32_e32 v149, 0xfff00000
	s_nop 0
	v_cndmask_b32_e64 v146, 0, v146, s[36:37]
	v_cmp_neq_f64_e64 s[36:37], -1.0, v[144:145]
	s_nop 1
	v_cndmask_b32_e64 v147, v149, v147, s[36:37]
	v_add_f64 v[144:145], v[6:7], v[146:147]
.LBB50_77:
	s_or_b64 exec, exec, s[48:49]
	v_mov_b64_e32 v[6:7], v[144:145]
	v_mov_b32_e32 v146, v144
	v_mov_b32_e32 v147, v145
.LBB50_78:
	s_or_b64 exec, exec, s[44:45]
	v_mov_b32_dpp v144, v146 row_shr:4 row_mask:0xf bank_mask:0xf
	v_mov_b32_dpp v145, v147 row_shr:4 row_mask:0xf bank_mask:0xf
	v_cmp_lt_u32_e64 s[36:37], 3, v148
	s_and_saveexec_b64 s[44:45], s[36:37]
	s_cbranch_execz .LBB50_82
; %bb.79:
	v_max_f64 v[150:151], v[144:145], v[144:145]
	v_max_f64 v[160:161], v[6:7], v[6:7]
	v_min_f64 v[146:147], v[150:151], v[160:161]
	v_cmp_u_f64_e64 s[36:37], v[144:145], v[144:145]
	v_max_f64 v[150:151], v[150:151], v[160:161]
	v_cmp_u_f64_e64 s[38:39], v[6:7], v[6:7]
	v_cndmask_b32_e64 v146, v146, v144, s[36:37]
	v_cndmask_b32_e64 v147, v147, v145, s[36:37]
	;; [unrolled: 1-line block ×8, first 2 shown]
	v_cmp_neq_f64_e64 s[36:37], v[146:147], v[6:7]
	v_cmp_class_f64_e64 s[38:39], v[146:147], s13
	s_or_b64 s[36:37], s[36:37], s[38:39]
	s_and_saveexec_b64 s[48:49], s[36:37]
	s_cbranch_execz .LBB50_81
; %bb.80:
	s_mov_b32 s36, 0x652b82fe
	v_add_f64 v[144:145], v[146:147], -v[6:7]
	s_mov_b32 s37, 0x3ff71547
	v_mul_f64 v[146:147], v[144:145], s[36:37]
	v_rndne_f64_e32 v[146:147], v[146:147]
	s_mov_b32 s51, 0xbfe62e42
	s_mov_b32 s50, 0xfefa39ef
	v_fma_f64 v[150:151], s[50:51], v[146:147], v[144:145]
	s_mov_b32 s53, 0xbc7abc9e
	s_mov_b32 s52, 0x3b39803f
	;; [unrolled: 1-line block ×3, first 2 shown]
	v_fmac_f64_e32 v[150:151], s[52:53], v[146:147]
	v_mov_b32_e32 v160, 0xfca7ab0c
	v_mov_b32_e32 v161, 0x3e928af3
	s_mov_b32 s37, 0x3e5ade15
	v_fmac_f64_e32 v[160:161], s[36:37], v[150:151]
	v_mov_b32_e32 v162, 0x623fde64
	v_mov_b32_e32 v163, 0x3ec71dee
	v_fmac_f64_e32 v[162:163], v[150:151], v[160:161]
	v_mov_b32_e32 v160, 0x7c89e6b0
	v_mov_b32_e32 v161, 0x3efa0199
	;; [unrolled: 3-line block ×8, first 2 shown]
	v_fmac_f64_e32 v[160:161], v[150:151], v[162:163]
	v_fma_f64 v[160:161], v[150:151], v[160:161], 1.0
	s_mov_b32 s36, 0
	s_mov_b32 s38, 0
	v_fma_f64 v[150:151], v[150:151], v[160:161], 1.0
	v_cvt_i32_f64_e32 v146, v[146:147]
	s_mov_b32 s37, 0x40900000
	s_mov_b32 s39, 0xc090cc00
	v_ldexp_f64 v[146:147], v[150:151], v146
	v_mov_b32_e32 v149, 0x7ff00000
	v_cmp_nlt_f64_e64 s[36:37], s[36:37], v[144:145]
	v_cmp_ngt_f64_e64 s[38:39], s[38:39], v[144:145]
	s_mov_b32 s51, 0x3fe62e42
	v_cndmask_b32_e64 v147, v149, v147, s[36:37]
	s_and_b64 s[36:37], s[38:39], s[36:37]
	v_cndmask_b32_e64 v145, 0, v147, s[38:39]
	v_cndmask_b32_e64 v144, 0, v146, s[36:37]
	v_add_f64 v[146:147], v[144:145], 1.0
	v_add_f64 v[150:151], v[146:147], -1.0
	v_add_f64 v[160:161], v[150:151], -v[146:147]
	v_add_f64 v[160:161], v[160:161], 1.0
	v_add_f64 v[150:151], v[144:145], -v[150:151]
	s_mov_b32 s36, 0x55555555
	v_add_f64 v[150:151], v[150:151], v[160:161]
	v_frexp_mant_f64_e32 v[160:161], v[146:147]
	s_mov_b32 s37, 0x3fe55555
	v_frexp_exp_i32_f64_e32 v149, v[146:147]
	v_cmp_gt_f64_e64 s[36:37], s[36:37], v[160:161]
	s_mov_b32 s53, 0x3c7abc9e
	s_nop 0
	v_subbrev_co_u32_e64 v149, s[36:37], 0, v149, s[36:37]
	v_sub_u32_e32 v160, 0, v149
	v_ldexp_f64 v[146:147], v[146:147], v160
	v_ldexp_f64 v[150:151], v[150:151], v160
	v_add_f64 v[160:161], v[146:147], -1.0
	v_add_f64 v[166:167], v[146:147], 1.0
	v_add_f64 v[162:163], v[160:161], 1.0
	v_add_f64 v[176:177], v[166:167], -1.0
	v_add_f64 v[162:163], v[146:147], -v[162:163]
	v_add_f64 v[146:147], v[146:147], -v[176:177]
	v_add_f64 v[146:147], v[150:151], v[146:147]
	v_add_f64 v[162:163], v[150:151], v[162:163]
	;; [unrolled: 1-line block ×3, first 2 shown]
	v_rcp_f64_e32 v[176:177], v[150:151]
	v_add_f64 v[164:165], v[160:161], v[162:163]
	v_add_f64 v[160:161], v[164:165], -v[160:161]
	v_add_f64 v[160:161], v[162:163], -v[160:161]
	;; [unrolled: 1-line block ×4, first 2 shown]
	v_fma_f64 v[162:163], -v[150:151], v[176:177], 1.0
	v_fmac_f64_e32 v[176:177], v[162:163], v[176:177]
	v_fma_f64 v[162:163], -v[150:151], v[176:177], 1.0
	v_fmac_f64_e32 v[176:177], v[162:163], v[176:177]
	v_mul_f64 v[162:163], v[164:165], v[176:177]
	v_mul_f64 v[166:167], v[150:151], v[162:163]
	v_fma_f64 v[178:179], v[162:163], v[150:151], -v[166:167]
	v_fmac_f64_e32 v[178:179], v[162:163], v[146:147]
	v_add_f64 v[180:181], v[166:167], v[178:179]
	v_add_f64 v[182:183], v[164:165], -v[180:181]
	v_add_f64 v[164:165], v[164:165], -v[182:183]
	;; [unrolled: 1-line block ×4, first 2 shown]
	v_add_f64 v[160:161], v[160:161], v[164:165]
	v_add_f64 v[164:165], v[166:167], -v[178:179]
	v_add_f64 v[160:161], v[164:165], v[160:161]
	v_add_f64 v[164:165], v[182:183], v[160:161]
	v_add_f64 v[166:167], v[182:183], -v[164:165]
	v_add_f64 v[160:161], v[160:161], v[166:167]
	v_mul_f64 v[166:167], v[176:177], v[164:165]
	v_mul_f64 v[178:179], v[150:151], v[166:167]
	v_fma_f64 v[150:151], v[166:167], v[150:151], -v[178:179]
	v_fmac_f64_e32 v[150:151], v[166:167], v[146:147]
	v_add_f64 v[146:147], v[178:179], v[150:151]
	v_add_f64 v[180:181], v[164:165], -v[146:147]
	v_add_f64 v[164:165], v[164:165], -v[180:181]
	;; [unrolled: 1-line block ×4, first 2 shown]
	v_add_f64 v[146:147], v[160:161], v[146:147]
	v_add_f64 v[150:151], v[178:179], -v[150:151]
	v_add_f64 v[146:147], v[150:151], v[146:147]
	v_add_f64 v[150:151], v[162:163], v[166:167]
	;; [unrolled: 1-line block ×3, first 2 shown]
	v_add_f64 v[160:161], v[150:151], -v[162:163]
	v_mul_f64 v[146:147], v[176:177], v[146:147]
	v_add_f64 v[160:161], v[166:167], -v[160:161]
	v_add_f64 v[146:147], v[160:161], v[146:147]
	v_add_f64 v[160:161], v[150:151], v[146:147]
	v_add_f64 v[150:151], v[160:161], -v[150:151]
	s_mov_b32 s36, 0xbf559e2b
	v_add_f64 v[146:147], v[146:147], -v[150:151]
	v_mul_f64 v[150:151], v[160:161], v[160:161]
	v_mov_b32_e32 v162, 0x6b47b09a
	v_mov_b32_e32 v163, 0x3fc38538
	s_mov_b32 s37, 0x3fc3ab76
	v_fmac_f64_e32 v[162:163], s[36:37], v[150:151]
	v_mov_b32_e32 v164, 0xd7f4df2e
	v_mov_b32_e32 v165, 0x3fc7474d
	v_fmac_f64_e32 v[164:165], v[150:151], v[162:163]
	v_mov_b32_e32 v162, 0x16291751
	v_mov_b32_e32 v163, 0x3fcc71c0
	;; [unrolled: 3-line block ×5, first 2 shown]
	v_fmac_f64_e32 v[164:165], v[150:151], v[162:163]
	v_cvt_f64_i32_e32 v[162:163], v149
	v_mul_f64 v[166:167], v[162:163], s[50:51]
	v_fma_f64 v[176:177], v[162:163], s[50:51], -v[166:167]
	v_fmac_f64_e32 v[176:177], s[52:53], v[162:163]
	v_add_f64 v[162:163], v[166:167], v[176:177]
	v_add_f64 v[166:167], v[162:163], -v[166:167]
	v_mul_f64 v[150:151], v[160:161], v[150:151]
	v_add_f64 v[166:167], v[176:177], -v[166:167]
	v_ldexp_f64 v[176:177], v[160:161], 1
	v_mul_f64 v[150:151], v[150:151], v[164:165]
	v_add_f64 v[160:161], v[176:177], v[150:151]
	v_add_f64 v[164:165], v[160:161], -v[176:177]
	v_ldexp_f64 v[146:147], v[146:147], 1
	v_add_f64 v[150:151], v[150:151], -v[164:165]
	v_add_f64 v[146:147], v[146:147], v[150:151]
	v_add_f64 v[150:151], v[160:161], v[146:147]
	v_add_f64 v[160:161], v[150:151], -v[160:161]
	v_add_f64 v[146:147], v[146:147], -v[160:161]
	v_add_f64 v[160:161], v[162:163], v[150:151]
	v_add_f64 v[164:165], v[160:161], -v[162:163]
	v_add_f64 v[176:177], v[160:161], -v[164:165]
	;; [unrolled: 1-line block ×4, first 2 shown]
	v_add_f64 v[150:151], v[150:151], v[162:163]
	v_add_f64 v[162:163], v[166:167], v[146:147]
	v_add_f64 v[164:165], v[162:163], -v[166:167]
	v_add_f64 v[150:151], v[162:163], v[150:151]
	v_add_f64 v[176:177], v[162:163], -v[164:165]
	;; [unrolled: 2-line block ×3, first 2 shown]
	v_add_f64 v[146:147], v[146:147], -v[164:165]
	v_add_f64 v[160:161], v[162:163], -v[160:161]
	v_add_f64 v[146:147], v[146:147], v[166:167]
	v_add_f64 v[150:151], v[150:151], -v[160:161]
	s_mov_b32 s36, 0
	v_add_f64 v[146:147], v[146:147], v[150:151]
	s_mov_b32 s37, 0x7ff00000
	v_add_f64 v[146:147], v[162:163], v[146:147]
	v_cmp_eq_f64_e64 s[36:37], s[36:37], v[144:145]
	v_mov_b32_e32 v149, 0x7ff80000
	s_nop 0
	v_cndmask_b32_e64 v146, v146, v144, s[36:37]
	v_cndmask_b32_e64 v147, v147, v145, s[36:37]
	v_cmp_ngt_f64_e64 s[36:37], -1.0, v[144:145]
	s_nop 1
	v_cndmask_b32_e64 v147, v149, v147, s[36:37]
	v_cmp_nge_f64_e64 s[36:37], -1.0, v[144:145]
	v_mov_b32_e32 v149, 0xfff00000
	s_nop 0
	v_cndmask_b32_e64 v146, 0, v146, s[36:37]
	v_cmp_neq_f64_e64 s[36:37], -1.0, v[144:145]
	s_nop 1
	v_cndmask_b32_e64 v147, v149, v147, s[36:37]
	v_add_f64 v[144:145], v[6:7], v[146:147]
.LBB50_81:
	s_or_b64 exec, exec, s[48:49]
	v_mov_b64_e32 v[6:7], v[144:145]
	v_mov_b32_e32 v146, v144
	v_mov_b32_e32 v147, v145
.LBB50_82:
	s_or_b64 exec, exec, s[44:45]
	v_mov_b32_dpp v144, v146 row_shr:8 row_mask:0xf bank_mask:0xf
	v_mov_b32_dpp v145, v147 row_shr:8 row_mask:0xf bank_mask:0xf
	v_cmp_lt_u32_e64 s[36:37], 7, v148
	s_and_saveexec_b64 s[44:45], s[36:37]
	s_cbranch_execz .LBB50_86
; %bb.83:
	v_max_f64 v[148:149], v[144:145], v[144:145]
	v_max_f64 v[150:151], v[6:7], v[6:7]
	v_min_f64 v[146:147], v[148:149], v[150:151]
	v_cmp_u_f64_e64 s[36:37], v[144:145], v[144:145]
	v_max_f64 v[148:149], v[148:149], v[150:151]
	v_cmp_u_f64_e64 s[38:39], v[6:7], v[6:7]
	v_cndmask_b32_e64 v146, v146, v144, s[36:37]
	v_cndmask_b32_e64 v147, v147, v145, s[36:37]
	;; [unrolled: 1-line block ×8, first 2 shown]
	v_cmp_neq_f64_e64 s[36:37], v[146:147], v[6:7]
	v_cmp_class_f64_e64 s[38:39], v[146:147], s13
	s_or_b64 s[36:37], s[36:37], s[38:39]
	s_and_saveexec_b64 s[48:49], s[36:37]
	s_cbranch_execz .LBB50_85
; %bb.84:
	s_mov_b32 s36, 0x652b82fe
	v_add_f64 v[144:145], v[146:147], -v[6:7]
	s_mov_b32 s37, 0x3ff71547
	v_mul_f64 v[146:147], v[144:145], s[36:37]
	v_rndne_f64_e32 v[146:147], v[146:147]
	s_mov_b32 s51, 0xbfe62e42
	s_mov_b32 s50, 0xfefa39ef
	v_fma_f64 v[148:149], s[50:51], v[146:147], v[144:145]
	s_mov_b32 s53, 0xbc7abc9e
	s_mov_b32 s52, 0x3b39803f
	;; [unrolled: 1-line block ×3, first 2 shown]
	v_fmac_f64_e32 v[148:149], s[52:53], v[146:147]
	v_mov_b32_e32 v150, 0xfca7ab0c
	v_mov_b32_e32 v151, 0x3e928af3
	s_mov_b32 s37, 0x3e5ade15
	v_fmac_f64_e32 v[150:151], s[36:37], v[148:149]
	v_mov_b32_e32 v160, 0x623fde64
	v_mov_b32_e32 v161, 0x3ec71dee
	v_fmac_f64_e32 v[160:161], v[148:149], v[150:151]
	v_mov_b32_e32 v150, 0x7c89e6b0
	v_mov_b32_e32 v151, 0x3efa0199
	;; [unrolled: 3-line block ×8, first 2 shown]
	v_fmac_f64_e32 v[150:151], v[148:149], v[160:161]
	v_fma_f64 v[150:151], v[148:149], v[150:151], 1.0
	s_mov_b32 s36, 0
	s_mov_b32 s38, 0
	v_fma_f64 v[148:149], v[148:149], v[150:151], 1.0
	v_cvt_i32_f64_e32 v146, v[146:147]
	s_mov_b32 s37, 0x40900000
	s_mov_b32 s39, 0xc090cc00
	v_ldexp_f64 v[146:147], v[148:149], v146
	v_mov_b32_e32 v148, 0x7ff00000
	v_cmp_nlt_f64_e64 s[36:37], s[36:37], v[144:145]
	v_cmp_ngt_f64_e64 s[38:39], s[38:39], v[144:145]
	s_mov_b32 s51, 0x3fe62e42
	v_cndmask_b32_e64 v147, v148, v147, s[36:37]
	s_and_b64 s[36:37], s[38:39], s[36:37]
	v_cndmask_b32_e64 v145, 0, v147, s[38:39]
	v_cndmask_b32_e64 v144, 0, v146, s[36:37]
	v_add_f64 v[146:147], v[144:145], 1.0
	v_add_f64 v[148:149], v[146:147], -1.0
	v_add_f64 v[150:151], v[148:149], -v[146:147]
	v_add_f64 v[150:151], v[150:151], 1.0
	v_add_f64 v[148:149], v[144:145], -v[148:149]
	s_mov_b32 s36, 0x55555555
	v_add_f64 v[148:149], v[148:149], v[150:151]
	v_frexp_mant_f64_e32 v[150:151], v[146:147]
	s_mov_b32 s37, 0x3fe55555
	v_frexp_exp_i32_f64_e32 v160, v[146:147]
	v_cmp_gt_f64_e64 s[36:37], s[36:37], v[150:151]
	s_mov_b32 s53, 0x3c7abc9e
	s_nop 0
	v_subbrev_co_u32_e64 v182, s[36:37], 0, v160, s[36:37]
	v_sub_u32_e32 v150, 0, v182
	v_ldexp_f64 v[146:147], v[146:147], v150
	v_ldexp_f64 v[148:149], v[148:149], v150
	v_add_f64 v[150:151], v[146:147], -1.0
	v_add_f64 v[164:165], v[146:147], 1.0
	v_add_f64 v[160:161], v[150:151], 1.0
	v_add_f64 v[166:167], v[164:165], -1.0
	v_add_f64 v[160:161], v[146:147], -v[160:161]
	v_add_f64 v[146:147], v[146:147], -v[166:167]
	v_add_f64 v[146:147], v[148:149], v[146:147]
	v_add_f64 v[160:161], v[148:149], v[160:161]
	;; [unrolled: 1-line block ×3, first 2 shown]
	v_rcp_f64_e32 v[166:167], v[148:149]
	v_add_f64 v[162:163], v[150:151], v[160:161]
	v_add_f64 v[150:151], v[162:163], -v[150:151]
	v_add_f64 v[150:151], v[160:161], -v[150:151]
	;; [unrolled: 1-line block ×4, first 2 shown]
	v_fma_f64 v[160:161], -v[148:149], v[166:167], 1.0
	v_fmac_f64_e32 v[166:167], v[160:161], v[166:167]
	v_fma_f64 v[160:161], -v[148:149], v[166:167], 1.0
	v_fmac_f64_e32 v[166:167], v[160:161], v[166:167]
	v_mul_f64 v[160:161], v[162:163], v[166:167]
	v_mul_f64 v[164:165], v[148:149], v[160:161]
	v_fma_f64 v[176:177], v[160:161], v[148:149], -v[164:165]
	v_fmac_f64_e32 v[176:177], v[160:161], v[146:147]
	v_add_f64 v[178:179], v[164:165], v[176:177]
	v_add_f64 v[180:181], v[162:163], -v[178:179]
	v_add_f64 v[162:163], v[162:163], -v[180:181]
	;; [unrolled: 1-line block ×4, first 2 shown]
	v_add_f64 v[150:151], v[150:151], v[162:163]
	v_add_f64 v[162:163], v[164:165], -v[176:177]
	v_add_f64 v[150:151], v[162:163], v[150:151]
	v_add_f64 v[162:163], v[180:181], v[150:151]
	v_add_f64 v[164:165], v[180:181], -v[162:163]
	v_add_f64 v[150:151], v[150:151], v[164:165]
	v_mul_f64 v[164:165], v[166:167], v[162:163]
	v_mul_f64 v[176:177], v[148:149], v[164:165]
	v_fma_f64 v[148:149], v[164:165], v[148:149], -v[176:177]
	v_fmac_f64_e32 v[148:149], v[164:165], v[146:147]
	v_add_f64 v[146:147], v[176:177], v[148:149]
	v_add_f64 v[178:179], v[162:163], -v[146:147]
	v_add_f64 v[162:163], v[162:163], -v[178:179]
	;; [unrolled: 1-line block ×4, first 2 shown]
	v_add_f64 v[146:147], v[150:151], v[146:147]
	v_add_f64 v[148:149], v[176:177], -v[148:149]
	v_add_f64 v[146:147], v[148:149], v[146:147]
	v_add_f64 v[148:149], v[160:161], v[164:165]
	;; [unrolled: 1-line block ×3, first 2 shown]
	v_add_f64 v[150:151], v[148:149], -v[160:161]
	v_mul_f64 v[146:147], v[166:167], v[146:147]
	v_add_f64 v[150:151], v[164:165], -v[150:151]
	v_add_f64 v[146:147], v[150:151], v[146:147]
	v_add_f64 v[150:151], v[148:149], v[146:147]
	v_add_f64 v[148:149], v[150:151], -v[148:149]
	s_mov_b32 s36, 0xbf559e2b
	v_add_f64 v[146:147], v[146:147], -v[148:149]
	v_mul_f64 v[148:149], v[150:151], v[150:151]
	v_mov_b32_e32 v160, 0x6b47b09a
	v_mov_b32_e32 v161, 0x3fc38538
	s_mov_b32 s37, 0x3fc3ab76
	v_fmac_f64_e32 v[160:161], s[36:37], v[148:149]
	v_mov_b32_e32 v162, 0xd7f4df2e
	v_mov_b32_e32 v163, 0x3fc7474d
	v_fmac_f64_e32 v[162:163], v[148:149], v[160:161]
	v_mov_b32_e32 v160, 0x16291751
	v_mov_b32_e32 v161, 0x3fcc71c0
	;; [unrolled: 3-line block ×5, first 2 shown]
	v_fmac_f64_e32 v[162:163], v[148:149], v[160:161]
	v_cvt_f64_i32_e32 v[160:161], v182
	v_mul_f64 v[164:165], v[160:161], s[50:51]
	v_fma_f64 v[166:167], v[160:161], s[50:51], -v[164:165]
	v_fmac_f64_e32 v[166:167], s[52:53], v[160:161]
	v_add_f64 v[160:161], v[164:165], v[166:167]
	v_add_f64 v[164:165], v[160:161], -v[164:165]
	v_mul_f64 v[148:149], v[150:151], v[148:149]
	v_add_f64 v[164:165], v[166:167], -v[164:165]
	v_ldexp_f64 v[166:167], v[150:151], 1
	v_mul_f64 v[148:149], v[148:149], v[162:163]
	v_add_f64 v[150:151], v[166:167], v[148:149]
	v_add_f64 v[162:163], v[150:151], -v[166:167]
	v_ldexp_f64 v[146:147], v[146:147], 1
	v_add_f64 v[148:149], v[148:149], -v[162:163]
	v_add_f64 v[146:147], v[146:147], v[148:149]
	v_add_f64 v[148:149], v[150:151], v[146:147]
	v_add_f64 v[150:151], v[148:149], -v[150:151]
	v_add_f64 v[146:147], v[146:147], -v[150:151]
	v_add_f64 v[150:151], v[160:161], v[148:149]
	v_add_f64 v[162:163], v[150:151], -v[160:161]
	v_add_f64 v[166:167], v[150:151], -v[162:163]
	;; [unrolled: 1-line block ×4, first 2 shown]
	v_add_f64 v[148:149], v[148:149], v[160:161]
	v_add_f64 v[160:161], v[164:165], v[146:147]
	v_add_f64 v[162:163], v[160:161], -v[164:165]
	v_add_f64 v[148:149], v[160:161], v[148:149]
	v_add_f64 v[166:167], v[160:161], -v[162:163]
	;; [unrolled: 2-line block ×3, first 2 shown]
	v_add_f64 v[146:147], v[146:147], -v[162:163]
	v_add_f64 v[150:151], v[160:161], -v[150:151]
	v_add_f64 v[146:147], v[146:147], v[164:165]
	v_add_f64 v[148:149], v[148:149], -v[150:151]
	s_mov_b32 s36, 0
	v_add_f64 v[146:147], v[146:147], v[148:149]
	s_mov_b32 s37, 0x7ff00000
	v_add_f64 v[146:147], v[160:161], v[146:147]
	v_cmp_eq_f64_e64 s[36:37], s[36:37], v[144:145]
	v_mov_b32_e32 v148, 0x7ff80000
	s_nop 0
	v_cndmask_b32_e64 v146, v146, v144, s[36:37]
	v_cndmask_b32_e64 v147, v147, v145, s[36:37]
	v_cmp_ngt_f64_e64 s[36:37], -1.0, v[144:145]
	s_nop 1
	v_cndmask_b32_e64 v147, v148, v147, s[36:37]
	v_cmp_nge_f64_e64 s[36:37], -1.0, v[144:145]
	v_mov_b32_e32 v148, 0xfff00000
	s_nop 0
	v_cndmask_b32_e64 v146, 0, v146, s[36:37]
	v_cmp_neq_f64_e64 s[36:37], -1.0, v[144:145]
	s_nop 1
	v_cndmask_b32_e64 v147, v148, v147, s[36:37]
	v_add_f64 v[144:145], v[6:7], v[146:147]
.LBB50_85:
	s_or_b64 exec, exec, s[48:49]
	v_mov_b64_e32 v[6:7], v[144:145]
	v_mov_b32_e32 v146, v144
	v_mov_b32_e32 v147, v145
.LBB50_86:
	s_or_b64 exec, exec, s[44:45]
	v_and_b32_e32 v148, 16, v71
	v_mov_b32_dpp v144, v146 row_bcast:15 row_mask:0xf bank_mask:0xf
	v_mov_b32_dpp v145, v147 row_bcast:15 row_mask:0xf bank_mask:0xf
	v_cmp_ne_u32_e64 s[36:37], 0, v148
	s_and_saveexec_b64 s[44:45], s[36:37]
	s_cbranch_execz .LBB50_90
; %bb.87:
	v_max_f64 v[148:149], v[144:145], v[144:145]
	v_max_f64 v[150:151], v[6:7], v[6:7]
	v_min_f64 v[146:147], v[148:149], v[150:151]
	v_cmp_u_f64_e64 s[36:37], v[144:145], v[144:145]
	v_max_f64 v[148:149], v[148:149], v[150:151]
	v_cmp_u_f64_e64 s[38:39], v[6:7], v[6:7]
	v_cndmask_b32_e64 v146, v146, v144, s[36:37]
	v_cndmask_b32_e64 v147, v147, v145, s[36:37]
	;; [unrolled: 1-line block ×8, first 2 shown]
	v_cmp_neq_f64_e64 s[36:37], v[146:147], v[6:7]
	v_cmp_class_f64_e64 s[38:39], v[146:147], s13
	s_or_b64 s[36:37], s[36:37], s[38:39]
	s_and_saveexec_b64 s[48:49], s[36:37]
	s_cbranch_execz .LBB50_89
; %bb.88:
	s_mov_b32 s36, 0x652b82fe
	v_add_f64 v[144:145], v[146:147], -v[6:7]
	s_mov_b32 s37, 0x3ff71547
	v_mul_f64 v[146:147], v[144:145], s[36:37]
	v_rndne_f64_e32 v[146:147], v[146:147]
	s_mov_b32 s51, 0xbfe62e42
	s_mov_b32 s50, 0xfefa39ef
	v_fma_f64 v[148:149], s[50:51], v[146:147], v[144:145]
	s_mov_b32 s53, 0xbc7abc9e
	s_mov_b32 s52, 0x3b39803f
	;; [unrolled: 1-line block ×3, first 2 shown]
	v_fmac_f64_e32 v[148:149], s[52:53], v[146:147]
	v_mov_b32_e32 v150, 0xfca7ab0c
	v_mov_b32_e32 v151, 0x3e928af3
	s_mov_b32 s37, 0x3e5ade15
	v_fmac_f64_e32 v[150:151], s[36:37], v[148:149]
	v_mov_b32_e32 v160, 0x623fde64
	v_mov_b32_e32 v161, 0x3ec71dee
	v_fmac_f64_e32 v[160:161], v[148:149], v[150:151]
	v_mov_b32_e32 v150, 0x7c89e6b0
	v_mov_b32_e32 v151, 0x3efa0199
	;; [unrolled: 3-line block ×8, first 2 shown]
	v_fmac_f64_e32 v[150:151], v[148:149], v[160:161]
	v_fma_f64 v[150:151], v[148:149], v[150:151], 1.0
	s_mov_b32 s36, 0
	s_mov_b32 s38, 0
	v_fma_f64 v[148:149], v[148:149], v[150:151], 1.0
	v_cvt_i32_f64_e32 v146, v[146:147]
	s_mov_b32 s37, 0x40900000
	s_mov_b32 s39, 0xc090cc00
	v_ldexp_f64 v[146:147], v[148:149], v146
	v_mov_b32_e32 v148, 0x7ff00000
	v_cmp_nlt_f64_e64 s[36:37], s[36:37], v[144:145]
	v_cmp_ngt_f64_e64 s[38:39], s[38:39], v[144:145]
	s_mov_b32 s51, 0x3fe62e42
	v_cndmask_b32_e64 v147, v148, v147, s[36:37]
	s_and_b64 s[36:37], s[38:39], s[36:37]
	v_cndmask_b32_e64 v145, 0, v147, s[38:39]
	v_cndmask_b32_e64 v144, 0, v146, s[36:37]
	v_add_f64 v[146:147], v[144:145], 1.0
	v_add_f64 v[148:149], v[146:147], -1.0
	v_add_f64 v[150:151], v[148:149], -v[146:147]
	v_add_f64 v[150:151], v[150:151], 1.0
	v_add_f64 v[148:149], v[144:145], -v[148:149]
	s_mov_b32 s36, 0x55555555
	v_add_f64 v[148:149], v[148:149], v[150:151]
	v_frexp_mant_f64_e32 v[150:151], v[146:147]
	s_mov_b32 s37, 0x3fe55555
	v_frexp_exp_i32_f64_e32 v160, v[146:147]
	v_cmp_gt_f64_e64 s[36:37], s[36:37], v[150:151]
	s_mov_b32 s53, 0x3c7abc9e
	s_nop 0
	v_subbrev_co_u32_e64 v182, s[36:37], 0, v160, s[36:37]
	v_sub_u32_e32 v150, 0, v182
	v_ldexp_f64 v[146:147], v[146:147], v150
	v_ldexp_f64 v[148:149], v[148:149], v150
	v_add_f64 v[150:151], v[146:147], -1.0
	v_add_f64 v[164:165], v[146:147], 1.0
	v_add_f64 v[160:161], v[150:151], 1.0
	v_add_f64 v[166:167], v[164:165], -1.0
	v_add_f64 v[160:161], v[146:147], -v[160:161]
	v_add_f64 v[146:147], v[146:147], -v[166:167]
	v_add_f64 v[146:147], v[148:149], v[146:147]
	v_add_f64 v[160:161], v[148:149], v[160:161]
	;; [unrolled: 1-line block ×3, first 2 shown]
	v_rcp_f64_e32 v[166:167], v[148:149]
	v_add_f64 v[162:163], v[150:151], v[160:161]
	v_add_f64 v[150:151], v[162:163], -v[150:151]
	v_add_f64 v[150:151], v[160:161], -v[150:151]
	;; [unrolled: 1-line block ×4, first 2 shown]
	v_fma_f64 v[160:161], -v[148:149], v[166:167], 1.0
	v_fmac_f64_e32 v[166:167], v[160:161], v[166:167]
	v_fma_f64 v[160:161], -v[148:149], v[166:167], 1.0
	v_fmac_f64_e32 v[166:167], v[160:161], v[166:167]
	v_mul_f64 v[160:161], v[162:163], v[166:167]
	v_mul_f64 v[164:165], v[148:149], v[160:161]
	v_fma_f64 v[176:177], v[160:161], v[148:149], -v[164:165]
	v_fmac_f64_e32 v[176:177], v[160:161], v[146:147]
	v_add_f64 v[178:179], v[164:165], v[176:177]
	v_add_f64 v[180:181], v[162:163], -v[178:179]
	v_add_f64 v[162:163], v[162:163], -v[180:181]
	;; [unrolled: 1-line block ×4, first 2 shown]
	v_add_f64 v[150:151], v[150:151], v[162:163]
	v_add_f64 v[162:163], v[164:165], -v[176:177]
	v_add_f64 v[150:151], v[162:163], v[150:151]
	v_add_f64 v[162:163], v[180:181], v[150:151]
	v_add_f64 v[164:165], v[180:181], -v[162:163]
	v_add_f64 v[150:151], v[150:151], v[164:165]
	v_mul_f64 v[164:165], v[166:167], v[162:163]
	v_mul_f64 v[176:177], v[148:149], v[164:165]
	v_fma_f64 v[148:149], v[164:165], v[148:149], -v[176:177]
	v_fmac_f64_e32 v[148:149], v[164:165], v[146:147]
	v_add_f64 v[146:147], v[176:177], v[148:149]
	v_add_f64 v[178:179], v[162:163], -v[146:147]
	v_add_f64 v[162:163], v[162:163], -v[178:179]
	;; [unrolled: 1-line block ×4, first 2 shown]
	v_add_f64 v[146:147], v[150:151], v[146:147]
	v_add_f64 v[148:149], v[176:177], -v[148:149]
	v_add_f64 v[146:147], v[148:149], v[146:147]
	v_add_f64 v[148:149], v[160:161], v[164:165]
	;; [unrolled: 1-line block ×3, first 2 shown]
	v_add_f64 v[150:151], v[148:149], -v[160:161]
	v_mul_f64 v[146:147], v[166:167], v[146:147]
	v_add_f64 v[150:151], v[164:165], -v[150:151]
	v_add_f64 v[146:147], v[150:151], v[146:147]
	v_add_f64 v[150:151], v[148:149], v[146:147]
	v_add_f64 v[148:149], v[150:151], -v[148:149]
	s_mov_b32 s36, 0xbf559e2b
	v_add_f64 v[146:147], v[146:147], -v[148:149]
	v_mul_f64 v[148:149], v[150:151], v[150:151]
	v_mov_b32_e32 v160, 0x6b47b09a
	v_mov_b32_e32 v161, 0x3fc38538
	s_mov_b32 s37, 0x3fc3ab76
	v_fmac_f64_e32 v[160:161], s[36:37], v[148:149]
	v_mov_b32_e32 v162, 0xd7f4df2e
	v_mov_b32_e32 v163, 0x3fc7474d
	v_fmac_f64_e32 v[162:163], v[148:149], v[160:161]
	v_mov_b32_e32 v160, 0x16291751
	v_mov_b32_e32 v161, 0x3fcc71c0
	;; [unrolled: 3-line block ×5, first 2 shown]
	v_fmac_f64_e32 v[162:163], v[148:149], v[160:161]
	v_cvt_f64_i32_e32 v[160:161], v182
	v_mul_f64 v[164:165], v[160:161], s[50:51]
	v_fma_f64 v[166:167], v[160:161], s[50:51], -v[164:165]
	v_fmac_f64_e32 v[166:167], s[52:53], v[160:161]
	v_add_f64 v[160:161], v[164:165], v[166:167]
	v_add_f64 v[164:165], v[160:161], -v[164:165]
	v_mul_f64 v[148:149], v[150:151], v[148:149]
	v_add_f64 v[164:165], v[166:167], -v[164:165]
	v_ldexp_f64 v[166:167], v[150:151], 1
	v_mul_f64 v[148:149], v[148:149], v[162:163]
	v_add_f64 v[150:151], v[166:167], v[148:149]
	v_add_f64 v[162:163], v[150:151], -v[166:167]
	v_ldexp_f64 v[146:147], v[146:147], 1
	v_add_f64 v[148:149], v[148:149], -v[162:163]
	v_add_f64 v[146:147], v[146:147], v[148:149]
	v_add_f64 v[148:149], v[150:151], v[146:147]
	v_add_f64 v[150:151], v[148:149], -v[150:151]
	v_add_f64 v[146:147], v[146:147], -v[150:151]
	v_add_f64 v[150:151], v[160:161], v[148:149]
	v_add_f64 v[162:163], v[150:151], -v[160:161]
	v_add_f64 v[166:167], v[150:151], -v[162:163]
	;; [unrolled: 1-line block ×4, first 2 shown]
	v_add_f64 v[148:149], v[148:149], v[160:161]
	v_add_f64 v[160:161], v[164:165], v[146:147]
	v_add_f64 v[162:163], v[160:161], -v[164:165]
	v_add_f64 v[148:149], v[160:161], v[148:149]
	v_add_f64 v[166:167], v[160:161], -v[162:163]
	;; [unrolled: 2-line block ×3, first 2 shown]
	v_add_f64 v[146:147], v[146:147], -v[162:163]
	v_add_f64 v[150:151], v[160:161], -v[150:151]
	v_add_f64 v[146:147], v[146:147], v[164:165]
	v_add_f64 v[148:149], v[148:149], -v[150:151]
	s_mov_b32 s36, 0
	v_add_f64 v[146:147], v[146:147], v[148:149]
	s_mov_b32 s37, 0x7ff00000
	v_add_f64 v[146:147], v[160:161], v[146:147]
	v_cmp_eq_f64_e64 s[36:37], s[36:37], v[144:145]
	v_mov_b32_e32 v148, 0x7ff80000
	s_nop 0
	v_cndmask_b32_e64 v146, v146, v144, s[36:37]
	v_cndmask_b32_e64 v147, v147, v145, s[36:37]
	v_cmp_ngt_f64_e64 s[36:37], -1.0, v[144:145]
	s_nop 1
	v_cndmask_b32_e64 v147, v148, v147, s[36:37]
	v_cmp_nge_f64_e64 s[36:37], -1.0, v[144:145]
	v_mov_b32_e32 v148, 0xfff00000
	s_nop 0
	v_cndmask_b32_e64 v146, 0, v146, s[36:37]
	v_cmp_neq_f64_e64 s[36:37], -1.0, v[144:145]
	s_nop 1
	v_cndmask_b32_e64 v147, v148, v147, s[36:37]
	v_add_f64 v[144:145], v[6:7], v[146:147]
.LBB50_89:
	s_or_b64 exec, exec, s[48:49]
	v_mov_b32_e32 v146, v144
	v_mov_b32_e32 v147, v145
	v_mov_b64_e32 v[6:7], v[144:145]
.LBB50_90:
	s_or_b64 exec, exec, s[44:45]
	v_mov_b32_dpp v144, v146 row_bcast:31 row_mask:0xf bank_mask:0xf
	v_mov_b32_dpp v145, v147 row_bcast:31 row_mask:0xf bank_mask:0xf
	v_cmp_lt_u32_e64 s[36:37], 31, v71
	s_and_saveexec_b64 s[44:45], s[36:37]
	s_cbranch_execz .LBB50_94
; %bb.91:
	v_max_f64 v[148:149], v[144:145], v[144:145]
	v_max_f64 v[150:151], v[6:7], v[6:7]
	v_min_f64 v[146:147], v[148:149], v[150:151]
	v_cmp_u_f64_e64 s[36:37], v[144:145], v[144:145]
	v_max_f64 v[148:149], v[148:149], v[150:151]
	v_cmp_u_f64_e64 s[38:39], v[6:7], v[6:7]
	v_cndmask_b32_e64 v146, v146, v144, s[36:37]
	v_cndmask_b32_e64 v147, v147, v145, s[36:37]
	v_cndmask_b32_e64 v148, v148, v144, s[36:37]
	v_cndmask_b32_e64 v149, v149, v145, s[36:37]
	v_cndmask_b32_e64 v147, v147, v7, s[38:39]
	v_cndmask_b32_e64 v146, v146, v6, s[38:39]
	v_cndmask_b32_e64 v7, v149, v7, s[38:39]
	v_cndmask_b32_e64 v6, v148, v6, s[38:39]
	v_cmp_neq_f64_e64 s[36:37], v[146:147], v[6:7]
	v_cmp_class_f64_e64 s[38:39], v[146:147], s13
	s_or_b64 s[36:37], s[36:37], s[38:39]
	s_and_saveexec_b64 s[48:49], s[36:37]
	s_cbranch_execz .LBB50_93
; %bb.92:
	s_mov_b32 s36, 0x652b82fe
	v_add_f64 v[144:145], v[146:147], -v[6:7]
	s_mov_b32 s37, 0x3ff71547
	v_mul_f64 v[146:147], v[144:145], s[36:37]
	v_rndne_f64_e32 v[146:147], v[146:147]
	s_mov_b32 s51, 0xbfe62e42
	s_mov_b32 s50, 0xfefa39ef
	v_fma_f64 v[148:149], s[50:51], v[146:147], v[144:145]
	s_mov_b32 s53, 0xbc7abc9e
	s_mov_b32 s52, 0x3b39803f
	;; [unrolled: 1-line block ×3, first 2 shown]
	v_fmac_f64_e32 v[148:149], s[52:53], v[146:147]
	v_mov_b32_e32 v150, 0xfca7ab0c
	v_mov_b32_e32 v151, 0x3e928af3
	s_mov_b32 s37, 0x3e5ade15
	v_fmac_f64_e32 v[150:151], s[36:37], v[148:149]
	v_mov_b32_e32 v160, 0x623fde64
	v_mov_b32_e32 v161, 0x3ec71dee
	v_fmac_f64_e32 v[160:161], v[148:149], v[150:151]
	v_mov_b32_e32 v150, 0x7c89e6b0
	v_mov_b32_e32 v151, 0x3efa0199
	;; [unrolled: 3-line block ×8, first 2 shown]
	v_fmac_f64_e32 v[150:151], v[148:149], v[160:161]
	v_fma_f64 v[150:151], v[148:149], v[150:151], 1.0
	s_mov_b32 s36, 0
	s_mov_b32 s38, 0
	v_fma_f64 v[148:149], v[148:149], v[150:151], 1.0
	v_cvt_i32_f64_e32 v146, v[146:147]
	s_mov_b32 s37, 0x40900000
	s_mov_b32 s39, 0xc090cc00
	v_ldexp_f64 v[146:147], v[148:149], v146
	v_mov_b32_e32 v148, 0x7ff00000
	v_cmp_nlt_f64_e64 s[36:37], s[36:37], v[144:145]
	v_cmp_ngt_f64_e64 s[38:39], s[38:39], v[144:145]
	s_mov_b32 s51, 0x3fe62e42
	v_cndmask_b32_e64 v147, v148, v147, s[36:37]
	s_and_b64 s[36:37], s[38:39], s[36:37]
	v_cndmask_b32_e64 v145, 0, v147, s[38:39]
	v_cndmask_b32_e64 v144, 0, v146, s[36:37]
	v_add_f64 v[146:147], v[144:145], 1.0
	v_add_f64 v[148:149], v[146:147], -1.0
	v_add_f64 v[150:151], v[148:149], -v[146:147]
	v_add_f64 v[150:151], v[150:151], 1.0
	v_add_f64 v[148:149], v[144:145], -v[148:149]
	s_mov_b32 s36, 0x55555555
	v_add_f64 v[148:149], v[148:149], v[150:151]
	v_frexp_mant_f64_e32 v[150:151], v[146:147]
	s_mov_b32 s37, 0x3fe55555
	v_frexp_exp_i32_f64_e32 v160, v[146:147]
	v_cmp_gt_f64_e64 s[36:37], s[36:37], v[150:151]
	s_mov_b32 s53, 0x3c7abc9e
	s_nop 0
	v_subbrev_co_u32_e64 v182, s[36:37], 0, v160, s[36:37]
	v_sub_u32_e32 v150, 0, v182
	v_ldexp_f64 v[146:147], v[146:147], v150
	v_ldexp_f64 v[148:149], v[148:149], v150
	v_add_f64 v[150:151], v[146:147], -1.0
	v_add_f64 v[164:165], v[146:147], 1.0
	v_add_f64 v[160:161], v[150:151], 1.0
	v_add_f64 v[166:167], v[164:165], -1.0
	v_add_f64 v[160:161], v[146:147], -v[160:161]
	v_add_f64 v[146:147], v[146:147], -v[166:167]
	v_add_f64 v[146:147], v[148:149], v[146:147]
	v_add_f64 v[160:161], v[148:149], v[160:161]
	;; [unrolled: 1-line block ×3, first 2 shown]
	v_rcp_f64_e32 v[166:167], v[148:149]
	v_add_f64 v[162:163], v[150:151], v[160:161]
	v_add_f64 v[150:151], v[162:163], -v[150:151]
	v_add_f64 v[150:151], v[160:161], -v[150:151]
	;; [unrolled: 1-line block ×4, first 2 shown]
	v_fma_f64 v[160:161], -v[148:149], v[166:167], 1.0
	v_fmac_f64_e32 v[166:167], v[160:161], v[166:167]
	v_fma_f64 v[160:161], -v[148:149], v[166:167], 1.0
	v_fmac_f64_e32 v[166:167], v[160:161], v[166:167]
	v_mul_f64 v[160:161], v[162:163], v[166:167]
	v_mul_f64 v[164:165], v[148:149], v[160:161]
	v_fma_f64 v[176:177], v[160:161], v[148:149], -v[164:165]
	v_fmac_f64_e32 v[176:177], v[160:161], v[146:147]
	v_add_f64 v[178:179], v[164:165], v[176:177]
	v_add_f64 v[180:181], v[162:163], -v[178:179]
	v_add_f64 v[162:163], v[162:163], -v[180:181]
	;; [unrolled: 1-line block ×4, first 2 shown]
	v_add_f64 v[150:151], v[150:151], v[162:163]
	v_add_f64 v[162:163], v[164:165], -v[176:177]
	v_add_f64 v[150:151], v[162:163], v[150:151]
	v_add_f64 v[162:163], v[180:181], v[150:151]
	v_add_f64 v[164:165], v[180:181], -v[162:163]
	v_add_f64 v[150:151], v[150:151], v[164:165]
	v_mul_f64 v[164:165], v[166:167], v[162:163]
	v_mul_f64 v[176:177], v[148:149], v[164:165]
	v_fma_f64 v[148:149], v[164:165], v[148:149], -v[176:177]
	v_fmac_f64_e32 v[148:149], v[164:165], v[146:147]
	v_add_f64 v[146:147], v[176:177], v[148:149]
	v_add_f64 v[178:179], v[162:163], -v[146:147]
	v_add_f64 v[162:163], v[162:163], -v[178:179]
	;; [unrolled: 1-line block ×4, first 2 shown]
	v_add_f64 v[146:147], v[150:151], v[146:147]
	v_add_f64 v[148:149], v[176:177], -v[148:149]
	v_add_f64 v[146:147], v[148:149], v[146:147]
	v_add_f64 v[148:149], v[160:161], v[164:165]
	;; [unrolled: 1-line block ×3, first 2 shown]
	v_add_f64 v[150:151], v[148:149], -v[160:161]
	v_mul_f64 v[146:147], v[166:167], v[146:147]
	v_add_f64 v[150:151], v[164:165], -v[150:151]
	v_add_f64 v[146:147], v[150:151], v[146:147]
	v_add_f64 v[150:151], v[148:149], v[146:147]
	v_add_f64 v[148:149], v[150:151], -v[148:149]
	s_mov_b32 s36, 0xbf559e2b
	v_add_f64 v[146:147], v[146:147], -v[148:149]
	v_mul_f64 v[148:149], v[150:151], v[150:151]
	v_mov_b32_e32 v160, 0x6b47b09a
	v_mov_b32_e32 v161, 0x3fc38538
	s_mov_b32 s37, 0x3fc3ab76
	v_fmac_f64_e32 v[160:161], s[36:37], v[148:149]
	v_mov_b32_e32 v162, 0xd7f4df2e
	v_mov_b32_e32 v163, 0x3fc7474d
	v_fmac_f64_e32 v[162:163], v[148:149], v[160:161]
	v_mov_b32_e32 v160, 0x16291751
	v_mov_b32_e32 v161, 0x3fcc71c0
	v_fmac_f64_e32 v[160:161], v[148:149], v[162:163]
	v_mov_b32_e32 v162, 0x9b27acf1
	v_mov_b32_e32 v163, 0x3fd24924
	v_fmac_f64_e32 v[162:163], v[148:149], v[160:161]
	v_mov_b32_e32 v160, 0x998ef7b6
	v_mov_b32_e32 v161, 0x3fd99999
	v_fmac_f64_e32 v[160:161], v[148:149], v[162:163]
	v_mov_b32_e32 v162, 0x55555780
	v_mov_b32_e32 v163, 0x3fe55555
	v_fmac_f64_e32 v[162:163], v[148:149], v[160:161]
	v_cvt_f64_i32_e32 v[160:161], v182
	v_mul_f64 v[164:165], v[160:161], s[50:51]
	v_fma_f64 v[166:167], v[160:161], s[50:51], -v[164:165]
	v_fmac_f64_e32 v[166:167], s[52:53], v[160:161]
	v_add_f64 v[160:161], v[164:165], v[166:167]
	v_add_f64 v[164:165], v[160:161], -v[164:165]
	v_mul_f64 v[148:149], v[150:151], v[148:149]
	v_add_f64 v[164:165], v[166:167], -v[164:165]
	v_ldexp_f64 v[166:167], v[150:151], 1
	v_mul_f64 v[148:149], v[148:149], v[162:163]
	v_add_f64 v[150:151], v[166:167], v[148:149]
	v_add_f64 v[162:163], v[150:151], -v[166:167]
	v_ldexp_f64 v[146:147], v[146:147], 1
	v_add_f64 v[148:149], v[148:149], -v[162:163]
	v_add_f64 v[146:147], v[146:147], v[148:149]
	v_add_f64 v[148:149], v[150:151], v[146:147]
	v_add_f64 v[150:151], v[148:149], -v[150:151]
	v_add_f64 v[146:147], v[146:147], -v[150:151]
	v_add_f64 v[150:151], v[160:161], v[148:149]
	v_add_f64 v[162:163], v[150:151], -v[160:161]
	v_add_f64 v[166:167], v[150:151], -v[162:163]
	;; [unrolled: 1-line block ×4, first 2 shown]
	v_add_f64 v[148:149], v[148:149], v[160:161]
	v_add_f64 v[160:161], v[164:165], v[146:147]
	v_add_f64 v[162:163], v[160:161], -v[164:165]
	v_add_f64 v[148:149], v[160:161], v[148:149]
	v_add_f64 v[166:167], v[160:161], -v[162:163]
	;; [unrolled: 2-line block ×3, first 2 shown]
	v_add_f64 v[146:147], v[146:147], -v[162:163]
	v_add_f64 v[150:151], v[160:161], -v[150:151]
	v_add_f64 v[146:147], v[146:147], v[164:165]
	v_add_f64 v[148:149], v[148:149], -v[150:151]
	s_mov_b32 s36, 0
	v_add_f64 v[146:147], v[146:147], v[148:149]
	s_mov_b32 s37, 0x7ff00000
	v_add_f64 v[146:147], v[160:161], v[146:147]
	v_cmp_eq_f64_e64 s[36:37], s[36:37], v[144:145]
	v_mov_b32_e32 v148, 0x7ff80000
	s_nop 0
	v_cndmask_b32_e64 v146, v146, v144, s[36:37]
	v_cndmask_b32_e64 v147, v147, v145, s[36:37]
	v_cmp_ngt_f64_e64 s[36:37], -1.0, v[144:145]
	s_nop 1
	v_cndmask_b32_e64 v147, v148, v147, s[36:37]
	v_cmp_nge_f64_e64 s[36:37], -1.0, v[144:145]
	v_mov_b32_e32 v148, 0xfff00000
	s_nop 0
	v_cndmask_b32_e64 v146, 0, v146, s[36:37]
	v_cmp_neq_f64_e64 s[36:37], -1.0, v[144:145]
	s_nop 1
	v_cndmask_b32_e64 v147, v148, v147, s[36:37]
	v_add_f64 v[144:145], v[6:7], v[146:147]
.LBB50_93:
	s_or_b64 exec, exec, s[48:49]
	v_mov_b64_e32 v[6:7], v[144:145]
.LBB50_94:
	s_or_b64 exec, exec, s[44:45]
	v_add_u32_e32 v144, -1, v71
	v_and_b32_e32 v145, 64, v71
	v_cmp_lt_i32_e64 s[36:37], v144, v145
	s_nop 1
	v_cndmask_b32_e64 v71, v144, v71, s[36:37]
	v_lshlrev_b32_e32 v71, 2, v71
	ds_bpermute_b32 v6, v71, v6
	ds_bpermute_b32 v7, v71, v7
	s_waitcnt lgkmcnt(0)
	v_max_f64 v[146:147], v[6:7], v[6:7]
	v_min_f64 v[144:145], v[146:147], v[8:9]
	v_cmp_u_f64_e64 s[36:37], v[6:7], v[6:7]
	v_max_f64 v[8:9], v[146:147], v[8:9]
	s_nop 0
	v_cndmask_b32_e64 v71, v144, v6, s[36:37]
	v_cndmask_b32_e64 v144, v145, v7, s[36:37]
	;; [unrolled: 1-line block ×8, first 2 shown]
	v_cmp_neq_f64_e64 s[34:35], v[144:145], v[4:5]
	v_cmp_class_f64_e64 s[36:37], v[144:145], s13
	s_or_b64 s[34:35], s[34:35], s[36:37]
	s_and_saveexec_b64 s[38:39], s[34:35]
	s_cbranch_execz .LBB50_96
; %bb.95:
	s_mov_b32 s34, 0x652b82fe
	v_add_f64 v[6:7], v[144:145], -v[4:5]
	s_mov_b32 s35, 0x3ff71547
	v_mul_f64 v[8:9], v[6:7], s[34:35]
	v_rndne_f64_e32 v[8:9], v[8:9]
	s_mov_b32 s45, 0xbfe62e42
	s_mov_b32 s44, 0xfefa39ef
	v_fma_f64 v[144:145], s[44:45], v[8:9], v[6:7]
	s_mov_b32 s49, 0xbc7abc9e
	s_mov_b32 s48, 0x3b39803f
	;; [unrolled: 1-line block ×3, first 2 shown]
	v_fmac_f64_e32 v[144:145], s[48:49], v[8:9]
	v_mov_b32_e32 v146, 0xfca7ab0c
	v_mov_b32_e32 v147, 0x3e928af3
	s_mov_b32 s35, 0x3e5ade15
	v_fmac_f64_e32 v[146:147], s[34:35], v[144:145]
	v_mov_b32_e32 v148, 0x623fde64
	v_mov_b32_e32 v149, 0x3ec71dee
	v_fmac_f64_e32 v[148:149], v[144:145], v[146:147]
	v_mov_b32_e32 v146, 0x7c89e6b0
	v_mov_b32_e32 v147, 0x3efa0199
	;; [unrolled: 3-line block ×8, first 2 shown]
	v_fmac_f64_e32 v[146:147], v[144:145], v[148:149]
	v_fma_f64 v[146:147], v[144:145], v[146:147], 1.0
	s_mov_b32 s34, 0
	s_mov_b32 s36, 0
	v_fma_f64 v[144:145], v[144:145], v[146:147], 1.0
	v_cvt_i32_f64_e32 v8, v[8:9]
	s_mov_b32 s35, 0x40900000
	s_mov_b32 s37, 0xc090cc00
	v_ldexp_f64 v[8:9], v[144:145], v8
	v_mov_b32_e32 v71, 0x7ff00000
	v_cmp_nlt_f64_e64 s[34:35], s[34:35], v[6:7]
	v_cmp_ngt_f64_e64 s[36:37], s[36:37], v[6:7]
	s_mov_b32 s45, 0x3fe62e42
	v_cndmask_b32_e64 v9, v71, v9, s[34:35]
	s_and_b64 s[34:35], s[36:37], s[34:35]
	v_cndmask_b32_e64 v7, 0, v9, s[36:37]
	v_cndmask_b32_e64 v6, 0, v8, s[34:35]
	v_add_f64 v[8:9], v[6:7], 1.0
	v_add_f64 v[144:145], v[8:9], -1.0
	v_add_f64 v[146:147], v[144:145], -v[8:9]
	v_add_f64 v[146:147], v[146:147], 1.0
	v_add_f64 v[144:145], v[6:7], -v[144:145]
	s_mov_b32 s34, 0x55555555
	v_add_f64 v[144:145], v[144:145], v[146:147]
	v_frexp_mant_f64_e32 v[146:147], v[8:9]
	s_mov_b32 s35, 0x3fe55555
	v_frexp_exp_i32_f64_e32 v71, v[8:9]
	v_cmp_gt_f64_e64 s[34:35], s[34:35], v[146:147]
	s_mov_b32 s49, 0x3c7abc9e
	s_nop 0
	v_subbrev_co_u32_e64 v71, s[34:35], 0, v71, s[34:35]
	v_sub_u32_e32 v146, 0, v71
	v_ldexp_f64 v[8:9], v[8:9], v146
	v_ldexp_f64 v[144:145], v[144:145], v146
	v_add_f64 v[146:147], v[8:9], -1.0
	v_add_f64 v[160:161], v[8:9], 1.0
	v_add_f64 v[148:149], v[146:147], 1.0
	v_add_f64 v[162:163], v[160:161], -1.0
	v_add_f64 v[148:149], v[8:9], -v[148:149]
	v_add_f64 v[8:9], v[8:9], -v[162:163]
	v_add_f64 v[8:9], v[144:145], v[8:9]
	v_add_f64 v[148:149], v[144:145], v[148:149]
	;; [unrolled: 1-line block ×3, first 2 shown]
	v_rcp_f64_e32 v[162:163], v[144:145]
	v_add_f64 v[150:151], v[146:147], v[148:149]
	v_add_f64 v[146:147], v[150:151], -v[146:147]
	v_add_f64 v[146:147], v[148:149], -v[146:147]
	;; [unrolled: 1-line block ×4, first 2 shown]
	v_fma_f64 v[148:149], -v[144:145], v[162:163], 1.0
	v_fmac_f64_e32 v[162:163], v[148:149], v[162:163]
	v_fma_f64 v[148:149], -v[144:145], v[162:163], 1.0
	v_fmac_f64_e32 v[162:163], v[148:149], v[162:163]
	v_mul_f64 v[148:149], v[150:151], v[162:163]
	v_mul_f64 v[160:161], v[144:145], v[148:149]
	v_fma_f64 v[164:165], v[148:149], v[144:145], -v[160:161]
	v_fmac_f64_e32 v[164:165], v[148:149], v[8:9]
	v_add_f64 v[166:167], v[160:161], v[164:165]
	v_add_f64 v[176:177], v[150:151], -v[166:167]
	v_add_f64 v[150:151], v[150:151], -v[176:177]
	;; [unrolled: 1-line block ×4, first 2 shown]
	v_add_f64 v[146:147], v[146:147], v[150:151]
	v_add_f64 v[150:151], v[160:161], -v[164:165]
	v_add_f64 v[146:147], v[150:151], v[146:147]
	v_add_f64 v[150:151], v[176:177], v[146:147]
	v_add_f64 v[160:161], v[176:177], -v[150:151]
	v_add_f64 v[146:147], v[146:147], v[160:161]
	v_mul_f64 v[160:161], v[162:163], v[150:151]
	v_mul_f64 v[164:165], v[144:145], v[160:161]
	v_fma_f64 v[144:145], v[160:161], v[144:145], -v[164:165]
	v_fmac_f64_e32 v[144:145], v[160:161], v[8:9]
	v_add_f64 v[8:9], v[164:165], v[144:145]
	v_add_f64 v[166:167], v[150:151], -v[8:9]
	v_add_f64 v[150:151], v[150:151], -v[166:167]
	;; [unrolled: 1-line block ×4, first 2 shown]
	v_add_f64 v[8:9], v[146:147], v[8:9]
	v_add_f64 v[144:145], v[164:165], -v[144:145]
	v_add_f64 v[8:9], v[144:145], v[8:9]
	v_add_f64 v[144:145], v[148:149], v[160:161]
	;; [unrolled: 1-line block ×3, first 2 shown]
	v_add_f64 v[146:147], v[144:145], -v[148:149]
	v_mul_f64 v[8:9], v[162:163], v[8:9]
	v_add_f64 v[146:147], v[160:161], -v[146:147]
	v_add_f64 v[8:9], v[146:147], v[8:9]
	v_add_f64 v[146:147], v[144:145], v[8:9]
	v_add_f64 v[144:145], v[146:147], -v[144:145]
	s_mov_b32 s34, 0xbf559e2b
	v_add_f64 v[8:9], v[8:9], -v[144:145]
	v_mul_f64 v[144:145], v[146:147], v[146:147]
	v_mov_b32_e32 v148, 0x6b47b09a
	v_mov_b32_e32 v149, 0x3fc38538
	s_mov_b32 s35, 0x3fc3ab76
	v_fmac_f64_e32 v[148:149], s[34:35], v[144:145]
	v_mov_b32_e32 v150, 0xd7f4df2e
	v_mov_b32_e32 v151, 0x3fc7474d
	v_fmac_f64_e32 v[150:151], v[144:145], v[148:149]
	v_mov_b32_e32 v148, 0x16291751
	v_mov_b32_e32 v149, 0x3fcc71c0
	;; [unrolled: 3-line block ×5, first 2 shown]
	v_fmac_f64_e32 v[150:151], v[144:145], v[148:149]
	v_cvt_f64_i32_e32 v[148:149], v71
	v_mul_f64 v[160:161], v[148:149], s[44:45]
	v_fma_f64 v[162:163], v[148:149], s[44:45], -v[160:161]
	v_fmac_f64_e32 v[162:163], s[48:49], v[148:149]
	v_add_f64 v[148:149], v[160:161], v[162:163]
	v_add_f64 v[160:161], v[148:149], -v[160:161]
	v_mul_f64 v[144:145], v[146:147], v[144:145]
	v_add_f64 v[160:161], v[162:163], -v[160:161]
	v_ldexp_f64 v[162:163], v[146:147], 1
	v_mul_f64 v[144:145], v[144:145], v[150:151]
	v_add_f64 v[146:147], v[162:163], v[144:145]
	v_add_f64 v[150:151], v[146:147], -v[162:163]
	v_ldexp_f64 v[8:9], v[8:9], 1
	v_add_f64 v[144:145], v[144:145], -v[150:151]
	v_add_f64 v[8:9], v[8:9], v[144:145]
	v_add_f64 v[144:145], v[146:147], v[8:9]
	v_add_f64 v[146:147], v[144:145], -v[146:147]
	v_add_f64 v[8:9], v[8:9], -v[146:147]
	v_add_f64 v[146:147], v[148:149], v[144:145]
	v_add_f64 v[150:151], v[146:147], -v[148:149]
	v_add_f64 v[162:163], v[146:147], -v[150:151]
	;; [unrolled: 1-line block ×4, first 2 shown]
	v_add_f64 v[144:145], v[144:145], v[148:149]
	v_add_f64 v[148:149], v[160:161], v[8:9]
	v_add_f64 v[150:151], v[148:149], -v[160:161]
	v_add_f64 v[144:145], v[148:149], v[144:145]
	v_add_f64 v[162:163], v[148:149], -v[150:151]
	;; [unrolled: 2-line block ×3, first 2 shown]
	v_add_f64 v[8:9], v[8:9], -v[150:151]
	v_add_f64 v[146:147], v[148:149], -v[146:147]
	v_add_f64 v[8:9], v[8:9], v[160:161]
	v_add_f64 v[144:145], v[144:145], -v[146:147]
	s_mov_b32 s34, 0
	v_add_f64 v[8:9], v[8:9], v[144:145]
	s_mov_b32 s35, 0x7ff00000
	v_add_f64 v[8:9], v[148:149], v[8:9]
	v_cmp_eq_f64_e64 s[34:35], s[34:35], v[6:7]
	v_mov_b32_e32 v71, 0x7ff80000
	s_nop 0
	v_cndmask_b32_e64 v8, v8, v6, s[34:35]
	v_cndmask_b32_e64 v9, v9, v7, s[34:35]
	v_cmp_ngt_f64_e64 s[34:35], -1.0, v[6:7]
	s_nop 1
	v_cndmask_b32_e64 v9, v71, v9, s[34:35]
	v_cmp_nge_f64_e64 s[34:35], -1.0, v[6:7]
	v_mov_b32_e32 v71, 0xfff00000
	s_nop 0
	v_cndmask_b32_e64 v8, 0, v8, s[34:35]
	v_cmp_neq_f64_e64 s[34:35], -1.0, v[6:7]
	s_nop 1
	v_cndmask_b32_e64 v9, v71, v9, s[34:35]
	v_add_f64 v[6:7], v[4:5], v[8:9]
.LBB50_96:
	s_or_b64 exec, exec, s[38:39]
	v_cmp_eq_u32_e64 s[34:35], 0, v70
	; wave barrier
	s_nop 1
	v_cndmask_b32_e64 v7, v7, v135, s[34:35]
	v_cndmask_b32_e64 v6, v6, v134, s[34:35]
	ds_write_b64 v53, v[6:7]
	; wave barrier
	ds_read_b64 v[4:5], v53 offset:8
	v_max_f64 v[144:145], v[6:7], v[6:7]
	v_cmp_u_f64_e64 s[34:35], v[6:7], v[6:7]
	s_waitcnt lgkmcnt(0)
	v_max_f64 v[146:147], v[4:5], v[4:5]
	v_min_f64 v[8:9], v[144:145], v[146:147]
	v_max_f64 v[144:145], v[144:145], v[146:147]
	v_cndmask_b32_e64 v8, v8, v6, s[34:35]
	v_cndmask_b32_e64 v9, v9, v7, s[34:35]
	v_cmp_u_f64_e64 s[36:37], v[4:5], v[4:5]
	v_cndmask_b32_e64 v71, v144, v6, s[34:35]
	v_cndmask_b32_e64 v144, v145, v7, s[34:35]
	v_cndmask_b32_e64 v9, v9, v5, s[36:37]
	v_cndmask_b32_e64 v8, v8, v4, s[36:37]
	v_cndmask_b32_e64 v5, v144, v5, s[36:37]
	v_cndmask_b32_e64 v4, v71, v4, s[36:37]
	v_cmp_neq_f64_e64 s[34:35], v[8:9], v[4:5]
	v_cmp_class_f64_e64 s[36:37], v[8:9], s13
	s_or_b64 s[34:35], s[34:35], s[36:37]
	s_and_saveexec_b64 s[38:39], s[34:35]
	s_cbranch_execz .LBB50_98
; %bb.97:
	s_mov_b32 s34, 0x652b82fe
	v_add_f64 v[6:7], v[8:9], -v[4:5]
	s_mov_b32 s35, 0x3ff71547
	v_mul_f64 v[8:9], v[6:7], s[34:35]
	v_rndne_f64_e32 v[8:9], v[8:9]
	s_mov_b32 s45, 0xbfe62e42
	s_mov_b32 s44, 0xfefa39ef
	v_fma_f64 v[144:145], s[44:45], v[8:9], v[6:7]
	s_mov_b32 s49, 0xbc7abc9e
	s_mov_b32 s48, 0x3b39803f
	;; [unrolled: 1-line block ×3, first 2 shown]
	v_fmac_f64_e32 v[144:145], s[48:49], v[8:9]
	v_mov_b32_e32 v146, 0xfca7ab0c
	v_mov_b32_e32 v147, 0x3e928af3
	s_mov_b32 s35, 0x3e5ade15
	v_fmac_f64_e32 v[146:147], s[34:35], v[144:145]
	v_mov_b32_e32 v148, 0x623fde64
	v_mov_b32_e32 v149, 0x3ec71dee
	v_fmac_f64_e32 v[148:149], v[144:145], v[146:147]
	v_mov_b32_e32 v146, 0x7c89e6b0
	v_mov_b32_e32 v147, 0x3efa0199
	;; [unrolled: 3-line block ×8, first 2 shown]
	v_fmac_f64_e32 v[146:147], v[144:145], v[148:149]
	v_fma_f64 v[146:147], v[144:145], v[146:147], 1.0
	s_mov_b32 s34, 0
	s_mov_b32 s36, 0
	v_fma_f64 v[144:145], v[144:145], v[146:147], 1.0
	v_cvt_i32_f64_e32 v8, v[8:9]
	s_mov_b32 s35, 0x40900000
	s_mov_b32 s37, 0xc090cc00
	v_ldexp_f64 v[8:9], v[144:145], v8
	v_mov_b32_e32 v71, 0x7ff00000
	v_cmp_nlt_f64_e64 s[34:35], s[34:35], v[6:7]
	v_cmp_ngt_f64_e64 s[36:37], s[36:37], v[6:7]
	s_mov_b32 s45, 0x3fe62e42
	v_cndmask_b32_e64 v9, v71, v9, s[34:35]
	s_and_b64 s[34:35], s[36:37], s[34:35]
	v_cndmask_b32_e64 v7, 0, v9, s[36:37]
	v_cndmask_b32_e64 v6, 0, v8, s[34:35]
	v_add_f64 v[8:9], v[6:7], 1.0
	v_add_f64 v[144:145], v[8:9], -1.0
	v_add_f64 v[146:147], v[144:145], -v[8:9]
	v_add_f64 v[146:147], v[146:147], 1.0
	v_add_f64 v[144:145], v[6:7], -v[144:145]
	s_mov_b32 s34, 0x55555555
	v_add_f64 v[144:145], v[144:145], v[146:147]
	v_frexp_mant_f64_e32 v[146:147], v[8:9]
	s_mov_b32 s35, 0x3fe55555
	v_frexp_exp_i32_f64_e32 v71, v[8:9]
	v_cmp_gt_f64_e64 s[34:35], s[34:35], v[146:147]
	s_mov_b32 s49, 0x3c7abc9e
	s_nop 0
	v_subbrev_co_u32_e64 v71, s[34:35], 0, v71, s[34:35]
	v_sub_u32_e32 v146, 0, v71
	v_ldexp_f64 v[8:9], v[8:9], v146
	v_ldexp_f64 v[144:145], v[144:145], v146
	v_add_f64 v[146:147], v[8:9], -1.0
	v_add_f64 v[160:161], v[8:9], 1.0
	v_add_f64 v[148:149], v[146:147], 1.0
	v_add_f64 v[162:163], v[160:161], -1.0
	v_add_f64 v[148:149], v[8:9], -v[148:149]
	v_add_f64 v[8:9], v[8:9], -v[162:163]
	v_add_f64 v[8:9], v[144:145], v[8:9]
	v_add_f64 v[148:149], v[144:145], v[148:149]
	;; [unrolled: 1-line block ×3, first 2 shown]
	v_rcp_f64_e32 v[162:163], v[144:145]
	v_add_f64 v[150:151], v[146:147], v[148:149]
	v_add_f64 v[146:147], v[150:151], -v[146:147]
	v_add_f64 v[146:147], v[148:149], -v[146:147]
	;; [unrolled: 1-line block ×4, first 2 shown]
	v_fma_f64 v[148:149], -v[144:145], v[162:163], 1.0
	v_fmac_f64_e32 v[162:163], v[148:149], v[162:163]
	v_fma_f64 v[148:149], -v[144:145], v[162:163], 1.0
	v_fmac_f64_e32 v[162:163], v[148:149], v[162:163]
	v_mul_f64 v[148:149], v[150:151], v[162:163]
	v_mul_f64 v[160:161], v[144:145], v[148:149]
	v_fma_f64 v[164:165], v[148:149], v[144:145], -v[160:161]
	v_fmac_f64_e32 v[164:165], v[148:149], v[8:9]
	v_add_f64 v[166:167], v[160:161], v[164:165]
	v_add_f64 v[176:177], v[150:151], -v[166:167]
	v_add_f64 v[150:151], v[150:151], -v[176:177]
	;; [unrolled: 1-line block ×4, first 2 shown]
	v_add_f64 v[146:147], v[146:147], v[150:151]
	v_add_f64 v[150:151], v[160:161], -v[164:165]
	v_add_f64 v[146:147], v[150:151], v[146:147]
	v_add_f64 v[150:151], v[176:177], v[146:147]
	v_add_f64 v[160:161], v[176:177], -v[150:151]
	v_add_f64 v[146:147], v[146:147], v[160:161]
	v_mul_f64 v[160:161], v[162:163], v[150:151]
	v_mul_f64 v[164:165], v[144:145], v[160:161]
	v_fma_f64 v[144:145], v[160:161], v[144:145], -v[164:165]
	v_fmac_f64_e32 v[144:145], v[160:161], v[8:9]
	v_add_f64 v[8:9], v[164:165], v[144:145]
	v_add_f64 v[166:167], v[150:151], -v[8:9]
	v_add_f64 v[150:151], v[150:151], -v[166:167]
	;; [unrolled: 1-line block ×4, first 2 shown]
	v_add_f64 v[8:9], v[146:147], v[8:9]
	v_add_f64 v[144:145], v[164:165], -v[144:145]
	v_add_f64 v[8:9], v[144:145], v[8:9]
	v_add_f64 v[144:145], v[148:149], v[160:161]
	;; [unrolled: 1-line block ×3, first 2 shown]
	v_add_f64 v[146:147], v[144:145], -v[148:149]
	v_mul_f64 v[8:9], v[162:163], v[8:9]
	v_add_f64 v[146:147], v[160:161], -v[146:147]
	v_add_f64 v[8:9], v[146:147], v[8:9]
	v_add_f64 v[146:147], v[144:145], v[8:9]
	v_add_f64 v[144:145], v[146:147], -v[144:145]
	s_mov_b32 s34, 0xbf559e2b
	v_add_f64 v[8:9], v[8:9], -v[144:145]
	v_mul_f64 v[144:145], v[146:147], v[146:147]
	v_mov_b32_e32 v148, 0x6b47b09a
	v_mov_b32_e32 v149, 0x3fc38538
	s_mov_b32 s35, 0x3fc3ab76
	v_fmac_f64_e32 v[148:149], s[34:35], v[144:145]
	v_mov_b32_e32 v150, 0xd7f4df2e
	v_mov_b32_e32 v151, 0x3fc7474d
	v_fmac_f64_e32 v[150:151], v[144:145], v[148:149]
	v_mov_b32_e32 v148, 0x16291751
	v_mov_b32_e32 v149, 0x3fcc71c0
	;; [unrolled: 3-line block ×5, first 2 shown]
	v_fmac_f64_e32 v[150:151], v[144:145], v[148:149]
	v_cvt_f64_i32_e32 v[148:149], v71
	v_mul_f64 v[160:161], v[148:149], s[44:45]
	v_fma_f64 v[162:163], v[148:149], s[44:45], -v[160:161]
	v_fmac_f64_e32 v[162:163], s[48:49], v[148:149]
	v_add_f64 v[148:149], v[160:161], v[162:163]
	v_add_f64 v[160:161], v[148:149], -v[160:161]
	v_mul_f64 v[144:145], v[146:147], v[144:145]
	v_add_f64 v[160:161], v[162:163], -v[160:161]
	v_ldexp_f64 v[162:163], v[146:147], 1
	v_mul_f64 v[144:145], v[144:145], v[150:151]
	v_add_f64 v[146:147], v[162:163], v[144:145]
	v_add_f64 v[150:151], v[146:147], -v[162:163]
	v_ldexp_f64 v[8:9], v[8:9], 1
	v_add_f64 v[144:145], v[144:145], -v[150:151]
	v_add_f64 v[8:9], v[8:9], v[144:145]
	v_add_f64 v[144:145], v[146:147], v[8:9]
	v_add_f64 v[146:147], v[144:145], -v[146:147]
	v_add_f64 v[8:9], v[8:9], -v[146:147]
	v_add_f64 v[146:147], v[148:149], v[144:145]
	v_add_f64 v[150:151], v[146:147], -v[148:149]
	v_add_f64 v[162:163], v[146:147], -v[150:151]
	;; [unrolled: 1-line block ×4, first 2 shown]
	v_add_f64 v[144:145], v[144:145], v[148:149]
	v_add_f64 v[148:149], v[160:161], v[8:9]
	v_add_f64 v[150:151], v[148:149], -v[160:161]
	v_add_f64 v[144:145], v[148:149], v[144:145]
	v_add_f64 v[162:163], v[148:149], -v[150:151]
	v_add_f64 v[148:149], v[146:147], v[144:145]
	v_add_f64 v[160:161], v[160:161], -v[162:163]
	v_add_f64 v[8:9], v[8:9], -v[150:151]
	v_add_f64 v[146:147], v[148:149], -v[146:147]
	v_add_f64 v[8:9], v[8:9], v[160:161]
	v_add_f64 v[144:145], v[144:145], -v[146:147]
	s_mov_b32 s34, 0
	v_add_f64 v[8:9], v[8:9], v[144:145]
	s_mov_b32 s35, 0x7ff00000
	v_add_f64 v[8:9], v[148:149], v[8:9]
	v_cmp_eq_f64_e64 s[34:35], s[34:35], v[6:7]
	v_mov_b32_e32 v71, 0x7ff80000
	s_nop 0
	v_cndmask_b32_e64 v8, v8, v6, s[34:35]
	v_cndmask_b32_e64 v9, v9, v7, s[34:35]
	v_cmp_ngt_f64_e64 s[34:35], -1.0, v[6:7]
	s_nop 1
	v_cndmask_b32_e64 v9, v71, v9, s[34:35]
	v_cmp_nge_f64_e64 s[34:35], -1.0, v[6:7]
	v_mov_b32_e32 v71, 0xfff00000
	s_nop 0
	v_cndmask_b32_e64 v8, 0, v8, s[34:35]
	v_cmp_neq_f64_e64 s[34:35], -1.0, v[6:7]
	s_nop 1
	v_cndmask_b32_e64 v9, v71, v9, s[34:35]
	v_add_f64 v[6:7], v[4:5], v[8:9]
.LBB50_98:
	s_or_b64 exec, exec, s[38:39]
	ds_read_b64 v[4:5], v53 offset:16
	v_max_f64 v[144:145], v[6:7], v[6:7]
	v_cmp_u_f64_e64 s[34:35], v[6:7], v[6:7]
	ds_write_b64 v53, v[6:7] offset:8
	s_waitcnt lgkmcnt(1)
	v_max_f64 v[146:147], v[4:5], v[4:5]
	v_min_f64 v[8:9], v[144:145], v[146:147]
	v_max_f64 v[144:145], v[144:145], v[146:147]
	v_cndmask_b32_e64 v8, v8, v6, s[34:35]
	v_cndmask_b32_e64 v9, v9, v7, s[34:35]
	v_cmp_u_f64_e64 s[36:37], v[4:5], v[4:5]
	v_cndmask_b32_e64 v71, v144, v6, s[34:35]
	v_cndmask_b32_e64 v144, v145, v7, s[34:35]
	;; [unrolled: 1-line block ×6, first 2 shown]
	v_cmp_neq_f64_e64 s[34:35], v[8:9], v[4:5]
	v_cmp_class_f64_e64 s[36:37], v[8:9], s13
	s_or_b64 s[34:35], s[34:35], s[36:37]
	s_and_saveexec_b64 s[38:39], s[34:35]
	s_cbranch_execz .LBB50_100
; %bb.99:
	s_mov_b32 s34, 0x652b82fe
	v_add_f64 v[6:7], v[8:9], -v[4:5]
	s_mov_b32 s35, 0x3ff71547
	v_mul_f64 v[8:9], v[6:7], s[34:35]
	v_rndne_f64_e32 v[8:9], v[8:9]
	s_mov_b32 s45, 0xbfe62e42
	s_mov_b32 s44, 0xfefa39ef
	v_fma_f64 v[144:145], s[44:45], v[8:9], v[6:7]
	s_mov_b32 s49, 0xbc7abc9e
	s_mov_b32 s48, 0x3b39803f
	;; [unrolled: 1-line block ×3, first 2 shown]
	v_fmac_f64_e32 v[144:145], s[48:49], v[8:9]
	v_mov_b32_e32 v146, 0xfca7ab0c
	v_mov_b32_e32 v147, 0x3e928af3
	s_mov_b32 s35, 0x3e5ade15
	v_fmac_f64_e32 v[146:147], s[34:35], v[144:145]
	v_mov_b32_e32 v148, 0x623fde64
	v_mov_b32_e32 v149, 0x3ec71dee
	v_fmac_f64_e32 v[148:149], v[144:145], v[146:147]
	v_mov_b32_e32 v146, 0x7c89e6b0
	v_mov_b32_e32 v147, 0x3efa0199
	;; [unrolled: 3-line block ×8, first 2 shown]
	v_fmac_f64_e32 v[146:147], v[144:145], v[148:149]
	v_fma_f64 v[146:147], v[144:145], v[146:147], 1.0
	s_mov_b32 s34, 0
	s_mov_b32 s36, 0
	v_fma_f64 v[144:145], v[144:145], v[146:147], 1.0
	v_cvt_i32_f64_e32 v8, v[8:9]
	s_mov_b32 s35, 0x40900000
	s_mov_b32 s37, 0xc090cc00
	v_ldexp_f64 v[8:9], v[144:145], v8
	v_mov_b32_e32 v71, 0x7ff00000
	v_cmp_nlt_f64_e64 s[34:35], s[34:35], v[6:7]
	v_cmp_ngt_f64_e64 s[36:37], s[36:37], v[6:7]
	s_mov_b32 s45, 0x3fe62e42
	v_cndmask_b32_e64 v9, v71, v9, s[34:35]
	s_and_b64 s[34:35], s[36:37], s[34:35]
	v_cndmask_b32_e64 v7, 0, v9, s[36:37]
	v_cndmask_b32_e64 v6, 0, v8, s[34:35]
	v_add_f64 v[8:9], v[6:7], 1.0
	v_add_f64 v[144:145], v[8:9], -1.0
	v_add_f64 v[146:147], v[144:145], -v[8:9]
	v_add_f64 v[146:147], v[146:147], 1.0
	v_add_f64 v[144:145], v[6:7], -v[144:145]
	s_mov_b32 s34, 0x55555555
	v_add_f64 v[144:145], v[144:145], v[146:147]
	v_frexp_mant_f64_e32 v[146:147], v[8:9]
	s_mov_b32 s35, 0x3fe55555
	v_frexp_exp_i32_f64_e32 v71, v[8:9]
	v_cmp_gt_f64_e64 s[34:35], s[34:35], v[146:147]
	s_mov_b32 s49, 0x3c7abc9e
	s_nop 0
	v_subbrev_co_u32_e64 v71, s[34:35], 0, v71, s[34:35]
	v_sub_u32_e32 v146, 0, v71
	v_ldexp_f64 v[8:9], v[8:9], v146
	v_ldexp_f64 v[144:145], v[144:145], v146
	v_add_f64 v[146:147], v[8:9], -1.0
	v_add_f64 v[160:161], v[8:9], 1.0
	v_add_f64 v[148:149], v[146:147], 1.0
	v_add_f64 v[162:163], v[160:161], -1.0
	v_add_f64 v[148:149], v[8:9], -v[148:149]
	v_add_f64 v[8:9], v[8:9], -v[162:163]
	v_add_f64 v[8:9], v[144:145], v[8:9]
	v_add_f64 v[148:149], v[144:145], v[148:149]
	;; [unrolled: 1-line block ×3, first 2 shown]
	v_rcp_f64_e32 v[162:163], v[144:145]
	v_add_f64 v[150:151], v[146:147], v[148:149]
	v_add_f64 v[146:147], v[150:151], -v[146:147]
	v_add_f64 v[146:147], v[148:149], -v[146:147]
	v_add_f64 v[148:149], v[144:145], -v[160:161]
	v_add_f64 v[8:9], v[8:9], -v[148:149]
	v_fma_f64 v[148:149], -v[144:145], v[162:163], 1.0
	v_fmac_f64_e32 v[162:163], v[148:149], v[162:163]
	v_fma_f64 v[148:149], -v[144:145], v[162:163], 1.0
	v_fmac_f64_e32 v[162:163], v[148:149], v[162:163]
	v_mul_f64 v[148:149], v[150:151], v[162:163]
	v_mul_f64 v[160:161], v[144:145], v[148:149]
	v_fma_f64 v[164:165], v[148:149], v[144:145], -v[160:161]
	v_fmac_f64_e32 v[164:165], v[148:149], v[8:9]
	v_add_f64 v[166:167], v[160:161], v[164:165]
	v_add_f64 v[176:177], v[150:151], -v[166:167]
	v_add_f64 v[150:151], v[150:151], -v[176:177]
	;; [unrolled: 1-line block ×4, first 2 shown]
	v_add_f64 v[146:147], v[146:147], v[150:151]
	v_add_f64 v[150:151], v[160:161], -v[164:165]
	v_add_f64 v[146:147], v[150:151], v[146:147]
	v_add_f64 v[150:151], v[176:177], v[146:147]
	v_add_f64 v[160:161], v[176:177], -v[150:151]
	v_add_f64 v[146:147], v[146:147], v[160:161]
	v_mul_f64 v[160:161], v[162:163], v[150:151]
	v_mul_f64 v[164:165], v[144:145], v[160:161]
	v_fma_f64 v[144:145], v[160:161], v[144:145], -v[164:165]
	v_fmac_f64_e32 v[144:145], v[160:161], v[8:9]
	v_add_f64 v[8:9], v[164:165], v[144:145]
	v_add_f64 v[166:167], v[150:151], -v[8:9]
	v_add_f64 v[150:151], v[150:151], -v[166:167]
	;; [unrolled: 1-line block ×4, first 2 shown]
	v_add_f64 v[8:9], v[146:147], v[8:9]
	v_add_f64 v[144:145], v[164:165], -v[144:145]
	v_add_f64 v[8:9], v[144:145], v[8:9]
	v_add_f64 v[144:145], v[148:149], v[160:161]
	;; [unrolled: 1-line block ×3, first 2 shown]
	v_add_f64 v[146:147], v[144:145], -v[148:149]
	v_mul_f64 v[8:9], v[162:163], v[8:9]
	v_add_f64 v[146:147], v[160:161], -v[146:147]
	v_add_f64 v[8:9], v[146:147], v[8:9]
	v_add_f64 v[146:147], v[144:145], v[8:9]
	v_add_f64 v[144:145], v[146:147], -v[144:145]
	s_mov_b32 s34, 0xbf559e2b
	v_add_f64 v[8:9], v[8:9], -v[144:145]
	v_mul_f64 v[144:145], v[146:147], v[146:147]
	v_mov_b32_e32 v148, 0x6b47b09a
	v_mov_b32_e32 v149, 0x3fc38538
	s_mov_b32 s35, 0x3fc3ab76
	v_fmac_f64_e32 v[148:149], s[34:35], v[144:145]
	v_mov_b32_e32 v150, 0xd7f4df2e
	v_mov_b32_e32 v151, 0x3fc7474d
	v_fmac_f64_e32 v[150:151], v[144:145], v[148:149]
	v_mov_b32_e32 v148, 0x16291751
	v_mov_b32_e32 v149, 0x3fcc71c0
	;; [unrolled: 3-line block ×5, first 2 shown]
	v_fmac_f64_e32 v[150:151], v[144:145], v[148:149]
	v_cvt_f64_i32_e32 v[148:149], v71
	v_mul_f64 v[160:161], v[148:149], s[44:45]
	v_fma_f64 v[162:163], v[148:149], s[44:45], -v[160:161]
	v_fmac_f64_e32 v[162:163], s[48:49], v[148:149]
	v_add_f64 v[148:149], v[160:161], v[162:163]
	v_add_f64 v[160:161], v[148:149], -v[160:161]
	v_mul_f64 v[144:145], v[146:147], v[144:145]
	v_add_f64 v[160:161], v[162:163], -v[160:161]
	v_ldexp_f64 v[162:163], v[146:147], 1
	v_mul_f64 v[144:145], v[144:145], v[150:151]
	v_add_f64 v[146:147], v[162:163], v[144:145]
	v_add_f64 v[150:151], v[146:147], -v[162:163]
	v_ldexp_f64 v[8:9], v[8:9], 1
	v_add_f64 v[144:145], v[144:145], -v[150:151]
	v_add_f64 v[8:9], v[8:9], v[144:145]
	v_add_f64 v[144:145], v[146:147], v[8:9]
	v_add_f64 v[146:147], v[144:145], -v[146:147]
	v_add_f64 v[8:9], v[8:9], -v[146:147]
	v_add_f64 v[146:147], v[148:149], v[144:145]
	v_add_f64 v[150:151], v[146:147], -v[148:149]
	v_add_f64 v[162:163], v[146:147], -v[150:151]
	v_add_f64 v[148:149], v[148:149], -v[162:163]
	v_add_f64 v[144:145], v[144:145], -v[150:151]
	v_add_f64 v[144:145], v[144:145], v[148:149]
	v_add_f64 v[148:149], v[160:161], v[8:9]
	v_add_f64 v[150:151], v[148:149], -v[160:161]
	v_add_f64 v[144:145], v[148:149], v[144:145]
	v_add_f64 v[162:163], v[148:149], -v[150:151]
	;; [unrolled: 2-line block ×3, first 2 shown]
	v_add_f64 v[8:9], v[8:9], -v[150:151]
	v_add_f64 v[146:147], v[148:149], -v[146:147]
	v_add_f64 v[8:9], v[8:9], v[160:161]
	v_add_f64 v[144:145], v[144:145], -v[146:147]
	s_mov_b32 s34, 0
	v_add_f64 v[8:9], v[8:9], v[144:145]
	s_mov_b32 s35, 0x7ff00000
	v_add_f64 v[8:9], v[148:149], v[8:9]
	v_cmp_eq_f64_e64 s[34:35], s[34:35], v[6:7]
	v_mov_b32_e32 v71, 0x7ff80000
	s_nop 0
	v_cndmask_b32_e64 v8, v8, v6, s[34:35]
	v_cndmask_b32_e64 v9, v9, v7, s[34:35]
	v_cmp_ngt_f64_e64 s[34:35], -1.0, v[6:7]
	s_nop 1
	v_cndmask_b32_e64 v9, v71, v9, s[34:35]
	v_cmp_nge_f64_e64 s[34:35], -1.0, v[6:7]
	v_mov_b32_e32 v71, 0xfff00000
	s_nop 0
	v_cndmask_b32_e64 v8, 0, v8, s[34:35]
	v_cmp_neq_f64_e64 s[34:35], -1.0, v[6:7]
	s_nop 1
	v_cndmask_b32_e64 v9, v71, v9, s[34:35]
	v_add_f64 v[6:7], v[4:5], v[8:9]
.LBB50_100:
	s_or_b64 exec, exec, s[38:39]
	ds_read_b64 v[4:5], v53 offset:24
	v_max_f64 v[144:145], v[6:7], v[6:7]
	v_cmp_u_f64_e64 s[34:35], v[6:7], v[6:7]
	ds_write_b64 v53, v[6:7] offset:16
	s_waitcnt lgkmcnt(1)
	v_max_f64 v[146:147], v[4:5], v[4:5]
	v_min_f64 v[8:9], v[144:145], v[146:147]
	v_max_f64 v[144:145], v[144:145], v[146:147]
	v_cndmask_b32_e64 v8, v8, v6, s[34:35]
	v_cndmask_b32_e64 v9, v9, v7, s[34:35]
	v_cmp_u_f64_e64 s[36:37], v[4:5], v[4:5]
	v_cndmask_b32_e64 v71, v144, v6, s[34:35]
	v_cndmask_b32_e64 v144, v145, v7, s[34:35]
	;; [unrolled: 1-line block ×6, first 2 shown]
	v_cmp_neq_f64_e64 s[34:35], v[8:9], v[4:5]
	v_cmp_class_f64_e64 s[36:37], v[8:9], s13
	s_or_b64 s[34:35], s[34:35], s[36:37]
	s_and_saveexec_b64 s[38:39], s[34:35]
	s_cbranch_execz .LBB50_102
; %bb.101:
	s_mov_b32 s34, 0x652b82fe
	v_add_f64 v[6:7], v[8:9], -v[4:5]
	s_mov_b32 s35, 0x3ff71547
	v_mul_f64 v[8:9], v[6:7], s[34:35]
	v_rndne_f64_e32 v[8:9], v[8:9]
	s_mov_b32 s45, 0xbfe62e42
	s_mov_b32 s44, 0xfefa39ef
	v_fma_f64 v[144:145], s[44:45], v[8:9], v[6:7]
	s_mov_b32 s49, 0xbc7abc9e
	s_mov_b32 s48, 0x3b39803f
	;; [unrolled: 1-line block ×3, first 2 shown]
	v_fmac_f64_e32 v[144:145], s[48:49], v[8:9]
	v_mov_b32_e32 v146, 0xfca7ab0c
	v_mov_b32_e32 v147, 0x3e928af3
	s_mov_b32 s35, 0x3e5ade15
	v_fmac_f64_e32 v[146:147], s[34:35], v[144:145]
	v_mov_b32_e32 v148, 0x623fde64
	v_mov_b32_e32 v149, 0x3ec71dee
	v_fmac_f64_e32 v[148:149], v[144:145], v[146:147]
	v_mov_b32_e32 v146, 0x7c89e6b0
	v_mov_b32_e32 v147, 0x3efa0199
	;; [unrolled: 3-line block ×8, first 2 shown]
	v_fmac_f64_e32 v[146:147], v[144:145], v[148:149]
	v_fma_f64 v[146:147], v[144:145], v[146:147], 1.0
	s_mov_b32 s34, 0
	s_mov_b32 s36, 0
	v_fma_f64 v[144:145], v[144:145], v[146:147], 1.0
	v_cvt_i32_f64_e32 v8, v[8:9]
	s_mov_b32 s35, 0x40900000
	s_mov_b32 s37, 0xc090cc00
	v_ldexp_f64 v[8:9], v[144:145], v8
	v_mov_b32_e32 v71, 0x7ff00000
	v_cmp_nlt_f64_e64 s[34:35], s[34:35], v[6:7]
	v_cmp_ngt_f64_e64 s[36:37], s[36:37], v[6:7]
	s_mov_b32 s45, 0x3fe62e42
	v_cndmask_b32_e64 v9, v71, v9, s[34:35]
	s_and_b64 s[34:35], s[36:37], s[34:35]
	v_cndmask_b32_e64 v7, 0, v9, s[36:37]
	v_cndmask_b32_e64 v6, 0, v8, s[34:35]
	v_add_f64 v[8:9], v[6:7], 1.0
	v_add_f64 v[144:145], v[8:9], -1.0
	v_add_f64 v[146:147], v[144:145], -v[8:9]
	v_add_f64 v[146:147], v[146:147], 1.0
	v_add_f64 v[144:145], v[6:7], -v[144:145]
	s_mov_b32 s34, 0x55555555
	v_add_f64 v[144:145], v[144:145], v[146:147]
	v_frexp_mant_f64_e32 v[146:147], v[8:9]
	s_mov_b32 s35, 0x3fe55555
	v_frexp_exp_i32_f64_e32 v71, v[8:9]
	v_cmp_gt_f64_e64 s[34:35], s[34:35], v[146:147]
	s_mov_b32 s49, 0x3c7abc9e
	s_nop 0
	v_subbrev_co_u32_e64 v71, s[34:35], 0, v71, s[34:35]
	v_sub_u32_e32 v146, 0, v71
	v_ldexp_f64 v[8:9], v[8:9], v146
	v_ldexp_f64 v[144:145], v[144:145], v146
	v_add_f64 v[146:147], v[8:9], -1.0
	v_add_f64 v[160:161], v[8:9], 1.0
	v_add_f64 v[148:149], v[146:147], 1.0
	v_add_f64 v[162:163], v[160:161], -1.0
	v_add_f64 v[148:149], v[8:9], -v[148:149]
	v_add_f64 v[8:9], v[8:9], -v[162:163]
	v_add_f64 v[8:9], v[144:145], v[8:9]
	v_add_f64 v[148:149], v[144:145], v[148:149]
	;; [unrolled: 1-line block ×3, first 2 shown]
	v_rcp_f64_e32 v[162:163], v[144:145]
	v_add_f64 v[150:151], v[146:147], v[148:149]
	v_add_f64 v[146:147], v[150:151], -v[146:147]
	v_add_f64 v[146:147], v[148:149], -v[146:147]
	;; [unrolled: 1-line block ×4, first 2 shown]
	v_fma_f64 v[148:149], -v[144:145], v[162:163], 1.0
	v_fmac_f64_e32 v[162:163], v[148:149], v[162:163]
	v_fma_f64 v[148:149], -v[144:145], v[162:163], 1.0
	v_fmac_f64_e32 v[162:163], v[148:149], v[162:163]
	v_mul_f64 v[148:149], v[150:151], v[162:163]
	v_mul_f64 v[160:161], v[144:145], v[148:149]
	v_fma_f64 v[164:165], v[148:149], v[144:145], -v[160:161]
	v_fmac_f64_e32 v[164:165], v[148:149], v[8:9]
	v_add_f64 v[166:167], v[160:161], v[164:165]
	v_add_f64 v[176:177], v[150:151], -v[166:167]
	v_add_f64 v[150:151], v[150:151], -v[176:177]
	;; [unrolled: 1-line block ×4, first 2 shown]
	v_add_f64 v[146:147], v[146:147], v[150:151]
	v_add_f64 v[150:151], v[160:161], -v[164:165]
	v_add_f64 v[146:147], v[150:151], v[146:147]
	v_add_f64 v[150:151], v[176:177], v[146:147]
	v_add_f64 v[160:161], v[176:177], -v[150:151]
	v_add_f64 v[146:147], v[146:147], v[160:161]
	v_mul_f64 v[160:161], v[162:163], v[150:151]
	v_mul_f64 v[164:165], v[144:145], v[160:161]
	v_fma_f64 v[144:145], v[160:161], v[144:145], -v[164:165]
	v_fmac_f64_e32 v[144:145], v[160:161], v[8:9]
	v_add_f64 v[8:9], v[164:165], v[144:145]
	v_add_f64 v[166:167], v[150:151], -v[8:9]
	v_add_f64 v[150:151], v[150:151], -v[166:167]
	;; [unrolled: 1-line block ×4, first 2 shown]
	v_add_f64 v[8:9], v[146:147], v[8:9]
	v_add_f64 v[144:145], v[164:165], -v[144:145]
	v_add_f64 v[8:9], v[144:145], v[8:9]
	v_add_f64 v[144:145], v[148:149], v[160:161]
	;; [unrolled: 1-line block ×3, first 2 shown]
	v_add_f64 v[146:147], v[144:145], -v[148:149]
	v_mul_f64 v[8:9], v[162:163], v[8:9]
	v_add_f64 v[146:147], v[160:161], -v[146:147]
	v_add_f64 v[8:9], v[146:147], v[8:9]
	v_add_f64 v[146:147], v[144:145], v[8:9]
	v_add_f64 v[144:145], v[146:147], -v[144:145]
	s_mov_b32 s34, 0xbf559e2b
	v_add_f64 v[8:9], v[8:9], -v[144:145]
	v_mul_f64 v[144:145], v[146:147], v[146:147]
	v_mov_b32_e32 v148, 0x6b47b09a
	v_mov_b32_e32 v149, 0x3fc38538
	s_mov_b32 s35, 0x3fc3ab76
	v_fmac_f64_e32 v[148:149], s[34:35], v[144:145]
	v_mov_b32_e32 v150, 0xd7f4df2e
	v_mov_b32_e32 v151, 0x3fc7474d
	v_fmac_f64_e32 v[150:151], v[144:145], v[148:149]
	v_mov_b32_e32 v148, 0x16291751
	v_mov_b32_e32 v149, 0x3fcc71c0
	;; [unrolled: 3-line block ×5, first 2 shown]
	v_fmac_f64_e32 v[150:151], v[144:145], v[148:149]
	v_cvt_f64_i32_e32 v[148:149], v71
	v_mul_f64 v[160:161], v[148:149], s[44:45]
	v_fma_f64 v[162:163], v[148:149], s[44:45], -v[160:161]
	v_fmac_f64_e32 v[162:163], s[48:49], v[148:149]
	v_add_f64 v[148:149], v[160:161], v[162:163]
	v_add_f64 v[160:161], v[148:149], -v[160:161]
	v_mul_f64 v[144:145], v[146:147], v[144:145]
	v_add_f64 v[160:161], v[162:163], -v[160:161]
	v_ldexp_f64 v[162:163], v[146:147], 1
	v_mul_f64 v[144:145], v[144:145], v[150:151]
	v_add_f64 v[146:147], v[162:163], v[144:145]
	v_add_f64 v[150:151], v[146:147], -v[162:163]
	v_ldexp_f64 v[8:9], v[8:9], 1
	v_add_f64 v[144:145], v[144:145], -v[150:151]
	v_add_f64 v[8:9], v[8:9], v[144:145]
	v_add_f64 v[144:145], v[146:147], v[8:9]
	v_add_f64 v[146:147], v[144:145], -v[146:147]
	v_add_f64 v[8:9], v[8:9], -v[146:147]
	v_add_f64 v[146:147], v[148:149], v[144:145]
	v_add_f64 v[150:151], v[146:147], -v[148:149]
	v_add_f64 v[162:163], v[146:147], -v[150:151]
	;; [unrolled: 1-line block ×4, first 2 shown]
	v_add_f64 v[144:145], v[144:145], v[148:149]
	v_add_f64 v[148:149], v[160:161], v[8:9]
	v_add_f64 v[150:151], v[148:149], -v[160:161]
	v_add_f64 v[144:145], v[148:149], v[144:145]
	v_add_f64 v[162:163], v[148:149], -v[150:151]
	;; [unrolled: 2-line block ×3, first 2 shown]
	v_add_f64 v[8:9], v[8:9], -v[150:151]
	v_add_f64 v[146:147], v[148:149], -v[146:147]
	v_add_f64 v[8:9], v[8:9], v[160:161]
	v_add_f64 v[144:145], v[144:145], -v[146:147]
	s_mov_b32 s34, 0
	v_add_f64 v[8:9], v[8:9], v[144:145]
	s_mov_b32 s35, 0x7ff00000
	v_add_f64 v[8:9], v[148:149], v[8:9]
	v_cmp_eq_f64_e64 s[34:35], s[34:35], v[6:7]
	v_mov_b32_e32 v71, 0x7ff80000
	s_nop 0
	v_cndmask_b32_e64 v8, v8, v6, s[34:35]
	v_cndmask_b32_e64 v9, v9, v7, s[34:35]
	v_cmp_ngt_f64_e64 s[34:35], -1.0, v[6:7]
	s_nop 1
	v_cndmask_b32_e64 v9, v71, v9, s[34:35]
	v_cmp_nge_f64_e64 s[34:35], -1.0, v[6:7]
	v_mov_b32_e32 v71, 0xfff00000
	s_nop 0
	v_cndmask_b32_e64 v8, 0, v8, s[34:35]
	v_cmp_neq_f64_e64 s[34:35], -1.0, v[6:7]
	s_nop 1
	v_cndmask_b32_e64 v9, v71, v9, s[34:35]
	v_add_f64 v[6:7], v[4:5], v[8:9]
.LBB50_102:
	s_or_b64 exec, exec, s[38:39]
	ds_write_b64 v53, v[6:7] offset:24
.LBB50_103:
	s_or_b64 exec, exec, s[40:41]
	v_cmp_eq_u32_e64 s[36:37], 0, v70
	v_cmp_ne_u32_e64 s[34:35], 0, v70
	s_waitcnt lgkmcnt(0)
	s_barrier
	s_and_saveexec_b64 s[38:39], s[34:35]
	s_cbranch_execz .LBB50_105
; %bb.104:
	v_add_u32_e32 v4, -1, v70
	v_lshrrev_b32_e32 v5, 5, v4
	v_add_lshl_u32 v4, v5, v4, 3
	ds_read_b64 v[134:135], v4
.LBB50_105:
	s_or_b64 exec, exec, s[38:39]
	s_and_saveexec_b64 s[48:49], vcc
	s_cbranch_execz .LBB50_227
; %bb.106:
	v_mov_b32_e32 v9, 0
	ds_read_b64 v[4:5], v9 offset:2096
	v_mbcnt_lo_u32_b32 v6, -1, 0
	v_mbcnt_hi_u32_b32 v178, -1, v6
	s_mov_b32 vcc_hi, 0
	v_cmp_eq_u32_e64 s[38:39], 0, v178
	s_and_saveexec_b64 s[40:41], s[38:39]
	s_cbranch_execz .LBB50_115
; %bb.107:
	s_add_i32 vcc_lo, s12, 64
	v_lshl_add_u64 v[144:145], vcc, 4, v[116:117]
	s_mov_b64 vcc, src_shared_base
	v_cmp_ne_u32_e32 vcc, vcc_hi, v145
	s_and_saveexec_b64 s[44:45], vcc
	s_xor_b64 s[44:45], exec, s[44:45]
	s_cbranch_execz .LBB50_113
; %bb.108:
	s_mov_b64 vcc, src_private_base
	v_cmp_ne_u32_e32 vcc, vcc_hi, v145
	s_and_saveexec_b64 s[50:51], vcc
	s_xor_b64 vcc, exec, s[50:51]
	s_cbranch_execz .LBB50_110
; %bb.109:
	v_mov_b32_e32 v6, 1
	v_mov_b32_e32 v7, 0
	s_waitcnt lgkmcnt(0)
	;;#ASMSTART
	global_store_dwordx4 v[144:145], v[4:7] off sc1	
s_waitcnt vmcnt(0)
	;;#ASMEND
                                        ; implicit-def: $vgpr144_vgpr145
.LBB50_110:
	s_andn2_saveexec_b64 vcc, vcc
	s_cbranch_execz .LBB50_112
; %bb.111:
	v_mov_b32_e32 v6, 1
	v_mov_b32_e32 v7, 0
	s_waitcnt lgkmcnt(0)
	;;#ASMSTART
	flat_store_dwordx4 v[144:145], v[4:7] sc1	
s_waitcnt vmcnt(0)
	;;#ASMEND
.LBB50_112:
	s_or_b64 exec, exec, vcc
                                        ; implicit-def: $vgpr144_vgpr145
.LBB50_113:
	s_andn2_saveexec_b64 vcc, s[44:45]
	s_cbranch_execz .LBB50_115
; %bb.114:
	v_cmp_ne_u64_e32 vcc, 0, v[144:145]
	v_mov_b32_e32 v6, 1
	v_mov_b32_e32 v7, 0
	v_cndmask_b32_e32 v8, -1, v144, vcc
	s_waitcnt lgkmcnt(0)
	;;#ASMSTART
	ds_write_b128 v8, v[4:7] 	
s_waitcnt lgkmcnt(0)
	;;#ASMEND
.LBB50_115:
	s_or_b64 exec, exec, s[40:41]
	v_xad_u32 v144, v178, -1, s12
	v_add_u32_e32 v8, 64, v144
	v_lshl_add_u64 v[146:147], v[8:9], 4, v[116:117]
	s_mov_b64 vcc, src_shared_base
	v_cmp_ne_u32_e32 vcc, vcc_hi, v147
                                        ; implicit-def: $vgpr8
                                        ; implicit-def: $vgpr176_vgpr177
                                        ; implicit-def: $vgpr166_vgpr167
                                        ; implicit-def: $vgpr164_vgpr165
                                        ; implicit-def: $vgpr162_vgpr163
                                        ; implicit-def: $vgpr160_vgpr161
                                        ; implicit-def: $vgpr150_vgpr151
                                        ; implicit-def: $vgpr148_vgpr149
	s_and_saveexec_b64 s[40:41], vcc
	s_xor_b64 s[44:45], exec, s[40:41]
	s_cbranch_execz .LBB50_121
; %bb.116:
	s_mov_b64 s[40:41], src_private_base
	v_cmp_ne_u32_e64 s[40:41], s41, v147
                                        ; implicit-def: $vgpr8
                                        ; implicit-def: $vgpr176_vgpr177
                                        ; implicit-def: $vgpr166_vgpr167
                                        ; implicit-def: $vgpr164_vgpr165
                                        ; implicit-def: $vgpr162_vgpr163
                                        ; implicit-def: $vgpr160_vgpr161
                                        ; implicit-def: $vgpr150_vgpr151
                                        ; implicit-def: $vgpr148_vgpr149
	s_and_saveexec_b64 s[50:51], s[40:41]
	s_xor_b64 s[40:41], exec, s[50:51]
	s_cbranch_execz .LBB50_118
; %bb.117:
	;;#ASMSTART
	global_load_dwordx4 v[6:9], v[146:147] off sc1	
s_waitcnt vmcnt(0)
	;;#ASMEND
	s_nop 0
	v_lshlrev_b64 v[164:165], 24, v[8:9]
	v_lshrrev_b32_e32 v53, 8, v7
	v_lshlrev_b64 v[166:167], 16, v[8:9]
	v_lshlrev_b64 v[176:177], 8, v[8:9]
	v_lshrrev_b64 v[148:149], 8, v[6:7]
	v_lshrrev_b64 v[150:151], 16, v[6:7]
	;; [unrolled: 1-line block ×3, first 2 shown]
	v_mov_b32_e32 v162, v7
	v_or_b32_e32 v164, v53, v164
	v_or_b32_sdwa v166, v7, v166 dst_sel:DWORD dst_unused:UNUSED_PAD src0_sel:WORD_1 src1_sel:DWORD
	v_or_b32_sdwa v176, v7, v176 dst_sel:DWORD dst_unused:UNUSED_PAD src0_sel:BYTE_3 src1_sel:DWORD
.LBB50_118:
	s_andn2_saveexec_b64 s[40:41], s[40:41]
	s_cbranch_execz .LBB50_120
; %bb.119:
	;;#ASMSTART
	flat_load_dwordx4 v[6:9], v[146:147] sc1	
s_waitcnt vmcnt(0)
	;;#ASMEND
	s_nop 0
	v_lshlrev_b64 v[164:165], 24, v[8:9]
	v_lshrrev_b32_e32 v53, 8, v7
	v_lshlrev_b64 v[166:167], 16, v[8:9]
	v_lshlrev_b64 v[176:177], 8, v[8:9]
	v_lshrrev_b64 v[148:149], 8, v[6:7]
	v_lshrrev_b64 v[150:151], 16, v[6:7]
	;; [unrolled: 1-line block ×3, first 2 shown]
	v_mov_b32_e32 v162, v7
	v_or_b32_e32 v164, v53, v164
	v_or_b32_sdwa v166, v7, v166 dst_sel:DWORD dst_unused:UNUSED_PAD src0_sel:WORD_1 src1_sel:DWORD
	v_or_b32_sdwa v176, v7, v176 dst_sel:DWORD dst_unused:UNUSED_PAD src0_sel:BYTE_3 src1_sel:DWORD
.LBB50_120:
	s_or_b64 exec, exec, s[40:41]
.LBB50_121:
	s_andn2_saveexec_b64 s[44:45], s[44:45]
	s_cbranch_execz .LBB50_123
; %bb.122:
	v_cmp_ne_u64_e64 s[40:41], 0, v[146:147]
	s_nop 1
	v_cndmask_b32_e64 v6, -1, v146, s[40:41]
	;;#ASMSTART
	ds_read_b128 v[6:9], v6 	
s_waitcnt lgkmcnt(0)
	;;#ASMEND
	s_nop 0
	v_lshlrev_b64 v[164:165], 24, v[8:9]
	v_lshrrev_b32_e32 v53, 8, v7
	v_lshlrev_b64 v[166:167], 16, v[8:9]
	v_lshlrev_b64 v[176:177], 8, v[8:9]
	v_lshrrev_b64 v[148:149], 8, v[6:7]
	v_lshrrev_b64 v[150:151], 16, v[6:7]
	v_lshrrev_b64 v[160:161], 24, v[6:7]
	v_mov_b32_e32 v162, v7
	v_or_b32_e32 v164, v53, v164
	v_or_b32_sdwa v166, v7, v166 dst_sel:DWORD dst_unused:UNUSED_PAD src0_sel:WORD_1 src1_sel:DWORD
	v_or_b32_sdwa v176, v7, v176 dst_sel:DWORD dst_unused:UNUSED_PAD src0_sel:BYTE_3 src1_sel:DWORD
.LBB50_123:
	s_or_b64 exec, exec, s[44:45]
	v_lshlrev_b32_e32 v7, 8, v148
	s_mov_b32 s13, 0xc0c0500
	v_perm_b32 v6, v7, v6, s13
	v_lshlrev_b32_e32 v7, 16, v150
	v_and_b32_e32 v7, 0xff0000, v7
	v_lshlrev_b32_e32 v9, 24, v160
	v_or3_b32 v6, v6, v7, v9
	v_lshlrev_b32_e32 v9, 8, v164
	v_and_b32_e32 v7, 0xff, v162
	v_and_b32_e32 v9, 0xff00, v9
	v_lshlrev_b32_e32 v53, 16, v166
	v_or3_b32 v7, 0, v7, v9
	v_lshlrev_b32_e32 v9, 24, v176
	v_and_b32_e32 v53, 0xff0000, v53
	v_or3_b32 v6, v6, 0, 0
	v_or3_b32 v149, v7, v53, v9
	v_mov_b32_e32 v53, 0
	v_or3_b32 v148, v6, 0, 0
	v_cmp_eq_u16_sdwa s[40:41], v8, v53 src0_sel:BYTE_0 src1_sel:DWORD
	s_and_saveexec_b64 s[50:51], s[40:41]
	s_cbranch_execz .LBB50_138
; %bb.124:
	s_mov_b64 s[40:41], src_private_base
	v_cmp_ne_u64_e64 s[44:45], 0, v[146:147]
	v_cmp_ne_u32_e64 s[40:41], s41, v147
	s_mov_b64 s[52:53], 0
	v_cndmask_b32_e64 v71, -1, v146, s[44:45]
	s_mov_b32 s13, 1
	s_branch .LBB50_126
.LBB50_125:                             ;   in Loop: Header=BB50_126 Depth=1
	s_or_b64 exec, exec, s[44:45]
	s_cmp_lt_u32 s13, 32
	s_cselect_b64 s[44:45], -1, 0
	s_cmp_lg_u64 s[44:45], 0
	s_addc_u32 s13, s13, 0
	v_cmp_ne_u16_sdwa s[44:45], v8, v53 src0_sel:BYTE_0 src1_sel:DWORD
	s_or_b64 s[52:53], s[44:45], s[52:53]
	s_andn2_b64 exec, exec, s[52:53]
	s_cbranch_execz .LBB50_137
.LBB50_126:                             ; =>This Loop Header: Depth=1
                                        ;     Child Loop BB50_127 Depth 2
	s_max_u32 s44, s13, 1
.LBB50_127:                             ;   Parent Loop BB50_126 Depth=1
                                        ; =>  This Inner Loop Header: Depth=2
	s_add_i32 s44, s44, -1
	s_cmp_eq_u32 s44, 0
	s_sleep 1
	s_cbranch_scc0 .LBB50_127
; %bb.128:                              ;   in Loop: Header=BB50_126 Depth=1
                                        ; implicit-def: $vgpr8
                                        ; implicit-def: $vgpr176_vgpr177
                                        ; implicit-def: $vgpr166_vgpr167
                                        ; implicit-def: $vgpr164_vgpr165
                                        ; implicit-def: $vgpr162_vgpr163
                                        ; implicit-def: $vgpr160_vgpr161
                                        ; implicit-def: $vgpr150_vgpr151
                                        ; implicit-def: $vgpr148_vgpr149
	s_and_saveexec_b64 s[44:45], vcc
	s_xor_b64 s[44:45], exec, s[44:45]
	s_cbranch_execz .LBB50_134
; %bb.129:                              ;   in Loop: Header=BB50_126 Depth=1
                                        ; implicit-def: $vgpr8
                                        ; implicit-def: $vgpr176_vgpr177
                                        ; implicit-def: $vgpr166_vgpr167
                                        ; implicit-def: $vgpr164_vgpr165
                                        ; implicit-def: $vgpr162_vgpr163
                                        ; implicit-def: $vgpr160_vgpr161
                                        ; implicit-def: $vgpr150_vgpr151
                                        ; implicit-def: $vgpr148_vgpr149
	s_and_saveexec_b64 s[54:55], s[40:41]
	s_xor_b64 s[54:55], exec, s[54:55]
	s_cbranch_execz .LBB50_131
; %bb.130:                              ;   in Loop: Header=BB50_126 Depth=1
	;;#ASMSTART
	global_load_dwordx4 v[6:9], v[146:147] off sc1	
s_waitcnt vmcnt(0)
	;;#ASMEND
	s_nop 0
	v_lshlrev_b64 v[164:165], 24, v[8:9]
	v_lshrrev_b32_e32 v145, 8, v7
	v_lshlrev_b64 v[166:167], 16, v[8:9]
	v_lshlrev_b64 v[176:177], 8, v[8:9]
	v_lshrrev_b64 v[148:149], 8, v[6:7]
	v_lshrrev_b64 v[150:151], 16, v[6:7]
	;; [unrolled: 1-line block ×3, first 2 shown]
	v_mov_b32_e32 v162, v7
	v_or_b32_e32 v164, v145, v164
	v_or_b32_sdwa v166, v7, v166 dst_sel:DWORD dst_unused:UNUSED_PAD src0_sel:WORD_1 src1_sel:DWORD
	v_or_b32_sdwa v176, v7, v176 dst_sel:DWORD dst_unused:UNUSED_PAD src0_sel:BYTE_3 src1_sel:DWORD
.LBB50_131:                             ;   in Loop: Header=BB50_126 Depth=1
	s_andn2_saveexec_b64 s[54:55], s[54:55]
	s_cbranch_execz .LBB50_133
; %bb.132:                              ;   in Loop: Header=BB50_126 Depth=1
	;;#ASMSTART
	flat_load_dwordx4 v[6:9], v[146:147] sc1	
s_waitcnt vmcnt(0)
	;;#ASMEND
	s_nop 0
	v_lshlrev_b64 v[164:165], 24, v[8:9]
	v_lshrrev_b32_e32 v145, 8, v7
	v_lshlrev_b64 v[166:167], 16, v[8:9]
	v_lshlrev_b64 v[176:177], 8, v[8:9]
	v_lshrrev_b64 v[148:149], 8, v[6:7]
	v_lshrrev_b64 v[150:151], 16, v[6:7]
	;; [unrolled: 1-line block ×3, first 2 shown]
	v_mov_b32_e32 v162, v7
	v_or_b32_e32 v164, v145, v164
	v_or_b32_sdwa v166, v7, v166 dst_sel:DWORD dst_unused:UNUSED_PAD src0_sel:WORD_1 src1_sel:DWORD
	v_or_b32_sdwa v176, v7, v176 dst_sel:DWORD dst_unused:UNUSED_PAD src0_sel:BYTE_3 src1_sel:DWORD
.LBB50_133:                             ;   in Loop: Header=BB50_126 Depth=1
	s_or_b64 exec, exec, s[54:55]
.LBB50_134:                             ;   in Loop: Header=BB50_126 Depth=1
	s_andn2_saveexec_b64 s[44:45], s[44:45]
	s_cbranch_execz .LBB50_125
; %bb.135:                              ;   in Loop: Header=BB50_126 Depth=1
	;;#ASMSTART
	ds_read_b128 v[6:9], v71 	
s_waitcnt lgkmcnt(0)
	;;#ASMEND
	s_nop 0
	v_lshlrev_b64 v[164:165], 24, v[8:9]
	v_lshrrev_b32_e32 v145, 8, v7
	v_lshlrev_b64 v[166:167], 16, v[8:9]
	v_lshlrev_b64 v[176:177], 8, v[8:9]
	v_lshrrev_b64 v[148:149], 8, v[6:7]
	v_lshrrev_b64 v[150:151], 16, v[6:7]
	;; [unrolled: 1-line block ×3, first 2 shown]
	v_mov_b32_e32 v162, v7
	v_or_b32_e32 v164, v145, v164
	v_or_b32_sdwa v166, v7, v166 dst_sel:DWORD dst_unused:UNUSED_PAD src0_sel:WORD_1 src1_sel:DWORD
	v_or_b32_sdwa v176, v7, v176 dst_sel:DWORD dst_unused:UNUSED_PAD src0_sel:BYTE_3 src1_sel:DWORD
	s_branch .LBB50_125
.LBB50_136:
                                        ; implicit-def: $vgpr4_vgpr5_vgpr6_vgpr7_vgpr8_vgpr9_vgpr10_vgpr11_vgpr12_vgpr13_vgpr14_vgpr15_vgpr16_vgpr17_vgpr18_vgpr19_vgpr20_vgpr21_vgpr22_vgpr23_vgpr24_vgpr25_vgpr26_vgpr27_vgpr28_vgpr29_vgpr30_vgpr31_vgpr32_vgpr33_vgpr34_vgpr35
	s_cbranch_execnz .LBB50_262
	s_branch .LBB50_379
.LBB50_137:
	s_or_b64 exec, exec, s[52:53]
	v_lshlrev_b32_e32 v7, 8, v148
	s_mov_b32 s13, 0xc0c0500
	v_perm_b32 v6, v7, v6, s13
	v_lshlrev_b32_e32 v7, 16, v150
	v_and_b32_e32 v7, 0xff0000, v7
	v_lshlrev_b32_e32 v9, 24, v160
	v_or3_b32 v6, v6, v7, v9
	v_lshlrev_b32_e32 v9, 8, v164
	v_and_b32_e32 v7, 0xff, v162
	v_and_b32_e32 v9, 0xff00, v9
	v_or3_b32 v7, 0, v7, v9
	v_lshlrev_b32_e32 v9, 16, v166
	v_or3_b32 v6, v6, 0, 0
	v_and_b32_e32 v9, 0xff0000, v9
	v_lshlrev_b32_e32 v53, 24, v176
	v_or3_b32 v149, v7, v9, v53
	v_or3_b32 v148, v6, 0, 0
.LBB50_138:
	s_or_b64 exec, exec, s[50:51]
	v_mov_b32_e32 v6, 2
	v_cmp_eq_u16_sdwa vcc, v8, v6 src0_sel:BYTE_0 src1_sel:DWORD
	v_lshlrev_b64 v[146:147], v178, -1
	v_and_b32_e32 v53, 63, v178
	v_and_b32_e32 v6, vcc_hi, v147
	v_and_b32_e32 v7, vcc_lo, v146
	v_cmp_ne_u32_e32 vcc, 63, v53
	v_or_b32_e32 v6, 0x80000000, v6
	v_ffbl_b32_e32 v6, v6
	v_addc_co_u32_e32 v9, vcc, 0, v178, vcc
	v_lshlrev_b32_e32 v71, 2, v9
	ds_bpermute_b32 v150, v71, v148
	ds_bpermute_b32 v151, v71, v149
	v_add_u32_e32 v6, 32, v6
	v_ffbl_b32_e32 v7, v7
	v_min_u32_e32 v9, v7, v6
	v_cmp_lt_u32_e32 vcc, v53, v9
	v_mov_b64_e32 v[6:7], v[148:149]
	s_and_saveexec_b64 s[44:45], vcc
	s_cbranch_execz .LBB50_142
; %bb.139:
	s_waitcnt lgkmcnt(0)
	v_max_f64 v[6:7], v[150:151], v[150:151]
	v_max_f64 v[162:163], v[148:149], v[148:149]
	v_min_f64 v[160:161], v[6:7], v[162:163]
	v_cmp_u_f64_e32 vcc, v[150:151], v[150:151]
	v_max_f64 v[6:7], v[6:7], v[162:163]
	v_cmp_u_f64_e64 s[40:41], v[148:149], v[148:149]
	v_cndmask_b32_e32 v145, v160, v150, vcc
	v_cndmask_b32_e32 v160, v161, v151, vcc
	;; [unrolled: 1-line block ×4, first 2 shown]
	v_cndmask_b32_e64 v161, v160, v149, s[40:41]
	v_cndmask_b32_e64 v160, v145, v148, s[40:41]
	;; [unrolled: 1-line block ×4, first 2 shown]
	s_movk_i32 s13, 0x1f8
	v_cmp_neq_f64_e32 vcc, v[160:161], v[6:7]
	v_cmp_class_f64_e64 s[40:41], v[160:161], s13
	s_or_b64 vcc, vcc, s[40:41]
	s_and_saveexec_b64 s[50:51], vcc
	s_cbranch_execz .LBB50_141
; %bb.140:
	s_mov_b32 vcc_lo, 0x652b82fe
	v_add_f64 v[148:149], v[160:161], -v[6:7]
	s_mov_b32 vcc_hi, 0x3ff71547
	v_mul_f64 v[150:151], v[148:149], vcc
	v_rndne_f64_e32 v[150:151], v[150:151]
	s_mov_b32 s53, 0xbfe62e42
	s_mov_b32 s52, 0xfefa39ef
	v_fma_f64 v[160:161], s[52:53], v[150:151], v[148:149]
	s_mov_b32 s55, 0xbc7abc9e
	s_mov_b32 s54, 0x3b39803f
	s_mov_b32 vcc_lo, 0x6a5dcb37
	v_fmac_f64_e32 v[160:161], s[54:55], v[150:151]
	v_mov_b32_e32 v162, 0xfca7ab0c
	v_mov_b32_e32 v163, 0x3e928af3
	s_mov_b32 vcc_hi, 0x3e5ade15
	v_fmac_f64_e32 v[162:163], vcc, v[160:161]
	v_mov_b32_e32 v164, 0x623fde64
	v_mov_b32_e32 v165, 0x3ec71dee
	v_fmac_f64_e32 v[164:165], v[160:161], v[162:163]
	v_mov_b32_e32 v162, 0x7c89e6b0
	v_mov_b32_e32 v163, 0x3efa0199
	v_fmac_f64_e32 v[162:163], v[160:161], v[164:165]
	;; [unrolled: 3-line block ×8, first 2 shown]
	v_fma_f64 v[162:163], v[160:161], v[162:163], 1.0
	s_mov_b32 vcc_lo, 0
	s_mov_b32 s40, 0
	v_fma_f64 v[160:161], v[160:161], v[162:163], 1.0
	v_cvt_i32_f64_e32 v145, v[150:151]
	s_mov_b32 vcc_hi, 0x40900000
	s_mov_b32 s41, 0xc090cc00
	v_ldexp_f64 v[150:151], v[160:161], v145
	v_mov_b32_e32 v145, 0x7ff00000
	v_cmp_nlt_f64_e32 vcc, vcc, v[148:149]
	v_cmp_ngt_f64_e64 s[40:41], s[40:41], v[148:149]
	s_mov_b32 s53, 0x3fe62e42
	v_cndmask_b32_e32 v145, v145, v151, vcc
	s_and_b64 vcc, s[40:41], vcc
	v_cndmask_b32_e64 v149, 0, v145, s[40:41]
	v_cndmask_b32_e32 v148, 0, v150, vcc
	v_add_f64 v[150:151], v[148:149], 1.0
	v_add_f64 v[160:161], v[150:151], -1.0
	v_add_f64 v[162:163], v[160:161], -v[150:151]
	v_add_f64 v[162:163], v[162:163], 1.0
	v_add_f64 v[160:161], v[148:149], -v[160:161]
	s_mov_b32 vcc_lo, 0x55555555
	v_add_f64 v[160:161], v[160:161], v[162:163]
	v_frexp_mant_f64_e32 v[162:163], v[150:151]
	s_mov_b32 vcc_hi, 0x3fe55555
	v_frexp_exp_i32_f64_e32 v145, v[150:151]
	v_cmp_gt_f64_e32 vcc, vcc, v[162:163]
	s_mov_b32 s55, 0x3c7abc9e
	s_nop 0
	v_subbrev_co_u32_e32 v145, vcc, 0, v145, vcc
	v_sub_u32_e32 v162, 0, v145
	v_ldexp_f64 v[150:151], v[150:151], v162
	v_ldexp_f64 v[160:161], v[160:161], v162
	v_add_f64 v[162:163], v[150:151], -1.0
	v_add_f64 v[176:177], v[150:151], 1.0
	v_add_f64 v[164:165], v[162:163], 1.0
	v_add_f64 v[180:181], v[176:177], -1.0
	v_add_f64 v[164:165], v[150:151], -v[164:165]
	v_add_f64 v[150:151], v[150:151], -v[180:181]
	v_add_f64 v[150:151], v[160:161], v[150:151]
	v_add_f64 v[164:165], v[160:161], v[164:165]
	;; [unrolled: 1-line block ×3, first 2 shown]
	v_rcp_f64_e32 v[180:181], v[160:161]
	v_add_f64 v[166:167], v[162:163], v[164:165]
	v_add_f64 v[162:163], v[166:167], -v[162:163]
	v_add_f64 v[162:163], v[164:165], -v[162:163]
	;; [unrolled: 1-line block ×4, first 2 shown]
	v_fma_f64 v[164:165], -v[160:161], v[180:181], 1.0
	v_fmac_f64_e32 v[180:181], v[164:165], v[180:181]
	v_fma_f64 v[164:165], -v[160:161], v[180:181], 1.0
	v_fmac_f64_e32 v[180:181], v[164:165], v[180:181]
	v_mul_f64 v[164:165], v[166:167], v[180:181]
	v_mul_f64 v[176:177], v[160:161], v[164:165]
	v_fma_f64 v[182:183], v[164:165], v[160:161], -v[176:177]
	v_fmac_f64_e32 v[182:183], v[164:165], v[150:151]
	v_add_f64 v[192:193], v[176:177], v[182:183]
	v_add_f64 v[194:195], v[166:167], -v[192:193]
	v_add_f64 v[166:167], v[166:167], -v[194:195]
	v_add_f64 v[176:177], v[192:193], -v[176:177]
	v_add_f64 v[166:167], v[166:167], -v[192:193]
	v_add_f64 v[162:163], v[162:163], v[166:167]
	v_add_f64 v[166:167], v[176:177], -v[182:183]
	v_add_f64 v[162:163], v[166:167], v[162:163]
	v_add_f64 v[166:167], v[194:195], v[162:163]
	v_add_f64 v[176:177], v[194:195], -v[166:167]
	v_add_f64 v[162:163], v[162:163], v[176:177]
	v_mul_f64 v[176:177], v[180:181], v[166:167]
	v_mul_f64 v[182:183], v[160:161], v[176:177]
	v_fma_f64 v[160:161], v[176:177], v[160:161], -v[182:183]
	v_fmac_f64_e32 v[160:161], v[176:177], v[150:151]
	v_add_f64 v[150:151], v[182:183], v[160:161]
	v_add_f64 v[192:193], v[166:167], -v[150:151]
	v_add_f64 v[166:167], v[166:167], -v[192:193]
	;; [unrolled: 1-line block ×4, first 2 shown]
	v_add_f64 v[150:151], v[162:163], v[150:151]
	v_add_f64 v[160:161], v[182:183], -v[160:161]
	v_add_f64 v[150:151], v[160:161], v[150:151]
	v_add_f64 v[160:161], v[164:165], v[176:177]
	;; [unrolled: 1-line block ×3, first 2 shown]
	v_add_f64 v[162:163], v[160:161], -v[164:165]
	v_mul_f64 v[150:151], v[180:181], v[150:151]
	v_add_f64 v[162:163], v[176:177], -v[162:163]
	v_add_f64 v[150:151], v[162:163], v[150:151]
	v_add_f64 v[162:163], v[160:161], v[150:151]
	v_add_f64 v[160:161], v[162:163], -v[160:161]
	s_mov_b32 vcc_lo, 0xbf559e2b
	v_add_f64 v[150:151], v[150:151], -v[160:161]
	v_mul_f64 v[160:161], v[162:163], v[162:163]
	v_mov_b32_e32 v164, 0x6b47b09a
	v_mov_b32_e32 v165, 0x3fc38538
	s_mov_b32 vcc_hi, 0x3fc3ab76
	v_fmac_f64_e32 v[164:165], vcc, v[160:161]
	v_mov_b32_e32 v166, 0xd7f4df2e
	v_mov_b32_e32 v167, 0x3fc7474d
	v_fmac_f64_e32 v[166:167], v[160:161], v[164:165]
	v_mov_b32_e32 v164, 0x16291751
	v_mov_b32_e32 v165, 0x3fcc71c0
	v_fmac_f64_e32 v[164:165], v[160:161], v[166:167]
	;; [unrolled: 3-line block ×5, first 2 shown]
	v_cvt_f64_i32_e32 v[164:165], v145
	v_mul_f64 v[176:177], v[164:165], s[52:53]
	v_fma_f64 v[180:181], v[164:165], s[52:53], -v[176:177]
	v_fmac_f64_e32 v[180:181], s[54:55], v[164:165]
	v_add_f64 v[164:165], v[176:177], v[180:181]
	v_add_f64 v[176:177], v[164:165], -v[176:177]
	v_mul_f64 v[160:161], v[162:163], v[160:161]
	v_add_f64 v[176:177], v[180:181], -v[176:177]
	v_ldexp_f64 v[180:181], v[162:163], 1
	v_mul_f64 v[160:161], v[160:161], v[166:167]
	v_add_f64 v[162:163], v[180:181], v[160:161]
	v_add_f64 v[166:167], v[162:163], -v[180:181]
	v_ldexp_f64 v[150:151], v[150:151], 1
	v_add_f64 v[160:161], v[160:161], -v[166:167]
	v_add_f64 v[150:151], v[150:151], v[160:161]
	v_add_f64 v[160:161], v[162:163], v[150:151]
	v_add_f64 v[162:163], v[160:161], -v[162:163]
	v_add_f64 v[150:151], v[150:151], -v[162:163]
	v_add_f64 v[162:163], v[164:165], v[160:161]
	v_add_f64 v[166:167], v[162:163], -v[164:165]
	v_add_f64 v[180:181], v[162:163], -v[166:167]
	;; [unrolled: 1-line block ×4, first 2 shown]
	v_add_f64 v[160:161], v[160:161], v[164:165]
	v_add_f64 v[164:165], v[176:177], v[150:151]
	v_add_f64 v[166:167], v[164:165], -v[176:177]
	v_add_f64 v[160:161], v[164:165], v[160:161]
	v_add_f64 v[180:181], v[164:165], -v[166:167]
	;; [unrolled: 2-line block ×3, first 2 shown]
	v_add_f64 v[150:151], v[150:151], -v[166:167]
	v_add_f64 v[162:163], v[164:165], -v[162:163]
	v_add_f64 v[150:151], v[150:151], v[176:177]
	v_add_f64 v[160:161], v[160:161], -v[162:163]
	s_mov_b32 vcc_lo, 0
	v_add_f64 v[150:151], v[150:151], v[160:161]
	s_mov_b32 vcc_hi, 0x7ff00000
	v_add_f64 v[150:151], v[164:165], v[150:151]
	v_cmp_eq_f64_e32 vcc, vcc, v[148:149]
	s_nop 1
	v_cndmask_b32_e32 v145, v150, v148, vcc
	v_cndmask_b32_e32 v150, v151, v149, vcc
	v_mov_b32_e32 v151, 0x7ff80000
	v_cmp_ngt_f64_e32 vcc, -1.0, v[148:149]
	s_nop 1
	v_cndmask_b32_e32 v151, v151, v150, vcc
	v_cmp_nge_f64_e32 vcc, -1.0, v[148:149]
	s_nop 1
	v_cndmask_b32_e32 v150, 0, v145, vcc
	v_mov_b32_e32 v145, 0xfff00000
	v_cmp_neq_f64_e32 vcc, -1.0, v[148:149]
	s_nop 1
	v_cndmask_b32_e32 v151, v145, v151, vcc
	v_add_f64 v[150:151], v[6:7], v[150:151]
.LBB50_141:
	s_or_b64 exec, exec, s[50:51]
	v_mov_b32_e32 v148, v150
	v_mov_b32_e32 v149, v151
	v_mov_b64_e32 v[6:7], v[150:151]
.LBB50_142:
	s_or_b64 exec, exec, s[44:45]
	v_cmp_gt_u32_e32 vcc, 62, v53
	v_add_u32_e32 v246, 2, v53
	s_nop 0
	v_cndmask_b32_e64 v145, 0, 1, vcc
	v_lshlrev_b32_e32 v145, 1, v145
	v_add_lshl_u32 v245, v145, v178, 2
	s_waitcnt lgkmcnt(1)
	ds_bpermute_b32 v150, v245, v148
	s_waitcnt lgkmcnt(1)
	ds_bpermute_b32 v151, v245, v149
	v_cmp_le_u32_e32 vcc, v246, v9
	s_and_saveexec_b64 s[44:45], vcc
	s_cbranch_execz .LBB50_146
; %bb.143:
	s_waitcnt lgkmcnt(0)
	v_max_f64 v[160:161], v[150:151], v[150:151]
	v_max_f64 v[162:163], v[6:7], v[6:7]
	v_min_f64 v[148:149], v[160:161], v[162:163]
	v_cmp_u_f64_e32 vcc, v[150:151], v[150:151]
	v_cmp_u_f64_e64 s[40:41], v[6:7], v[6:7]
	v_max_f64 v[160:161], v[160:161], v[162:163]
	v_cndmask_b32_e32 v145, v148, v150, vcc
	v_cndmask_b32_e32 v148, v149, v151, vcc
	v_cndmask_b32_e64 v149, v148, v7, s[40:41]
	v_cndmask_b32_e64 v148, v145, v6, s[40:41]
	v_cndmask_b32_e32 v145, v160, v150, vcc
	v_cndmask_b32_e32 v160, v161, v151, vcc
	v_cndmask_b32_e64 v7, v160, v7, s[40:41]
	v_cndmask_b32_e64 v6, v145, v6, s[40:41]
	s_movk_i32 s13, 0x1f8
	v_cmp_neq_f64_e32 vcc, v[148:149], v[6:7]
	v_cmp_class_f64_e64 s[40:41], v[148:149], s13
	s_or_b64 vcc, vcc, s[40:41]
	s_and_saveexec_b64 s[50:51], vcc
	s_cbranch_execz .LBB50_145
; %bb.144:
	s_mov_b32 vcc_lo, 0x652b82fe
	v_add_f64 v[148:149], v[148:149], -v[6:7]
	s_mov_b32 vcc_hi, 0x3ff71547
	v_mul_f64 v[150:151], v[148:149], vcc
	v_rndne_f64_e32 v[150:151], v[150:151]
	s_mov_b32 s53, 0xbfe62e42
	s_mov_b32 s52, 0xfefa39ef
	v_fma_f64 v[160:161], s[52:53], v[150:151], v[148:149]
	s_mov_b32 s55, 0xbc7abc9e
	s_mov_b32 s54, 0x3b39803f
	s_mov_b32 vcc_lo, 0x6a5dcb37
	v_fmac_f64_e32 v[160:161], s[54:55], v[150:151]
	v_mov_b32_e32 v162, 0xfca7ab0c
	v_mov_b32_e32 v163, 0x3e928af3
	s_mov_b32 vcc_hi, 0x3e5ade15
	v_fmac_f64_e32 v[162:163], vcc, v[160:161]
	v_mov_b32_e32 v164, 0x623fde64
	v_mov_b32_e32 v165, 0x3ec71dee
	v_fmac_f64_e32 v[164:165], v[160:161], v[162:163]
	v_mov_b32_e32 v162, 0x7c89e6b0
	v_mov_b32_e32 v163, 0x3efa0199
	v_fmac_f64_e32 v[162:163], v[160:161], v[164:165]
	;; [unrolled: 3-line block ×8, first 2 shown]
	v_fma_f64 v[162:163], v[160:161], v[162:163], 1.0
	s_mov_b32 vcc_lo, 0
	s_mov_b32 s40, 0
	v_fma_f64 v[160:161], v[160:161], v[162:163], 1.0
	v_cvt_i32_f64_e32 v145, v[150:151]
	s_mov_b32 vcc_hi, 0x40900000
	s_mov_b32 s41, 0xc090cc00
	v_ldexp_f64 v[150:151], v[160:161], v145
	v_mov_b32_e32 v145, 0x7ff00000
	v_cmp_nlt_f64_e32 vcc, vcc, v[148:149]
	v_cmp_ngt_f64_e64 s[40:41], s[40:41], v[148:149]
	s_mov_b32 s53, 0x3fe62e42
	v_cndmask_b32_e32 v145, v145, v151, vcc
	s_and_b64 vcc, s[40:41], vcc
	v_cndmask_b32_e64 v149, 0, v145, s[40:41]
	v_cndmask_b32_e32 v148, 0, v150, vcc
	v_add_f64 v[150:151], v[148:149], 1.0
	v_add_f64 v[160:161], v[150:151], -1.0
	v_add_f64 v[162:163], v[160:161], -v[150:151]
	v_add_f64 v[162:163], v[162:163], 1.0
	v_add_f64 v[160:161], v[148:149], -v[160:161]
	s_mov_b32 vcc_lo, 0x55555555
	v_add_f64 v[160:161], v[160:161], v[162:163]
	v_frexp_mant_f64_e32 v[162:163], v[150:151]
	s_mov_b32 vcc_hi, 0x3fe55555
	v_frexp_exp_i32_f64_e32 v145, v[150:151]
	v_cmp_gt_f64_e32 vcc, vcc, v[162:163]
	s_mov_b32 s55, 0x3c7abc9e
	s_nop 0
	v_subbrev_co_u32_e32 v145, vcc, 0, v145, vcc
	v_sub_u32_e32 v162, 0, v145
	v_ldexp_f64 v[150:151], v[150:151], v162
	v_ldexp_f64 v[160:161], v[160:161], v162
	v_add_f64 v[162:163], v[150:151], -1.0
	v_add_f64 v[176:177], v[150:151], 1.0
	v_add_f64 v[164:165], v[162:163], 1.0
	v_add_f64 v[180:181], v[176:177], -1.0
	v_add_f64 v[164:165], v[150:151], -v[164:165]
	v_add_f64 v[150:151], v[150:151], -v[180:181]
	v_add_f64 v[150:151], v[160:161], v[150:151]
	v_add_f64 v[164:165], v[160:161], v[164:165]
	;; [unrolled: 1-line block ×3, first 2 shown]
	v_rcp_f64_e32 v[180:181], v[160:161]
	v_add_f64 v[166:167], v[162:163], v[164:165]
	v_add_f64 v[162:163], v[166:167], -v[162:163]
	v_add_f64 v[162:163], v[164:165], -v[162:163]
	v_add_f64 v[164:165], v[160:161], -v[176:177]
	v_add_f64 v[150:151], v[150:151], -v[164:165]
	v_fma_f64 v[164:165], -v[160:161], v[180:181], 1.0
	v_fmac_f64_e32 v[180:181], v[164:165], v[180:181]
	v_fma_f64 v[164:165], -v[160:161], v[180:181], 1.0
	v_fmac_f64_e32 v[180:181], v[164:165], v[180:181]
	v_mul_f64 v[164:165], v[166:167], v[180:181]
	v_mul_f64 v[176:177], v[160:161], v[164:165]
	v_fma_f64 v[182:183], v[164:165], v[160:161], -v[176:177]
	v_fmac_f64_e32 v[182:183], v[164:165], v[150:151]
	v_add_f64 v[192:193], v[176:177], v[182:183]
	v_add_f64 v[194:195], v[166:167], -v[192:193]
	v_add_f64 v[166:167], v[166:167], -v[194:195]
	;; [unrolled: 1-line block ×4, first 2 shown]
	v_add_f64 v[162:163], v[162:163], v[166:167]
	v_add_f64 v[166:167], v[176:177], -v[182:183]
	v_add_f64 v[162:163], v[166:167], v[162:163]
	v_add_f64 v[166:167], v[194:195], v[162:163]
	v_add_f64 v[176:177], v[194:195], -v[166:167]
	v_add_f64 v[162:163], v[162:163], v[176:177]
	v_mul_f64 v[176:177], v[180:181], v[166:167]
	v_mul_f64 v[182:183], v[160:161], v[176:177]
	v_fma_f64 v[160:161], v[176:177], v[160:161], -v[182:183]
	v_fmac_f64_e32 v[160:161], v[176:177], v[150:151]
	v_add_f64 v[150:151], v[182:183], v[160:161]
	v_add_f64 v[192:193], v[166:167], -v[150:151]
	v_add_f64 v[166:167], v[166:167], -v[192:193]
	;; [unrolled: 1-line block ×4, first 2 shown]
	v_add_f64 v[150:151], v[162:163], v[150:151]
	v_add_f64 v[160:161], v[182:183], -v[160:161]
	v_add_f64 v[150:151], v[160:161], v[150:151]
	v_add_f64 v[160:161], v[164:165], v[176:177]
	v_add_f64 v[150:151], v[192:193], v[150:151]
	v_add_f64 v[162:163], v[160:161], -v[164:165]
	v_mul_f64 v[150:151], v[180:181], v[150:151]
	v_add_f64 v[162:163], v[176:177], -v[162:163]
	v_add_f64 v[150:151], v[162:163], v[150:151]
	v_add_f64 v[162:163], v[160:161], v[150:151]
	v_add_f64 v[160:161], v[162:163], -v[160:161]
	s_mov_b32 vcc_lo, 0xbf559e2b
	v_add_f64 v[150:151], v[150:151], -v[160:161]
	v_mul_f64 v[160:161], v[162:163], v[162:163]
	v_mov_b32_e32 v164, 0x6b47b09a
	v_mov_b32_e32 v165, 0x3fc38538
	s_mov_b32 vcc_hi, 0x3fc3ab76
	v_fmac_f64_e32 v[164:165], vcc, v[160:161]
	v_mov_b32_e32 v166, 0xd7f4df2e
	v_mov_b32_e32 v167, 0x3fc7474d
	v_fmac_f64_e32 v[166:167], v[160:161], v[164:165]
	v_mov_b32_e32 v164, 0x16291751
	v_mov_b32_e32 v165, 0x3fcc71c0
	v_fmac_f64_e32 v[164:165], v[160:161], v[166:167]
	;; [unrolled: 3-line block ×5, first 2 shown]
	v_cvt_f64_i32_e32 v[164:165], v145
	v_mul_f64 v[176:177], v[164:165], s[52:53]
	v_fma_f64 v[180:181], v[164:165], s[52:53], -v[176:177]
	v_fmac_f64_e32 v[180:181], s[54:55], v[164:165]
	v_add_f64 v[164:165], v[176:177], v[180:181]
	v_add_f64 v[176:177], v[164:165], -v[176:177]
	v_mul_f64 v[160:161], v[162:163], v[160:161]
	v_add_f64 v[176:177], v[180:181], -v[176:177]
	v_ldexp_f64 v[180:181], v[162:163], 1
	v_mul_f64 v[160:161], v[160:161], v[166:167]
	v_add_f64 v[162:163], v[180:181], v[160:161]
	v_add_f64 v[166:167], v[162:163], -v[180:181]
	v_ldexp_f64 v[150:151], v[150:151], 1
	v_add_f64 v[160:161], v[160:161], -v[166:167]
	v_add_f64 v[150:151], v[150:151], v[160:161]
	v_add_f64 v[160:161], v[162:163], v[150:151]
	v_add_f64 v[162:163], v[160:161], -v[162:163]
	v_add_f64 v[150:151], v[150:151], -v[162:163]
	v_add_f64 v[162:163], v[164:165], v[160:161]
	v_add_f64 v[166:167], v[162:163], -v[164:165]
	v_add_f64 v[180:181], v[162:163], -v[166:167]
	;; [unrolled: 1-line block ×4, first 2 shown]
	v_add_f64 v[160:161], v[160:161], v[164:165]
	v_add_f64 v[164:165], v[176:177], v[150:151]
	v_add_f64 v[166:167], v[164:165], -v[176:177]
	v_add_f64 v[160:161], v[164:165], v[160:161]
	v_add_f64 v[180:181], v[164:165], -v[166:167]
	;; [unrolled: 2-line block ×3, first 2 shown]
	v_add_f64 v[150:151], v[150:151], -v[166:167]
	v_add_f64 v[162:163], v[164:165], -v[162:163]
	v_add_f64 v[150:151], v[150:151], v[176:177]
	v_add_f64 v[160:161], v[160:161], -v[162:163]
	s_mov_b32 vcc_lo, 0
	v_add_f64 v[150:151], v[150:151], v[160:161]
	s_mov_b32 vcc_hi, 0x7ff00000
	v_add_f64 v[150:151], v[164:165], v[150:151]
	v_cmp_eq_f64_e32 vcc, vcc, v[148:149]
	s_nop 1
	v_cndmask_b32_e32 v145, v150, v148, vcc
	v_cndmask_b32_e32 v150, v151, v149, vcc
	v_mov_b32_e32 v151, 0x7ff80000
	v_cmp_ngt_f64_e32 vcc, -1.0, v[148:149]
	s_nop 1
	v_cndmask_b32_e32 v151, v151, v150, vcc
	v_cmp_nge_f64_e32 vcc, -1.0, v[148:149]
	s_nop 1
	v_cndmask_b32_e32 v150, 0, v145, vcc
	v_mov_b32_e32 v145, 0xfff00000
	v_cmp_neq_f64_e32 vcc, -1.0, v[148:149]
	s_nop 1
	v_cndmask_b32_e32 v151, v145, v151, vcc
	v_add_f64 v[150:151], v[6:7], v[150:151]
.LBB50_145:
	s_or_b64 exec, exec, s[50:51]
	v_mov_b32_e32 v148, v150
	v_mov_b32_e32 v149, v151
	v_mov_b64_e32 v[6:7], v[150:151]
.LBB50_146:
	s_or_b64 exec, exec, s[44:45]
	v_cmp_gt_u32_e32 vcc, 60, v53
	v_add_u32_e32 v40, 4, v53
	s_nop 0
	v_cndmask_b32_e64 v145, 0, 1, vcc
	v_lshlrev_b32_e32 v145, 2, v145
	v_add_lshl_u32 v247, v145, v178, 2
	s_waitcnt lgkmcnt(1)
	ds_bpermute_b32 v150, v247, v148
	s_waitcnt lgkmcnt(1)
	ds_bpermute_b32 v151, v247, v149
	v_cmp_le_u32_e32 vcc, v40, v9
	s_and_saveexec_b64 s[44:45], vcc
	s_cbranch_execz .LBB50_150
; %bb.147:
	s_waitcnt lgkmcnt(0)
	v_max_f64 v[160:161], v[150:151], v[150:151]
	v_max_f64 v[162:163], v[6:7], v[6:7]
	v_min_f64 v[148:149], v[160:161], v[162:163]
	v_cmp_u_f64_e32 vcc, v[150:151], v[150:151]
	v_cmp_u_f64_e64 s[40:41], v[6:7], v[6:7]
	v_max_f64 v[160:161], v[160:161], v[162:163]
	v_cndmask_b32_e32 v145, v148, v150, vcc
	v_cndmask_b32_e32 v148, v149, v151, vcc
	v_cndmask_b32_e64 v149, v148, v7, s[40:41]
	v_cndmask_b32_e64 v148, v145, v6, s[40:41]
	v_cndmask_b32_e32 v145, v160, v150, vcc
	v_cndmask_b32_e32 v160, v161, v151, vcc
	v_cndmask_b32_e64 v7, v160, v7, s[40:41]
	v_cndmask_b32_e64 v6, v145, v6, s[40:41]
	s_movk_i32 s13, 0x1f8
	v_cmp_neq_f64_e32 vcc, v[148:149], v[6:7]
	v_cmp_class_f64_e64 s[40:41], v[148:149], s13
	s_or_b64 vcc, vcc, s[40:41]
	s_and_saveexec_b64 s[50:51], vcc
	s_cbranch_execz .LBB50_149
; %bb.148:
	s_mov_b32 vcc_lo, 0x652b82fe
	v_add_f64 v[148:149], v[148:149], -v[6:7]
	s_mov_b32 vcc_hi, 0x3ff71547
	v_mul_f64 v[150:151], v[148:149], vcc
	v_rndne_f64_e32 v[150:151], v[150:151]
	s_mov_b32 s53, 0xbfe62e42
	s_mov_b32 s52, 0xfefa39ef
	v_fma_f64 v[160:161], s[52:53], v[150:151], v[148:149]
	s_mov_b32 s55, 0xbc7abc9e
	s_mov_b32 s54, 0x3b39803f
	s_mov_b32 vcc_lo, 0x6a5dcb37
	v_fmac_f64_e32 v[160:161], s[54:55], v[150:151]
	v_mov_b32_e32 v162, 0xfca7ab0c
	v_mov_b32_e32 v163, 0x3e928af3
	s_mov_b32 vcc_hi, 0x3e5ade15
	v_fmac_f64_e32 v[162:163], vcc, v[160:161]
	v_mov_b32_e32 v164, 0x623fde64
	v_mov_b32_e32 v165, 0x3ec71dee
	v_fmac_f64_e32 v[164:165], v[160:161], v[162:163]
	v_mov_b32_e32 v162, 0x7c89e6b0
	v_mov_b32_e32 v163, 0x3efa0199
	v_fmac_f64_e32 v[162:163], v[160:161], v[164:165]
	;; [unrolled: 3-line block ×8, first 2 shown]
	v_fma_f64 v[162:163], v[160:161], v[162:163], 1.0
	s_mov_b32 vcc_lo, 0
	s_mov_b32 s40, 0
	v_fma_f64 v[160:161], v[160:161], v[162:163], 1.0
	v_cvt_i32_f64_e32 v145, v[150:151]
	s_mov_b32 vcc_hi, 0x40900000
	s_mov_b32 s41, 0xc090cc00
	v_ldexp_f64 v[150:151], v[160:161], v145
	v_mov_b32_e32 v145, 0x7ff00000
	v_cmp_nlt_f64_e32 vcc, vcc, v[148:149]
	v_cmp_ngt_f64_e64 s[40:41], s[40:41], v[148:149]
	s_mov_b32 s53, 0x3fe62e42
	v_cndmask_b32_e32 v145, v145, v151, vcc
	s_and_b64 vcc, s[40:41], vcc
	v_cndmask_b32_e64 v149, 0, v145, s[40:41]
	v_cndmask_b32_e32 v148, 0, v150, vcc
	v_add_f64 v[150:151], v[148:149], 1.0
	v_add_f64 v[160:161], v[150:151], -1.0
	v_add_f64 v[162:163], v[160:161], -v[150:151]
	v_add_f64 v[162:163], v[162:163], 1.0
	v_add_f64 v[160:161], v[148:149], -v[160:161]
	s_mov_b32 vcc_lo, 0x55555555
	v_add_f64 v[160:161], v[160:161], v[162:163]
	v_frexp_mant_f64_e32 v[162:163], v[150:151]
	s_mov_b32 vcc_hi, 0x3fe55555
	v_frexp_exp_i32_f64_e32 v145, v[150:151]
	v_cmp_gt_f64_e32 vcc, vcc, v[162:163]
	s_mov_b32 s55, 0x3c7abc9e
	s_nop 0
	v_subbrev_co_u32_e32 v145, vcc, 0, v145, vcc
	v_sub_u32_e32 v162, 0, v145
	v_ldexp_f64 v[150:151], v[150:151], v162
	v_ldexp_f64 v[160:161], v[160:161], v162
	v_add_f64 v[162:163], v[150:151], -1.0
	v_add_f64 v[176:177], v[150:151], 1.0
	v_add_f64 v[164:165], v[162:163], 1.0
	v_add_f64 v[180:181], v[176:177], -1.0
	v_add_f64 v[164:165], v[150:151], -v[164:165]
	v_add_f64 v[150:151], v[150:151], -v[180:181]
	v_add_f64 v[150:151], v[160:161], v[150:151]
	v_add_f64 v[164:165], v[160:161], v[164:165]
	;; [unrolled: 1-line block ×3, first 2 shown]
	v_rcp_f64_e32 v[180:181], v[160:161]
	v_add_f64 v[166:167], v[162:163], v[164:165]
	v_add_f64 v[162:163], v[166:167], -v[162:163]
	v_add_f64 v[162:163], v[164:165], -v[162:163]
	;; [unrolled: 1-line block ×4, first 2 shown]
	v_fma_f64 v[164:165], -v[160:161], v[180:181], 1.0
	v_fmac_f64_e32 v[180:181], v[164:165], v[180:181]
	v_fma_f64 v[164:165], -v[160:161], v[180:181], 1.0
	v_fmac_f64_e32 v[180:181], v[164:165], v[180:181]
	v_mul_f64 v[164:165], v[166:167], v[180:181]
	v_mul_f64 v[176:177], v[160:161], v[164:165]
	v_fma_f64 v[182:183], v[164:165], v[160:161], -v[176:177]
	v_fmac_f64_e32 v[182:183], v[164:165], v[150:151]
	v_add_f64 v[192:193], v[176:177], v[182:183]
	v_add_f64 v[194:195], v[166:167], -v[192:193]
	v_add_f64 v[166:167], v[166:167], -v[194:195]
	;; [unrolled: 1-line block ×4, first 2 shown]
	v_add_f64 v[162:163], v[162:163], v[166:167]
	v_add_f64 v[166:167], v[176:177], -v[182:183]
	v_add_f64 v[162:163], v[166:167], v[162:163]
	v_add_f64 v[166:167], v[194:195], v[162:163]
	v_add_f64 v[176:177], v[194:195], -v[166:167]
	v_add_f64 v[162:163], v[162:163], v[176:177]
	v_mul_f64 v[176:177], v[180:181], v[166:167]
	v_mul_f64 v[182:183], v[160:161], v[176:177]
	v_fma_f64 v[160:161], v[176:177], v[160:161], -v[182:183]
	v_fmac_f64_e32 v[160:161], v[176:177], v[150:151]
	v_add_f64 v[150:151], v[182:183], v[160:161]
	v_add_f64 v[192:193], v[166:167], -v[150:151]
	v_add_f64 v[166:167], v[166:167], -v[192:193]
	;; [unrolled: 1-line block ×4, first 2 shown]
	v_add_f64 v[150:151], v[162:163], v[150:151]
	v_add_f64 v[160:161], v[182:183], -v[160:161]
	v_add_f64 v[150:151], v[160:161], v[150:151]
	v_add_f64 v[160:161], v[164:165], v[176:177]
	;; [unrolled: 1-line block ×3, first 2 shown]
	v_add_f64 v[162:163], v[160:161], -v[164:165]
	v_mul_f64 v[150:151], v[180:181], v[150:151]
	v_add_f64 v[162:163], v[176:177], -v[162:163]
	v_add_f64 v[150:151], v[162:163], v[150:151]
	v_add_f64 v[162:163], v[160:161], v[150:151]
	v_add_f64 v[160:161], v[162:163], -v[160:161]
	s_mov_b32 vcc_lo, 0xbf559e2b
	v_add_f64 v[150:151], v[150:151], -v[160:161]
	v_mul_f64 v[160:161], v[162:163], v[162:163]
	v_mov_b32_e32 v164, 0x6b47b09a
	v_mov_b32_e32 v165, 0x3fc38538
	s_mov_b32 vcc_hi, 0x3fc3ab76
	v_fmac_f64_e32 v[164:165], vcc, v[160:161]
	v_mov_b32_e32 v166, 0xd7f4df2e
	v_mov_b32_e32 v167, 0x3fc7474d
	v_fmac_f64_e32 v[166:167], v[160:161], v[164:165]
	v_mov_b32_e32 v164, 0x16291751
	v_mov_b32_e32 v165, 0x3fcc71c0
	v_fmac_f64_e32 v[164:165], v[160:161], v[166:167]
	v_mov_b32_e32 v166, 0x9b27acf1
	v_mov_b32_e32 v167, 0x3fd24924
	v_fmac_f64_e32 v[166:167], v[160:161], v[164:165]
	v_mov_b32_e32 v164, 0x998ef7b6
	v_mov_b32_e32 v165, 0x3fd99999
	v_fmac_f64_e32 v[164:165], v[160:161], v[166:167]
	v_mov_b32_e32 v166, 0x55555780
	v_mov_b32_e32 v167, 0x3fe55555
	v_fmac_f64_e32 v[166:167], v[160:161], v[164:165]
	v_cvt_f64_i32_e32 v[164:165], v145
	v_mul_f64 v[176:177], v[164:165], s[52:53]
	v_fma_f64 v[180:181], v[164:165], s[52:53], -v[176:177]
	v_fmac_f64_e32 v[180:181], s[54:55], v[164:165]
	v_add_f64 v[164:165], v[176:177], v[180:181]
	v_add_f64 v[176:177], v[164:165], -v[176:177]
	v_mul_f64 v[160:161], v[162:163], v[160:161]
	v_add_f64 v[176:177], v[180:181], -v[176:177]
	v_ldexp_f64 v[180:181], v[162:163], 1
	v_mul_f64 v[160:161], v[160:161], v[166:167]
	v_add_f64 v[162:163], v[180:181], v[160:161]
	v_add_f64 v[166:167], v[162:163], -v[180:181]
	v_ldexp_f64 v[150:151], v[150:151], 1
	v_add_f64 v[160:161], v[160:161], -v[166:167]
	v_add_f64 v[150:151], v[150:151], v[160:161]
	v_add_f64 v[160:161], v[162:163], v[150:151]
	v_add_f64 v[162:163], v[160:161], -v[162:163]
	v_add_f64 v[150:151], v[150:151], -v[162:163]
	v_add_f64 v[162:163], v[164:165], v[160:161]
	v_add_f64 v[166:167], v[162:163], -v[164:165]
	v_add_f64 v[180:181], v[162:163], -v[166:167]
	;; [unrolled: 1-line block ×4, first 2 shown]
	v_add_f64 v[160:161], v[160:161], v[164:165]
	v_add_f64 v[164:165], v[176:177], v[150:151]
	v_add_f64 v[166:167], v[164:165], -v[176:177]
	v_add_f64 v[160:161], v[164:165], v[160:161]
	v_add_f64 v[180:181], v[164:165], -v[166:167]
	;; [unrolled: 2-line block ×3, first 2 shown]
	v_add_f64 v[150:151], v[150:151], -v[166:167]
	v_add_f64 v[162:163], v[164:165], -v[162:163]
	v_add_f64 v[150:151], v[150:151], v[176:177]
	v_add_f64 v[160:161], v[160:161], -v[162:163]
	s_mov_b32 vcc_lo, 0
	v_add_f64 v[150:151], v[150:151], v[160:161]
	s_mov_b32 vcc_hi, 0x7ff00000
	v_add_f64 v[150:151], v[164:165], v[150:151]
	v_cmp_eq_f64_e32 vcc, vcc, v[148:149]
	s_nop 1
	v_cndmask_b32_e32 v145, v150, v148, vcc
	v_cndmask_b32_e32 v150, v151, v149, vcc
	v_mov_b32_e32 v151, 0x7ff80000
	v_cmp_ngt_f64_e32 vcc, -1.0, v[148:149]
	s_nop 1
	v_cndmask_b32_e32 v151, v151, v150, vcc
	v_cmp_nge_f64_e32 vcc, -1.0, v[148:149]
	s_nop 1
	v_cndmask_b32_e32 v150, 0, v145, vcc
	v_mov_b32_e32 v145, 0xfff00000
	v_cmp_neq_f64_e32 vcc, -1.0, v[148:149]
	s_nop 1
	v_cndmask_b32_e32 v151, v145, v151, vcc
	v_add_f64 v[150:151], v[6:7], v[150:151]
.LBB50_149:
	s_or_b64 exec, exec, s[50:51]
	v_mov_b32_e32 v148, v150
	v_mov_b32_e32 v149, v151
	v_mov_b64_e32 v[6:7], v[150:151]
.LBB50_150:
	s_or_b64 exec, exec, s[44:45]
	v_cmp_gt_u32_e32 vcc, 56, v53
	v_add_u32_e32 v42, 8, v53
	s_nop 0
	v_cndmask_b32_e64 v145, 0, 1, vcc
	v_lshlrev_b32_e32 v145, 3, v145
	v_add_lshl_u32 v41, v145, v178, 2
	s_waitcnt lgkmcnt(1)
	ds_bpermute_b32 v150, v41, v148
	s_waitcnt lgkmcnt(1)
	ds_bpermute_b32 v151, v41, v149
	v_cmp_le_u32_e32 vcc, v42, v9
	s_and_saveexec_b64 s[44:45], vcc
	s_cbranch_execz .LBB50_154
; %bb.151:
	s_waitcnt lgkmcnt(0)
	v_max_f64 v[160:161], v[150:151], v[150:151]
	v_max_f64 v[162:163], v[6:7], v[6:7]
	v_min_f64 v[148:149], v[160:161], v[162:163]
	v_cmp_u_f64_e32 vcc, v[150:151], v[150:151]
	v_cmp_u_f64_e64 s[40:41], v[6:7], v[6:7]
	v_max_f64 v[160:161], v[160:161], v[162:163]
	v_cndmask_b32_e32 v145, v148, v150, vcc
	v_cndmask_b32_e32 v148, v149, v151, vcc
	v_cndmask_b32_e64 v149, v148, v7, s[40:41]
	v_cndmask_b32_e64 v148, v145, v6, s[40:41]
	v_cndmask_b32_e32 v145, v160, v150, vcc
	v_cndmask_b32_e32 v160, v161, v151, vcc
	v_cndmask_b32_e64 v7, v160, v7, s[40:41]
	v_cndmask_b32_e64 v6, v145, v6, s[40:41]
	s_movk_i32 s13, 0x1f8
	v_cmp_neq_f64_e32 vcc, v[148:149], v[6:7]
	v_cmp_class_f64_e64 s[40:41], v[148:149], s13
	s_or_b64 vcc, vcc, s[40:41]
	s_and_saveexec_b64 s[50:51], vcc
	s_cbranch_execz .LBB50_153
; %bb.152:
	s_mov_b32 vcc_lo, 0x652b82fe
	v_add_f64 v[148:149], v[148:149], -v[6:7]
	s_mov_b32 vcc_hi, 0x3ff71547
	v_mul_f64 v[150:151], v[148:149], vcc
	v_rndne_f64_e32 v[150:151], v[150:151]
	s_mov_b32 s53, 0xbfe62e42
	s_mov_b32 s52, 0xfefa39ef
	v_fma_f64 v[160:161], s[52:53], v[150:151], v[148:149]
	s_mov_b32 s55, 0xbc7abc9e
	s_mov_b32 s54, 0x3b39803f
	s_mov_b32 vcc_lo, 0x6a5dcb37
	v_fmac_f64_e32 v[160:161], s[54:55], v[150:151]
	v_mov_b32_e32 v162, 0xfca7ab0c
	v_mov_b32_e32 v163, 0x3e928af3
	s_mov_b32 vcc_hi, 0x3e5ade15
	v_fmac_f64_e32 v[162:163], vcc, v[160:161]
	v_mov_b32_e32 v164, 0x623fde64
	v_mov_b32_e32 v165, 0x3ec71dee
	v_fmac_f64_e32 v[164:165], v[160:161], v[162:163]
	v_mov_b32_e32 v162, 0x7c89e6b0
	v_mov_b32_e32 v163, 0x3efa0199
	v_fmac_f64_e32 v[162:163], v[160:161], v[164:165]
	;; [unrolled: 3-line block ×8, first 2 shown]
	v_fma_f64 v[162:163], v[160:161], v[162:163], 1.0
	s_mov_b32 vcc_lo, 0
	s_mov_b32 s40, 0
	v_fma_f64 v[160:161], v[160:161], v[162:163], 1.0
	v_cvt_i32_f64_e32 v145, v[150:151]
	s_mov_b32 vcc_hi, 0x40900000
	s_mov_b32 s41, 0xc090cc00
	v_ldexp_f64 v[150:151], v[160:161], v145
	v_mov_b32_e32 v145, 0x7ff00000
	v_cmp_nlt_f64_e32 vcc, vcc, v[148:149]
	v_cmp_ngt_f64_e64 s[40:41], s[40:41], v[148:149]
	s_mov_b32 s53, 0x3fe62e42
	v_cndmask_b32_e32 v145, v145, v151, vcc
	s_and_b64 vcc, s[40:41], vcc
	v_cndmask_b32_e64 v149, 0, v145, s[40:41]
	v_cndmask_b32_e32 v148, 0, v150, vcc
	v_add_f64 v[150:151], v[148:149], 1.0
	v_add_f64 v[160:161], v[150:151], -1.0
	v_add_f64 v[162:163], v[160:161], -v[150:151]
	v_add_f64 v[162:163], v[162:163], 1.0
	v_add_f64 v[160:161], v[148:149], -v[160:161]
	s_mov_b32 vcc_lo, 0x55555555
	v_add_f64 v[160:161], v[160:161], v[162:163]
	v_frexp_mant_f64_e32 v[162:163], v[150:151]
	s_mov_b32 vcc_hi, 0x3fe55555
	v_frexp_exp_i32_f64_e32 v145, v[150:151]
	v_cmp_gt_f64_e32 vcc, vcc, v[162:163]
	s_mov_b32 s55, 0x3c7abc9e
	s_nop 0
	v_subbrev_co_u32_e32 v145, vcc, 0, v145, vcc
	v_sub_u32_e32 v162, 0, v145
	v_ldexp_f64 v[150:151], v[150:151], v162
	v_ldexp_f64 v[160:161], v[160:161], v162
	v_add_f64 v[162:163], v[150:151], -1.0
	v_add_f64 v[176:177], v[150:151], 1.0
	v_add_f64 v[164:165], v[162:163], 1.0
	v_add_f64 v[180:181], v[176:177], -1.0
	v_add_f64 v[164:165], v[150:151], -v[164:165]
	v_add_f64 v[150:151], v[150:151], -v[180:181]
	v_add_f64 v[150:151], v[160:161], v[150:151]
	v_add_f64 v[164:165], v[160:161], v[164:165]
	;; [unrolled: 1-line block ×3, first 2 shown]
	v_rcp_f64_e32 v[180:181], v[160:161]
	v_add_f64 v[166:167], v[162:163], v[164:165]
	v_add_f64 v[162:163], v[166:167], -v[162:163]
	v_add_f64 v[162:163], v[164:165], -v[162:163]
	v_add_f64 v[164:165], v[160:161], -v[176:177]
	v_add_f64 v[150:151], v[150:151], -v[164:165]
	v_fma_f64 v[164:165], -v[160:161], v[180:181], 1.0
	v_fmac_f64_e32 v[180:181], v[164:165], v[180:181]
	v_fma_f64 v[164:165], -v[160:161], v[180:181], 1.0
	v_fmac_f64_e32 v[180:181], v[164:165], v[180:181]
	v_mul_f64 v[164:165], v[166:167], v[180:181]
	v_mul_f64 v[176:177], v[160:161], v[164:165]
	v_fma_f64 v[182:183], v[164:165], v[160:161], -v[176:177]
	v_fmac_f64_e32 v[182:183], v[164:165], v[150:151]
	v_add_f64 v[192:193], v[176:177], v[182:183]
	v_add_f64 v[194:195], v[166:167], -v[192:193]
	v_add_f64 v[166:167], v[166:167], -v[194:195]
	;; [unrolled: 1-line block ×4, first 2 shown]
	v_add_f64 v[162:163], v[162:163], v[166:167]
	v_add_f64 v[166:167], v[176:177], -v[182:183]
	v_add_f64 v[162:163], v[166:167], v[162:163]
	v_add_f64 v[166:167], v[194:195], v[162:163]
	v_add_f64 v[176:177], v[194:195], -v[166:167]
	v_add_f64 v[162:163], v[162:163], v[176:177]
	v_mul_f64 v[176:177], v[180:181], v[166:167]
	v_mul_f64 v[182:183], v[160:161], v[176:177]
	v_fma_f64 v[160:161], v[176:177], v[160:161], -v[182:183]
	v_fmac_f64_e32 v[160:161], v[176:177], v[150:151]
	v_add_f64 v[150:151], v[182:183], v[160:161]
	v_add_f64 v[192:193], v[166:167], -v[150:151]
	v_add_f64 v[166:167], v[166:167], -v[192:193]
	;; [unrolled: 1-line block ×4, first 2 shown]
	v_add_f64 v[150:151], v[162:163], v[150:151]
	v_add_f64 v[160:161], v[182:183], -v[160:161]
	v_add_f64 v[150:151], v[160:161], v[150:151]
	v_add_f64 v[160:161], v[164:165], v[176:177]
	;; [unrolled: 1-line block ×3, first 2 shown]
	v_add_f64 v[162:163], v[160:161], -v[164:165]
	v_mul_f64 v[150:151], v[180:181], v[150:151]
	v_add_f64 v[162:163], v[176:177], -v[162:163]
	v_add_f64 v[150:151], v[162:163], v[150:151]
	v_add_f64 v[162:163], v[160:161], v[150:151]
	v_add_f64 v[160:161], v[162:163], -v[160:161]
	s_mov_b32 vcc_lo, 0xbf559e2b
	v_add_f64 v[150:151], v[150:151], -v[160:161]
	v_mul_f64 v[160:161], v[162:163], v[162:163]
	v_mov_b32_e32 v164, 0x6b47b09a
	v_mov_b32_e32 v165, 0x3fc38538
	s_mov_b32 vcc_hi, 0x3fc3ab76
	v_fmac_f64_e32 v[164:165], vcc, v[160:161]
	v_mov_b32_e32 v166, 0xd7f4df2e
	v_mov_b32_e32 v167, 0x3fc7474d
	v_fmac_f64_e32 v[166:167], v[160:161], v[164:165]
	v_mov_b32_e32 v164, 0x16291751
	v_mov_b32_e32 v165, 0x3fcc71c0
	v_fmac_f64_e32 v[164:165], v[160:161], v[166:167]
	;; [unrolled: 3-line block ×5, first 2 shown]
	v_cvt_f64_i32_e32 v[164:165], v145
	v_mul_f64 v[176:177], v[164:165], s[52:53]
	v_fma_f64 v[180:181], v[164:165], s[52:53], -v[176:177]
	v_fmac_f64_e32 v[180:181], s[54:55], v[164:165]
	v_add_f64 v[164:165], v[176:177], v[180:181]
	v_add_f64 v[176:177], v[164:165], -v[176:177]
	v_mul_f64 v[160:161], v[162:163], v[160:161]
	v_add_f64 v[176:177], v[180:181], -v[176:177]
	v_ldexp_f64 v[180:181], v[162:163], 1
	v_mul_f64 v[160:161], v[160:161], v[166:167]
	v_add_f64 v[162:163], v[180:181], v[160:161]
	v_add_f64 v[166:167], v[162:163], -v[180:181]
	v_ldexp_f64 v[150:151], v[150:151], 1
	v_add_f64 v[160:161], v[160:161], -v[166:167]
	v_add_f64 v[150:151], v[150:151], v[160:161]
	v_add_f64 v[160:161], v[162:163], v[150:151]
	v_add_f64 v[162:163], v[160:161], -v[162:163]
	v_add_f64 v[150:151], v[150:151], -v[162:163]
	v_add_f64 v[162:163], v[164:165], v[160:161]
	v_add_f64 v[166:167], v[162:163], -v[164:165]
	v_add_f64 v[180:181], v[162:163], -v[166:167]
	;; [unrolled: 1-line block ×4, first 2 shown]
	v_add_f64 v[160:161], v[160:161], v[164:165]
	v_add_f64 v[164:165], v[176:177], v[150:151]
	v_add_f64 v[166:167], v[164:165], -v[176:177]
	v_add_f64 v[160:161], v[164:165], v[160:161]
	v_add_f64 v[180:181], v[164:165], -v[166:167]
	;; [unrolled: 2-line block ×3, first 2 shown]
	v_add_f64 v[150:151], v[150:151], -v[166:167]
	v_add_f64 v[162:163], v[164:165], -v[162:163]
	v_add_f64 v[150:151], v[150:151], v[176:177]
	v_add_f64 v[160:161], v[160:161], -v[162:163]
	s_mov_b32 vcc_lo, 0
	v_add_f64 v[150:151], v[150:151], v[160:161]
	s_mov_b32 vcc_hi, 0x7ff00000
	v_add_f64 v[150:151], v[164:165], v[150:151]
	v_cmp_eq_f64_e32 vcc, vcc, v[148:149]
	s_nop 1
	v_cndmask_b32_e32 v145, v150, v148, vcc
	v_cndmask_b32_e32 v150, v151, v149, vcc
	v_mov_b32_e32 v151, 0x7ff80000
	v_cmp_ngt_f64_e32 vcc, -1.0, v[148:149]
	s_nop 1
	v_cndmask_b32_e32 v151, v151, v150, vcc
	v_cmp_nge_f64_e32 vcc, -1.0, v[148:149]
	s_nop 1
	v_cndmask_b32_e32 v150, 0, v145, vcc
	v_mov_b32_e32 v145, 0xfff00000
	v_cmp_neq_f64_e32 vcc, -1.0, v[148:149]
	s_nop 1
	v_cndmask_b32_e32 v151, v145, v151, vcc
	v_add_f64 v[150:151], v[6:7], v[150:151]
.LBB50_153:
	s_or_b64 exec, exec, s[50:51]
	v_mov_b32_e32 v148, v150
	v_mov_b32_e32 v149, v151
	v_mov_b64_e32 v[6:7], v[150:151]
.LBB50_154:
	s_or_b64 exec, exec, s[44:45]
	v_cmp_gt_u32_e32 vcc, 48, v53
	v_add_u32_e32 v44, 16, v53
	s_nop 0
	v_cndmask_b32_e64 v145, 0, 1, vcc
	v_lshlrev_b32_e32 v145, 4, v145
	v_add_lshl_u32 v43, v145, v178, 2
	s_waitcnt lgkmcnt(1)
	ds_bpermute_b32 v150, v43, v148
	s_waitcnt lgkmcnt(1)
	ds_bpermute_b32 v151, v43, v149
	v_cmp_le_u32_e32 vcc, v44, v9
	s_and_saveexec_b64 s[44:45], vcc
	s_cbranch_execz .LBB50_158
; %bb.155:
	s_waitcnt lgkmcnt(0)
	v_max_f64 v[160:161], v[150:151], v[150:151]
	v_max_f64 v[162:163], v[6:7], v[6:7]
	v_min_f64 v[148:149], v[160:161], v[162:163]
	v_cmp_u_f64_e32 vcc, v[150:151], v[150:151]
	v_cmp_u_f64_e64 s[40:41], v[6:7], v[6:7]
	v_max_f64 v[160:161], v[160:161], v[162:163]
	v_cndmask_b32_e32 v145, v148, v150, vcc
	v_cndmask_b32_e32 v148, v149, v151, vcc
	v_cndmask_b32_e64 v149, v148, v7, s[40:41]
	v_cndmask_b32_e64 v148, v145, v6, s[40:41]
	v_cndmask_b32_e32 v145, v160, v150, vcc
	v_cndmask_b32_e32 v160, v161, v151, vcc
	v_cndmask_b32_e64 v7, v160, v7, s[40:41]
	v_cndmask_b32_e64 v6, v145, v6, s[40:41]
	s_movk_i32 s13, 0x1f8
	v_cmp_neq_f64_e32 vcc, v[148:149], v[6:7]
	v_cmp_class_f64_e64 s[40:41], v[148:149], s13
	s_or_b64 vcc, vcc, s[40:41]
	s_and_saveexec_b64 s[50:51], vcc
	s_cbranch_execz .LBB50_157
; %bb.156:
	s_mov_b32 vcc_lo, 0x652b82fe
	v_add_f64 v[148:149], v[148:149], -v[6:7]
	s_mov_b32 vcc_hi, 0x3ff71547
	v_mul_f64 v[150:151], v[148:149], vcc
	v_rndne_f64_e32 v[150:151], v[150:151]
	s_mov_b32 s53, 0xbfe62e42
	s_mov_b32 s52, 0xfefa39ef
	v_fma_f64 v[160:161], s[52:53], v[150:151], v[148:149]
	s_mov_b32 s55, 0xbc7abc9e
	s_mov_b32 s54, 0x3b39803f
	s_mov_b32 vcc_lo, 0x6a5dcb37
	v_fmac_f64_e32 v[160:161], s[54:55], v[150:151]
	v_mov_b32_e32 v162, 0xfca7ab0c
	v_mov_b32_e32 v163, 0x3e928af3
	s_mov_b32 vcc_hi, 0x3e5ade15
	v_fmac_f64_e32 v[162:163], vcc, v[160:161]
	v_mov_b32_e32 v164, 0x623fde64
	v_mov_b32_e32 v165, 0x3ec71dee
	v_fmac_f64_e32 v[164:165], v[160:161], v[162:163]
	v_mov_b32_e32 v162, 0x7c89e6b0
	v_mov_b32_e32 v163, 0x3efa0199
	v_fmac_f64_e32 v[162:163], v[160:161], v[164:165]
	;; [unrolled: 3-line block ×8, first 2 shown]
	v_fma_f64 v[162:163], v[160:161], v[162:163], 1.0
	s_mov_b32 vcc_lo, 0
	s_mov_b32 s40, 0
	v_fma_f64 v[160:161], v[160:161], v[162:163], 1.0
	v_cvt_i32_f64_e32 v145, v[150:151]
	s_mov_b32 vcc_hi, 0x40900000
	s_mov_b32 s41, 0xc090cc00
	v_ldexp_f64 v[150:151], v[160:161], v145
	v_mov_b32_e32 v145, 0x7ff00000
	v_cmp_nlt_f64_e32 vcc, vcc, v[148:149]
	v_cmp_ngt_f64_e64 s[40:41], s[40:41], v[148:149]
	s_mov_b32 s53, 0x3fe62e42
	v_cndmask_b32_e32 v145, v145, v151, vcc
	s_and_b64 vcc, s[40:41], vcc
	v_cndmask_b32_e64 v149, 0, v145, s[40:41]
	v_cndmask_b32_e32 v148, 0, v150, vcc
	v_add_f64 v[150:151], v[148:149], 1.0
	v_add_f64 v[160:161], v[150:151], -1.0
	v_add_f64 v[162:163], v[160:161], -v[150:151]
	v_add_f64 v[162:163], v[162:163], 1.0
	v_add_f64 v[160:161], v[148:149], -v[160:161]
	s_mov_b32 vcc_lo, 0x55555555
	v_add_f64 v[160:161], v[160:161], v[162:163]
	v_frexp_mant_f64_e32 v[162:163], v[150:151]
	s_mov_b32 vcc_hi, 0x3fe55555
	v_frexp_exp_i32_f64_e32 v145, v[150:151]
	v_cmp_gt_f64_e32 vcc, vcc, v[162:163]
	s_mov_b32 s55, 0x3c7abc9e
	s_nop 0
	v_subbrev_co_u32_e32 v145, vcc, 0, v145, vcc
	v_sub_u32_e32 v162, 0, v145
	v_ldexp_f64 v[150:151], v[150:151], v162
	v_ldexp_f64 v[160:161], v[160:161], v162
	v_add_f64 v[162:163], v[150:151], -1.0
	v_add_f64 v[176:177], v[150:151], 1.0
	v_add_f64 v[164:165], v[162:163], 1.0
	v_add_f64 v[180:181], v[176:177], -1.0
	v_add_f64 v[164:165], v[150:151], -v[164:165]
	v_add_f64 v[150:151], v[150:151], -v[180:181]
	v_add_f64 v[150:151], v[160:161], v[150:151]
	v_add_f64 v[164:165], v[160:161], v[164:165]
	;; [unrolled: 1-line block ×3, first 2 shown]
	v_rcp_f64_e32 v[180:181], v[160:161]
	v_add_f64 v[166:167], v[162:163], v[164:165]
	v_add_f64 v[162:163], v[166:167], -v[162:163]
	v_add_f64 v[162:163], v[164:165], -v[162:163]
	;; [unrolled: 1-line block ×4, first 2 shown]
	v_fma_f64 v[164:165], -v[160:161], v[180:181], 1.0
	v_fmac_f64_e32 v[180:181], v[164:165], v[180:181]
	v_fma_f64 v[164:165], -v[160:161], v[180:181], 1.0
	v_fmac_f64_e32 v[180:181], v[164:165], v[180:181]
	v_mul_f64 v[164:165], v[166:167], v[180:181]
	v_mul_f64 v[176:177], v[160:161], v[164:165]
	v_fma_f64 v[182:183], v[164:165], v[160:161], -v[176:177]
	v_fmac_f64_e32 v[182:183], v[164:165], v[150:151]
	v_add_f64 v[192:193], v[176:177], v[182:183]
	v_add_f64 v[194:195], v[166:167], -v[192:193]
	v_add_f64 v[166:167], v[166:167], -v[194:195]
	;; [unrolled: 1-line block ×4, first 2 shown]
	v_add_f64 v[162:163], v[162:163], v[166:167]
	v_add_f64 v[166:167], v[176:177], -v[182:183]
	v_add_f64 v[162:163], v[166:167], v[162:163]
	v_add_f64 v[166:167], v[194:195], v[162:163]
	v_add_f64 v[176:177], v[194:195], -v[166:167]
	v_add_f64 v[162:163], v[162:163], v[176:177]
	v_mul_f64 v[176:177], v[180:181], v[166:167]
	v_mul_f64 v[182:183], v[160:161], v[176:177]
	v_fma_f64 v[160:161], v[176:177], v[160:161], -v[182:183]
	v_fmac_f64_e32 v[160:161], v[176:177], v[150:151]
	v_add_f64 v[150:151], v[182:183], v[160:161]
	v_add_f64 v[192:193], v[166:167], -v[150:151]
	v_add_f64 v[166:167], v[166:167], -v[192:193]
	;; [unrolled: 1-line block ×4, first 2 shown]
	v_add_f64 v[150:151], v[162:163], v[150:151]
	v_add_f64 v[160:161], v[182:183], -v[160:161]
	v_add_f64 v[150:151], v[160:161], v[150:151]
	v_add_f64 v[160:161], v[164:165], v[176:177]
	;; [unrolled: 1-line block ×3, first 2 shown]
	v_add_f64 v[162:163], v[160:161], -v[164:165]
	v_mul_f64 v[150:151], v[180:181], v[150:151]
	v_add_f64 v[162:163], v[176:177], -v[162:163]
	v_add_f64 v[150:151], v[162:163], v[150:151]
	v_add_f64 v[162:163], v[160:161], v[150:151]
	v_add_f64 v[160:161], v[162:163], -v[160:161]
	s_mov_b32 vcc_lo, 0xbf559e2b
	v_add_f64 v[150:151], v[150:151], -v[160:161]
	v_mul_f64 v[160:161], v[162:163], v[162:163]
	v_mov_b32_e32 v164, 0x6b47b09a
	v_mov_b32_e32 v165, 0x3fc38538
	s_mov_b32 vcc_hi, 0x3fc3ab76
	v_fmac_f64_e32 v[164:165], vcc, v[160:161]
	v_mov_b32_e32 v166, 0xd7f4df2e
	v_mov_b32_e32 v167, 0x3fc7474d
	v_fmac_f64_e32 v[166:167], v[160:161], v[164:165]
	v_mov_b32_e32 v164, 0x16291751
	v_mov_b32_e32 v165, 0x3fcc71c0
	v_fmac_f64_e32 v[164:165], v[160:161], v[166:167]
	;; [unrolled: 3-line block ×5, first 2 shown]
	v_cvt_f64_i32_e32 v[164:165], v145
	v_mul_f64 v[176:177], v[164:165], s[52:53]
	v_fma_f64 v[180:181], v[164:165], s[52:53], -v[176:177]
	v_fmac_f64_e32 v[180:181], s[54:55], v[164:165]
	v_add_f64 v[164:165], v[176:177], v[180:181]
	v_add_f64 v[176:177], v[164:165], -v[176:177]
	v_mul_f64 v[160:161], v[162:163], v[160:161]
	v_add_f64 v[176:177], v[180:181], -v[176:177]
	v_ldexp_f64 v[180:181], v[162:163], 1
	v_mul_f64 v[160:161], v[160:161], v[166:167]
	v_add_f64 v[162:163], v[180:181], v[160:161]
	v_add_f64 v[166:167], v[162:163], -v[180:181]
	v_ldexp_f64 v[150:151], v[150:151], 1
	v_add_f64 v[160:161], v[160:161], -v[166:167]
	v_add_f64 v[150:151], v[150:151], v[160:161]
	v_add_f64 v[160:161], v[162:163], v[150:151]
	v_add_f64 v[162:163], v[160:161], -v[162:163]
	v_add_f64 v[150:151], v[150:151], -v[162:163]
	v_add_f64 v[162:163], v[164:165], v[160:161]
	v_add_f64 v[166:167], v[162:163], -v[164:165]
	v_add_f64 v[180:181], v[162:163], -v[166:167]
	v_add_f64 v[164:165], v[164:165], -v[180:181]
	v_add_f64 v[160:161], v[160:161], -v[166:167]
	v_add_f64 v[160:161], v[160:161], v[164:165]
	v_add_f64 v[164:165], v[176:177], v[150:151]
	v_add_f64 v[166:167], v[164:165], -v[176:177]
	v_add_f64 v[160:161], v[164:165], v[160:161]
	v_add_f64 v[180:181], v[164:165], -v[166:167]
	;; [unrolled: 2-line block ×3, first 2 shown]
	v_add_f64 v[150:151], v[150:151], -v[166:167]
	v_add_f64 v[162:163], v[164:165], -v[162:163]
	v_add_f64 v[150:151], v[150:151], v[176:177]
	v_add_f64 v[160:161], v[160:161], -v[162:163]
	s_mov_b32 vcc_lo, 0
	v_add_f64 v[150:151], v[150:151], v[160:161]
	s_mov_b32 vcc_hi, 0x7ff00000
	v_add_f64 v[150:151], v[164:165], v[150:151]
	v_cmp_eq_f64_e32 vcc, vcc, v[148:149]
	s_nop 1
	v_cndmask_b32_e32 v145, v150, v148, vcc
	v_cndmask_b32_e32 v150, v151, v149, vcc
	v_mov_b32_e32 v151, 0x7ff80000
	v_cmp_ngt_f64_e32 vcc, -1.0, v[148:149]
	s_nop 1
	v_cndmask_b32_e32 v151, v151, v150, vcc
	v_cmp_nge_f64_e32 vcc, -1.0, v[148:149]
	s_nop 1
	v_cndmask_b32_e32 v150, 0, v145, vcc
	v_mov_b32_e32 v145, 0xfff00000
	v_cmp_neq_f64_e32 vcc, -1.0, v[148:149]
	s_nop 1
	v_cndmask_b32_e32 v151, v145, v151, vcc
	v_add_f64 v[150:151], v[6:7], v[150:151]
.LBB50_157:
	s_or_b64 exec, exec, s[50:51]
	v_mov_b32_e32 v148, v150
	v_mov_b32_e32 v149, v151
	v_mov_b64_e32 v[6:7], v[150:151]
.LBB50_158:
	s_or_b64 exec, exec, s[44:45]
	v_cmp_gt_u32_e32 vcc, 32, v53
	v_add_u32_e32 v46, 32, v53
	s_nop 0
	v_cndmask_b32_e64 v145, 0, 1, vcc
	v_lshlrev_b32_e32 v145, 5, v145
	v_add_lshl_u32 v45, v145, v178, 2
	ds_bpermute_b32 v148, v45, v148
	ds_bpermute_b32 v149, v45, v149
	v_cmp_le_u32_e32 vcc, v46, v9
	s_and_saveexec_b64 s[44:45], vcc
	s_cbranch_execz .LBB50_162
; %bb.159:
	s_waitcnt lgkmcnt(0)
	v_max_f64 v[160:161], v[148:149], v[148:149]
	v_max_f64 v[162:163], v[6:7], v[6:7]
	v_min_f64 v[150:151], v[160:161], v[162:163]
	v_cmp_u_f64_e32 vcc, v[148:149], v[148:149]
	v_cmp_u_f64_e64 s[40:41], v[6:7], v[6:7]
	v_max_f64 v[160:161], v[160:161], v[162:163]
	v_cndmask_b32_e32 v9, v150, v148, vcc
	v_cndmask_b32_e32 v145, v151, v149, vcc
	v_cndmask_b32_e64 v151, v145, v7, s[40:41]
	v_cndmask_b32_e64 v150, v9, v6, s[40:41]
	v_cndmask_b32_e32 v9, v160, v148, vcc
	v_cndmask_b32_e32 v145, v161, v149, vcc
	v_cndmask_b32_e64 v7, v145, v7, s[40:41]
	v_cndmask_b32_e64 v6, v9, v6, s[40:41]
	s_movk_i32 s13, 0x1f8
	v_cmp_neq_f64_e32 vcc, v[150:151], v[6:7]
	v_cmp_class_f64_e64 s[40:41], v[150:151], s13
	s_or_b64 vcc, vcc, s[40:41]
	s_and_saveexec_b64 s[50:51], vcc
	s_cbranch_execz .LBB50_161
; %bb.160:
	s_mov_b32 vcc_lo, 0x652b82fe
	v_add_f64 v[148:149], v[150:151], -v[6:7]
	s_mov_b32 vcc_hi, 0x3ff71547
	v_mul_f64 v[150:151], v[148:149], vcc
	v_rndne_f64_e32 v[150:151], v[150:151]
	s_mov_b32 s53, 0xbfe62e42
	s_mov_b32 s52, 0xfefa39ef
	v_fma_f64 v[160:161], s[52:53], v[150:151], v[148:149]
	s_mov_b32 s55, 0xbc7abc9e
	s_mov_b32 s54, 0x3b39803f
	s_mov_b32 vcc_lo, 0x6a5dcb37
	v_fmac_f64_e32 v[160:161], s[54:55], v[150:151]
	v_mov_b32_e32 v162, 0xfca7ab0c
	v_mov_b32_e32 v163, 0x3e928af3
	s_mov_b32 vcc_hi, 0x3e5ade15
	v_fmac_f64_e32 v[162:163], vcc, v[160:161]
	v_mov_b32_e32 v164, 0x623fde64
	v_mov_b32_e32 v165, 0x3ec71dee
	v_fmac_f64_e32 v[164:165], v[160:161], v[162:163]
	v_mov_b32_e32 v162, 0x7c89e6b0
	v_mov_b32_e32 v163, 0x3efa0199
	v_fmac_f64_e32 v[162:163], v[160:161], v[164:165]
	v_mov_b32_e32 v164, 0x14761f6e
	v_mov_b32_e32 v165, 0x3f2a01a0
	v_fmac_f64_e32 v[164:165], v[160:161], v[162:163]
	v_mov_b32_e32 v162, 0x1852b7b0
	v_mov_b32_e32 v163, 0x3f56c16c
	v_fmac_f64_e32 v[162:163], v[160:161], v[164:165]
	v_mov_b32_e32 v164, 0x11122322
	v_mov_b32_e32 v165, 0x3f811111
	v_fmac_f64_e32 v[164:165], v[160:161], v[162:163]
	v_mov_b32_e32 v162, 0x555502a1
	v_mov_b32_e32 v163, 0x3fa55555
	v_fmac_f64_e32 v[162:163], v[160:161], v[164:165]
	v_mov_b32_e32 v164, 0x55555511
	v_mov_b32_e32 v165, 0x3fc55555
	v_fmac_f64_e32 v[164:165], v[160:161], v[162:163]
	v_mov_b32_e32 v162, 11
	v_mov_b32_e32 v163, 0x3fe00000
	v_fmac_f64_e32 v[162:163], v[160:161], v[164:165]
	v_fma_f64 v[162:163], v[160:161], v[162:163], 1.0
	s_mov_b32 vcc_lo, 0
	s_mov_b32 s40, 0
	v_fma_f64 v[160:161], v[160:161], v[162:163], 1.0
	v_cvt_i32_f64_e32 v9, v[150:151]
	s_mov_b32 vcc_hi, 0x40900000
	s_mov_b32 s41, 0xc090cc00
	v_ldexp_f64 v[150:151], v[160:161], v9
	v_mov_b32_e32 v9, 0x7ff00000
	v_cmp_nlt_f64_e32 vcc, vcc, v[148:149]
	v_cmp_ngt_f64_e64 s[40:41], s[40:41], v[148:149]
	s_mov_b32 s53, 0x3fe62e42
	v_cndmask_b32_e32 v9, v9, v151, vcc
	s_and_b64 vcc, s[40:41], vcc
	v_cndmask_b32_e64 v149, 0, v9, s[40:41]
	v_cndmask_b32_e32 v148, 0, v150, vcc
	v_add_f64 v[150:151], v[148:149], 1.0
	v_add_f64 v[160:161], v[150:151], -1.0
	v_add_f64 v[162:163], v[160:161], -v[150:151]
	v_add_f64 v[162:163], v[162:163], 1.0
	v_add_f64 v[160:161], v[148:149], -v[160:161]
	s_mov_b32 vcc_lo, 0x55555555
	v_add_f64 v[160:161], v[160:161], v[162:163]
	v_frexp_mant_f64_e32 v[162:163], v[150:151]
	s_mov_b32 vcc_hi, 0x3fe55555
	v_frexp_exp_i32_f64_e32 v9, v[150:151]
	v_cmp_gt_f64_e32 vcc, vcc, v[162:163]
	s_mov_b32 s55, 0x3c7abc9e
	s_nop 0
	v_subbrev_co_u32_e32 v9, vcc, 0, v9, vcc
	v_sub_u32_e32 v145, 0, v9
	v_ldexp_f64 v[150:151], v[150:151], v145
	v_add_f64 v[162:163], v[150:151], -1.0
	v_add_f64 v[176:177], v[150:151], 1.0
	v_add_f64 v[164:165], v[162:163], 1.0
	v_add_f64 v[178:179], v[176:177], -1.0
	v_ldexp_f64 v[160:161], v[160:161], v145
	v_add_f64 v[164:165], v[150:151], -v[164:165]
	v_add_f64 v[150:151], v[150:151], -v[178:179]
	v_add_f64 v[150:151], v[160:161], v[150:151]
	v_add_f64 v[164:165], v[160:161], v[164:165]
	;; [unrolled: 1-line block ×3, first 2 shown]
	v_rcp_f64_e32 v[178:179], v[160:161]
	v_add_f64 v[166:167], v[162:163], v[164:165]
	v_add_f64 v[162:163], v[166:167], -v[162:163]
	v_add_f64 v[162:163], v[164:165], -v[162:163]
	;; [unrolled: 1-line block ×4, first 2 shown]
	v_fma_f64 v[164:165], -v[160:161], v[178:179], 1.0
	v_fmac_f64_e32 v[178:179], v[164:165], v[178:179]
	v_fma_f64 v[164:165], -v[160:161], v[178:179], 1.0
	v_fmac_f64_e32 v[178:179], v[164:165], v[178:179]
	v_mul_f64 v[164:165], v[166:167], v[178:179]
	v_mul_f64 v[176:177], v[160:161], v[164:165]
	v_fma_f64 v[180:181], v[164:165], v[160:161], -v[176:177]
	v_fmac_f64_e32 v[180:181], v[164:165], v[150:151]
	v_add_f64 v[182:183], v[176:177], v[180:181]
	v_add_f64 v[192:193], v[166:167], -v[182:183]
	v_add_f64 v[166:167], v[166:167], -v[192:193]
	;; [unrolled: 1-line block ×4, first 2 shown]
	v_add_f64 v[162:163], v[162:163], v[166:167]
	v_add_f64 v[166:167], v[176:177], -v[180:181]
	v_add_f64 v[162:163], v[166:167], v[162:163]
	v_add_f64 v[166:167], v[192:193], v[162:163]
	v_add_f64 v[176:177], v[192:193], -v[166:167]
	v_add_f64 v[162:163], v[162:163], v[176:177]
	v_mul_f64 v[176:177], v[178:179], v[166:167]
	v_mul_f64 v[180:181], v[160:161], v[176:177]
	v_fma_f64 v[160:161], v[176:177], v[160:161], -v[180:181]
	v_fmac_f64_e32 v[160:161], v[176:177], v[150:151]
	v_add_f64 v[150:151], v[180:181], v[160:161]
	v_add_f64 v[182:183], v[166:167], -v[150:151]
	v_add_f64 v[166:167], v[166:167], -v[182:183]
	;; [unrolled: 1-line block ×4, first 2 shown]
	v_add_f64 v[150:151], v[162:163], v[150:151]
	v_add_f64 v[160:161], v[180:181], -v[160:161]
	v_add_f64 v[150:151], v[160:161], v[150:151]
	v_add_f64 v[160:161], v[164:165], v[176:177]
	;; [unrolled: 1-line block ×3, first 2 shown]
	v_add_f64 v[162:163], v[160:161], -v[164:165]
	v_mul_f64 v[150:151], v[178:179], v[150:151]
	v_add_f64 v[162:163], v[176:177], -v[162:163]
	v_add_f64 v[150:151], v[162:163], v[150:151]
	v_add_f64 v[162:163], v[160:161], v[150:151]
	v_add_f64 v[160:161], v[162:163], -v[160:161]
	s_mov_b32 vcc_lo, 0xbf559e2b
	v_add_f64 v[150:151], v[150:151], -v[160:161]
	v_mul_f64 v[160:161], v[162:163], v[162:163]
	v_mov_b32_e32 v164, 0x6b47b09a
	v_mov_b32_e32 v165, 0x3fc38538
	s_mov_b32 vcc_hi, 0x3fc3ab76
	v_fmac_f64_e32 v[164:165], vcc, v[160:161]
	v_mov_b32_e32 v166, 0xd7f4df2e
	v_mov_b32_e32 v167, 0x3fc7474d
	v_fmac_f64_e32 v[166:167], v[160:161], v[164:165]
	v_mov_b32_e32 v164, 0x16291751
	v_mov_b32_e32 v165, 0x3fcc71c0
	v_fmac_f64_e32 v[164:165], v[160:161], v[166:167]
	;; [unrolled: 3-line block ×5, first 2 shown]
	v_cvt_f64_i32_e32 v[164:165], v9
	v_mul_f64 v[176:177], v[164:165], s[52:53]
	v_fma_f64 v[178:179], v[164:165], s[52:53], -v[176:177]
	v_fmac_f64_e32 v[178:179], s[54:55], v[164:165]
	v_add_f64 v[164:165], v[176:177], v[178:179]
	v_add_f64 v[176:177], v[164:165], -v[176:177]
	v_mul_f64 v[160:161], v[162:163], v[160:161]
	v_add_f64 v[176:177], v[178:179], -v[176:177]
	v_ldexp_f64 v[178:179], v[162:163], 1
	v_mul_f64 v[160:161], v[160:161], v[166:167]
	v_add_f64 v[162:163], v[178:179], v[160:161]
	v_add_f64 v[166:167], v[162:163], -v[178:179]
	v_ldexp_f64 v[150:151], v[150:151], 1
	v_add_f64 v[160:161], v[160:161], -v[166:167]
	v_add_f64 v[150:151], v[150:151], v[160:161]
	v_add_f64 v[160:161], v[162:163], v[150:151]
	v_add_f64 v[162:163], v[160:161], -v[162:163]
	v_add_f64 v[150:151], v[150:151], -v[162:163]
	v_add_f64 v[162:163], v[164:165], v[160:161]
	v_add_f64 v[166:167], v[162:163], -v[164:165]
	v_add_f64 v[178:179], v[162:163], -v[166:167]
	;; [unrolled: 1-line block ×4, first 2 shown]
	v_add_f64 v[160:161], v[160:161], v[164:165]
	v_add_f64 v[164:165], v[176:177], v[150:151]
	v_add_f64 v[166:167], v[164:165], -v[176:177]
	v_add_f64 v[160:161], v[164:165], v[160:161]
	v_add_f64 v[178:179], v[164:165], -v[166:167]
	;; [unrolled: 2-line block ×3, first 2 shown]
	v_add_f64 v[150:151], v[150:151], -v[166:167]
	v_add_f64 v[162:163], v[164:165], -v[162:163]
	v_add_f64 v[150:151], v[150:151], v[176:177]
	v_add_f64 v[160:161], v[160:161], -v[162:163]
	s_mov_b32 vcc_lo, 0
	v_add_f64 v[150:151], v[150:151], v[160:161]
	s_mov_b32 vcc_hi, 0x7ff00000
	v_add_f64 v[150:151], v[164:165], v[150:151]
	v_cmp_eq_f64_e32 vcc, vcc, v[148:149]
	s_nop 1
	v_cndmask_b32_e32 v9, v150, v148, vcc
	v_cndmask_b32_e32 v145, v151, v149, vcc
	v_mov_b32_e32 v150, 0x7ff80000
	v_cmp_ngt_f64_e32 vcc, -1.0, v[148:149]
	s_nop 1
	v_cndmask_b32_e32 v145, v150, v145, vcc
	v_cmp_nge_f64_e32 vcc, -1.0, v[148:149]
	s_nop 1
	v_cndmask_b32_e32 v150, 0, v9, vcc
	v_mov_b32_e32 v9, 0xfff00000
	v_cmp_neq_f64_e32 vcc, -1.0, v[148:149]
	s_nop 1
	v_cndmask_b32_e32 v151, v9, v145, vcc
	v_add_f64 v[148:149], v[6:7], v[150:151]
.LBB50_161:
	s_or_b64 exec, exec, s[50:51]
	v_mov_b64_e32 v[6:7], v[148:149]
.LBB50_162:
	s_or_b64 exec, exec, s[44:45]
	s_mov_b64 s[50:51], src_shared_base
	s_mov_b32 s54, 0x652b82fe
	s_mov_b32 s56, 0xfefa39ef
	;; [unrolled: 1-line block ×9, first 2 shown]
	v_mov_b32_e32 v145, 0
	s_mov_b64 s[52:53], src_private_base
	s_mov_b32 s13, 0xc0c0500
	s_movk_i32 s50, 0x1f8
	s_mov_b32 s55, 0x3ff71547
	s_mov_b32 s57, 0xbfe62e42
	;; [unrolled: 1-line block ×11, first 2 shown]
	v_mov_b32_e32 v47, 2
	s_waitcnt lgkmcnt(3)
	v_mov_b32_e32 v150, 0xfca7ab0c
	s_waitcnt lgkmcnt(2)
	v_mov_b32_e32 v151, 0x3e928af3
	v_mov_b32_e32 v160, 0x623fde64
	;; [unrolled: 1-line block ×32, first 2 shown]
	s_branch .LBB50_164
.LBB50_163:                             ;   in Loop: Header=BB50_164 Depth=1
	s_or_b64 exec, exec, s[44:45]
	v_subrev_u32_e32 v144, 64, v144
.LBB50_164:                             ; =>This Loop Header: Depth=1
                                        ;     Child Loop BB50_176 Depth 2
                                        ;       Child Loop BB50_177 Depth 3
	v_cmp_ne_u16_sdwa vcc, v8, v47 src0_sel:BYTE_0 src1_sel:DWORD
	s_waitcnt lgkmcnt(0)
	v_mov_b64_e32 v[148:149], v[6:7]
	v_cndmask_b32_e64 v8, 0, 1, vcc
	;;#ASMSTART
	;;#ASMEND
	s_nop 0
	v_cmp_ne_u32_e32 vcc, 0, v8
	s_cmp_lg_u64 vcc, exec
	s_cbranch_scc1 .LBB50_186
; %bb.165:                              ;   in Loop: Header=BB50_164 Depth=1
	v_lshl_add_u64 v[212:213], v[144:145], 4, v[116:117]
	v_cmp_ne_u32_e32 vcc, s51, v213
                                        ; implicit-def: $vgpr8
                                        ; implicit-def: $vgpr242_vgpr243
                                        ; implicit-def: $vgpr240_vgpr241
                                        ; implicit-def: $vgpr230_vgpr231
                                        ; implicit-def: $vgpr228_vgpr229
                                        ; implicit-def: $vgpr226_vgpr227
                                        ; implicit-def: $vgpr224_vgpr225
                                        ; implicit-def: $vgpr214_vgpr215
	s_and_saveexec_b64 s[40:41], vcc
	s_xor_b64 s[44:45], exec, s[40:41]
	s_cbranch_execz .LBB50_171
; %bb.166:                              ;   in Loop: Header=BB50_164 Depth=1
	v_cmp_ne_u32_e64 s[40:41], s53, v213
                                        ; implicit-def: $vgpr8
                                        ; implicit-def: $vgpr242_vgpr243
                                        ; implicit-def: $vgpr240_vgpr241
                                        ; implicit-def: $vgpr230_vgpr231
                                        ; implicit-def: $vgpr228_vgpr229
                                        ; implicit-def: $vgpr226_vgpr227
                                        ; implicit-def: $vgpr224_vgpr225
                                        ; implicit-def: $vgpr214_vgpr215
	s_and_saveexec_b64 s[76:77], s[40:41]
	s_xor_b64 s[40:41], exec, s[76:77]
	s_cbranch_execz .LBB50_168
; %bb.167:                              ;   in Loop: Header=BB50_164 Depth=1
	;;#ASMSTART
	global_load_dwordx4 v[6:9], v[212:213] off sc1	
s_waitcnt vmcnt(0)
	;;#ASMEND
	s_nop 0
	v_lshrrev_b64 v[214:215], 8, v[6:7]
	v_lshlrev_b64 v[230:231], 24, v[8:9]
	v_lshrrev_b32_e32 v215, 8, v7
	v_lshlrev_b64 v[240:241], 16, v[8:9]
	v_lshlrev_b64 v[242:243], 8, v[8:9]
	v_lshrrev_b64 v[224:225], 16, v[6:7]
	v_lshrrev_b64 v[226:227], 24, v[6:7]
	v_mov_b32_e32 v228, v7
	v_or_b32_e32 v230, v215, v230
	v_or_b32_sdwa v240, v7, v240 dst_sel:DWORD dst_unused:UNUSED_PAD src0_sel:WORD_1 src1_sel:DWORD
	v_or_b32_sdwa v242, v7, v242 dst_sel:DWORD dst_unused:UNUSED_PAD src0_sel:BYTE_3 src1_sel:DWORD
.LBB50_168:                             ;   in Loop: Header=BB50_164 Depth=1
	s_andn2_saveexec_b64 s[40:41], s[40:41]
	s_cbranch_execz .LBB50_170
; %bb.169:                              ;   in Loop: Header=BB50_164 Depth=1
	;;#ASMSTART
	flat_load_dwordx4 v[6:9], v[212:213] sc1	
s_waitcnt vmcnt(0)
	;;#ASMEND
	s_nop 0
	v_lshrrev_b64 v[214:215], 8, v[6:7]
	v_lshlrev_b64 v[230:231], 24, v[8:9]
	v_lshrrev_b32_e32 v215, 8, v7
	v_lshlrev_b64 v[240:241], 16, v[8:9]
	v_lshlrev_b64 v[242:243], 8, v[8:9]
	v_lshrrev_b64 v[224:225], 16, v[6:7]
	v_lshrrev_b64 v[226:227], 24, v[6:7]
	v_mov_b32_e32 v228, v7
	v_or_b32_e32 v230, v215, v230
	v_or_b32_sdwa v240, v7, v240 dst_sel:DWORD dst_unused:UNUSED_PAD src0_sel:WORD_1 src1_sel:DWORD
	v_or_b32_sdwa v242, v7, v242 dst_sel:DWORD dst_unused:UNUSED_PAD src0_sel:BYTE_3 src1_sel:DWORD
.LBB50_170:                             ;   in Loop: Header=BB50_164 Depth=1
	s_or_b64 exec, exec, s[40:41]
.LBB50_171:                             ;   in Loop: Header=BB50_164 Depth=1
	s_andn2_saveexec_b64 s[44:45], s[44:45]
	s_cbranch_execz .LBB50_173
; %bb.172:                              ;   in Loop: Header=BB50_164 Depth=1
	v_cmp_ne_u64_e64 s[40:41], 0, v[212:213]
	s_nop 1
	v_cndmask_b32_e64 v6, -1, v212, s[40:41]
	;;#ASMSTART
	ds_read_b128 v[6:9], v6 	
s_waitcnt lgkmcnt(0)
	;;#ASMEND
	s_nop 0
	v_lshrrev_b64 v[214:215], 8, v[6:7]
	v_lshlrev_b64 v[230:231], 24, v[8:9]
	v_lshrrev_b32_e32 v215, 8, v7
	v_lshlrev_b64 v[240:241], 16, v[8:9]
	v_lshlrev_b64 v[242:243], 8, v[8:9]
	v_lshrrev_b64 v[224:225], 16, v[6:7]
	v_lshrrev_b64 v[226:227], 24, v[6:7]
	v_mov_b32_e32 v228, v7
	v_or_b32_e32 v230, v215, v230
	v_or_b32_sdwa v240, v7, v240 dst_sel:DWORD dst_unused:UNUSED_PAD src0_sel:WORD_1 src1_sel:DWORD
	v_or_b32_sdwa v242, v7, v242 dst_sel:DWORD dst_unused:UNUSED_PAD src0_sel:BYTE_3 src1_sel:DWORD
.LBB50_173:                             ;   in Loop: Header=BB50_164 Depth=1
	s_or_b64 exec, exec, s[44:45]
	v_lshlrev_b32_e32 v7, 8, v214
	v_perm_b32 v6, v7, v6, s13
	v_lshlrev_b32_e32 v7, 16, v224
	v_and_b32_e32 v7, 0xff0000, v7
	v_lshlrev_b32_e32 v9, 24, v226
	v_or3_b32 v6, v6, v7, v9
	v_lshlrev_b32_e32 v9, 8, v230
	v_and_b32_e32 v7, 0xff, v228
	v_and_b32_e32 v9, 0xff00, v9
	v_lshlrev_b32_e32 v214, 16, v240
	v_or3_b32 v7, 0, v7, v9
	v_or3_b32 v6, v6, 0, 0
	v_lshlrev_b32_e32 v9, 24, v242
	v_and_b32_e32 v214, 0xff0000, v214
	v_or3_b32 v215, v7, v214, v9
	v_or3_b32 v214, v6, 0, 0
	v_cmp_eq_u16_sdwa s[40:41], v8, v145 src0_sel:BYTE_0 src1_sel:DWORD
	s_and_saveexec_b64 s[76:77], s[40:41]
	s_cbranch_execz .LBB50_188
; %bb.174:                              ;   in Loop: Header=BB50_164 Depth=1
	v_cmp_ne_u64_e64 s[44:45], 0, v[212:213]
	v_cmp_ne_u32_e64 s[40:41], s53, v213
	s_mov_b64 s[78:79], 0
	v_cndmask_b32_e64 v59, -1, v212, s[44:45]
	s_mov_b32 s52, 1
	s_branch .LBB50_176
.LBB50_175:                             ;   in Loop: Header=BB50_176 Depth=2
	s_or_b64 exec, exec, s[44:45]
	s_cmp_lt_u32 s52, 32
	s_cselect_b64 s[44:45], -1, 0
	s_cmp_lg_u64 s[44:45], 0
	s_addc_u32 s52, s52, 0
	v_cmp_ne_u16_sdwa s[44:45], v8, v145 src0_sel:BYTE_0 src1_sel:DWORD
	s_or_b64 s[78:79], s[44:45], s[78:79]
	s_andn2_b64 exec, exec, s[78:79]
	s_cbranch_execz .LBB50_187
.LBB50_176:                             ;   Parent Loop BB50_164 Depth=1
                                        ; =>  This Loop Header: Depth=2
                                        ;       Child Loop BB50_177 Depth 3
	s_max_u32 s44, s52, 1
.LBB50_177:                             ;   Parent Loop BB50_164 Depth=1
                                        ;     Parent Loop BB50_176 Depth=2
                                        ; =>    This Inner Loop Header: Depth=3
	s_add_i32 s44, s44, -1
	s_cmp_eq_u32 s44, 0
	s_sleep 1
	s_cbranch_scc0 .LBB50_177
; %bb.178:                              ;   in Loop: Header=BB50_176 Depth=2
                                        ; implicit-def: $vgpr8
                                        ; implicit-def: $vgpr242_vgpr243
                                        ; implicit-def: $vgpr240_vgpr241
                                        ; implicit-def: $vgpr230_vgpr231
                                        ; implicit-def: $vgpr228_vgpr229
                                        ; implicit-def: $vgpr226_vgpr227
                                        ; implicit-def: $vgpr224_vgpr225
                                        ; implicit-def: $vgpr214_vgpr215
	s_and_saveexec_b64 s[44:45], vcc
	s_xor_b64 s[44:45], exec, s[44:45]
	s_cbranch_execz .LBB50_184
; %bb.179:                              ;   in Loop: Header=BB50_176 Depth=2
                                        ; implicit-def: $vgpr8
                                        ; implicit-def: $vgpr242_vgpr243
                                        ; implicit-def: $vgpr240_vgpr241
                                        ; implicit-def: $vgpr230_vgpr231
                                        ; implicit-def: $vgpr228_vgpr229
                                        ; implicit-def: $vgpr226_vgpr227
                                        ; implicit-def: $vgpr224_vgpr225
                                        ; implicit-def: $vgpr214_vgpr215
	s_and_saveexec_b64 s[80:81], s[40:41]
	s_xor_b64 s[80:81], exec, s[80:81]
	s_cbranch_execz .LBB50_181
; %bb.180:                              ;   in Loop: Header=BB50_176 Depth=2
	;;#ASMSTART
	global_load_dwordx4 v[6:9], v[212:213] off sc1	
s_waitcnt vmcnt(0)
	;;#ASMEND
	s_nop 0
	v_lshrrev_b64 v[214:215], 8, v[6:7]
	v_lshlrev_b64 v[230:231], 24, v[8:9]
	v_lshrrev_b32_e32 v215, 8, v7
	v_lshlrev_b64 v[240:241], 16, v[8:9]
	v_lshlrev_b64 v[242:243], 8, v[8:9]
	v_lshrrev_b64 v[224:225], 16, v[6:7]
	v_lshrrev_b64 v[226:227], 24, v[6:7]
	v_mov_b32_e32 v228, v7
	v_or_b32_e32 v230, v215, v230
	v_or_b32_sdwa v240, v7, v240 dst_sel:DWORD dst_unused:UNUSED_PAD src0_sel:WORD_1 src1_sel:DWORD
	v_or_b32_sdwa v242, v7, v242 dst_sel:DWORD dst_unused:UNUSED_PAD src0_sel:BYTE_3 src1_sel:DWORD
.LBB50_181:                             ;   in Loop: Header=BB50_176 Depth=2
	s_andn2_saveexec_b64 s[80:81], s[80:81]
	s_cbranch_execz .LBB50_183
; %bb.182:                              ;   in Loop: Header=BB50_176 Depth=2
	;;#ASMSTART
	flat_load_dwordx4 v[6:9], v[212:213] sc1	
s_waitcnt vmcnt(0)
	;;#ASMEND
	s_nop 0
	v_lshrrev_b64 v[214:215], 8, v[6:7]
	v_lshlrev_b64 v[230:231], 24, v[8:9]
	v_lshrrev_b32_e32 v215, 8, v7
	v_lshlrev_b64 v[240:241], 16, v[8:9]
	v_lshlrev_b64 v[242:243], 8, v[8:9]
	v_lshrrev_b64 v[224:225], 16, v[6:7]
	v_lshrrev_b64 v[226:227], 24, v[6:7]
	v_mov_b32_e32 v228, v7
	v_or_b32_e32 v230, v215, v230
	v_or_b32_sdwa v240, v7, v240 dst_sel:DWORD dst_unused:UNUSED_PAD src0_sel:WORD_1 src1_sel:DWORD
	v_or_b32_sdwa v242, v7, v242 dst_sel:DWORD dst_unused:UNUSED_PAD src0_sel:BYTE_3 src1_sel:DWORD
.LBB50_183:                             ;   in Loop: Header=BB50_176 Depth=2
	s_or_b64 exec, exec, s[80:81]
.LBB50_184:                             ;   in Loop: Header=BB50_176 Depth=2
	s_andn2_saveexec_b64 s[44:45], s[44:45]
	s_cbranch_execz .LBB50_175
; %bb.185:                              ;   in Loop: Header=BB50_176 Depth=2
	;;#ASMSTART
	ds_read_b128 v[6:9], v59 	
s_waitcnt lgkmcnt(0)
	;;#ASMEND
	s_nop 0
	v_lshrrev_b64 v[214:215], 8, v[6:7]
	v_lshlrev_b64 v[230:231], 24, v[8:9]
	v_lshrrev_b32_e32 v215, 8, v7
	v_lshlrev_b64 v[240:241], 16, v[8:9]
	v_lshlrev_b64 v[242:243], 8, v[8:9]
	v_lshrrev_b64 v[224:225], 16, v[6:7]
	v_lshrrev_b64 v[226:227], 24, v[6:7]
	v_mov_b32_e32 v228, v7
	v_or_b32_e32 v230, v215, v230
	v_or_b32_sdwa v240, v7, v240 dst_sel:DWORD dst_unused:UNUSED_PAD src0_sel:WORD_1 src1_sel:DWORD
	v_or_b32_sdwa v242, v7, v242 dst_sel:DWORD dst_unused:UNUSED_PAD src0_sel:BYTE_3 src1_sel:DWORD
	s_branch .LBB50_175
.LBB50_186:                             ;   in Loop: Header=BB50_164 Depth=1
                                        ; implicit-def: $vgpr6_vgpr7
                                        ; implicit-def: $vgpr8
	s_cbranch_execz .LBB50_164
	s_branch .LBB50_214
.LBB50_187:                             ;   in Loop: Header=BB50_164 Depth=1
	s_or_b64 exec, exec, s[78:79]
	v_lshlrev_b32_e32 v7, 8, v214
	v_perm_b32 v6, v7, v6, s13
	v_lshlrev_b32_e32 v7, 16, v224
	v_and_b32_e32 v7, 0xff0000, v7
	v_lshlrev_b32_e32 v9, 24, v226
	v_or3_b32 v6, v6, v7, v9
	v_lshlrev_b32_e32 v9, 8, v230
	v_and_b32_e32 v7, 0xff, v228
	v_and_b32_e32 v9, 0xff00, v9
	v_or3_b32 v7, 0, v7, v9
	v_lshlrev_b32_e32 v9, 16, v240
	v_or3_b32 v6, v6, 0, 0
	v_and_b32_e32 v9, 0xff0000, v9
	v_lshlrev_b32_e32 v212, 24, v242
	v_or3_b32 v215, v7, v9, v212
	v_or3_b32 v214, v6, 0, 0
.LBB50_188:                             ;   in Loop: Header=BB50_164 Depth=1
	s_or_b64 exec, exec, s[76:77]
	v_cmp_eq_u16_sdwa vcc, v8, v47 src0_sel:BYTE_0 src1_sel:DWORD
	ds_bpermute_b32 v212, v71, v214
	ds_bpermute_b32 v213, v71, v215
	v_and_b32_e32 v6, vcc_hi, v147
	v_or_b32_e32 v6, 0x80000000, v6
	v_and_b32_e32 v7, vcc_lo, v146
	v_ffbl_b32_e32 v6, v6
	v_add_u32_e32 v6, 32, v6
	v_ffbl_b32_e32 v7, v7
	v_min_u32_e32 v9, v7, v6
	v_cmp_lt_u32_e32 vcc, v53, v9
	v_mov_b64_e32 v[6:7], v[214:215]
	s_and_saveexec_b64 s[44:45], vcc
	s_cbranch_execz .LBB50_192
; %bb.189:                              ;   in Loop: Header=BB50_164 Depth=1
	s_waitcnt lgkmcnt(0)
	v_max_f64 v[6:7], v[212:213], v[212:213]
	v_max_f64 v[226:227], v[214:215], v[214:215]
	v_min_f64 v[224:225], v[6:7], v[226:227]
	v_cmp_u_f64_e32 vcc, v[212:213], v[212:213]
	v_max_f64 v[6:7], v[6:7], v[226:227]
	v_cmp_u_f64_e64 s[40:41], v[214:215], v[214:215]
	v_cndmask_b32_e32 v224, v224, v212, vcc
	v_cndmask_b32_e32 v225, v225, v213, vcc
	v_cndmask_b32_e32 v6, v6, v212, vcc
	v_cndmask_b32_e32 v7, v7, v213, vcc
	v_cndmask_b32_e64 v225, v225, v215, s[40:41]
	v_cndmask_b32_e64 v224, v224, v214, s[40:41]
	;; [unrolled: 1-line block ×4, first 2 shown]
	v_cmp_neq_f64_e32 vcc, v[224:225], v[6:7]
	v_cmp_class_f64_e64 s[40:41], v[224:225], s50
	s_or_b64 vcc, vcc, s[40:41]
	s_and_saveexec_b64 s[76:77], vcc
	s_cbranch_execz .LBB50_191
; %bb.190:                              ;   in Loop: Header=BB50_164 Depth=1
	v_add_f64 v[212:213], v[224:225], -v[6:7]
	v_mul_f64 v[214:215], v[212:213], s[54:55]
	v_rndne_f64_e32 v[214:215], v[214:215]
	v_fma_f64 v[224:225], s[56:57], v[214:215], v[212:213]
	v_fmac_f64_e32 v[224:225], s[58:59], v[214:215]
	v_mov_b64_e32 v[226:227], v[150:151]
	v_fmac_f64_e32 v[226:227], s[60:61], v[224:225]
	v_mov_b64_e32 v[228:229], v[160:161]
	;; [unrolled: 2-line block ×9, first 2 shown]
	v_fmac_f64_e32 v[226:227], v[224:225], v[228:229]
	v_fma_f64 v[226:227], v[224:225], v[226:227], 1.0
	v_fma_f64 v[224:225], v[224:225], v[226:227], 1.0
	v_cvt_i32_f64_e32 v214, v[214:215]
	v_ldexp_f64 v[214:215], v[224:225], v214
	v_cmp_nlt_f64_e32 vcc, s[62:63], v[212:213]
	v_cmp_ngt_f64_e64 s[40:41], s[64:65], v[212:213]
	s_mov_b32 s70, s56
	v_cndmask_b32_e32 v215, v56, v215, vcc
	s_and_b64 vcc, s[40:41], vcc
	v_cndmask_b32_e64 v213, 0, v215, s[40:41]
	v_cndmask_b32_e32 v212, 0, v214, vcc
	v_add_f64 v[214:215], v[212:213], 1.0
	v_add_f64 v[224:225], v[214:215], -1.0
	v_add_f64 v[226:227], v[224:225], -v[214:215]
	v_add_f64 v[226:227], v[226:227], 1.0
	v_add_f64 v[224:225], v[212:213], -v[224:225]
	v_add_f64 v[224:225], v[224:225], v[226:227]
	v_frexp_mant_f64_e32 v[226:227], v[214:215]
	v_frexp_exp_i32_f64_e32 v228, v[214:215]
	v_cmp_gt_f64_e32 vcc, s[66:67], v[226:227]
	s_mov_b32 s72, s58
	s_nop 0
	v_subbrev_co_u32_e32 v59, vcc, 0, v228, vcc
	v_sub_u32_e32 v226, 0, v59
	v_ldexp_f64 v[214:215], v[214:215], v226
	v_ldexp_f64 v[224:225], v[224:225], v226
	v_add_f64 v[226:227], v[214:215], -1.0
	v_add_f64 v[240:241], v[214:215], 1.0
	v_add_f64 v[228:229], v[226:227], 1.0
	v_add_f64 v[242:243], v[240:241], -1.0
	v_add_f64 v[228:229], v[214:215], -v[228:229]
	v_add_f64 v[214:215], v[214:215], -v[242:243]
	v_add_f64 v[214:215], v[224:225], v[214:215]
	v_add_f64 v[228:229], v[224:225], v[228:229]
	;; [unrolled: 1-line block ×3, first 2 shown]
	v_rcp_f64_e32 v[242:243], v[224:225]
	v_add_f64 v[230:231], v[226:227], v[228:229]
	v_add_f64 v[226:227], v[230:231], -v[226:227]
	v_add_f64 v[226:227], v[228:229], -v[226:227]
	;; [unrolled: 1-line block ×4, first 2 shown]
	v_fma_f64 v[228:229], -v[224:225], v[242:243], 1.0
	v_fmac_f64_e32 v[242:243], v[228:229], v[242:243]
	v_fma_f64 v[228:229], -v[224:225], v[242:243], 1.0
	v_fmac_f64_e32 v[242:243], v[228:229], v[242:243]
	v_mul_f64 v[228:229], v[230:231], v[242:243]
	v_mul_f64 v[240:241], v[224:225], v[228:229]
	v_fma_f64 v[60:61], v[228:229], v[224:225], -v[240:241]
	v_fmac_f64_e32 v[60:61], v[228:229], v[214:215]
	v_add_f64 v[62:63], v[240:241], v[60:61]
	v_add_f64 v[72:73], v[230:231], -v[62:63]
	v_add_f64 v[230:231], v[230:231], -v[72:73]
	;; [unrolled: 1-line block ×4, first 2 shown]
	v_add_f64 v[226:227], v[226:227], v[230:231]
	v_add_f64 v[230:231], v[240:241], -v[60:61]
	v_add_f64 v[226:227], v[230:231], v[226:227]
	v_add_f64 v[230:231], v[72:73], v[226:227]
	v_add_f64 v[240:241], v[72:73], -v[230:231]
	v_add_f64 v[226:227], v[226:227], v[240:241]
	v_mul_f64 v[240:241], v[242:243], v[230:231]
	v_mul_f64 v[60:61], v[224:225], v[240:241]
	v_fma_f64 v[224:225], v[240:241], v[224:225], -v[60:61]
	v_fmac_f64_e32 v[224:225], v[240:241], v[214:215]
	v_add_f64 v[214:215], v[60:61], v[224:225]
	v_add_f64 v[62:63], v[230:231], -v[214:215]
	v_add_f64 v[230:231], v[230:231], -v[62:63]
	v_add_f64 v[60:61], v[214:215], -v[60:61]
	v_add_f64 v[214:215], v[230:231], -v[214:215]
	v_add_f64 v[214:215], v[226:227], v[214:215]
	v_add_f64 v[224:225], v[60:61], -v[224:225]
	v_add_f64 v[214:215], v[224:225], v[214:215]
	v_add_f64 v[224:225], v[228:229], v[240:241]
	;; [unrolled: 1-line block ×3, first 2 shown]
	v_add_f64 v[226:227], v[224:225], -v[228:229]
	v_mul_f64 v[214:215], v[242:243], v[214:215]
	v_add_f64 v[226:227], v[240:241], -v[226:227]
	v_add_f64 v[214:215], v[226:227], v[214:215]
	v_add_f64 v[226:227], v[224:225], v[214:215]
	v_add_f64 v[224:225], v[226:227], -v[224:225]
	v_add_f64 v[214:215], v[214:215], -v[224:225]
	v_mul_f64 v[224:225], v[226:227], v[226:227]
	v_mov_b64_e32 v[228:229], v[192:193]
	v_fmac_f64_e32 v[228:229], s[68:69], v[224:225]
	v_mov_b64_e32 v[230:231], v[194:195]
	v_fmac_f64_e32 v[230:231], v[224:225], v[228:229]
	;; [unrolled: 2-line block ×6, first 2 shown]
	v_cvt_f64_i32_e32 v[228:229], v59
	v_mul_f64 v[240:241], v[228:229], s[70:71]
	v_fma_f64 v[242:243], v[228:229], s[70:71], -v[240:241]
	v_fmac_f64_e32 v[242:243], s[72:73], v[228:229]
	v_add_f64 v[228:229], v[240:241], v[242:243]
	v_add_f64 v[240:241], v[228:229], -v[240:241]
	v_mul_f64 v[224:225], v[226:227], v[224:225]
	v_add_f64 v[240:241], v[242:243], -v[240:241]
	v_ldexp_f64 v[242:243], v[226:227], 1
	v_mul_f64 v[224:225], v[224:225], v[230:231]
	v_add_f64 v[226:227], v[242:243], v[224:225]
	v_add_f64 v[230:231], v[226:227], -v[242:243]
	v_ldexp_f64 v[214:215], v[214:215], 1
	v_add_f64 v[224:225], v[224:225], -v[230:231]
	v_add_f64 v[214:215], v[214:215], v[224:225]
	v_add_f64 v[224:225], v[226:227], v[214:215]
	v_add_f64 v[226:227], v[224:225], -v[226:227]
	v_add_f64 v[214:215], v[214:215], -v[226:227]
	v_add_f64 v[226:227], v[228:229], v[224:225]
	v_add_f64 v[230:231], v[226:227], -v[228:229]
	v_add_f64 v[242:243], v[226:227], -v[230:231]
	;; [unrolled: 1-line block ×4, first 2 shown]
	v_add_f64 v[224:225], v[224:225], v[228:229]
	v_add_f64 v[228:229], v[240:241], v[214:215]
	v_add_f64 v[230:231], v[228:229], -v[240:241]
	v_add_f64 v[224:225], v[228:229], v[224:225]
	v_add_f64 v[242:243], v[228:229], -v[230:231]
	;; [unrolled: 2-line block ×3, first 2 shown]
	v_add_f64 v[214:215], v[214:215], -v[230:231]
	v_add_f64 v[226:227], v[228:229], -v[226:227]
	v_add_f64 v[214:215], v[214:215], v[240:241]
	v_add_f64 v[224:225], v[224:225], -v[226:227]
	v_add_f64 v[214:215], v[214:215], v[224:225]
	v_add_f64 v[214:215], v[228:229], v[214:215]
	v_cmp_eq_f64_e32 vcc, s[74:75], v[212:213]
	s_nop 1
	v_cndmask_b32_e32 v214, v214, v212, vcc
	v_cndmask_b32_e32 v215, v215, v213, vcc
	v_cmp_ngt_f64_e32 vcc, -1.0, v[212:213]
	s_nop 1
	v_cndmask_b32_e32 v215, v57, v215, vcc
	v_cmp_nge_f64_e32 vcc, -1.0, v[212:213]
	s_nop 1
	v_cndmask_b32_e32 v214, 0, v214, vcc
	v_cmp_neq_f64_e32 vcc, -1.0, v[212:213]
	s_nop 1
	v_cndmask_b32_e32 v215, v58, v215, vcc
	v_add_f64 v[212:213], v[6:7], v[214:215]
.LBB50_191:                             ;   in Loop: Header=BB50_164 Depth=1
	s_or_b64 exec, exec, s[76:77]
	v_mov_b32_e32 v214, v212
	v_mov_b32_e32 v215, v213
	v_mov_b64_e32 v[6:7], v[212:213]
.LBB50_192:                             ;   in Loop: Header=BB50_164 Depth=1
	s_or_b64 exec, exec, s[44:45]
	s_waitcnt lgkmcnt(1)
	ds_bpermute_b32 v212, v245, v214
	s_waitcnt lgkmcnt(1)
	ds_bpermute_b32 v213, v245, v215
	v_cmp_le_u32_e32 vcc, v246, v9
	s_and_saveexec_b64 s[44:45], vcc
	s_cbranch_execz .LBB50_196
; %bb.193:                              ;   in Loop: Header=BB50_164 Depth=1
	s_waitcnt lgkmcnt(0)
	v_max_f64 v[224:225], v[212:213], v[212:213]
	v_max_f64 v[226:227], v[6:7], v[6:7]
	v_min_f64 v[214:215], v[224:225], v[226:227]
	v_cmp_u_f64_e32 vcc, v[212:213], v[212:213]
	v_max_f64 v[224:225], v[224:225], v[226:227]
	v_cmp_u_f64_e64 s[40:41], v[6:7], v[6:7]
	v_cndmask_b32_e32 v214, v214, v212, vcc
	v_cndmask_b32_e32 v215, v215, v213, vcc
	;; [unrolled: 1-line block ×4, first 2 shown]
	v_cndmask_b32_e64 v215, v215, v7, s[40:41]
	v_cndmask_b32_e64 v214, v214, v6, s[40:41]
	;; [unrolled: 1-line block ×4, first 2 shown]
	v_cmp_neq_f64_e32 vcc, v[214:215], v[6:7]
	v_cmp_class_f64_e64 s[40:41], v[214:215], s50
	s_or_b64 vcc, vcc, s[40:41]
	s_and_saveexec_b64 s[76:77], vcc
	s_cbranch_execz .LBB50_195
; %bb.194:                              ;   in Loop: Header=BB50_164 Depth=1
	v_add_f64 v[212:213], v[214:215], -v[6:7]
	v_mul_f64 v[214:215], v[212:213], s[54:55]
	v_rndne_f64_e32 v[214:215], v[214:215]
	v_fma_f64 v[224:225], s[56:57], v[214:215], v[212:213]
	v_fmac_f64_e32 v[224:225], s[58:59], v[214:215]
	v_mov_b64_e32 v[226:227], v[150:151]
	v_fmac_f64_e32 v[226:227], s[60:61], v[224:225]
	v_mov_b64_e32 v[228:229], v[160:161]
	;; [unrolled: 2-line block ×9, first 2 shown]
	v_fmac_f64_e32 v[226:227], v[224:225], v[228:229]
	v_fma_f64 v[226:227], v[224:225], v[226:227], 1.0
	v_fma_f64 v[224:225], v[224:225], v[226:227], 1.0
	v_cvt_i32_f64_e32 v214, v[214:215]
	v_ldexp_f64 v[214:215], v[224:225], v214
	v_cmp_nlt_f64_e32 vcc, s[62:63], v[212:213]
	v_cmp_ngt_f64_e64 s[40:41], s[64:65], v[212:213]
	s_mov_b32 s70, s56
	v_cndmask_b32_e32 v215, v56, v215, vcc
	s_and_b64 vcc, s[40:41], vcc
	v_cndmask_b32_e64 v213, 0, v215, s[40:41]
	v_cndmask_b32_e32 v212, 0, v214, vcc
	v_add_f64 v[214:215], v[212:213], 1.0
	v_add_f64 v[224:225], v[214:215], -1.0
	v_add_f64 v[226:227], v[224:225], -v[214:215]
	v_add_f64 v[226:227], v[226:227], 1.0
	v_add_f64 v[224:225], v[212:213], -v[224:225]
	v_add_f64 v[224:225], v[224:225], v[226:227]
	v_frexp_mant_f64_e32 v[226:227], v[214:215]
	v_frexp_exp_i32_f64_e32 v228, v[214:215]
	v_cmp_gt_f64_e32 vcc, s[66:67], v[226:227]
	s_mov_b32 s72, s58
	s_nop 0
	v_subbrev_co_u32_e32 v59, vcc, 0, v228, vcc
	v_sub_u32_e32 v226, 0, v59
	v_ldexp_f64 v[214:215], v[214:215], v226
	v_ldexp_f64 v[224:225], v[224:225], v226
	v_add_f64 v[226:227], v[214:215], -1.0
	v_add_f64 v[240:241], v[214:215], 1.0
	v_add_f64 v[228:229], v[226:227], 1.0
	v_add_f64 v[242:243], v[240:241], -1.0
	v_add_f64 v[228:229], v[214:215], -v[228:229]
	v_add_f64 v[214:215], v[214:215], -v[242:243]
	v_add_f64 v[214:215], v[224:225], v[214:215]
	v_add_f64 v[228:229], v[224:225], v[228:229]
	;; [unrolled: 1-line block ×3, first 2 shown]
	v_rcp_f64_e32 v[242:243], v[224:225]
	v_add_f64 v[230:231], v[226:227], v[228:229]
	v_add_f64 v[226:227], v[230:231], -v[226:227]
	v_add_f64 v[226:227], v[228:229], -v[226:227]
	;; [unrolled: 1-line block ×4, first 2 shown]
	v_fma_f64 v[228:229], -v[224:225], v[242:243], 1.0
	v_fmac_f64_e32 v[242:243], v[228:229], v[242:243]
	v_fma_f64 v[228:229], -v[224:225], v[242:243], 1.0
	v_fmac_f64_e32 v[242:243], v[228:229], v[242:243]
	v_mul_f64 v[228:229], v[230:231], v[242:243]
	v_mul_f64 v[240:241], v[224:225], v[228:229]
	v_fma_f64 v[60:61], v[228:229], v[224:225], -v[240:241]
	v_fmac_f64_e32 v[60:61], v[228:229], v[214:215]
	v_add_f64 v[62:63], v[240:241], v[60:61]
	v_add_f64 v[72:73], v[230:231], -v[62:63]
	v_add_f64 v[230:231], v[230:231], -v[72:73]
	;; [unrolled: 1-line block ×4, first 2 shown]
	v_add_f64 v[226:227], v[226:227], v[230:231]
	v_add_f64 v[230:231], v[240:241], -v[60:61]
	v_add_f64 v[226:227], v[230:231], v[226:227]
	v_add_f64 v[230:231], v[72:73], v[226:227]
	v_add_f64 v[240:241], v[72:73], -v[230:231]
	v_add_f64 v[226:227], v[226:227], v[240:241]
	v_mul_f64 v[240:241], v[242:243], v[230:231]
	v_mul_f64 v[60:61], v[224:225], v[240:241]
	v_fma_f64 v[224:225], v[240:241], v[224:225], -v[60:61]
	v_fmac_f64_e32 v[224:225], v[240:241], v[214:215]
	v_add_f64 v[214:215], v[60:61], v[224:225]
	v_add_f64 v[62:63], v[230:231], -v[214:215]
	v_add_f64 v[230:231], v[230:231], -v[62:63]
	;; [unrolled: 1-line block ×4, first 2 shown]
	v_add_f64 v[214:215], v[226:227], v[214:215]
	v_add_f64 v[224:225], v[60:61], -v[224:225]
	v_add_f64 v[214:215], v[224:225], v[214:215]
	v_add_f64 v[224:225], v[228:229], v[240:241]
	;; [unrolled: 1-line block ×3, first 2 shown]
	v_add_f64 v[226:227], v[224:225], -v[228:229]
	v_mul_f64 v[214:215], v[242:243], v[214:215]
	v_add_f64 v[226:227], v[240:241], -v[226:227]
	v_add_f64 v[214:215], v[226:227], v[214:215]
	v_add_f64 v[226:227], v[224:225], v[214:215]
	v_add_f64 v[224:225], v[226:227], -v[224:225]
	v_add_f64 v[214:215], v[214:215], -v[224:225]
	v_mul_f64 v[224:225], v[226:227], v[226:227]
	v_mov_b64_e32 v[228:229], v[192:193]
	v_fmac_f64_e32 v[228:229], s[68:69], v[224:225]
	v_mov_b64_e32 v[230:231], v[194:195]
	v_fmac_f64_e32 v[230:231], v[224:225], v[228:229]
	;; [unrolled: 2-line block ×6, first 2 shown]
	v_cvt_f64_i32_e32 v[228:229], v59
	v_mul_f64 v[240:241], v[228:229], s[70:71]
	v_fma_f64 v[242:243], v[228:229], s[70:71], -v[240:241]
	v_fmac_f64_e32 v[242:243], s[72:73], v[228:229]
	v_add_f64 v[228:229], v[240:241], v[242:243]
	v_add_f64 v[240:241], v[228:229], -v[240:241]
	v_mul_f64 v[224:225], v[226:227], v[224:225]
	v_add_f64 v[240:241], v[242:243], -v[240:241]
	v_ldexp_f64 v[242:243], v[226:227], 1
	v_mul_f64 v[224:225], v[224:225], v[230:231]
	v_add_f64 v[226:227], v[242:243], v[224:225]
	v_add_f64 v[230:231], v[226:227], -v[242:243]
	v_ldexp_f64 v[214:215], v[214:215], 1
	v_add_f64 v[224:225], v[224:225], -v[230:231]
	v_add_f64 v[214:215], v[214:215], v[224:225]
	v_add_f64 v[224:225], v[226:227], v[214:215]
	v_add_f64 v[226:227], v[224:225], -v[226:227]
	v_add_f64 v[214:215], v[214:215], -v[226:227]
	v_add_f64 v[226:227], v[228:229], v[224:225]
	v_add_f64 v[230:231], v[226:227], -v[228:229]
	v_add_f64 v[242:243], v[226:227], -v[230:231]
	;; [unrolled: 1-line block ×4, first 2 shown]
	v_add_f64 v[224:225], v[224:225], v[228:229]
	v_add_f64 v[228:229], v[240:241], v[214:215]
	v_add_f64 v[230:231], v[228:229], -v[240:241]
	v_add_f64 v[224:225], v[228:229], v[224:225]
	v_add_f64 v[242:243], v[228:229], -v[230:231]
	;; [unrolled: 2-line block ×3, first 2 shown]
	v_add_f64 v[214:215], v[214:215], -v[230:231]
	v_add_f64 v[226:227], v[228:229], -v[226:227]
	v_add_f64 v[214:215], v[214:215], v[240:241]
	v_add_f64 v[224:225], v[224:225], -v[226:227]
	v_add_f64 v[214:215], v[214:215], v[224:225]
	v_add_f64 v[214:215], v[228:229], v[214:215]
	v_cmp_eq_f64_e32 vcc, s[74:75], v[212:213]
	s_nop 1
	v_cndmask_b32_e32 v214, v214, v212, vcc
	v_cndmask_b32_e32 v215, v215, v213, vcc
	v_cmp_ngt_f64_e32 vcc, -1.0, v[212:213]
	s_nop 1
	v_cndmask_b32_e32 v215, v57, v215, vcc
	v_cmp_nge_f64_e32 vcc, -1.0, v[212:213]
	s_nop 1
	v_cndmask_b32_e32 v214, 0, v214, vcc
	v_cmp_neq_f64_e32 vcc, -1.0, v[212:213]
	s_nop 1
	v_cndmask_b32_e32 v215, v58, v215, vcc
	v_add_f64 v[212:213], v[6:7], v[214:215]
.LBB50_195:                             ;   in Loop: Header=BB50_164 Depth=1
	s_or_b64 exec, exec, s[76:77]
	v_mov_b32_e32 v214, v212
	v_mov_b32_e32 v215, v213
	v_mov_b64_e32 v[6:7], v[212:213]
.LBB50_196:                             ;   in Loop: Header=BB50_164 Depth=1
	s_or_b64 exec, exec, s[44:45]
	s_waitcnt lgkmcnt(1)
	ds_bpermute_b32 v212, v247, v214
	s_waitcnt lgkmcnt(1)
	ds_bpermute_b32 v213, v247, v215
	v_cmp_le_u32_e32 vcc, v40, v9
	s_and_saveexec_b64 s[44:45], vcc
	s_cbranch_execz .LBB50_200
; %bb.197:                              ;   in Loop: Header=BB50_164 Depth=1
	s_waitcnt lgkmcnt(0)
	v_max_f64 v[224:225], v[212:213], v[212:213]
	v_max_f64 v[226:227], v[6:7], v[6:7]
	v_min_f64 v[214:215], v[224:225], v[226:227]
	v_cmp_u_f64_e32 vcc, v[212:213], v[212:213]
	v_max_f64 v[224:225], v[224:225], v[226:227]
	v_cmp_u_f64_e64 s[40:41], v[6:7], v[6:7]
	v_cndmask_b32_e32 v214, v214, v212, vcc
	v_cndmask_b32_e32 v215, v215, v213, vcc
	;; [unrolled: 1-line block ×4, first 2 shown]
	v_cndmask_b32_e64 v215, v215, v7, s[40:41]
	v_cndmask_b32_e64 v214, v214, v6, s[40:41]
	;; [unrolled: 1-line block ×4, first 2 shown]
	v_cmp_neq_f64_e32 vcc, v[214:215], v[6:7]
	v_cmp_class_f64_e64 s[40:41], v[214:215], s50
	s_or_b64 vcc, vcc, s[40:41]
	s_and_saveexec_b64 s[76:77], vcc
	s_cbranch_execz .LBB50_199
; %bb.198:                              ;   in Loop: Header=BB50_164 Depth=1
	v_add_f64 v[212:213], v[214:215], -v[6:7]
	v_mul_f64 v[214:215], v[212:213], s[54:55]
	v_rndne_f64_e32 v[214:215], v[214:215]
	v_fma_f64 v[224:225], s[56:57], v[214:215], v[212:213]
	v_fmac_f64_e32 v[224:225], s[58:59], v[214:215]
	v_mov_b64_e32 v[226:227], v[150:151]
	v_fmac_f64_e32 v[226:227], s[60:61], v[224:225]
	v_mov_b64_e32 v[228:229], v[160:161]
	;; [unrolled: 2-line block ×9, first 2 shown]
	v_fmac_f64_e32 v[226:227], v[224:225], v[228:229]
	v_fma_f64 v[226:227], v[224:225], v[226:227], 1.0
	v_fma_f64 v[224:225], v[224:225], v[226:227], 1.0
	v_cvt_i32_f64_e32 v214, v[214:215]
	v_ldexp_f64 v[214:215], v[224:225], v214
	v_cmp_nlt_f64_e32 vcc, s[62:63], v[212:213]
	v_cmp_ngt_f64_e64 s[40:41], s[64:65], v[212:213]
	s_mov_b32 s70, s56
	v_cndmask_b32_e32 v215, v56, v215, vcc
	s_and_b64 vcc, s[40:41], vcc
	v_cndmask_b32_e64 v213, 0, v215, s[40:41]
	v_cndmask_b32_e32 v212, 0, v214, vcc
	v_add_f64 v[214:215], v[212:213], 1.0
	v_add_f64 v[224:225], v[214:215], -1.0
	v_add_f64 v[226:227], v[224:225], -v[214:215]
	v_add_f64 v[226:227], v[226:227], 1.0
	v_add_f64 v[224:225], v[212:213], -v[224:225]
	v_add_f64 v[224:225], v[224:225], v[226:227]
	v_frexp_mant_f64_e32 v[226:227], v[214:215]
	v_frexp_exp_i32_f64_e32 v228, v[214:215]
	v_cmp_gt_f64_e32 vcc, s[66:67], v[226:227]
	s_mov_b32 s72, s58
	s_nop 0
	v_subbrev_co_u32_e32 v59, vcc, 0, v228, vcc
	v_sub_u32_e32 v226, 0, v59
	v_ldexp_f64 v[214:215], v[214:215], v226
	v_ldexp_f64 v[224:225], v[224:225], v226
	v_add_f64 v[226:227], v[214:215], -1.0
	v_add_f64 v[240:241], v[214:215], 1.0
	v_add_f64 v[228:229], v[226:227], 1.0
	v_add_f64 v[242:243], v[240:241], -1.0
	v_add_f64 v[228:229], v[214:215], -v[228:229]
	v_add_f64 v[214:215], v[214:215], -v[242:243]
	v_add_f64 v[214:215], v[224:225], v[214:215]
	v_add_f64 v[228:229], v[224:225], v[228:229]
	;; [unrolled: 1-line block ×3, first 2 shown]
	v_rcp_f64_e32 v[242:243], v[224:225]
	v_add_f64 v[230:231], v[226:227], v[228:229]
	v_add_f64 v[226:227], v[230:231], -v[226:227]
	v_add_f64 v[226:227], v[228:229], -v[226:227]
	;; [unrolled: 1-line block ×4, first 2 shown]
	v_fma_f64 v[228:229], -v[224:225], v[242:243], 1.0
	v_fmac_f64_e32 v[242:243], v[228:229], v[242:243]
	v_fma_f64 v[228:229], -v[224:225], v[242:243], 1.0
	v_fmac_f64_e32 v[242:243], v[228:229], v[242:243]
	v_mul_f64 v[228:229], v[230:231], v[242:243]
	v_mul_f64 v[240:241], v[224:225], v[228:229]
	v_fma_f64 v[60:61], v[228:229], v[224:225], -v[240:241]
	v_fmac_f64_e32 v[60:61], v[228:229], v[214:215]
	v_add_f64 v[62:63], v[240:241], v[60:61]
	v_add_f64 v[72:73], v[230:231], -v[62:63]
	v_add_f64 v[230:231], v[230:231], -v[72:73]
	;; [unrolled: 1-line block ×4, first 2 shown]
	v_add_f64 v[226:227], v[226:227], v[230:231]
	v_add_f64 v[230:231], v[240:241], -v[60:61]
	v_add_f64 v[226:227], v[230:231], v[226:227]
	v_add_f64 v[230:231], v[72:73], v[226:227]
	v_add_f64 v[240:241], v[72:73], -v[230:231]
	v_add_f64 v[226:227], v[226:227], v[240:241]
	v_mul_f64 v[240:241], v[242:243], v[230:231]
	v_mul_f64 v[60:61], v[224:225], v[240:241]
	v_fma_f64 v[224:225], v[240:241], v[224:225], -v[60:61]
	v_fmac_f64_e32 v[224:225], v[240:241], v[214:215]
	v_add_f64 v[214:215], v[60:61], v[224:225]
	v_add_f64 v[62:63], v[230:231], -v[214:215]
	v_add_f64 v[230:231], v[230:231], -v[62:63]
	;; [unrolled: 1-line block ×4, first 2 shown]
	v_add_f64 v[214:215], v[226:227], v[214:215]
	v_add_f64 v[224:225], v[60:61], -v[224:225]
	v_add_f64 v[214:215], v[224:225], v[214:215]
	v_add_f64 v[224:225], v[228:229], v[240:241]
	;; [unrolled: 1-line block ×3, first 2 shown]
	v_add_f64 v[226:227], v[224:225], -v[228:229]
	v_mul_f64 v[214:215], v[242:243], v[214:215]
	v_add_f64 v[226:227], v[240:241], -v[226:227]
	v_add_f64 v[214:215], v[226:227], v[214:215]
	v_add_f64 v[226:227], v[224:225], v[214:215]
	v_add_f64 v[224:225], v[226:227], -v[224:225]
	v_add_f64 v[214:215], v[214:215], -v[224:225]
	v_mul_f64 v[224:225], v[226:227], v[226:227]
	v_mov_b64_e32 v[228:229], v[192:193]
	v_fmac_f64_e32 v[228:229], s[68:69], v[224:225]
	v_mov_b64_e32 v[230:231], v[194:195]
	v_fmac_f64_e32 v[230:231], v[224:225], v[228:229]
	;; [unrolled: 2-line block ×6, first 2 shown]
	v_cvt_f64_i32_e32 v[228:229], v59
	v_mul_f64 v[240:241], v[228:229], s[70:71]
	v_fma_f64 v[242:243], v[228:229], s[70:71], -v[240:241]
	v_fmac_f64_e32 v[242:243], s[72:73], v[228:229]
	v_add_f64 v[228:229], v[240:241], v[242:243]
	v_add_f64 v[240:241], v[228:229], -v[240:241]
	v_mul_f64 v[224:225], v[226:227], v[224:225]
	v_add_f64 v[240:241], v[242:243], -v[240:241]
	v_ldexp_f64 v[242:243], v[226:227], 1
	v_mul_f64 v[224:225], v[224:225], v[230:231]
	v_add_f64 v[226:227], v[242:243], v[224:225]
	v_add_f64 v[230:231], v[226:227], -v[242:243]
	v_ldexp_f64 v[214:215], v[214:215], 1
	v_add_f64 v[224:225], v[224:225], -v[230:231]
	v_add_f64 v[214:215], v[214:215], v[224:225]
	v_add_f64 v[224:225], v[226:227], v[214:215]
	v_add_f64 v[226:227], v[224:225], -v[226:227]
	v_add_f64 v[214:215], v[214:215], -v[226:227]
	v_add_f64 v[226:227], v[228:229], v[224:225]
	v_add_f64 v[230:231], v[226:227], -v[228:229]
	v_add_f64 v[242:243], v[226:227], -v[230:231]
	;; [unrolled: 1-line block ×4, first 2 shown]
	v_add_f64 v[224:225], v[224:225], v[228:229]
	v_add_f64 v[228:229], v[240:241], v[214:215]
	v_add_f64 v[230:231], v[228:229], -v[240:241]
	v_add_f64 v[224:225], v[228:229], v[224:225]
	v_add_f64 v[242:243], v[228:229], -v[230:231]
	;; [unrolled: 2-line block ×3, first 2 shown]
	v_add_f64 v[214:215], v[214:215], -v[230:231]
	v_add_f64 v[226:227], v[228:229], -v[226:227]
	v_add_f64 v[214:215], v[214:215], v[240:241]
	v_add_f64 v[224:225], v[224:225], -v[226:227]
	v_add_f64 v[214:215], v[214:215], v[224:225]
	v_add_f64 v[214:215], v[228:229], v[214:215]
	v_cmp_eq_f64_e32 vcc, s[74:75], v[212:213]
	s_nop 1
	v_cndmask_b32_e32 v214, v214, v212, vcc
	v_cndmask_b32_e32 v215, v215, v213, vcc
	v_cmp_ngt_f64_e32 vcc, -1.0, v[212:213]
	s_nop 1
	v_cndmask_b32_e32 v215, v57, v215, vcc
	v_cmp_nge_f64_e32 vcc, -1.0, v[212:213]
	s_nop 1
	v_cndmask_b32_e32 v214, 0, v214, vcc
	v_cmp_neq_f64_e32 vcc, -1.0, v[212:213]
	s_nop 1
	v_cndmask_b32_e32 v215, v58, v215, vcc
	v_add_f64 v[212:213], v[6:7], v[214:215]
.LBB50_199:                             ;   in Loop: Header=BB50_164 Depth=1
	s_or_b64 exec, exec, s[76:77]
	v_mov_b32_e32 v214, v212
	v_mov_b32_e32 v215, v213
	v_mov_b64_e32 v[6:7], v[212:213]
.LBB50_200:                             ;   in Loop: Header=BB50_164 Depth=1
	s_or_b64 exec, exec, s[44:45]
	s_waitcnt lgkmcnt(1)
	ds_bpermute_b32 v212, v41, v214
	s_waitcnt lgkmcnt(1)
	ds_bpermute_b32 v213, v41, v215
	v_cmp_le_u32_e32 vcc, v42, v9
	s_and_saveexec_b64 s[44:45], vcc
	s_cbranch_execz .LBB50_204
; %bb.201:                              ;   in Loop: Header=BB50_164 Depth=1
	s_waitcnt lgkmcnt(0)
	v_max_f64 v[224:225], v[212:213], v[212:213]
	v_max_f64 v[226:227], v[6:7], v[6:7]
	v_min_f64 v[214:215], v[224:225], v[226:227]
	v_cmp_u_f64_e32 vcc, v[212:213], v[212:213]
	v_max_f64 v[224:225], v[224:225], v[226:227]
	v_cmp_u_f64_e64 s[40:41], v[6:7], v[6:7]
	v_cndmask_b32_e32 v214, v214, v212, vcc
	v_cndmask_b32_e32 v215, v215, v213, vcc
	;; [unrolled: 1-line block ×4, first 2 shown]
	v_cndmask_b32_e64 v215, v215, v7, s[40:41]
	v_cndmask_b32_e64 v214, v214, v6, s[40:41]
	;; [unrolled: 1-line block ×4, first 2 shown]
	v_cmp_neq_f64_e32 vcc, v[214:215], v[6:7]
	v_cmp_class_f64_e64 s[40:41], v[214:215], s50
	s_or_b64 vcc, vcc, s[40:41]
	s_and_saveexec_b64 s[76:77], vcc
	s_cbranch_execz .LBB50_203
; %bb.202:                              ;   in Loop: Header=BB50_164 Depth=1
	v_add_f64 v[212:213], v[214:215], -v[6:7]
	v_mul_f64 v[214:215], v[212:213], s[54:55]
	v_rndne_f64_e32 v[214:215], v[214:215]
	v_fma_f64 v[224:225], s[56:57], v[214:215], v[212:213]
	v_fmac_f64_e32 v[224:225], s[58:59], v[214:215]
	v_mov_b64_e32 v[226:227], v[150:151]
	v_fmac_f64_e32 v[226:227], s[60:61], v[224:225]
	v_mov_b64_e32 v[228:229], v[160:161]
	;; [unrolled: 2-line block ×9, first 2 shown]
	v_fmac_f64_e32 v[226:227], v[224:225], v[228:229]
	v_fma_f64 v[226:227], v[224:225], v[226:227], 1.0
	v_fma_f64 v[224:225], v[224:225], v[226:227], 1.0
	v_cvt_i32_f64_e32 v214, v[214:215]
	v_ldexp_f64 v[214:215], v[224:225], v214
	v_cmp_nlt_f64_e32 vcc, s[62:63], v[212:213]
	v_cmp_ngt_f64_e64 s[40:41], s[64:65], v[212:213]
	s_mov_b32 s70, s56
	v_cndmask_b32_e32 v215, v56, v215, vcc
	s_and_b64 vcc, s[40:41], vcc
	v_cndmask_b32_e64 v213, 0, v215, s[40:41]
	v_cndmask_b32_e32 v212, 0, v214, vcc
	v_add_f64 v[214:215], v[212:213], 1.0
	v_add_f64 v[224:225], v[214:215], -1.0
	v_add_f64 v[226:227], v[224:225], -v[214:215]
	v_add_f64 v[226:227], v[226:227], 1.0
	v_add_f64 v[224:225], v[212:213], -v[224:225]
	v_add_f64 v[224:225], v[224:225], v[226:227]
	v_frexp_mant_f64_e32 v[226:227], v[214:215]
	v_frexp_exp_i32_f64_e32 v228, v[214:215]
	v_cmp_gt_f64_e32 vcc, s[66:67], v[226:227]
	s_mov_b32 s72, s58
	s_nop 0
	v_subbrev_co_u32_e32 v59, vcc, 0, v228, vcc
	v_sub_u32_e32 v226, 0, v59
	v_ldexp_f64 v[214:215], v[214:215], v226
	v_ldexp_f64 v[224:225], v[224:225], v226
	v_add_f64 v[226:227], v[214:215], -1.0
	v_add_f64 v[240:241], v[214:215], 1.0
	v_add_f64 v[228:229], v[226:227], 1.0
	v_add_f64 v[242:243], v[240:241], -1.0
	v_add_f64 v[228:229], v[214:215], -v[228:229]
	v_add_f64 v[214:215], v[214:215], -v[242:243]
	v_add_f64 v[214:215], v[224:225], v[214:215]
	v_add_f64 v[228:229], v[224:225], v[228:229]
	;; [unrolled: 1-line block ×3, first 2 shown]
	v_rcp_f64_e32 v[242:243], v[224:225]
	v_add_f64 v[230:231], v[226:227], v[228:229]
	v_add_f64 v[226:227], v[230:231], -v[226:227]
	v_add_f64 v[226:227], v[228:229], -v[226:227]
	v_add_f64 v[228:229], v[224:225], -v[240:241]
	v_add_f64 v[214:215], v[214:215], -v[228:229]
	v_fma_f64 v[228:229], -v[224:225], v[242:243], 1.0
	v_fmac_f64_e32 v[242:243], v[228:229], v[242:243]
	v_fma_f64 v[228:229], -v[224:225], v[242:243], 1.0
	v_fmac_f64_e32 v[242:243], v[228:229], v[242:243]
	v_mul_f64 v[228:229], v[230:231], v[242:243]
	v_mul_f64 v[240:241], v[224:225], v[228:229]
	v_fma_f64 v[60:61], v[228:229], v[224:225], -v[240:241]
	v_fmac_f64_e32 v[60:61], v[228:229], v[214:215]
	v_add_f64 v[62:63], v[240:241], v[60:61]
	v_add_f64 v[72:73], v[230:231], -v[62:63]
	v_add_f64 v[230:231], v[230:231], -v[72:73]
	;; [unrolled: 1-line block ×4, first 2 shown]
	v_add_f64 v[226:227], v[226:227], v[230:231]
	v_add_f64 v[230:231], v[240:241], -v[60:61]
	v_add_f64 v[226:227], v[230:231], v[226:227]
	v_add_f64 v[230:231], v[72:73], v[226:227]
	v_add_f64 v[240:241], v[72:73], -v[230:231]
	v_add_f64 v[226:227], v[226:227], v[240:241]
	v_mul_f64 v[240:241], v[242:243], v[230:231]
	v_mul_f64 v[60:61], v[224:225], v[240:241]
	v_fma_f64 v[224:225], v[240:241], v[224:225], -v[60:61]
	v_fmac_f64_e32 v[224:225], v[240:241], v[214:215]
	v_add_f64 v[214:215], v[60:61], v[224:225]
	v_add_f64 v[62:63], v[230:231], -v[214:215]
	v_add_f64 v[230:231], v[230:231], -v[62:63]
	;; [unrolled: 1-line block ×4, first 2 shown]
	v_add_f64 v[214:215], v[226:227], v[214:215]
	v_add_f64 v[224:225], v[60:61], -v[224:225]
	v_add_f64 v[214:215], v[224:225], v[214:215]
	v_add_f64 v[224:225], v[228:229], v[240:241]
	;; [unrolled: 1-line block ×3, first 2 shown]
	v_add_f64 v[226:227], v[224:225], -v[228:229]
	v_mul_f64 v[214:215], v[242:243], v[214:215]
	v_add_f64 v[226:227], v[240:241], -v[226:227]
	v_add_f64 v[214:215], v[226:227], v[214:215]
	v_add_f64 v[226:227], v[224:225], v[214:215]
	v_add_f64 v[224:225], v[226:227], -v[224:225]
	v_add_f64 v[214:215], v[214:215], -v[224:225]
	v_mul_f64 v[224:225], v[226:227], v[226:227]
	v_mov_b64_e32 v[228:229], v[192:193]
	v_fmac_f64_e32 v[228:229], s[68:69], v[224:225]
	v_mov_b64_e32 v[230:231], v[194:195]
	v_fmac_f64_e32 v[230:231], v[224:225], v[228:229]
	;; [unrolled: 2-line block ×6, first 2 shown]
	v_cvt_f64_i32_e32 v[228:229], v59
	v_mul_f64 v[240:241], v[228:229], s[70:71]
	v_fma_f64 v[242:243], v[228:229], s[70:71], -v[240:241]
	v_fmac_f64_e32 v[242:243], s[72:73], v[228:229]
	v_add_f64 v[228:229], v[240:241], v[242:243]
	v_add_f64 v[240:241], v[228:229], -v[240:241]
	v_mul_f64 v[224:225], v[226:227], v[224:225]
	v_add_f64 v[240:241], v[242:243], -v[240:241]
	v_ldexp_f64 v[242:243], v[226:227], 1
	v_mul_f64 v[224:225], v[224:225], v[230:231]
	v_add_f64 v[226:227], v[242:243], v[224:225]
	v_add_f64 v[230:231], v[226:227], -v[242:243]
	v_ldexp_f64 v[214:215], v[214:215], 1
	v_add_f64 v[224:225], v[224:225], -v[230:231]
	v_add_f64 v[214:215], v[214:215], v[224:225]
	v_add_f64 v[224:225], v[226:227], v[214:215]
	v_add_f64 v[226:227], v[224:225], -v[226:227]
	v_add_f64 v[214:215], v[214:215], -v[226:227]
	v_add_f64 v[226:227], v[228:229], v[224:225]
	v_add_f64 v[230:231], v[226:227], -v[228:229]
	v_add_f64 v[242:243], v[226:227], -v[230:231]
	;; [unrolled: 1-line block ×4, first 2 shown]
	v_add_f64 v[224:225], v[224:225], v[228:229]
	v_add_f64 v[228:229], v[240:241], v[214:215]
	v_add_f64 v[230:231], v[228:229], -v[240:241]
	v_add_f64 v[224:225], v[228:229], v[224:225]
	v_add_f64 v[242:243], v[228:229], -v[230:231]
	;; [unrolled: 2-line block ×3, first 2 shown]
	v_add_f64 v[214:215], v[214:215], -v[230:231]
	v_add_f64 v[226:227], v[228:229], -v[226:227]
	v_add_f64 v[214:215], v[214:215], v[240:241]
	v_add_f64 v[224:225], v[224:225], -v[226:227]
	v_add_f64 v[214:215], v[214:215], v[224:225]
	v_add_f64 v[214:215], v[228:229], v[214:215]
	v_cmp_eq_f64_e32 vcc, s[74:75], v[212:213]
	s_nop 1
	v_cndmask_b32_e32 v214, v214, v212, vcc
	v_cndmask_b32_e32 v215, v215, v213, vcc
	v_cmp_ngt_f64_e32 vcc, -1.0, v[212:213]
	s_nop 1
	v_cndmask_b32_e32 v215, v57, v215, vcc
	v_cmp_nge_f64_e32 vcc, -1.0, v[212:213]
	s_nop 1
	v_cndmask_b32_e32 v214, 0, v214, vcc
	v_cmp_neq_f64_e32 vcc, -1.0, v[212:213]
	s_nop 1
	v_cndmask_b32_e32 v215, v58, v215, vcc
	v_add_f64 v[212:213], v[6:7], v[214:215]
.LBB50_203:                             ;   in Loop: Header=BB50_164 Depth=1
	s_or_b64 exec, exec, s[76:77]
	v_mov_b32_e32 v214, v212
	v_mov_b32_e32 v215, v213
	v_mov_b64_e32 v[6:7], v[212:213]
.LBB50_204:                             ;   in Loop: Header=BB50_164 Depth=1
	s_or_b64 exec, exec, s[44:45]
	s_waitcnt lgkmcnt(1)
	ds_bpermute_b32 v212, v43, v214
	s_waitcnt lgkmcnt(1)
	ds_bpermute_b32 v213, v43, v215
	v_cmp_le_u32_e32 vcc, v44, v9
	s_and_saveexec_b64 s[44:45], vcc
	s_cbranch_execz .LBB50_208
; %bb.205:                              ;   in Loop: Header=BB50_164 Depth=1
	s_waitcnt lgkmcnt(0)
	v_max_f64 v[224:225], v[212:213], v[212:213]
	v_max_f64 v[226:227], v[6:7], v[6:7]
	v_min_f64 v[214:215], v[224:225], v[226:227]
	v_cmp_u_f64_e32 vcc, v[212:213], v[212:213]
	v_max_f64 v[224:225], v[224:225], v[226:227]
	v_cmp_u_f64_e64 s[40:41], v[6:7], v[6:7]
	v_cndmask_b32_e32 v214, v214, v212, vcc
	v_cndmask_b32_e32 v215, v215, v213, vcc
	;; [unrolled: 1-line block ×4, first 2 shown]
	v_cndmask_b32_e64 v215, v215, v7, s[40:41]
	v_cndmask_b32_e64 v214, v214, v6, s[40:41]
	;; [unrolled: 1-line block ×4, first 2 shown]
	v_cmp_neq_f64_e32 vcc, v[214:215], v[6:7]
	v_cmp_class_f64_e64 s[40:41], v[214:215], s50
	s_or_b64 vcc, vcc, s[40:41]
	s_and_saveexec_b64 s[76:77], vcc
	s_cbranch_execz .LBB50_207
; %bb.206:                              ;   in Loop: Header=BB50_164 Depth=1
	v_add_f64 v[212:213], v[214:215], -v[6:7]
	v_mul_f64 v[214:215], v[212:213], s[54:55]
	v_rndne_f64_e32 v[214:215], v[214:215]
	v_fma_f64 v[224:225], s[56:57], v[214:215], v[212:213]
	v_fmac_f64_e32 v[224:225], s[58:59], v[214:215]
	v_mov_b64_e32 v[226:227], v[150:151]
	v_fmac_f64_e32 v[226:227], s[60:61], v[224:225]
	v_mov_b64_e32 v[228:229], v[160:161]
	;; [unrolled: 2-line block ×9, first 2 shown]
	v_fmac_f64_e32 v[226:227], v[224:225], v[228:229]
	v_fma_f64 v[226:227], v[224:225], v[226:227], 1.0
	v_fma_f64 v[224:225], v[224:225], v[226:227], 1.0
	v_cvt_i32_f64_e32 v214, v[214:215]
	v_ldexp_f64 v[214:215], v[224:225], v214
	v_cmp_nlt_f64_e32 vcc, s[62:63], v[212:213]
	v_cmp_ngt_f64_e64 s[40:41], s[64:65], v[212:213]
	s_mov_b32 s70, s56
	v_cndmask_b32_e32 v215, v56, v215, vcc
	s_and_b64 vcc, s[40:41], vcc
	v_cndmask_b32_e64 v213, 0, v215, s[40:41]
	v_cndmask_b32_e32 v212, 0, v214, vcc
	v_add_f64 v[214:215], v[212:213], 1.0
	v_add_f64 v[224:225], v[214:215], -1.0
	v_add_f64 v[226:227], v[224:225], -v[214:215]
	v_add_f64 v[226:227], v[226:227], 1.0
	v_add_f64 v[224:225], v[212:213], -v[224:225]
	v_add_f64 v[224:225], v[224:225], v[226:227]
	v_frexp_mant_f64_e32 v[226:227], v[214:215]
	v_frexp_exp_i32_f64_e32 v228, v[214:215]
	v_cmp_gt_f64_e32 vcc, s[66:67], v[226:227]
	s_mov_b32 s72, s58
	s_nop 0
	v_subbrev_co_u32_e32 v59, vcc, 0, v228, vcc
	v_sub_u32_e32 v226, 0, v59
	v_ldexp_f64 v[214:215], v[214:215], v226
	v_ldexp_f64 v[224:225], v[224:225], v226
	v_add_f64 v[226:227], v[214:215], -1.0
	v_add_f64 v[240:241], v[214:215], 1.0
	v_add_f64 v[228:229], v[226:227], 1.0
	v_add_f64 v[242:243], v[240:241], -1.0
	v_add_f64 v[228:229], v[214:215], -v[228:229]
	v_add_f64 v[214:215], v[214:215], -v[242:243]
	v_add_f64 v[214:215], v[224:225], v[214:215]
	v_add_f64 v[228:229], v[224:225], v[228:229]
	;; [unrolled: 1-line block ×3, first 2 shown]
	v_rcp_f64_e32 v[242:243], v[224:225]
	v_add_f64 v[230:231], v[226:227], v[228:229]
	v_add_f64 v[226:227], v[230:231], -v[226:227]
	v_add_f64 v[226:227], v[228:229], -v[226:227]
	;; [unrolled: 1-line block ×4, first 2 shown]
	v_fma_f64 v[228:229], -v[224:225], v[242:243], 1.0
	v_fmac_f64_e32 v[242:243], v[228:229], v[242:243]
	v_fma_f64 v[228:229], -v[224:225], v[242:243], 1.0
	v_fmac_f64_e32 v[242:243], v[228:229], v[242:243]
	v_mul_f64 v[228:229], v[230:231], v[242:243]
	v_mul_f64 v[240:241], v[224:225], v[228:229]
	v_fma_f64 v[60:61], v[228:229], v[224:225], -v[240:241]
	v_fmac_f64_e32 v[60:61], v[228:229], v[214:215]
	v_add_f64 v[62:63], v[240:241], v[60:61]
	v_add_f64 v[72:73], v[230:231], -v[62:63]
	v_add_f64 v[230:231], v[230:231], -v[72:73]
	;; [unrolled: 1-line block ×4, first 2 shown]
	v_add_f64 v[226:227], v[226:227], v[230:231]
	v_add_f64 v[230:231], v[240:241], -v[60:61]
	v_add_f64 v[226:227], v[230:231], v[226:227]
	v_add_f64 v[230:231], v[72:73], v[226:227]
	v_add_f64 v[240:241], v[72:73], -v[230:231]
	v_add_f64 v[226:227], v[226:227], v[240:241]
	v_mul_f64 v[240:241], v[242:243], v[230:231]
	v_mul_f64 v[60:61], v[224:225], v[240:241]
	v_fma_f64 v[224:225], v[240:241], v[224:225], -v[60:61]
	v_fmac_f64_e32 v[224:225], v[240:241], v[214:215]
	v_add_f64 v[214:215], v[60:61], v[224:225]
	v_add_f64 v[62:63], v[230:231], -v[214:215]
	v_add_f64 v[230:231], v[230:231], -v[62:63]
	;; [unrolled: 1-line block ×4, first 2 shown]
	v_add_f64 v[214:215], v[226:227], v[214:215]
	v_add_f64 v[224:225], v[60:61], -v[224:225]
	v_add_f64 v[214:215], v[224:225], v[214:215]
	v_add_f64 v[224:225], v[228:229], v[240:241]
	;; [unrolled: 1-line block ×3, first 2 shown]
	v_add_f64 v[226:227], v[224:225], -v[228:229]
	v_mul_f64 v[214:215], v[242:243], v[214:215]
	v_add_f64 v[226:227], v[240:241], -v[226:227]
	v_add_f64 v[214:215], v[226:227], v[214:215]
	v_add_f64 v[226:227], v[224:225], v[214:215]
	v_add_f64 v[224:225], v[226:227], -v[224:225]
	v_add_f64 v[214:215], v[214:215], -v[224:225]
	v_mul_f64 v[224:225], v[226:227], v[226:227]
	v_mov_b64_e32 v[228:229], v[192:193]
	v_fmac_f64_e32 v[228:229], s[68:69], v[224:225]
	v_mov_b64_e32 v[230:231], v[194:195]
	v_fmac_f64_e32 v[230:231], v[224:225], v[228:229]
	;; [unrolled: 2-line block ×6, first 2 shown]
	v_cvt_f64_i32_e32 v[228:229], v59
	v_mul_f64 v[240:241], v[228:229], s[70:71]
	v_fma_f64 v[242:243], v[228:229], s[70:71], -v[240:241]
	v_fmac_f64_e32 v[242:243], s[72:73], v[228:229]
	v_add_f64 v[228:229], v[240:241], v[242:243]
	v_add_f64 v[240:241], v[228:229], -v[240:241]
	v_mul_f64 v[224:225], v[226:227], v[224:225]
	v_add_f64 v[240:241], v[242:243], -v[240:241]
	v_ldexp_f64 v[242:243], v[226:227], 1
	v_mul_f64 v[224:225], v[224:225], v[230:231]
	v_add_f64 v[226:227], v[242:243], v[224:225]
	v_add_f64 v[230:231], v[226:227], -v[242:243]
	v_ldexp_f64 v[214:215], v[214:215], 1
	v_add_f64 v[224:225], v[224:225], -v[230:231]
	v_add_f64 v[214:215], v[214:215], v[224:225]
	v_add_f64 v[224:225], v[226:227], v[214:215]
	v_add_f64 v[226:227], v[224:225], -v[226:227]
	v_add_f64 v[214:215], v[214:215], -v[226:227]
	v_add_f64 v[226:227], v[228:229], v[224:225]
	v_add_f64 v[230:231], v[226:227], -v[228:229]
	v_add_f64 v[242:243], v[226:227], -v[230:231]
	;; [unrolled: 1-line block ×4, first 2 shown]
	v_add_f64 v[224:225], v[224:225], v[228:229]
	v_add_f64 v[228:229], v[240:241], v[214:215]
	v_add_f64 v[230:231], v[228:229], -v[240:241]
	v_add_f64 v[224:225], v[228:229], v[224:225]
	v_add_f64 v[242:243], v[228:229], -v[230:231]
	;; [unrolled: 2-line block ×3, first 2 shown]
	v_add_f64 v[214:215], v[214:215], -v[230:231]
	v_add_f64 v[226:227], v[228:229], -v[226:227]
	v_add_f64 v[214:215], v[214:215], v[240:241]
	v_add_f64 v[224:225], v[224:225], -v[226:227]
	v_add_f64 v[214:215], v[214:215], v[224:225]
	v_add_f64 v[214:215], v[228:229], v[214:215]
	v_cmp_eq_f64_e32 vcc, s[74:75], v[212:213]
	s_nop 1
	v_cndmask_b32_e32 v214, v214, v212, vcc
	v_cndmask_b32_e32 v215, v215, v213, vcc
	v_cmp_ngt_f64_e32 vcc, -1.0, v[212:213]
	s_nop 1
	v_cndmask_b32_e32 v215, v57, v215, vcc
	v_cmp_nge_f64_e32 vcc, -1.0, v[212:213]
	s_nop 1
	v_cndmask_b32_e32 v214, 0, v214, vcc
	v_cmp_neq_f64_e32 vcc, -1.0, v[212:213]
	s_nop 1
	v_cndmask_b32_e32 v215, v58, v215, vcc
	v_add_f64 v[212:213], v[6:7], v[214:215]
.LBB50_207:                             ;   in Loop: Header=BB50_164 Depth=1
	s_or_b64 exec, exec, s[76:77]
	v_mov_b32_e32 v214, v212
	v_mov_b32_e32 v215, v213
	v_mov_b64_e32 v[6:7], v[212:213]
.LBB50_208:                             ;   in Loop: Header=BB50_164 Depth=1
	s_or_b64 exec, exec, s[44:45]
	s_waitcnt lgkmcnt(1)
	ds_bpermute_b32 v212, v45, v214
	s_waitcnt lgkmcnt(1)
	ds_bpermute_b32 v213, v45, v215
	v_cmp_le_u32_e32 vcc, v46, v9
	s_and_saveexec_b64 s[44:45], vcc
	s_cbranch_execz .LBB50_212
; %bb.209:                              ;   in Loop: Header=BB50_164 Depth=1
	s_waitcnt lgkmcnt(0)
	v_max_f64 v[224:225], v[212:213], v[212:213]
	v_max_f64 v[226:227], v[6:7], v[6:7]
	v_min_f64 v[214:215], v[224:225], v[226:227]
	v_cmp_u_f64_e32 vcc, v[212:213], v[212:213]
	v_cmp_u_f64_e64 s[40:41], v[6:7], v[6:7]
	v_max_f64 v[224:225], v[224:225], v[226:227]
	v_cndmask_b32_e32 v9, v214, v212, vcc
	v_cndmask_b32_e32 v214, v215, v213, vcc
	v_cndmask_b32_e64 v215, v214, v7, s[40:41]
	v_cndmask_b32_e64 v214, v9, v6, s[40:41]
	v_cndmask_b32_e32 v9, v224, v212, vcc
	v_cndmask_b32_e32 v224, v225, v213, vcc
	v_cndmask_b32_e64 v7, v224, v7, s[40:41]
	v_cndmask_b32_e64 v6, v9, v6, s[40:41]
	v_cmp_neq_f64_e32 vcc, v[214:215], v[6:7]
	v_cmp_class_f64_e64 s[40:41], v[214:215], s50
	s_or_b64 vcc, vcc, s[40:41]
	s_and_saveexec_b64 s[76:77], vcc
	s_cbranch_execz .LBB50_211
; %bb.210:                              ;   in Loop: Header=BB50_164 Depth=1
	v_add_f64 v[212:213], v[214:215], -v[6:7]
	v_mul_f64 v[214:215], v[212:213], s[54:55]
	v_rndne_f64_e32 v[214:215], v[214:215]
	v_fma_f64 v[224:225], s[56:57], v[214:215], v[212:213]
	v_fmac_f64_e32 v[224:225], s[58:59], v[214:215]
	v_mov_b64_e32 v[226:227], v[150:151]
	v_fmac_f64_e32 v[226:227], s[60:61], v[224:225]
	v_mov_b64_e32 v[228:229], v[160:161]
	;; [unrolled: 2-line block ×9, first 2 shown]
	v_fmac_f64_e32 v[226:227], v[224:225], v[228:229]
	v_fma_f64 v[226:227], v[224:225], v[226:227], 1.0
	v_fma_f64 v[224:225], v[224:225], v[226:227], 1.0
	v_cvt_i32_f64_e32 v9, v[214:215]
	v_ldexp_f64 v[214:215], v[224:225], v9
	v_cmp_nlt_f64_e32 vcc, s[62:63], v[212:213]
	v_cmp_ngt_f64_e64 s[40:41], s[64:65], v[212:213]
	s_mov_b32 s70, s56
	v_cndmask_b32_e32 v9, v56, v215, vcc
	s_and_b64 vcc, s[40:41], vcc
	v_cndmask_b32_e64 v213, 0, v9, s[40:41]
	v_cndmask_b32_e32 v212, 0, v214, vcc
	v_add_f64 v[214:215], v[212:213], 1.0
	v_add_f64 v[224:225], v[214:215], -1.0
	v_add_f64 v[226:227], v[224:225], -v[214:215]
	v_add_f64 v[226:227], v[226:227], 1.0
	v_add_f64 v[224:225], v[212:213], -v[224:225]
	v_add_f64 v[224:225], v[224:225], v[226:227]
	v_frexp_mant_f64_e32 v[226:227], v[214:215]
	v_frexp_exp_i32_f64_e32 v9, v[214:215]
	v_cmp_gt_f64_e32 vcc, s[66:67], v[226:227]
	s_mov_b32 s72, s58
	s_nop 0
	v_subbrev_co_u32_e32 v9, vcc, 0, v9, vcc
	v_sub_u32_e32 v226, 0, v9
	v_ldexp_f64 v[214:215], v[214:215], v226
	v_ldexp_f64 v[224:225], v[224:225], v226
	v_add_f64 v[226:227], v[214:215], -1.0
	v_add_f64 v[240:241], v[214:215], 1.0
	v_add_f64 v[228:229], v[226:227], 1.0
	v_add_f64 v[242:243], v[240:241], -1.0
	v_add_f64 v[228:229], v[214:215], -v[228:229]
	v_add_f64 v[214:215], v[214:215], -v[242:243]
	v_add_f64 v[214:215], v[224:225], v[214:215]
	v_add_f64 v[228:229], v[224:225], v[228:229]
	;; [unrolled: 1-line block ×3, first 2 shown]
	v_rcp_f64_e32 v[242:243], v[224:225]
	v_add_f64 v[230:231], v[226:227], v[228:229]
	v_add_f64 v[226:227], v[230:231], -v[226:227]
	v_add_f64 v[226:227], v[228:229], -v[226:227]
	v_add_f64 v[228:229], v[224:225], -v[240:241]
	v_add_f64 v[214:215], v[214:215], -v[228:229]
	v_fma_f64 v[228:229], -v[224:225], v[242:243], 1.0
	v_fmac_f64_e32 v[242:243], v[228:229], v[242:243]
	v_fma_f64 v[228:229], -v[224:225], v[242:243], 1.0
	v_fmac_f64_e32 v[242:243], v[228:229], v[242:243]
	v_mul_f64 v[228:229], v[230:231], v[242:243]
	v_mul_f64 v[240:241], v[224:225], v[228:229]
	v_fma_f64 v[60:61], v[228:229], v[224:225], -v[240:241]
	v_fmac_f64_e32 v[60:61], v[228:229], v[214:215]
	v_add_f64 v[62:63], v[240:241], v[60:61]
	v_add_f64 v[72:73], v[230:231], -v[62:63]
	v_add_f64 v[230:231], v[230:231], -v[72:73]
	;; [unrolled: 1-line block ×4, first 2 shown]
	v_add_f64 v[226:227], v[226:227], v[230:231]
	v_add_f64 v[230:231], v[240:241], -v[60:61]
	v_add_f64 v[226:227], v[230:231], v[226:227]
	v_add_f64 v[230:231], v[72:73], v[226:227]
	v_add_f64 v[240:241], v[72:73], -v[230:231]
	v_add_f64 v[226:227], v[226:227], v[240:241]
	v_mul_f64 v[240:241], v[242:243], v[230:231]
	v_mul_f64 v[60:61], v[224:225], v[240:241]
	v_fma_f64 v[224:225], v[240:241], v[224:225], -v[60:61]
	v_fmac_f64_e32 v[224:225], v[240:241], v[214:215]
	v_add_f64 v[214:215], v[60:61], v[224:225]
	v_add_f64 v[62:63], v[230:231], -v[214:215]
	v_add_f64 v[230:231], v[230:231], -v[62:63]
	;; [unrolled: 1-line block ×4, first 2 shown]
	v_add_f64 v[214:215], v[226:227], v[214:215]
	v_add_f64 v[224:225], v[60:61], -v[224:225]
	v_add_f64 v[214:215], v[224:225], v[214:215]
	v_add_f64 v[224:225], v[228:229], v[240:241]
	;; [unrolled: 1-line block ×3, first 2 shown]
	v_add_f64 v[226:227], v[224:225], -v[228:229]
	v_mul_f64 v[214:215], v[242:243], v[214:215]
	v_add_f64 v[226:227], v[240:241], -v[226:227]
	v_add_f64 v[214:215], v[226:227], v[214:215]
	v_add_f64 v[226:227], v[224:225], v[214:215]
	v_add_f64 v[224:225], v[226:227], -v[224:225]
	v_add_f64 v[214:215], v[214:215], -v[224:225]
	v_mul_f64 v[224:225], v[226:227], v[226:227]
	v_mov_b64_e32 v[228:229], v[192:193]
	v_fmac_f64_e32 v[228:229], s[68:69], v[224:225]
	v_mov_b64_e32 v[230:231], v[194:195]
	v_fmac_f64_e32 v[230:231], v[224:225], v[228:229]
	;; [unrolled: 2-line block ×6, first 2 shown]
	v_cvt_f64_i32_e32 v[228:229], v9
	v_mul_f64 v[240:241], v[228:229], s[70:71]
	v_fma_f64 v[242:243], v[228:229], s[70:71], -v[240:241]
	v_fmac_f64_e32 v[242:243], s[72:73], v[228:229]
	v_add_f64 v[228:229], v[240:241], v[242:243]
	v_add_f64 v[240:241], v[228:229], -v[240:241]
	v_mul_f64 v[224:225], v[226:227], v[224:225]
	v_add_f64 v[240:241], v[242:243], -v[240:241]
	v_ldexp_f64 v[242:243], v[226:227], 1
	v_mul_f64 v[224:225], v[224:225], v[230:231]
	v_add_f64 v[226:227], v[242:243], v[224:225]
	v_add_f64 v[230:231], v[226:227], -v[242:243]
	v_ldexp_f64 v[214:215], v[214:215], 1
	v_add_f64 v[224:225], v[224:225], -v[230:231]
	v_add_f64 v[214:215], v[214:215], v[224:225]
	v_add_f64 v[224:225], v[226:227], v[214:215]
	v_add_f64 v[226:227], v[224:225], -v[226:227]
	v_add_f64 v[214:215], v[214:215], -v[226:227]
	v_add_f64 v[226:227], v[228:229], v[224:225]
	v_add_f64 v[230:231], v[226:227], -v[228:229]
	v_add_f64 v[242:243], v[226:227], -v[230:231]
	;; [unrolled: 1-line block ×4, first 2 shown]
	v_add_f64 v[224:225], v[224:225], v[228:229]
	v_add_f64 v[228:229], v[240:241], v[214:215]
	v_add_f64 v[230:231], v[228:229], -v[240:241]
	v_add_f64 v[224:225], v[228:229], v[224:225]
	v_add_f64 v[242:243], v[228:229], -v[230:231]
	;; [unrolled: 2-line block ×3, first 2 shown]
	v_add_f64 v[214:215], v[214:215], -v[230:231]
	v_add_f64 v[226:227], v[228:229], -v[226:227]
	v_add_f64 v[214:215], v[214:215], v[240:241]
	v_add_f64 v[224:225], v[224:225], -v[226:227]
	v_add_f64 v[214:215], v[214:215], v[224:225]
	v_add_f64 v[214:215], v[228:229], v[214:215]
	v_cmp_eq_f64_e32 vcc, s[74:75], v[212:213]
	s_nop 1
	v_cndmask_b32_e32 v9, v214, v212, vcc
	v_cndmask_b32_e32 v214, v215, v213, vcc
	v_cmp_ngt_f64_e32 vcc, -1.0, v[212:213]
	s_nop 1
	v_cndmask_b32_e32 v215, v57, v214, vcc
	v_cmp_nge_f64_e32 vcc, -1.0, v[212:213]
	s_nop 1
	v_cndmask_b32_e32 v214, 0, v9, vcc
	v_cmp_neq_f64_e32 vcc, -1.0, v[212:213]
	s_nop 1
	v_cndmask_b32_e32 v215, v58, v215, vcc
	v_add_f64 v[212:213], v[6:7], v[214:215]
.LBB50_211:                             ;   in Loop: Header=BB50_164 Depth=1
	s_or_b64 exec, exec, s[76:77]
	v_mov_b64_e32 v[6:7], v[212:213]
.LBB50_212:                             ;   in Loop: Header=BB50_164 Depth=1
	s_or_b64 exec, exec, s[44:45]
	s_waitcnt lgkmcnt(0)
	v_max_f64 v[212:213], v[148:149], v[148:149]
	v_max_f64 v[224:225], v[6:7], v[6:7]
	v_min_f64 v[214:215], v[224:225], v[212:213]
	v_cmp_u_f64_e32 vcc, v[6:7], v[6:7]
	v_cmp_u_f64_e64 s[40:41], v[148:149], v[148:149]
	v_max_f64 v[212:213], v[224:225], v[212:213]
	v_cndmask_b32_e32 v9, v214, v6, vcc
	v_cndmask_b32_e32 v214, v215, v7, vcc
	v_cndmask_b32_e64 v215, v214, v149, s[40:41]
	v_cndmask_b32_e64 v214, v9, v148, s[40:41]
	v_cndmask_b32_e32 v9, v212, v6, vcc
	v_cndmask_b32_e32 v212, v213, v7, vcc
	v_cndmask_b32_e64 v213, v212, v149, s[40:41]
	v_cndmask_b32_e64 v212, v9, v148, s[40:41]
	v_cmp_neq_f64_e32 vcc, v[214:215], v[212:213]
	v_cmp_class_f64_e64 s[40:41], v[214:215], s50
	s_or_b64 vcc, vcc, s[40:41]
	s_and_saveexec_b64 s[40:41], vcc
	s_xor_b64 s[44:45], exec, s[40:41]
	s_cbranch_execz .LBB50_163
; %bb.213:                              ;   in Loop: Header=BB50_164 Depth=1
	v_add_f64 v[6:7], v[214:215], -v[212:213]
	v_mul_f64 v[214:215], v[6:7], s[54:55]
	v_rndne_f64_e32 v[214:215], v[214:215]
	v_fma_f64 v[224:225], s[56:57], v[214:215], v[6:7]
	v_fmac_f64_e32 v[224:225], s[58:59], v[214:215]
	v_mov_b64_e32 v[226:227], v[150:151]
	v_fmac_f64_e32 v[226:227], s[60:61], v[224:225]
	v_mov_b64_e32 v[228:229], v[160:161]
	v_fmac_f64_e32 v[228:229], v[224:225], v[226:227]
	v_mov_b64_e32 v[226:227], v[162:163]
	v_fmac_f64_e32 v[226:227], v[224:225], v[228:229]
	v_mov_b64_e32 v[228:229], v[164:165]
	v_fmac_f64_e32 v[228:229], v[224:225], v[226:227]
	v_mov_b64_e32 v[226:227], v[166:167]
	v_fmac_f64_e32 v[226:227], v[224:225], v[228:229]
	v_mov_b64_e32 v[228:229], v[176:177]
	v_fmac_f64_e32 v[228:229], v[224:225], v[226:227]
	v_mov_b64_e32 v[226:227], v[178:179]
	v_fmac_f64_e32 v[226:227], v[224:225], v[228:229]
	v_mov_b64_e32 v[228:229], v[180:181]
	v_fmac_f64_e32 v[228:229], v[224:225], v[226:227]
	v_mov_b64_e32 v[226:227], v[182:183]
	v_fmac_f64_e32 v[226:227], v[224:225], v[228:229]
	v_fma_f64 v[226:227], v[224:225], v[226:227], 1.0
	v_fma_f64 v[224:225], v[224:225], v[226:227], 1.0
	v_cvt_i32_f64_e32 v9, v[214:215]
	v_ldexp_f64 v[214:215], v[224:225], v9
	v_cmp_nlt_f64_e32 vcc, s[62:63], v[6:7]
	v_cmp_ngt_f64_e64 s[40:41], s[64:65], v[6:7]
	s_mov_b32 s70, s56
	v_cndmask_b32_e32 v9, v56, v215, vcc
	s_and_b64 vcc, s[40:41], vcc
	v_cndmask_b32_e64 v7, 0, v9, s[40:41]
	v_cndmask_b32_e32 v6, 0, v214, vcc
	v_add_f64 v[214:215], v[6:7], 1.0
	v_add_f64 v[224:225], v[214:215], -1.0
	v_add_f64 v[226:227], v[224:225], -v[214:215]
	v_add_f64 v[226:227], v[226:227], 1.0
	v_add_f64 v[224:225], v[6:7], -v[224:225]
	v_add_f64 v[224:225], v[224:225], v[226:227]
	v_frexp_mant_f64_e32 v[226:227], v[214:215]
	v_frexp_exp_i32_f64_e32 v9, v[214:215]
	v_cmp_gt_f64_e32 vcc, s[66:67], v[226:227]
	s_mov_b32 s72, s58
	s_nop 0
	v_subbrev_co_u32_e32 v9, vcc, 0, v9, vcc
	v_sub_u32_e32 v226, 0, v9
	v_ldexp_f64 v[214:215], v[214:215], v226
	v_ldexp_f64 v[224:225], v[224:225], v226
	v_add_f64 v[226:227], v[214:215], -1.0
	v_add_f64 v[240:241], v[214:215], 1.0
	v_add_f64 v[228:229], v[226:227], 1.0
	v_add_f64 v[242:243], v[240:241], -1.0
	v_add_f64 v[228:229], v[214:215], -v[228:229]
	v_add_f64 v[214:215], v[214:215], -v[242:243]
	v_add_f64 v[214:215], v[224:225], v[214:215]
	v_add_f64 v[228:229], v[224:225], v[228:229]
	;; [unrolled: 1-line block ×3, first 2 shown]
	v_rcp_f64_e32 v[242:243], v[224:225]
	v_add_f64 v[230:231], v[226:227], v[228:229]
	v_add_f64 v[226:227], v[230:231], -v[226:227]
	v_add_f64 v[226:227], v[228:229], -v[226:227]
	;; [unrolled: 1-line block ×4, first 2 shown]
	v_fma_f64 v[228:229], -v[224:225], v[242:243], 1.0
	v_fmac_f64_e32 v[242:243], v[228:229], v[242:243]
	v_fma_f64 v[228:229], -v[224:225], v[242:243], 1.0
	v_fmac_f64_e32 v[242:243], v[228:229], v[242:243]
	v_mul_f64 v[228:229], v[230:231], v[242:243]
	v_mul_f64 v[240:241], v[224:225], v[228:229]
	v_fma_f64 v[60:61], v[228:229], v[224:225], -v[240:241]
	v_fmac_f64_e32 v[60:61], v[228:229], v[214:215]
	v_add_f64 v[62:63], v[240:241], v[60:61]
	v_add_f64 v[72:73], v[230:231], -v[62:63]
	v_add_f64 v[230:231], v[230:231], -v[72:73]
	;; [unrolled: 1-line block ×4, first 2 shown]
	v_add_f64 v[226:227], v[226:227], v[230:231]
	v_add_f64 v[230:231], v[240:241], -v[60:61]
	v_add_f64 v[226:227], v[230:231], v[226:227]
	v_add_f64 v[230:231], v[72:73], v[226:227]
	v_add_f64 v[240:241], v[72:73], -v[230:231]
	v_add_f64 v[226:227], v[226:227], v[240:241]
	v_mul_f64 v[240:241], v[242:243], v[230:231]
	v_mul_f64 v[60:61], v[224:225], v[240:241]
	v_fma_f64 v[224:225], v[240:241], v[224:225], -v[60:61]
	v_fmac_f64_e32 v[224:225], v[240:241], v[214:215]
	v_add_f64 v[214:215], v[60:61], v[224:225]
	v_add_f64 v[62:63], v[230:231], -v[214:215]
	v_add_f64 v[230:231], v[230:231], -v[62:63]
	;; [unrolled: 1-line block ×4, first 2 shown]
	v_add_f64 v[214:215], v[226:227], v[214:215]
	v_add_f64 v[224:225], v[60:61], -v[224:225]
	v_add_f64 v[214:215], v[224:225], v[214:215]
	v_add_f64 v[224:225], v[228:229], v[240:241]
	v_add_f64 v[214:215], v[62:63], v[214:215]
	v_add_f64 v[226:227], v[224:225], -v[228:229]
	v_mul_f64 v[214:215], v[242:243], v[214:215]
	v_add_f64 v[226:227], v[240:241], -v[226:227]
	v_add_f64 v[214:215], v[226:227], v[214:215]
	v_add_f64 v[226:227], v[224:225], v[214:215]
	v_add_f64 v[224:225], v[226:227], -v[224:225]
	v_add_f64 v[214:215], v[214:215], -v[224:225]
	v_mul_f64 v[224:225], v[226:227], v[226:227]
	v_mov_b64_e32 v[228:229], v[192:193]
	v_fmac_f64_e32 v[228:229], s[68:69], v[224:225]
	v_mov_b64_e32 v[230:231], v[194:195]
	v_fmac_f64_e32 v[230:231], v[224:225], v[228:229]
	;; [unrolled: 2-line block ×6, first 2 shown]
	v_cvt_f64_i32_e32 v[228:229], v9
	v_mul_f64 v[240:241], v[228:229], s[70:71]
	v_fma_f64 v[242:243], v[228:229], s[70:71], -v[240:241]
	v_fmac_f64_e32 v[242:243], s[72:73], v[228:229]
	v_add_f64 v[228:229], v[240:241], v[242:243]
	v_add_f64 v[240:241], v[228:229], -v[240:241]
	v_mul_f64 v[224:225], v[226:227], v[224:225]
	v_add_f64 v[240:241], v[242:243], -v[240:241]
	v_ldexp_f64 v[242:243], v[226:227], 1
	v_mul_f64 v[224:225], v[224:225], v[230:231]
	v_add_f64 v[226:227], v[242:243], v[224:225]
	v_add_f64 v[230:231], v[226:227], -v[242:243]
	v_ldexp_f64 v[214:215], v[214:215], 1
	v_add_f64 v[224:225], v[224:225], -v[230:231]
	v_add_f64 v[214:215], v[214:215], v[224:225]
	v_add_f64 v[224:225], v[226:227], v[214:215]
	v_add_f64 v[226:227], v[224:225], -v[226:227]
	v_add_f64 v[214:215], v[214:215], -v[226:227]
	v_add_f64 v[226:227], v[228:229], v[224:225]
	v_add_f64 v[230:231], v[226:227], -v[228:229]
	v_add_f64 v[242:243], v[226:227], -v[230:231]
	;; [unrolled: 1-line block ×4, first 2 shown]
	v_add_f64 v[224:225], v[224:225], v[228:229]
	v_add_f64 v[228:229], v[240:241], v[214:215]
	v_add_f64 v[230:231], v[228:229], -v[240:241]
	v_add_f64 v[224:225], v[228:229], v[224:225]
	v_add_f64 v[242:243], v[228:229], -v[230:231]
	;; [unrolled: 2-line block ×3, first 2 shown]
	v_add_f64 v[214:215], v[214:215], -v[230:231]
	v_add_f64 v[226:227], v[228:229], -v[226:227]
	v_add_f64 v[214:215], v[214:215], v[240:241]
	v_add_f64 v[224:225], v[224:225], -v[226:227]
	v_add_f64 v[214:215], v[214:215], v[224:225]
	v_add_f64 v[214:215], v[228:229], v[214:215]
	v_cmp_eq_f64_e32 vcc, s[74:75], v[6:7]
	s_nop 1
	v_cndmask_b32_e32 v9, v214, v6, vcc
	v_cndmask_b32_e32 v214, v215, v7, vcc
	v_cmp_ngt_f64_e32 vcc, -1.0, v[6:7]
	s_nop 1
	v_cndmask_b32_e32 v215, v57, v214, vcc
	v_cmp_nge_f64_e32 vcc, -1.0, v[6:7]
	s_nop 1
	v_cndmask_b32_e32 v214, 0, v9, vcc
	v_cmp_neq_f64_e32 vcc, -1.0, v[6:7]
	s_nop 1
	v_cndmask_b32_e32 v215, v58, v215, vcc
	v_add_f64 v[6:7], v[212:213], v[214:215]
	s_branch .LBB50_163
.LBB50_214:
	s_and_saveexec_b64 s[40:41], s[38:39]
	s_cbranch_execz .LBB50_225
; %bb.215:
	v_max_f64 v[6:7], v[4:5], v[4:5]
	v_max_f64 v[144:145], v[148:149], v[148:149]
	v_min_f64 v[8:9], v[144:145], v[6:7]
	v_cmp_u_f64_e32 vcc, v[148:149], v[148:149]
	v_max_f64 v[6:7], v[144:145], v[6:7]
	v_cmp_u_f64_e64 s[38:39], v[4:5], v[4:5]
	v_cndmask_b32_e32 v8, v8, v148, vcc
	v_cndmask_b32_e32 v9, v9, v149, vcc
	;; [unrolled: 1-line block ×4, first 2 shown]
	v_cndmask_b32_e64 v9, v9, v5, s[38:39]
	v_cndmask_b32_e64 v8, v8, v4, s[38:39]
	;; [unrolled: 1-line block ×4, first 2 shown]
	s_movk_i32 s13, 0x1f8
	v_cmp_neq_f64_e32 vcc, v[8:9], v[6:7]
	v_cmp_class_f64_e64 s[38:39], v[8:9], s13
	s_or_b64 vcc, vcc, s[38:39]
	v_mov_b64_e32 v[4:5], v[148:149]
	s_and_saveexec_b64 s[44:45], vcc
	s_cbranch_execz .LBB50_217
; %bb.216:
	s_mov_b32 vcc_lo, 0x652b82fe
	v_add_f64 v[4:5], v[8:9], -v[6:7]
	s_mov_b32 vcc_hi, 0x3ff71547
	v_mul_f64 v[8:9], v[4:5], vcc
	v_rndne_f64_e32 v[8:9], v[8:9]
	s_mov_b32 s51, 0xbfe62e42
	s_mov_b32 s50, 0xfefa39ef
	v_fma_f64 v[144:145], s[50:51], v[8:9], v[4:5]
	s_mov_b32 s53, 0xbc7abc9e
	s_mov_b32 s52, 0x3b39803f
	s_mov_b32 vcc_lo, 0x6a5dcb37
	v_fmac_f64_e32 v[144:145], s[52:53], v[8:9]
	v_mov_b32_e32 v146, 0xfca7ab0c
	v_mov_b32_e32 v147, 0x3e928af3
	s_mov_b32 vcc_hi, 0x3e5ade15
	v_fmac_f64_e32 v[146:147], vcc, v[144:145]
	v_mov_b32_e32 v150, 0x623fde64
	v_mov_b32_e32 v151, 0x3ec71dee
	v_fmac_f64_e32 v[150:151], v[144:145], v[146:147]
	v_mov_b32_e32 v146, 0x7c89e6b0
	v_mov_b32_e32 v147, 0x3efa0199
	v_fmac_f64_e32 v[146:147], v[144:145], v[150:151]
	v_mov_b32_e32 v150, 0x14761f6e
	v_mov_b32_e32 v151, 0x3f2a01a0
	v_fmac_f64_e32 v[150:151], v[144:145], v[146:147]
	v_mov_b32_e32 v146, 0x1852b7b0
	v_mov_b32_e32 v147, 0x3f56c16c
	v_fmac_f64_e32 v[146:147], v[144:145], v[150:151]
	v_mov_b32_e32 v150, 0x11122322
	v_mov_b32_e32 v151, 0x3f811111
	v_fmac_f64_e32 v[150:151], v[144:145], v[146:147]
	v_mov_b32_e32 v146, 0x555502a1
	v_mov_b32_e32 v147, 0x3fa55555
	v_fmac_f64_e32 v[146:147], v[144:145], v[150:151]
	v_mov_b32_e32 v150, 0x55555511
	v_mov_b32_e32 v151, 0x3fc55555
	v_fmac_f64_e32 v[150:151], v[144:145], v[146:147]
	v_mov_b32_e32 v146, 11
	v_mov_b32_e32 v147, 0x3fe00000
	v_fmac_f64_e32 v[146:147], v[144:145], v[150:151]
	v_fma_f64 v[146:147], v[144:145], v[146:147], 1.0
	s_mov_b32 vcc_lo, 0
	s_mov_b32 s38, 0
	v_fma_f64 v[144:145], v[144:145], v[146:147], 1.0
	v_cvt_i32_f64_e32 v8, v[8:9]
	s_mov_b32 vcc_hi, 0x40900000
	s_mov_b32 s39, 0xc090cc00
	v_ldexp_f64 v[8:9], v[144:145], v8
	v_mov_b32_e32 v53, 0x7ff00000
	v_cmp_nlt_f64_e32 vcc, vcc, v[4:5]
	v_cmp_ngt_f64_e64 s[38:39], s[38:39], v[4:5]
	s_mov_b32 s51, 0x3fe62e42
	v_cndmask_b32_e32 v9, v53, v9, vcc
	s_and_b64 vcc, s[38:39], vcc
	v_cndmask_b32_e64 v5, 0, v9, s[38:39]
	v_cndmask_b32_e32 v4, 0, v8, vcc
	v_add_f64 v[8:9], v[4:5], 1.0
	v_add_f64 v[144:145], v[8:9], -1.0
	v_add_f64 v[146:147], v[144:145], -v[8:9]
	v_add_f64 v[146:147], v[146:147], 1.0
	v_add_f64 v[144:145], v[4:5], -v[144:145]
	s_mov_b32 vcc_lo, 0x55555555
	v_add_f64 v[144:145], v[144:145], v[146:147]
	v_frexp_mant_f64_e32 v[146:147], v[8:9]
	s_mov_b32 vcc_hi, 0x3fe55555
	v_frexp_exp_i32_f64_e32 v53, v[8:9]
	v_cmp_gt_f64_e32 vcc, vcc, v[146:147]
	s_mov_b32 s53, 0x3c7abc9e
	s_nop 0
	v_subbrev_co_u32_e32 v53, vcc, 0, v53, vcc
	v_sub_u32_e32 v71, 0, v53
	v_ldexp_f64 v[8:9], v[8:9], v71
	v_add_f64 v[146:147], v[8:9], -1.0
	v_add_f64 v[162:163], v[8:9], 1.0
	v_add_f64 v[150:151], v[146:147], 1.0
	v_add_f64 v[164:165], v[162:163], -1.0
	v_ldexp_f64 v[144:145], v[144:145], v71
	v_add_f64 v[150:151], v[8:9], -v[150:151]
	v_add_f64 v[8:9], v[8:9], -v[164:165]
	v_add_f64 v[8:9], v[144:145], v[8:9]
	v_add_f64 v[150:151], v[144:145], v[150:151]
	;; [unrolled: 1-line block ×3, first 2 shown]
	v_rcp_f64_e32 v[164:165], v[144:145]
	v_add_f64 v[160:161], v[146:147], v[150:151]
	v_add_f64 v[146:147], v[160:161], -v[146:147]
	v_add_f64 v[146:147], v[150:151], -v[146:147]
	;; [unrolled: 1-line block ×4, first 2 shown]
	v_fma_f64 v[150:151], -v[144:145], v[164:165], 1.0
	v_fmac_f64_e32 v[164:165], v[150:151], v[164:165]
	v_fma_f64 v[150:151], -v[144:145], v[164:165], 1.0
	v_fmac_f64_e32 v[164:165], v[150:151], v[164:165]
	v_mul_f64 v[150:151], v[160:161], v[164:165]
	v_mul_f64 v[162:163], v[144:145], v[150:151]
	v_fma_f64 v[166:167], v[150:151], v[144:145], -v[162:163]
	v_fmac_f64_e32 v[166:167], v[150:151], v[8:9]
	v_add_f64 v[176:177], v[162:163], v[166:167]
	v_add_f64 v[178:179], v[160:161], -v[176:177]
	v_add_f64 v[160:161], v[160:161], -v[178:179]
	;; [unrolled: 1-line block ×4, first 2 shown]
	v_add_f64 v[146:147], v[146:147], v[160:161]
	v_add_f64 v[160:161], v[162:163], -v[166:167]
	v_add_f64 v[146:147], v[160:161], v[146:147]
	v_add_f64 v[160:161], v[178:179], v[146:147]
	v_add_f64 v[162:163], v[178:179], -v[160:161]
	v_add_f64 v[146:147], v[146:147], v[162:163]
	v_mul_f64 v[162:163], v[164:165], v[160:161]
	v_mul_f64 v[166:167], v[144:145], v[162:163]
	v_fma_f64 v[144:145], v[162:163], v[144:145], -v[166:167]
	v_fmac_f64_e32 v[144:145], v[162:163], v[8:9]
	v_add_f64 v[8:9], v[166:167], v[144:145]
	v_add_f64 v[176:177], v[160:161], -v[8:9]
	v_add_f64 v[160:161], v[160:161], -v[176:177]
	v_add_f64 v[166:167], v[8:9], -v[166:167]
	v_add_f64 v[8:9], v[160:161], -v[8:9]
	v_add_f64 v[8:9], v[146:147], v[8:9]
	v_add_f64 v[144:145], v[166:167], -v[144:145]
	v_add_f64 v[8:9], v[144:145], v[8:9]
	v_add_f64 v[144:145], v[150:151], v[162:163]
	;; [unrolled: 1-line block ×3, first 2 shown]
	v_add_f64 v[146:147], v[144:145], -v[150:151]
	v_mul_f64 v[8:9], v[164:165], v[8:9]
	v_add_f64 v[146:147], v[162:163], -v[146:147]
	v_add_f64 v[8:9], v[146:147], v[8:9]
	v_add_f64 v[146:147], v[144:145], v[8:9]
	v_add_f64 v[144:145], v[146:147], -v[144:145]
	s_mov_b32 vcc_lo, 0xbf559e2b
	v_add_f64 v[8:9], v[8:9], -v[144:145]
	v_mul_f64 v[144:145], v[146:147], v[146:147]
	v_mov_b32_e32 v150, 0x6b47b09a
	v_mov_b32_e32 v151, 0x3fc38538
	s_mov_b32 vcc_hi, 0x3fc3ab76
	v_fmac_f64_e32 v[150:151], vcc, v[144:145]
	v_mov_b32_e32 v160, 0xd7f4df2e
	v_mov_b32_e32 v161, 0x3fc7474d
	v_fmac_f64_e32 v[160:161], v[144:145], v[150:151]
	v_mov_b32_e32 v150, 0x16291751
	v_mov_b32_e32 v151, 0x3fcc71c0
	v_fmac_f64_e32 v[150:151], v[144:145], v[160:161]
	;; [unrolled: 3-line block ×5, first 2 shown]
	v_cvt_f64_i32_e32 v[150:151], v53
	v_mul_f64 v[162:163], v[150:151], s[50:51]
	v_fma_f64 v[164:165], v[150:151], s[50:51], -v[162:163]
	v_fmac_f64_e32 v[164:165], s[52:53], v[150:151]
	v_add_f64 v[150:151], v[162:163], v[164:165]
	v_add_f64 v[162:163], v[150:151], -v[162:163]
	v_mul_f64 v[144:145], v[146:147], v[144:145]
	v_add_f64 v[162:163], v[164:165], -v[162:163]
	v_ldexp_f64 v[164:165], v[146:147], 1
	v_mul_f64 v[144:145], v[144:145], v[160:161]
	v_add_f64 v[146:147], v[164:165], v[144:145]
	v_add_f64 v[160:161], v[146:147], -v[164:165]
	v_ldexp_f64 v[8:9], v[8:9], 1
	v_add_f64 v[144:145], v[144:145], -v[160:161]
	v_add_f64 v[8:9], v[8:9], v[144:145]
	v_add_f64 v[144:145], v[146:147], v[8:9]
	v_add_f64 v[146:147], v[144:145], -v[146:147]
	v_add_f64 v[8:9], v[8:9], -v[146:147]
	v_add_f64 v[146:147], v[150:151], v[144:145]
	v_add_f64 v[160:161], v[146:147], -v[150:151]
	v_add_f64 v[164:165], v[146:147], -v[160:161]
	;; [unrolled: 1-line block ×4, first 2 shown]
	v_add_f64 v[144:145], v[144:145], v[150:151]
	v_add_f64 v[150:151], v[162:163], v[8:9]
	v_add_f64 v[160:161], v[150:151], -v[162:163]
	v_add_f64 v[144:145], v[150:151], v[144:145]
	v_add_f64 v[164:165], v[150:151], -v[160:161]
	;; [unrolled: 2-line block ×3, first 2 shown]
	v_add_f64 v[8:9], v[8:9], -v[160:161]
	v_add_f64 v[146:147], v[150:151], -v[146:147]
	v_add_f64 v[8:9], v[8:9], v[162:163]
	v_add_f64 v[144:145], v[144:145], -v[146:147]
	s_mov_b32 vcc_lo, 0
	v_add_f64 v[8:9], v[8:9], v[144:145]
	s_mov_b32 vcc_hi, 0x7ff00000
	v_add_f64 v[8:9], v[150:151], v[8:9]
	v_cmp_eq_f64_e32 vcc, vcc, v[4:5]
	v_mov_b32_e32 v53, 0x7ff80000
	s_nop 0
	v_cndmask_b32_e32 v8, v8, v4, vcc
	v_cndmask_b32_e32 v9, v9, v5, vcc
	v_cmp_ngt_f64_e32 vcc, -1.0, v[4:5]
	s_nop 1
	v_cndmask_b32_e32 v9, v53, v9, vcc
	v_cmp_nge_f64_e32 vcc, -1.0, v[4:5]
	v_mov_b32_e32 v53, 0xfff00000
	s_nop 0
	v_cndmask_b32_e32 v8, 0, v8, vcc
	v_cmp_neq_f64_e32 vcc, -1.0, v[4:5]
	s_nop 1
	v_cndmask_b32_e32 v9, v53, v9, vcc
	v_add_f64 v[4:5], v[6:7], v[8:9]
.LBB50_217:
	s_or_b64 exec, exec, s[44:45]
	s_add_i32 s12, s12, 64
	s_mov_b32 s13, 0
	v_lshl_add_u64 v[8:9], s[12:13], 4, v[116:117]
	s_mov_b64 s[12:13], src_shared_base
	v_cmp_ne_u32_e32 vcc, s13, v9
	s_and_saveexec_b64 s[12:13], vcc
	s_xor_b64 s[12:13], exec, s[12:13]
	s_cbranch_execz .LBB50_223
; %bb.218:
	s_mov_b64 vcc, src_private_base
	v_cmp_ne_u32_e32 vcc, vcc_hi, v9
	s_and_saveexec_b64 s[38:39], vcc
	s_xor_b64 vcc, exec, s[38:39]
	s_cbranch_execz .LBB50_220
; %bb.219:
	v_mov_b32_e32 v7, 0
	v_mov_b32_e32 v6, 2
	;;#ASMSTART
	global_store_dwordx4 v[8:9], v[4:7] off sc1	
s_waitcnt vmcnt(0)
	;;#ASMEND
                                        ; implicit-def: $vgpr4_vgpr5
                                        ; implicit-def: $vgpr8_vgpr9
.LBB50_220:
	s_andn2_saveexec_b64 vcc, vcc
	s_cbranch_execz .LBB50_222
; %bb.221:
	v_mov_b32_e32 v7, 0
	v_mov_b32_e32 v6, 2
	;;#ASMSTART
	flat_store_dwordx4 v[8:9], v[4:7] sc1	
s_waitcnt vmcnt(0)
	;;#ASMEND
.LBB50_222:
	s_or_b64 exec, exec, vcc
                                        ; implicit-def: $vgpr8_vgpr9
                                        ; implicit-def: $vgpr4_vgpr5
.LBB50_223:
	s_andn2_saveexec_b64 s[12:13], s[12:13]
	s_cbranch_execz .LBB50_225
; %bb.224:
	v_cmp_ne_u64_e32 vcc, 0, v[8:9]
	v_mov_b32_e32 v7, 0
	v_mov_b32_e32 v6, 2
	v_cndmask_b32_e32 v8, -1, v8, vcc
	;;#ASMSTART
	ds_write_b128 v8, v[4:7] 	
s_waitcnt lgkmcnt(0)
	;;#ASMEND
.LBB50_225:
	s_or_b64 exec, exec, s[40:41]
	s_and_b64 exec, exec, s[36:37]
	s_cbranch_execz .LBB50_227
; %bb.226:
	v_mov_b32_e32 v4, 0
	ds_write_b64 v4, v[148:149]
.LBB50_227:
	s_or_b64 exec, exec, s[48:49]
	v_mov_b32_e32 v4, 0
	s_waitcnt lgkmcnt(0)
	s_barrier
	ds_read_b64 v[4:5], v4
	v_mov_b64_e32 v[6:7], v[0:1]
	s_and_saveexec_b64 s[36:37], s[34:35]
	s_cbranch_execz .LBB50_231
; %bb.228:
	v_max_f64 v[6:7], v[134:135], v[134:135]
	v_min_f64 v[8:9], v[6:7], v[132:133]
	v_cmp_u_f64_e32 vcc, v[134:135], v[134:135]
	v_max_f64 v[6:7], v[6:7], v[132:133]
	s_movk_i32 s12, 0x1f8
	v_cndmask_b32_e32 v8, v8, v134, vcc
	v_cndmask_b32_e32 v9, v9, v135, vcc
	v_cndmask_b32_e32 v6, v6, v134, vcc
	v_cndmask_b32_e32 v7, v7, v135, vcc
	v_cndmask_b32_e64 v9, v9, v1, s[30:31]
	v_cndmask_b32_e64 v8, v8, v0, s[30:31]
	;; [unrolled: 1-line block ×4, first 2 shown]
	v_cmp_neq_f64_e32 vcc, v[8:9], v[6:7]
	v_cmp_class_f64_e64 s[12:13], v[8:9], s12
	s_or_b64 s[12:13], vcc, s[12:13]
	s_and_saveexec_b64 s[30:31], s[12:13]
	s_cbranch_execz .LBB50_230
; %bb.229:
	s_mov_b32 s12, 0x652b82fe
	v_add_f64 v[8:9], v[8:9], -v[6:7]
	s_mov_b32 s13, 0x3ff71547
	v_mul_f64 v[132:133], v[8:9], s[12:13]
	v_rndne_f64_e32 v[132:133], v[132:133]
	s_mov_b32 s35, 0xbfe62e42
	s_mov_b32 s34, 0xfefa39ef
	v_fma_f64 v[134:135], s[34:35], v[132:133], v[8:9]
	s_mov_b32 s39, 0xbc7abc9e
	s_mov_b32 s38, 0x3b39803f
	;; [unrolled: 1-line block ×3, first 2 shown]
	v_fmac_f64_e32 v[134:135], s[38:39], v[132:133]
	v_mov_b32_e32 v144, 0xfca7ab0c
	v_mov_b32_e32 v145, 0x3e928af3
	s_mov_b32 s13, 0x3e5ade15
	v_fmac_f64_e32 v[144:145], s[12:13], v[134:135]
	v_mov_b32_e32 v146, 0x623fde64
	v_mov_b32_e32 v147, 0x3ec71dee
	v_fmac_f64_e32 v[146:147], v[134:135], v[144:145]
	v_mov_b32_e32 v144, 0x7c89e6b0
	v_mov_b32_e32 v145, 0x3efa0199
	;; [unrolled: 3-line block ×8, first 2 shown]
	s_mov_b32 s12, 0
	v_fmac_f64_e32 v[144:145], v[134:135], v[146:147]
	s_mov_b32 s13, 0x40900000
	v_fma_f64 v[144:145], v[134:135], v[144:145], 1.0
	v_cmp_nlt_f64_e32 vcc, s[12:13], v[8:9]
	s_mov_b32 s12, 0
	v_fma_f64 v[134:135], v[134:135], v[144:145], 1.0
	v_cvt_i32_f64_e32 v53, v[132:133]
	s_mov_b32 s13, 0xc090cc00
	v_ldexp_f64 v[132:133], v[134:135], v53
	v_mov_b32_e32 v53, 0x7ff00000
	v_cmp_ngt_f64_e64 s[12:13], s[12:13], v[8:9]
	v_cndmask_b32_e32 v53, v53, v133, vcc
	s_and_b64 vcc, s[12:13], vcc
	v_cndmask_b32_e64 v9, 0, v53, s[12:13]
	v_cndmask_b32_e32 v8, 0, v132, vcc
	v_add_f64 v[132:133], v[8:9], 1.0
	v_add_f64 v[134:135], v[132:133], -1.0
	v_add_f64 v[144:145], v[134:135], -v[132:133]
	v_add_f64 v[144:145], v[144:145], 1.0
	v_add_f64 v[134:135], v[8:9], -v[134:135]
	s_mov_b32 s12, 0x55555555
	v_add_f64 v[134:135], v[134:135], v[144:145]
	v_frexp_mant_f64_e32 v[144:145], v[132:133]
	s_mov_b32 s13, 0x3fe55555
	v_frexp_exp_i32_f64_e32 v53, v[132:133]
	v_cmp_gt_f64_e32 vcc, s[12:13], v[144:145]
	s_mov_b32 s12, 0xbf559e2b
	s_mov_b32 s13, 0x3fc3ab76
	v_subbrev_co_u32_e32 v53, vcc, 0, v53, vcc
	v_sub_u32_e32 v71, 0, v53
	v_ldexp_f64 v[132:133], v[132:133], v71
	v_add_f64 v[144:145], v[132:133], -1.0
	v_add_f64 v[150:151], v[132:133], 1.0
	v_add_f64 v[146:147], v[144:145], 1.0
	v_add_f64 v[160:161], v[150:151], -1.0
	v_ldexp_f64 v[134:135], v[134:135], v71
	v_add_f64 v[146:147], v[132:133], -v[146:147]
	v_add_f64 v[132:133], v[132:133], -v[160:161]
	v_add_f64 v[132:133], v[134:135], v[132:133]
	v_add_f64 v[146:147], v[134:135], v[146:147]
	;; [unrolled: 1-line block ×3, first 2 shown]
	v_rcp_f64_e32 v[160:161], v[134:135]
	v_add_f64 v[148:149], v[144:145], v[146:147]
	v_add_f64 v[144:145], v[148:149], -v[144:145]
	v_add_f64 v[144:145], v[146:147], -v[144:145]
	;; [unrolled: 1-line block ×4, first 2 shown]
	v_fma_f64 v[146:147], -v[134:135], v[160:161], 1.0
	v_fmac_f64_e32 v[160:161], v[146:147], v[160:161]
	v_fma_f64 v[146:147], -v[134:135], v[160:161], 1.0
	v_fmac_f64_e32 v[160:161], v[146:147], v[160:161]
	v_mul_f64 v[146:147], v[148:149], v[160:161]
	v_mul_f64 v[150:151], v[134:135], v[146:147]
	v_fma_f64 v[162:163], v[146:147], v[134:135], -v[150:151]
	v_fmac_f64_e32 v[162:163], v[146:147], v[132:133]
	v_add_f64 v[164:165], v[150:151], v[162:163]
	v_add_f64 v[166:167], v[148:149], -v[164:165]
	v_add_f64 v[148:149], v[148:149], -v[166:167]
	;; [unrolled: 1-line block ×4, first 2 shown]
	v_add_f64 v[144:145], v[144:145], v[148:149]
	v_add_f64 v[148:149], v[150:151], -v[162:163]
	v_add_f64 v[144:145], v[148:149], v[144:145]
	v_add_f64 v[148:149], v[166:167], v[144:145]
	v_add_f64 v[150:151], v[166:167], -v[148:149]
	v_add_f64 v[144:145], v[144:145], v[150:151]
	v_mul_f64 v[150:151], v[160:161], v[148:149]
	v_mul_f64 v[162:163], v[134:135], v[150:151]
	v_fma_f64 v[134:135], v[150:151], v[134:135], -v[162:163]
	v_fmac_f64_e32 v[134:135], v[150:151], v[132:133]
	v_add_f64 v[132:133], v[162:163], v[134:135]
	v_add_f64 v[164:165], v[148:149], -v[132:133]
	v_add_f64 v[148:149], v[148:149], -v[164:165]
	v_add_f64 v[162:163], v[132:133], -v[162:163]
	v_add_f64 v[132:133], v[148:149], -v[132:133]
	v_add_f64 v[132:133], v[144:145], v[132:133]
	v_add_f64 v[134:135], v[162:163], -v[134:135]
	v_add_f64 v[132:133], v[134:135], v[132:133]
	v_add_f64 v[134:135], v[146:147], v[150:151]
	;; [unrolled: 1-line block ×3, first 2 shown]
	v_add_f64 v[144:145], v[134:135], -v[146:147]
	v_mul_f64 v[132:133], v[160:161], v[132:133]
	v_add_f64 v[144:145], v[150:151], -v[144:145]
	v_add_f64 v[132:133], v[144:145], v[132:133]
	v_add_f64 v[144:145], v[134:135], v[132:133]
	v_add_f64 v[134:135], v[144:145], -v[134:135]
	v_add_f64 v[132:133], v[132:133], -v[134:135]
	v_mul_f64 v[134:135], v[144:145], v[144:145]
	v_mov_b32_e32 v146, 0x6b47b09a
	v_mov_b32_e32 v147, 0x3fc38538
	v_fmac_f64_e32 v[146:147], s[12:13], v[134:135]
	v_mov_b32_e32 v148, 0xd7f4df2e
	v_mov_b32_e32 v149, 0x3fc7474d
	v_fmac_f64_e32 v[148:149], v[134:135], v[146:147]
	;; [unrolled: 3-line block ×6, first 2 shown]
	v_cvt_f64_i32_e32 v[146:147], v53
	s_mov_b32 s35, 0x3fe62e42
	v_mul_f64 v[150:151], v[146:147], s[34:35]
	v_fma_f64 v[160:161], v[146:147], s[34:35], -v[150:151]
	s_mov_b32 s39, 0x3c7abc9e
	v_fmac_f64_e32 v[160:161], s[38:39], v[146:147]
	v_add_f64 v[146:147], v[150:151], v[160:161]
	v_add_f64 v[150:151], v[146:147], -v[150:151]
	v_mul_f64 v[134:135], v[144:145], v[134:135]
	v_add_f64 v[150:151], v[160:161], -v[150:151]
	v_ldexp_f64 v[160:161], v[144:145], 1
	v_mul_f64 v[134:135], v[134:135], v[148:149]
	v_add_f64 v[144:145], v[160:161], v[134:135]
	v_add_f64 v[148:149], v[144:145], -v[160:161]
	v_ldexp_f64 v[132:133], v[132:133], 1
	v_add_f64 v[134:135], v[134:135], -v[148:149]
	v_add_f64 v[132:133], v[132:133], v[134:135]
	v_add_f64 v[134:135], v[144:145], v[132:133]
	v_add_f64 v[144:145], v[134:135], -v[144:145]
	v_add_f64 v[132:133], v[132:133], -v[144:145]
	v_add_f64 v[144:145], v[146:147], v[134:135]
	v_add_f64 v[148:149], v[144:145], -v[146:147]
	v_add_f64 v[160:161], v[144:145], -v[148:149]
	;; [unrolled: 1-line block ×4, first 2 shown]
	v_add_f64 v[134:135], v[134:135], v[146:147]
	v_add_f64 v[146:147], v[150:151], v[132:133]
	v_add_f64 v[148:149], v[146:147], -v[150:151]
	v_add_f64 v[134:135], v[146:147], v[134:135]
	v_add_f64 v[160:161], v[146:147], -v[148:149]
	;; [unrolled: 2-line block ×3, first 2 shown]
	v_add_f64 v[132:133], v[132:133], -v[148:149]
	v_add_f64 v[144:145], v[146:147], -v[144:145]
	v_add_f64 v[132:133], v[132:133], v[150:151]
	v_add_f64 v[134:135], v[134:135], -v[144:145]
	s_mov_b32 s12, 0
	v_add_f64 v[132:133], v[132:133], v[134:135]
	s_mov_b32 s13, 0x7ff00000
	v_add_f64 v[132:133], v[146:147], v[132:133]
	v_cmp_eq_f64_e32 vcc, s[12:13], v[8:9]
	s_nop 1
	v_cndmask_b32_e32 v53, v132, v8, vcc
	v_cndmask_b32_e32 v71, v133, v9, vcc
	v_mov_b32_e32 v132, 0x7ff80000
	v_cmp_ngt_f64_e32 vcc, -1.0, v[8:9]
	s_nop 1
	v_cndmask_b32_e32 v71, v132, v71, vcc
	v_cmp_nge_f64_e32 vcc, -1.0, v[8:9]
	s_nop 1
	v_cndmask_b32_e32 v132, 0, v53, vcc
	v_mov_b32_e32 v53, 0xfff00000
	v_cmp_neq_f64_e32 vcc, -1.0, v[8:9]
	s_nop 1
	v_cndmask_b32_e32 v133, v53, v71, vcc
	v_add_f64 v[134:135], v[6:7], v[132:133]
.LBB50_230:
	s_or_b64 exec, exec, s[30:31]
	v_mov_b64_e32 v[6:7], v[134:135]
.LBB50_231:
	s_or_b64 exec, exec, s[36:37]
	v_max_f64 v[132:133], v[6:7], v[6:7]
	s_waitcnt lgkmcnt(0)
	v_max_f64 v[134:135], v[4:5], v[4:5]
	v_min_f64 v[8:9], v[134:135], v[132:133]
	v_cmp_u_f64_e32 vcc, v[4:5], v[4:5]
	v_max_f64 v[132:133], v[134:135], v[132:133]
	v_cmp_u_f64_e64 s[12:13], v[6:7], v[6:7]
	v_cndmask_b32_e32 v8, v8, v4, vcc
	v_cndmask_b32_e32 v9, v9, v5, vcc
	;; [unrolled: 1-line block ×4, first 2 shown]
	v_cndmask_b32_e64 v9, v9, v7, s[12:13]
	v_cndmask_b32_e64 v8, v8, v6, s[12:13]
	v_cndmask_b32_e64 v7, v71, v7, s[12:13]
	v_cndmask_b32_e64 v6, v53, v6, s[12:13]
	s_movk_i32 s38, 0x1f8
	v_cmp_neq_f64_e32 vcc, v[8:9], v[6:7]
	v_cmp_class_f64_e64 s[12:13], v[8:9], s38
	s_or_b64 s[12:13], vcc, s[12:13]
	s_and_saveexec_b64 s[30:31], s[12:13]
	s_cbranch_execz .LBB50_233
; %bb.232:
	s_mov_b32 s12, 0x652b82fe
	v_add_f64 v[4:5], v[8:9], -v[6:7]
	s_mov_b32 s13, 0x3ff71547
	v_mul_f64 v[8:9], v[4:5], s[12:13]
	v_rndne_f64_e32 v[8:9], v[8:9]
	s_mov_b32 s35, 0xbfe62e42
	s_mov_b32 s34, 0xfefa39ef
	v_fma_f64 v[132:133], s[34:35], v[8:9], v[4:5]
	s_mov_b32 s37, 0xbc7abc9e
	s_mov_b32 s36, 0x3b39803f
	;; [unrolled: 1-line block ×3, first 2 shown]
	v_fmac_f64_e32 v[132:133], s[36:37], v[8:9]
	v_mov_b32_e32 v134, 0xfca7ab0c
	v_mov_b32_e32 v135, 0x3e928af3
	s_mov_b32 s13, 0x3e5ade15
	v_fmac_f64_e32 v[134:135], s[12:13], v[132:133]
	v_mov_b32_e32 v144, 0x623fde64
	v_mov_b32_e32 v145, 0x3ec71dee
	v_fmac_f64_e32 v[144:145], v[132:133], v[134:135]
	v_mov_b32_e32 v134, 0x7c89e6b0
	v_mov_b32_e32 v135, 0x3efa0199
	;; [unrolled: 3-line block ×8, first 2 shown]
	s_mov_b32 s12, 0
	v_fmac_f64_e32 v[134:135], v[132:133], v[144:145]
	s_mov_b32 s13, 0x40900000
	v_fma_f64 v[134:135], v[132:133], v[134:135], 1.0
	v_cmp_nlt_f64_e32 vcc, s[12:13], v[4:5]
	s_mov_b32 s12, 0
	v_fma_f64 v[132:133], v[132:133], v[134:135], 1.0
	v_cvt_i32_f64_e32 v8, v[8:9]
	s_mov_b32 s13, 0xc090cc00
	v_ldexp_f64 v[8:9], v[132:133], v8
	v_mov_b32_e32 v53, 0x7ff00000
	v_cmp_ngt_f64_e64 s[12:13], s[12:13], v[4:5]
	v_cndmask_b32_e32 v9, v53, v9, vcc
	s_and_b64 vcc, s[12:13], vcc
	v_cndmask_b32_e64 v5, 0, v9, s[12:13]
	v_cndmask_b32_e32 v4, 0, v8, vcc
	v_add_f64 v[8:9], v[4:5], 1.0
	v_add_f64 v[132:133], v[8:9], -1.0
	v_add_f64 v[134:135], v[132:133], -v[8:9]
	v_add_f64 v[134:135], v[134:135], 1.0
	v_add_f64 v[132:133], v[4:5], -v[132:133]
	s_mov_b32 s12, 0x55555555
	v_add_f64 v[132:133], v[132:133], v[134:135]
	v_frexp_mant_f64_e32 v[134:135], v[8:9]
	s_mov_b32 s13, 0x3fe55555
	v_frexp_exp_i32_f64_e32 v53, v[8:9]
	v_cmp_gt_f64_e32 vcc, s[12:13], v[134:135]
	s_mov_b32 s12, 0xbf559e2b
	s_mov_b32 s13, 0x3fc3ab76
	v_subbrev_co_u32_e32 v53, vcc, 0, v53, vcc
	v_sub_u32_e32 v71, 0, v53
	v_ldexp_f64 v[8:9], v[8:9], v71
	v_add_f64 v[134:135], v[8:9], -1.0
	v_add_f64 v[148:149], v[8:9], 1.0
	v_add_f64 v[144:145], v[134:135], 1.0
	v_add_f64 v[150:151], v[148:149], -1.0
	v_ldexp_f64 v[132:133], v[132:133], v71
	v_add_f64 v[144:145], v[8:9], -v[144:145]
	v_add_f64 v[8:9], v[8:9], -v[150:151]
	v_add_f64 v[8:9], v[132:133], v[8:9]
	v_add_f64 v[144:145], v[132:133], v[144:145]
	;; [unrolled: 1-line block ×3, first 2 shown]
	v_rcp_f64_e32 v[150:151], v[132:133]
	v_add_f64 v[146:147], v[134:135], v[144:145]
	v_add_f64 v[134:135], v[146:147], -v[134:135]
	v_add_f64 v[134:135], v[144:145], -v[134:135]
	;; [unrolled: 1-line block ×4, first 2 shown]
	v_fma_f64 v[144:145], -v[132:133], v[150:151], 1.0
	v_fmac_f64_e32 v[150:151], v[144:145], v[150:151]
	v_fma_f64 v[144:145], -v[132:133], v[150:151], 1.0
	v_fmac_f64_e32 v[150:151], v[144:145], v[150:151]
	v_mul_f64 v[144:145], v[146:147], v[150:151]
	v_mul_f64 v[148:149], v[132:133], v[144:145]
	v_fma_f64 v[160:161], v[144:145], v[132:133], -v[148:149]
	v_fmac_f64_e32 v[160:161], v[144:145], v[8:9]
	v_add_f64 v[162:163], v[148:149], v[160:161]
	v_add_f64 v[164:165], v[146:147], -v[162:163]
	v_add_f64 v[146:147], v[146:147], -v[164:165]
	v_add_f64 v[148:149], v[162:163], -v[148:149]
	v_add_f64 v[146:147], v[146:147], -v[162:163]
	v_add_f64 v[134:135], v[134:135], v[146:147]
	v_add_f64 v[146:147], v[148:149], -v[160:161]
	v_add_f64 v[134:135], v[146:147], v[134:135]
	v_add_f64 v[146:147], v[164:165], v[134:135]
	v_add_f64 v[148:149], v[164:165], -v[146:147]
	v_add_f64 v[134:135], v[134:135], v[148:149]
	v_mul_f64 v[148:149], v[150:151], v[146:147]
	v_mul_f64 v[160:161], v[132:133], v[148:149]
	v_fma_f64 v[132:133], v[148:149], v[132:133], -v[160:161]
	v_fmac_f64_e32 v[132:133], v[148:149], v[8:9]
	v_add_f64 v[8:9], v[160:161], v[132:133]
	v_add_f64 v[162:163], v[146:147], -v[8:9]
	v_add_f64 v[146:147], v[146:147], -v[162:163]
	;; [unrolled: 1-line block ×4, first 2 shown]
	v_add_f64 v[8:9], v[134:135], v[8:9]
	v_add_f64 v[132:133], v[160:161], -v[132:133]
	v_add_f64 v[8:9], v[132:133], v[8:9]
	v_add_f64 v[132:133], v[144:145], v[148:149]
	;; [unrolled: 1-line block ×3, first 2 shown]
	v_add_f64 v[134:135], v[132:133], -v[144:145]
	v_mul_f64 v[8:9], v[150:151], v[8:9]
	v_add_f64 v[134:135], v[148:149], -v[134:135]
	v_add_f64 v[8:9], v[134:135], v[8:9]
	v_add_f64 v[134:135], v[132:133], v[8:9]
	v_add_f64 v[132:133], v[134:135], -v[132:133]
	v_add_f64 v[8:9], v[8:9], -v[132:133]
	v_mul_f64 v[132:133], v[134:135], v[134:135]
	v_mov_b32_e32 v144, 0x6b47b09a
	v_mov_b32_e32 v145, 0x3fc38538
	v_fmac_f64_e32 v[144:145], s[12:13], v[132:133]
	v_mov_b32_e32 v146, 0xd7f4df2e
	v_mov_b32_e32 v147, 0x3fc7474d
	v_fmac_f64_e32 v[146:147], v[132:133], v[144:145]
	;; [unrolled: 3-line block ×6, first 2 shown]
	v_cvt_f64_i32_e32 v[144:145], v53
	s_mov_b32 s35, 0x3fe62e42
	v_mul_f64 v[148:149], v[144:145], s[34:35]
	v_fma_f64 v[150:151], v[144:145], s[34:35], -v[148:149]
	s_mov_b32 s37, 0x3c7abc9e
	v_fmac_f64_e32 v[150:151], s[36:37], v[144:145]
	v_add_f64 v[144:145], v[148:149], v[150:151]
	v_add_f64 v[148:149], v[144:145], -v[148:149]
	v_mul_f64 v[132:133], v[134:135], v[132:133]
	v_add_f64 v[148:149], v[150:151], -v[148:149]
	v_ldexp_f64 v[150:151], v[134:135], 1
	v_mul_f64 v[132:133], v[132:133], v[146:147]
	v_add_f64 v[134:135], v[150:151], v[132:133]
	v_add_f64 v[146:147], v[134:135], -v[150:151]
	v_ldexp_f64 v[8:9], v[8:9], 1
	v_add_f64 v[132:133], v[132:133], -v[146:147]
	v_add_f64 v[8:9], v[8:9], v[132:133]
	v_add_f64 v[132:133], v[134:135], v[8:9]
	v_add_f64 v[134:135], v[132:133], -v[134:135]
	v_add_f64 v[8:9], v[8:9], -v[134:135]
	v_add_f64 v[134:135], v[144:145], v[132:133]
	v_add_f64 v[146:147], v[134:135], -v[144:145]
	v_add_f64 v[150:151], v[134:135], -v[146:147]
	;; [unrolled: 1-line block ×4, first 2 shown]
	v_add_f64 v[132:133], v[132:133], v[144:145]
	v_add_f64 v[144:145], v[148:149], v[8:9]
	v_add_f64 v[146:147], v[144:145], -v[148:149]
	v_add_f64 v[132:133], v[144:145], v[132:133]
	v_add_f64 v[150:151], v[144:145], -v[146:147]
	;; [unrolled: 2-line block ×3, first 2 shown]
	v_add_f64 v[8:9], v[8:9], -v[146:147]
	v_add_f64 v[134:135], v[144:145], -v[134:135]
	v_add_f64 v[8:9], v[8:9], v[148:149]
	v_add_f64 v[132:133], v[132:133], -v[134:135]
	s_mov_b32 s12, 0
	v_add_f64 v[8:9], v[8:9], v[132:133]
	s_mov_b32 s13, 0x7ff00000
	v_add_f64 v[8:9], v[144:145], v[8:9]
	v_cmp_eq_f64_e32 vcc, s[12:13], v[4:5]
	v_mov_b32_e32 v53, 0x7ff80000
	s_nop 0
	v_cndmask_b32_e32 v8, v8, v4, vcc
	v_cndmask_b32_e32 v9, v9, v5, vcc
	v_cmp_ngt_f64_e32 vcc, -1.0, v[4:5]
	s_nop 1
	v_cndmask_b32_e32 v9, v53, v9, vcc
	v_cmp_nge_f64_e32 vcc, -1.0, v[4:5]
	v_mov_b32_e32 v53, 0xfff00000
	s_nop 0
	v_cndmask_b32_e32 v8, 0, v8, vcc
	v_cmp_neq_f64_e32 vcc, -1.0, v[4:5]
	s_nop 1
	v_cndmask_b32_e32 v9, v53, v9, vcc
	v_add_f64 v[4:5], v[6:7], v[8:9]
.LBB50_233:
	s_or_b64 exec, exec, s[30:31]
	v_max_f64 v[6:7], v[4:5], v[4:5]
	v_min_f64 v[8:9], v[6:7], v[130:131]
	v_cmp_u_f64_e32 vcc, v[4:5], v[4:5]
	v_max_f64 v[6:7], v[6:7], v[130:131]
	s_nop 0
	v_cndmask_b32_e32 v8, v8, v4, vcc
	v_cndmask_b32_e32 v9, v9, v5, vcc
	;; [unrolled: 1-line block ×4, first 2 shown]
	v_cndmask_b32_e64 v133, v9, v3, s[2:3]
	v_cndmask_b32_e64 v132, v8, v2, s[2:3]
	v_cndmask_b32_e64 v9, v7, v3, s[2:3]
	v_cndmask_b32_e64 v8, v6, v2, s[2:3]
	v_cmp_neq_f64_e32 vcc, v[132:133], v[8:9]
	v_cmp_class_f64_e64 s[2:3], v[132:133], s38
	s_or_b64 s[2:3], vcc, s[2:3]
	v_mov_b64_e32 v[6:7], v[4:5]
	s_and_saveexec_b64 s[12:13], s[2:3]
	s_cbranch_execz .LBB50_235
; %bb.234:
	s_mov_b32 s2, 0x652b82fe
	v_add_f64 v[6:7], v[132:133], -v[8:9]
	s_mov_b32 s3, 0x3ff71547
	v_mul_f64 v[132:133], v[6:7], s[2:3]
	v_rndne_f64_e32 v[132:133], v[132:133]
	s_mov_b32 s31, 0xbfe62e42
	s_mov_b32 s30, 0xfefa39ef
	v_fma_f64 v[134:135], s[30:31], v[132:133], v[6:7]
	s_mov_b32 s35, 0xbc7abc9e
	s_mov_b32 s34, 0x3b39803f
	;; [unrolled: 1-line block ×3, first 2 shown]
	v_fmac_f64_e32 v[134:135], s[34:35], v[132:133]
	v_mov_b32_e32 v144, 0xfca7ab0c
	v_mov_b32_e32 v145, 0x3e928af3
	s_mov_b32 s3, 0x3e5ade15
	v_fmac_f64_e32 v[144:145], s[2:3], v[134:135]
	v_mov_b32_e32 v146, 0x623fde64
	v_mov_b32_e32 v147, 0x3ec71dee
	v_fmac_f64_e32 v[146:147], v[134:135], v[144:145]
	v_mov_b32_e32 v144, 0x7c89e6b0
	v_mov_b32_e32 v145, 0x3efa0199
	;; [unrolled: 3-line block ×8, first 2 shown]
	s_mov_b32 s2, 0
	v_fmac_f64_e32 v[144:145], v[134:135], v[146:147]
	s_mov_b32 s3, 0x40900000
	v_fma_f64 v[144:145], v[134:135], v[144:145], 1.0
	v_cmp_nlt_f64_e32 vcc, s[2:3], v[6:7]
	s_mov_b32 s2, 0
	v_fma_f64 v[134:135], v[134:135], v[144:145], 1.0
	v_cvt_i32_f64_e32 v53, v[132:133]
	s_mov_b32 s3, 0xc090cc00
	v_ldexp_f64 v[132:133], v[134:135], v53
	v_mov_b32_e32 v53, 0x7ff00000
	v_cmp_ngt_f64_e64 s[2:3], s[2:3], v[6:7]
	v_cndmask_b32_e32 v53, v53, v133, vcc
	s_and_b64 vcc, s[2:3], vcc
	v_cndmask_b32_e64 v7, 0, v53, s[2:3]
	v_cndmask_b32_e32 v6, 0, v132, vcc
	v_add_f64 v[132:133], v[6:7], 1.0
	v_add_f64 v[134:135], v[132:133], -1.0
	v_add_f64 v[144:145], v[134:135], -v[132:133]
	v_add_f64 v[144:145], v[144:145], 1.0
	v_add_f64 v[134:135], v[6:7], -v[134:135]
	s_mov_b32 s2, 0x55555555
	v_add_f64 v[134:135], v[134:135], v[144:145]
	v_frexp_mant_f64_e32 v[144:145], v[132:133]
	s_mov_b32 s3, 0x3fe55555
	v_frexp_exp_i32_f64_e32 v53, v[132:133]
	v_cmp_gt_f64_e32 vcc, s[2:3], v[144:145]
	s_mov_b32 s2, 0xbf559e2b
	s_mov_b32 s3, 0x3fc3ab76
	v_subbrev_co_u32_e32 v53, vcc, 0, v53, vcc
	v_sub_u32_e32 v71, 0, v53
	v_ldexp_f64 v[132:133], v[132:133], v71
	v_add_f64 v[144:145], v[132:133], -1.0
	v_add_f64 v[150:151], v[132:133], 1.0
	v_add_f64 v[146:147], v[144:145], 1.0
	v_add_f64 v[160:161], v[150:151], -1.0
	v_ldexp_f64 v[134:135], v[134:135], v71
	v_add_f64 v[146:147], v[132:133], -v[146:147]
	v_add_f64 v[132:133], v[132:133], -v[160:161]
	v_add_f64 v[132:133], v[134:135], v[132:133]
	v_add_f64 v[146:147], v[134:135], v[146:147]
	;; [unrolled: 1-line block ×3, first 2 shown]
	v_rcp_f64_e32 v[160:161], v[134:135]
	v_add_f64 v[148:149], v[144:145], v[146:147]
	v_add_f64 v[144:145], v[148:149], -v[144:145]
	v_add_f64 v[144:145], v[146:147], -v[144:145]
	;; [unrolled: 1-line block ×4, first 2 shown]
	v_fma_f64 v[146:147], -v[134:135], v[160:161], 1.0
	v_fmac_f64_e32 v[160:161], v[146:147], v[160:161]
	v_fma_f64 v[146:147], -v[134:135], v[160:161], 1.0
	v_fmac_f64_e32 v[160:161], v[146:147], v[160:161]
	v_mul_f64 v[146:147], v[148:149], v[160:161]
	v_mul_f64 v[150:151], v[134:135], v[146:147]
	v_fma_f64 v[162:163], v[146:147], v[134:135], -v[150:151]
	v_fmac_f64_e32 v[162:163], v[146:147], v[132:133]
	v_add_f64 v[164:165], v[150:151], v[162:163]
	v_add_f64 v[166:167], v[148:149], -v[164:165]
	v_add_f64 v[148:149], v[148:149], -v[166:167]
	;; [unrolled: 1-line block ×4, first 2 shown]
	v_add_f64 v[144:145], v[144:145], v[148:149]
	v_add_f64 v[148:149], v[150:151], -v[162:163]
	v_add_f64 v[144:145], v[148:149], v[144:145]
	v_add_f64 v[148:149], v[166:167], v[144:145]
	v_add_f64 v[150:151], v[166:167], -v[148:149]
	v_add_f64 v[144:145], v[144:145], v[150:151]
	v_mul_f64 v[150:151], v[160:161], v[148:149]
	v_mul_f64 v[162:163], v[134:135], v[150:151]
	v_fma_f64 v[134:135], v[150:151], v[134:135], -v[162:163]
	v_fmac_f64_e32 v[134:135], v[150:151], v[132:133]
	v_add_f64 v[132:133], v[162:163], v[134:135]
	v_add_f64 v[164:165], v[148:149], -v[132:133]
	v_add_f64 v[148:149], v[148:149], -v[164:165]
	;; [unrolled: 1-line block ×4, first 2 shown]
	v_add_f64 v[132:133], v[144:145], v[132:133]
	v_add_f64 v[134:135], v[162:163], -v[134:135]
	v_add_f64 v[132:133], v[134:135], v[132:133]
	v_add_f64 v[134:135], v[146:147], v[150:151]
	;; [unrolled: 1-line block ×3, first 2 shown]
	v_add_f64 v[144:145], v[134:135], -v[146:147]
	v_mul_f64 v[132:133], v[160:161], v[132:133]
	v_add_f64 v[144:145], v[150:151], -v[144:145]
	v_add_f64 v[132:133], v[144:145], v[132:133]
	v_add_f64 v[144:145], v[134:135], v[132:133]
	v_add_f64 v[134:135], v[144:145], -v[134:135]
	v_add_f64 v[132:133], v[132:133], -v[134:135]
	v_mul_f64 v[134:135], v[144:145], v[144:145]
	v_mov_b32_e32 v146, 0x6b47b09a
	v_mov_b32_e32 v147, 0x3fc38538
	v_fmac_f64_e32 v[146:147], s[2:3], v[134:135]
	v_mov_b32_e32 v148, 0xd7f4df2e
	v_mov_b32_e32 v149, 0x3fc7474d
	v_fmac_f64_e32 v[148:149], v[134:135], v[146:147]
	;; [unrolled: 3-line block ×6, first 2 shown]
	v_cvt_f64_i32_e32 v[146:147], v53
	s_mov_b32 s31, 0x3fe62e42
	v_mul_f64 v[150:151], v[146:147], s[30:31]
	v_fma_f64 v[160:161], v[146:147], s[30:31], -v[150:151]
	s_mov_b32 s35, 0x3c7abc9e
	v_fmac_f64_e32 v[160:161], s[34:35], v[146:147]
	v_add_f64 v[146:147], v[150:151], v[160:161]
	v_add_f64 v[150:151], v[146:147], -v[150:151]
	v_mul_f64 v[134:135], v[144:145], v[134:135]
	v_add_f64 v[150:151], v[160:161], -v[150:151]
	v_ldexp_f64 v[160:161], v[144:145], 1
	v_mul_f64 v[134:135], v[134:135], v[148:149]
	v_add_f64 v[144:145], v[160:161], v[134:135]
	v_add_f64 v[148:149], v[144:145], -v[160:161]
	v_ldexp_f64 v[132:133], v[132:133], 1
	v_add_f64 v[134:135], v[134:135], -v[148:149]
	v_add_f64 v[132:133], v[132:133], v[134:135]
	v_add_f64 v[134:135], v[144:145], v[132:133]
	v_add_f64 v[144:145], v[134:135], -v[144:145]
	v_add_f64 v[132:133], v[132:133], -v[144:145]
	v_add_f64 v[144:145], v[146:147], v[134:135]
	v_add_f64 v[148:149], v[144:145], -v[146:147]
	v_add_f64 v[160:161], v[144:145], -v[148:149]
	;; [unrolled: 1-line block ×4, first 2 shown]
	v_add_f64 v[134:135], v[134:135], v[146:147]
	v_add_f64 v[146:147], v[150:151], v[132:133]
	v_add_f64 v[148:149], v[146:147], -v[150:151]
	v_add_f64 v[134:135], v[146:147], v[134:135]
	v_add_f64 v[160:161], v[146:147], -v[148:149]
	;; [unrolled: 2-line block ×3, first 2 shown]
	v_add_f64 v[132:133], v[132:133], -v[148:149]
	v_add_f64 v[144:145], v[146:147], -v[144:145]
	v_add_f64 v[132:133], v[132:133], v[150:151]
	v_add_f64 v[134:135], v[134:135], -v[144:145]
	s_mov_b32 s2, 0
	v_add_f64 v[132:133], v[132:133], v[134:135]
	s_mov_b32 s3, 0x7ff00000
	v_add_f64 v[132:133], v[146:147], v[132:133]
	v_cmp_eq_f64_e32 vcc, s[2:3], v[6:7]
	s_nop 1
	v_cndmask_b32_e32 v53, v132, v6, vcc
	v_cndmask_b32_e32 v71, v133, v7, vcc
	v_mov_b32_e32 v132, 0x7ff80000
	v_cmp_ngt_f64_e32 vcc, -1.0, v[6:7]
	s_nop 1
	v_cndmask_b32_e32 v71, v132, v71, vcc
	v_cmp_nge_f64_e32 vcc, -1.0, v[6:7]
	s_nop 1
	v_cndmask_b32_e32 v132, 0, v53, vcc
	v_mov_b32_e32 v53, 0xfff00000
	v_cmp_neq_f64_e32 vcc, -1.0, v[6:7]
	s_nop 1
	v_cndmask_b32_e32 v133, v53, v71, vcc
	v_add_f64 v[6:7], v[8:9], v[132:133]
.LBB50_235:
	s_or_b64 exec, exec, s[12:13]
	v_max_f64 v[8:9], v[6:7], v[6:7]
	v_min_f64 v[132:133], v[8:9], v[10:11]
	v_cmp_u_f64_e32 vcc, v[6:7], v[6:7]
	v_max_f64 v[8:9], v[8:9], v[10:11]
	s_movk_i32 s34, 0x1f8
	v_cndmask_b32_e32 v53, v132, v6, vcc
	v_cndmask_b32_e32 v71, v133, v7, vcc
	v_cndmask_b32_e32 v8, v8, v6, vcc
	v_cndmask_b32_e32 v9, v9, v7, vcc
	v_cndmask_b32_e64 v133, v71, v113, s[4:5]
	v_cndmask_b32_e64 v132, v53, v112, s[4:5]
	;; [unrolled: 1-line block ×4, first 2 shown]
	v_cmp_neq_f64_e32 vcc, v[132:133], v[10:11]
	v_cmp_class_f64_e64 s[2:3], v[132:133], s34
	s_or_b64 s[2:3], vcc, s[2:3]
	v_mov_b64_e32 v[8:9], v[6:7]
	s_and_saveexec_b64 s[4:5], s[2:3]
	s_cbranch_execz .LBB50_237
; %bb.236:
	s_mov_b32 s2, 0x652b82fe
	v_add_f64 v[8:9], v[132:133], -v[10:11]
	s_mov_b32 s3, 0x3ff71547
	v_mul_f64 v[132:133], v[8:9], s[2:3]
	v_rndne_f64_e32 v[132:133], v[132:133]
	s_mov_b32 s13, 0xbfe62e42
	s_mov_b32 s12, 0xfefa39ef
	v_fma_f64 v[134:135], s[12:13], v[132:133], v[8:9]
	s_mov_b32 s31, 0xbc7abc9e
	s_mov_b32 s30, 0x3b39803f
	;; [unrolled: 1-line block ×3, first 2 shown]
	v_fmac_f64_e32 v[134:135], s[30:31], v[132:133]
	v_mov_b32_e32 v144, 0xfca7ab0c
	v_mov_b32_e32 v145, 0x3e928af3
	s_mov_b32 s3, 0x3e5ade15
	v_fmac_f64_e32 v[144:145], s[2:3], v[134:135]
	v_mov_b32_e32 v146, 0x623fde64
	v_mov_b32_e32 v147, 0x3ec71dee
	v_fmac_f64_e32 v[146:147], v[134:135], v[144:145]
	v_mov_b32_e32 v144, 0x7c89e6b0
	v_mov_b32_e32 v145, 0x3efa0199
	;; [unrolled: 3-line block ×8, first 2 shown]
	s_mov_b32 s2, 0
	v_fmac_f64_e32 v[144:145], v[134:135], v[146:147]
	s_mov_b32 s3, 0x40900000
	v_fma_f64 v[144:145], v[134:135], v[144:145], 1.0
	v_cmp_nlt_f64_e32 vcc, s[2:3], v[8:9]
	s_mov_b32 s2, 0
	v_fma_f64 v[134:135], v[134:135], v[144:145], 1.0
	v_cvt_i32_f64_e32 v53, v[132:133]
	s_mov_b32 s3, 0xc090cc00
	v_ldexp_f64 v[132:133], v[134:135], v53
	v_mov_b32_e32 v53, 0x7ff00000
	v_cmp_ngt_f64_e64 s[2:3], s[2:3], v[8:9]
	v_cndmask_b32_e32 v53, v53, v133, vcc
	s_and_b64 vcc, s[2:3], vcc
	v_cndmask_b32_e64 v9, 0, v53, s[2:3]
	v_cndmask_b32_e32 v8, 0, v132, vcc
	v_add_f64 v[132:133], v[8:9], 1.0
	v_add_f64 v[134:135], v[132:133], -1.0
	v_add_f64 v[144:145], v[134:135], -v[132:133]
	v_add_f64 v[144:145], v[144:145], 1.0
	v_add_f64 v[134:135], v[8:9], -v[134:135]
	s_mov_b32 s2, 0x55555555
	v_add_f64 v[134:135], v[134:135], v[144:145]
	v_frexp_mant_f64_e32 v[144:145], v[132:133]
	s_mov_b32 s3, 0x3fe55555
	v_frexp_exp_i32_f64_e32 v53, v[132:133]
	v_cmp_gt_f64_e32 vcc, s[2:3], v[144:145]
	s_mov_b32 s2, 0xbf559e2b
	s_mov_b32 s3, 0x3fc3ab76
	v_subbrev_co_u32_e32 v53, vcc, 0, v53, vcc
	v_sub_u32_e32 v71, 0, v53
	v_ldexp_f64 v[132:133], v[132:133], v71
	v_add_f64 v[144:145], v[132:133], -1.0
	v_add_f64 v[150:151], v[132:133], 1.0
	v_add_f64 v[146:147], v[144:145], 1.0
	v_add_f64 v[160:161], v[150:151], -1.0
	v_ldexp_f64 v[134:135], v[134:135], v71
	v_add_f64 v[146:147], v[132:133], -v[146:147]
	v_add_f64 v[132:133], v[132:133], -v[160:161]
	v_add_f64 v[132:133], v[134:135], v[132:133]
	v_add_f64 v[146:147], v[134:135], v[146:147]
	;; [unrolled: 1-line block ×3, first 2 shown]
	v_rcp_f64_e32 v[160:161], v[134:135]
	v_add_f64 v[148:149], v[144:145], v[146:147]
	v_add_f64 v[144:145], v[148:149], -v[144:145]
	v_add_f64 v[144:145], v[146:147], -v[144:145]
	;; [unrolled: 1-line block ×4, first 2 shown]
	v_fma_f64 v[146:147], -v[134:135], v[160:161], 1.0
	v_fmac_f64_e32 v[160:161], v[146:147], v[160:161]
	v_fma_f64 v[146:147], -v[134:135], v[160:161], 1.0
	v_fmac_f64_e32 v[160:161], v[146:147], v[160:161]
	v_mul_f64 v[146:147], v[148:149], v[160:161]
	v_mul_f64 v[150:151], v[134:135], v[146:147]
	v_fma_f64 v[162:163], v[146:147], v[134:135], -v[150:151]
	v_fmac_f64_e32 v[162:163], v[146:147], v[132:133]
	v_add_f64 v[164:165], v[150:151], v[162:163]
	v_add_f64 v[166:167], v[148:149], -v[164:165]
	v_add_f64 v[148:149], v[148:149], -v[166:167]
	;; [unrolled: 1-line block ×4, first 2 shown]
	v_add_f64 v[144:145], v[144:145], v[148:149]
	v_add_f64 v[148:149], v[150:151], -v[162:163]
	v_add_f64 v[144:145], v[148:149], v[144:145]
	v_add_f64 v[148:149], v[166:167], v[144:145]
	v_add_f64 v[150:151], v[166:167], -v[148:149]
	v_add_f64 v[144:145], v[144:145], v[150:151]
	v_mul_f64 v[150:151], v[160:161], v[148:149]
	v_mul_f64 v[162:163], v[134:135], v[150:151]
	v_fma_f64 v[134:135], v[150:151], v[134:135], -v[162:163]
	v_fmac_f64_e32 v[134:135], v[150:151], v[132:133]
	v_add_f64 v[132:133], v[162:163], v[134:135]
	v_add_f64 v[164:165], v[148:149], -v[132:133]
	v_add_f64 v[148:149], v[148:149], -v[164:165]
	;; [unrolled: 1-line block ×4, first 2 shown]
	v_add_f64 v[132:133], v[144:145], v[132:133]
	v_add_f64 v[134:135], v[162:163], -v[134:135]
	v_add_f64 v[132:133], v[134:135], v[132:133]
	v_add_f64 v[134:135], v[146:147], v[150:151]
	;; [unrolled: 1-line block ×3, first 2 shown]
	v_add_f64 v[144:145], v[134:135], -v[146:147]
	v_mul_f64 v[132:133], v[160:161], v[132:133]
	v_add_f64 v[144:145], v[150:151], -v[144:145]
	v_add_f64 v[132:133], v[144:145], v[132:133]
	v_add_f64 v[144:145], v[134:135], v[132:133]
	v_add_f64 v[134:135], v[144:145], -v[134:135]
	v_add_f64 v[132:133], v[132:133], -v[134:135]
	v_mul_f64 v[134:135], v[144:145], v[144:145]
	v_mov_b32_e32 v146, 0x6b47b09a
	v_mov_b32_e32 v147, 0x3fc38538
	v_fmac_f64_e32 v[146:147], s[2:3], v[134:135]
	v_mov_b32_e32 v148, 0xd7f4df2e
	v_mov_b32_e32 v149, 0x3fc7474d
	v_fmac_f64_e32 v[148:149], v[134:135], v[146:147]
	;; [unrolled: 3-line block ×6, first 2 shown]
	v_cvt_f64_i32_e32 v[146:147], v53
	s_mov_b32 s13, 0x3fe62e42
	v_mul_f64 v[150:151], v[146:147], s[12:13]
	v_fma_f64 v[160:161], v[146:147], s[12:13], -v[150:151]
	s_mov_b32 s31, 0x3c7abc9e
	v_fmac_f64_e32 v[160:161], s[30:31], v[146:147]
	v_add_f64 v[146:147], v[150:151], v[160:161]
	v_add_f64 v[150:151], v[146:147], -v[150:151]
	v_mul_f64 v[134:135], v[144:145], v[134:135]
	v_add_f64 v[150:151], v[160:161], -v[150:151]
	v_ldexp_f64 v[160:161], v[144:145], 1
	v_mul_f64 v[134:135], v[134:135], v[148:149]
	v_add_f64 v[144:145], v[160:161], v[134:135]
	v_add_f64 v[148:149], v[144:145], -v[160:161]
	v_ldexp_f64 v[132:133], v[132:133], 1
	v_add_f64 v[134:135], v[134:135], -v[148:149]
	v_add_f64 v[132:133], v[132:133], v[134:135]
	v_add_f64 v[134:135], v[144:145], v[132:133]
	v_add_f64 v[144:145], v[134:135], -v[144:145]
	v_add_f64 v[132:133], v[132:133], -v[144:145]
	v_add_f64 v[144:145], v[146:147], v[134:135]
	v_add_f64 v[148:149], v[144:145], -v[146:147]
	v_add_f64 v[160:161], v[144:145], -v[148:149]
	;; [unrolled: 1-line block ×4, first 2 shown]
	v_add_f64 v[134:135], v[134:135], v[146:147]
	v_add_f64 v[146:147], v[150:151], v[132:133]
	v_add_f64 v[148:149], v[146:147], -v[150:151]
	v_add_f64 v[134:135], v[146:147], v[134:135]
	v_add_f64 v[160:161], v[146:147], -v[148:149]
	;; [unrolled: 2-line block ×3, first 2 shown]
	v_add_f64 v[132:133], v[132:133], -v[148:149]
	v_add_f64 v[144:145], v[146:147], -v[144:145]
	v_add_f64 v[132:133], v[132:133], v[150:151]
	v_add_f64 v[134:135], v[134:135], -v[144:145]
	s_mov_b32 s2, 0
	v_add_f64 v[132:133], v[132:133], v[134:135]
	s_mov_b32 s3, 0x7ff00000
	v_add_f64 v[132:133], v[146:147], v[132:133]
	v_cmp_eq_f64_e32 vcc, s[2:3], v[8:9]
	s_nop 1
	v_cndmask_b32_e32 v53, v132, v8, vcc
	v_cndmask_b32_e32 v71, v133, v9, vcc
	v_mov_b32_e32 v132, 0x7ff80000
	v_cmp_ngt_f64_e32 vcc, -1.0, v[8:9]
	s_nop 1
	v_cndmask_b32_e32 v71, v132, v71, vcc
	v_cmp_nge_f64_e32 vcc, -1.0, v[8:9]
	s_nop 1
	v_cndmask_b32_e32 v132, 0, v53, vcc
	v_mov_b32_e32 v53, 0xfff00000
	v_cmp_neq_f64_e32 vcc, -1.0, v[8:9]
	s_nop 1
	v_cndmask_b32_e32 v133, v53, v71, vcc
	v_add_f64 v[8:9], v[10:11], v[132:133]
.LBB50_237:
	s_or_b64 exec, exec, s[4:5]
	v_max_f64 v[10:11], v[8:9], v[8:9]
	v_min_f64 v[132:133], v[10:11], v[12:13]
	v_cmp_u_f64_e32 vcc, v[8:9], v[8:9]
	v_max_f64 v[10:11], v[10:11], v[12:13]
	s_nop 0
	v_cndmask_b32_e32 v53, v132, v8, vcc
	v_cndmask_b32_e32 v71, v133, v9, vcc
	;; [unrolled: 1-line block ×4, first 2 shown]
	v_cndmask_b32_e64 v133, v71, v115, s[6:7]
	v_cndmask_b32_e64 v132, v53, v114, s[6:7]
	;; [unrolled: 1-line block ×4, first 2 shown]
	v_cmp_neq_f64_e32 vcc, v[132:133], v[12:13]
	v_cmp_class_f64_e64 s[2:3], v[132:133], s34
	s_or_b64 s[2:3], vcc, s[2:3]
	v_mov_b64_e32 v[10:11], v[8:9]
	s_and_saveexec_b64 s[4:5], s[2:3]
	s_cbranch_execz .LBB50_239
; %bb.238:
	s_mov_b32 s2, 0x652b82fe
	v_add_f64 v[10:11], v[132:133], -v[12:13]
	s_mov_b32 s3, 0x3ff71547
	v_mul_f64 v[132:133], v[10:11], s[2:3]
	v_rndne_f64_e32 v[132:133], v[132:133]
	s_mov_b32 s7, 0xbfe62e42
	s_mov_b32 s6, 0xfefa39ef
	v_fma_f64 v[134:135], s[6:7], v[132:133], v[10:11]
	s_mov_b32 s13, 0xbc7abc9e
	s_mov_b32 s12, 0x3b39803f
	;; [unrolled: 1-line block ×3, first 2 shown]
	v_fmac_f64_e32 v[134:135], s[12:13], v[132:133]
	v_mov_b32_e32 v144, 0xfca7ab0c
	v_mov_b32_e32 v145, 0x3e928af3
	s_mov_b32 s3, 0x3e5ade15
	v_fmac_f64_e32 v[144:145], s[2:3], v[134:135]
	v_mov_b32_e32 v146, 0x623fde64
	v_mov_b32_e32 v147, 0x3ec71dee
	v_fmac_f64_e32 v[146:147], v[134:135], v[144:145]
	v_mov_b32_e32 v144, 0x7c89e6b0
	v_mov_b32_e32 v145, 0x3efa0199
	;; [unrolled: 3-line block ×8, first 2 shown]
	s_mov_b32 s2, 0
	v_fmac_f64_e32 v[144:145], v[134:135], v[146:147]
	s_mov_b32 s3, 0x40900000
	v_fma_f64 v[144:145], v[134:135], v[144:145], 1.0
	v_cmp_nlt_f64_e32 vcc, s[2:3], v[10:11]
	s_mov_b32 s2, 0
	v_fma_f64 v[134:135], v[134:135], v[144:145], 1.0
	v_cvt_i32_f64_e32 v53, v[132:133]
	s_mov_b32 s3, 0xc090cc00
	v_ldexp_f64 v[132:133], v[134:135], v53
	v_mov_b32_e32 v53, 0x7ff00000
	v_cmp_ngt_f64_e64 s[2:3], s[2:3], v[10:11]
	v_cndmask_b32_e32 v53, v53, v133, vcc
	s_and_b64 vcc, s[2:3], vcc
	v_cndmask_b32_e64 v11, 0, v53, s[2:3]
	v_cndmask_b32_e32 v10, 0, v132, vcc
	v_add_f64 v[132:133], v[10:11], 1.0
	v_add_f64 v[134:135], v[132:133], -1.0
	v_add_f64 v[144:145], v[134:135], -v[132:133]
	v_add_f64 v[144:145], v[144:145], 1.0
	v_add_f64 v[134:135], v[10:11], -v[134:135]
	s_mov_b32 s2, 0x55555555
	v_add_f64 v[134:135], v[134:135], v[144:145]
	v_frexp_mant_f64_e32 v[144:145], v[132:133]
	s_mov_b32 s3, 0x3fe55555
	v_frexp_exp_i32_f64_e32 v53, v[132:133]
	v_cmp_gt_f64_e32 vcc, s[2:3], v[144:145]
	s_mov_b32 s2, 0xbf559e2b
	s_mov_b32 s3, 0x3fc3ab76
	v_subbrev_co_u32_e32 v53, vcc, 0, v53, vcc
	v_sub_u32_e32 v71, 0, v53
	v_ldexp_f64 v[132:133], v[132:133], v71
	v_add_f64 v[144:145], v[132:133], -1.0
	v_add_f64 v[150:151], v[132:133], 1.0
	v_add_f64 v[146:147], v[144:145], 1.0
	v_add_f64 v[160:161], v[150:151], -1.0
	v_ldexp_f64 v[134:135], v[134:135], v71
	v_add_f64 v[146:147], v[132:133], -v[146:147]
	v_add_f64 v[132:133], v[132:133], -v[160:161]
	v_add_f64 v[132:133], v[134:135], v[132:133]
	v_add_f64 v[146:147], v[134:135], v[146:147]
	;; [unrolled: 1-line block ×3, first 2 shown]
	v_rcp_f64_e32 v[160:161], v[134:135]
	v_add_f64 v[148:149], v[144:145], v[146:147]
	v_add_f64 v[144:145], v[148:149], -v[144:145]
	v_add_f64 v[144:145], v[146:147], -v[144:145]
	;; [unrolled: 1-line block ×4, first 2 shown]
	v_fma_f64 v[146:147], -v[134:135], v[160:161], 1.0
	v_fmac_f64_e32 v[160:161], v[146:147], v[160:161]
	v_fma_f64 v[146:147], -v[134:135], v[160:161], 1.0
	v_fmac_f64_e32 v[160:161], v[146:147], v[160:161]
	v_mul_f64 v[146:147], v[148:149], v[160:161]
	v_mul_f64 v[150:151], v[134:135], v[146:147]
	v_fma_f64 v[162:163], v[146:147], v[134:135], -v[150:151]
	v_fmac_f64_e32 v[162:163], v[146:147], v[132:133]
	v_add_f64 v[164:165], v[150:151], v[162:163]
	v_add_f64 v[166:167], v[148:149], -v[164:165]
	v_add_f64 v[148:149], v[148:149], -v[166:167]
	v_add_f64 v[150:151], v[164:165], -v[150:151]
	v_add_f64 v[148:149], v[148:149], -v[164:165]
	v_add_f64 v[144:145], v[144:145], v[148:149]
	v_add_f64 v[148:149], v[150:151], -v[162:163]
	v_add_f64 v[144:145], v[148:149], v[144:145]
	v_add_f64 v[148:149], v[166:167], v[144:145]
	v_add_f64 v[150:151], v[166:167], -v[148:149]
	v_add_f64 v[144:145], v[144:145], v[150:151]
	v_mul_f64 v[150:151], v[160:161], v[148:149]
	v_mul_f64 v[162:163], v[134:135], v[150:151]
	v_fma_f64 v[134:135], v[150:151], v[134:135], -v[162:163]
	v_fmac_f64_e32 v[134:135], v[150:151], v[132:133]
	v_add_f64 v[132:133], v[162:163], v[134:135]
	v_add_f64 v[164:165], v[148:149], -v[132:133]
	v_add_f64 v[148:149], v[148:149], -v[164:165]
	;; [unrolled: 1-line block ×4, first 2 shown]
	v_add_f64 v[132:133], v[144:145], v[132:133]
	v_add_f64 v[134:135], v[162:163], -v[134:135]
	v_add_f64 v[132:133], v[134:135], v[132:133]
	v_add_f64 v[134:135], v[146:147], v[150:151]
	v_add_f64 v[132:133], v[164:165], v[132:133]
	v_add_f64 v[144:145], v[134:135], -v[146:147]
	v_mul_f64 v[132:133], v[160:161], v[132:133]
	v_add_f64 v[144:145], v[150:151], -v[144:145]
	v_add_f64 v[132:133], v[144:145], v[132:133]
	v_add_f64 v[144:145], v[134:135], v[132:133]
	v_add_f64 v[134:135], v[144:145], -v[134:135]
	v_add_f64 v[132:133], v[132:133], -v[134:135]
	v_mul_f64 v[134:135], v[144:145], v[144:145]
	v_mov_b32_e32 v146, 0x6b47b09a
	v_mov_b32_e32 v147, 0x3fc38538
	v_fmac_f64_e32 v[146:147], s[2:3], v[134:135]
	v_mov_b32_e32 v148, 0xd7f4df2e
	v_mov_b32_e32 v149, 0x3fc7474d
	v_fmac_f64_e32 v[148:149], v[134:135], v[146:147]
	;; [unrolled: 3-line block ×6, first 2 shown]
	v_cvt_f64_i32_e32 v[146:147], v53
	s_mov_b32 s7, 0x3fe62e42
	v_mul_f64 v[150:151], v[146:147], s[6:7]
	v_fma_f64 v[160:161], v[146:147], s[6:7], -v[150:151]
	s_mov_b32 s13, 0x3c7abc9e
	v_fmac_f64_e32 v[160:161], s[12:13], v[146:147]
	v_add_f64 v[146:147], v[150:151], v[160:161]
	v_add_f64 v[150:151], v[146:147], -v[150:151]
	v_mul_f64 v[134:135], v[144:145], v[134:135]
	v_add_f64 v[150:151], v[160:161], -v[150:151]
	v_ldexp_f64 v[160:161], v[144:145], 1
	v_mul_f64 v[134:135], v[134:135], v[148:149]
	v_add_f64 v[144:145], v[160:161], v[134:135]
	v_add_f64 v[148:149], v[144:145], -v[160:161]
	v_ldexp_f64 v[132:133], v[132:133], 1
	v_add_f64 v[134:135], v[134:135], -v[148:149]
	v_add_f64 v[132:133], v[132:133], v[134:135]
	v_add_f64 v[134:135], v[144:145], v[132:133]
	v_add_f64 v[144:145], v[134:135], -v[144:145]
	v_add_f64 v[132:133], v[132:133], -v[144:145]
	v_add_f64 v[144:145], v[146:147], v[134:135]
	v_add_f64 v[148:149], v[144:145], -v[146:147]
	v_add_f64 v[160:161], v[144:145], -v[148:149]
	;; [unrolled: 1-line block ×4, first 2 shown]
	v_add_f64 v[134:135], v[134:135], v[146:147]
	v_add_f64 v[146:147], v[150:151], v[132:133]
	v_add_f64 v[148:149], v[146:147], -v[150:151]
	v_add_f64 v[134:135], v[146:147], v[134:135]
	v_add_f64 v[160:161], v[146:147], -v[148:149]
	;; [unrolled: 2-line block ×3, first 2 shown]
	v_add_f64 v[132:133], v[132:133], -v[148:149]
	v_add_f64 v[144:145], v[146:147], -v[144:145]
	v_add_f64 v[132:133], v[132:133], v[150:151]
	v_add_f64 v[134:135], v[134:135], -v[144:145]
	s_mov_b32 s2, 0
	v_add_f64 v[132:133], v[132:133], v[134:135]
	s_mov_b32 s3, 0x7ff00000
	v_add_f64 v[132:133], v[146:147], v[132:133]
	v_cmp_eq_f64_e32 vcc, s[2:3], v[10:11]
	s_nop 1
	v_cndmask_b32_e32 v53, v132, v10, vcc
	v_cndmask_b32_e32 v71, v133, v11, vcc
	v_mov_b32_e32 v132, 0x7ff80000
	v_cmp_ngt_f64_e32 vcc, -1.0, v[10:11]
	s_nop 1
	v_cndmask_b32_e32 v71, v132, v71, vcc
	v_cmp_nge_f64_e32 vcc, -1.0, v[10:11]
	s_nop 1
	v_cndmask_b32_e32 v132, 0, v53, vcc
	v_mov_b32_e32 v53, 0xfff00000
	v_cmp_neq_f64_e32 vcc, -1.0, v[10:11]
	s_nop 1
	v_cndmask_b32_e32 v133, v53, v71, vcc
	v_add_f64 v[10:11], v[12:13], v[132:133]
.LBB50_239:
	s_or_b64 exec, exec, s[4:5]
	v_max_f64 v[12:13], v[10:11], v[10:11]
	v_min_f64 v[132:133], v[12:13], v[14:15]
	v_cmp_u_f64_e32 vcc, v[10:11], v[10:11]
	v_max_f64 v[12:13], v[12:13], v[14:15]
	s_movk_i32 s12, 0x1f8
	v_cndmask_b32_e32 v53, v132, v10, vcc
	v_cndmask_b32_e32 v71, v133, v11, vcc
	;; [unrolled: 1-line block ×4, first 2 shown]
	v_cndmask_b32_e64 v133, v71, v101, s[8:9]
	v_cndmask_b32_e64 v132, v53, v100, s[8:9]
	;; [unrolled: 1-line block ×4, first 2 shown]
	v_cmp_neq_f64_e32 vcc, v[132:133], v[14:15]
	v_cmp_class_f64_e64 s[2:3], v[132:133], s12
	s_or_b64 s[2:3], vcc, s[2:3]
	v_mov_b64_e32 v[12:13], v[10:11]
	s_and_saveexec_b64 s[4:5], s[2:3]
	s_cbranch_execz .LBB50_241
; %bb.240:
	s_mov_b32 s2, 0x652b82fe
	v_add_f64 v[12:13], v[132:133], -v[14:15]
	s_mov_b32 s3, 0x3ff71547
	v_mul_f64 v[132:133], v[12:13], s[2:3]
	v_rndne_f64_e32 v[132:133], v[132:133]
	s_mov_b32 s7, 0xbfe62e42
	s_mov_b32 s6, 0xfefa39ef
	v_fma_f64 v[134:135], s[6:7], v[132:133], v[12:13]
	s_mov_b32 s9, 0xbc7abc9e
	s_mov_b32 s8, 0x3b39803f
	;; [unrolled: 1-line block ×3, first 2 shown]
	v_fmac_f64_e32 v[134:135], s[8:9], v[132:133]
	v_mov_b32_e32 v144, 0xfca7ab0c
	v_mov_b32_e32 v145, 0x3e928af3
	s_mov_b32 s3, 0x3e5ade15
	v_fmac_f64_e32 v[144:145], s[2:3], v[134:135]
	v_mov_b32_e32 v146, 0x623fde64
	v_mov_b32_e32 v147, 0x3ec71dee
	v_fmac_f64_e32 v[146:147], v[134:135], v[144:145]
	v_mov_b32_e32 v144, 0x7c89e6b0
	v_mov_b32_e32 v145, 0x3efa0199
	;; [unrolled: 3-line block ×8, first 2 shown]
	s_mov_b32 s2, 0
	v_fmac_f64_e32 v[144:145], v[134:135], v[146:147]
	s_mov_b32 s3, 0x40900000
	v_fma_f64 v[144:145], v[134:135], v[144:145], 1.0
	v_cmp_nlt_f64_e32 vcc, s[2:3], v[12:13]
	s_mov_b32 s2, 0
	v_fma_f64 v[134:135], v[134:135], v[144:145], 1.0
	v_cvt_i32_f64_e32 v53, v[132:133]
	s_mov_b32 s3, 0xc090cc00
	v_ldexp_f64 v[132:133], v[134:135], v53
	v_mov_b32_e32 v53, 0x7ff00000
	v_cmp_ngt_f64_e64 s[2:3], s[2:3], v[12:13]
	v_cndmask_b32_e32 v53, v53, v133, vcc
	s_and_b64 vcc, s[2:3], vcc
	v_cndmask_b32_e64 v13, 0, v53, s[2:3]
	v_cndmask_b32_e32 v12, 0, v132, vcc
	v_add_f64 v[132:133], v[12:13], 1.0
	v_add_f64 v[134:135], v[132:133], -1.0
	v_add_f64 v[144:145], v[134:135], -v[132:133]
	v_add_f64 v[144:145], v[144:145], 1.0
	v_add_f64 v[134:135], v[12:13], -v[134:135]
	s_mov_b32 s2, 0x55555555
	v_add_f64 v[134:135], v[134:135], v[144:145]
	v_frexp_mant_f64_e32 v[144:145], v[132:133]
	s_mov_b32 s3, 0x3fe55555
	v_frexp_exp_i32_f64_e32 v53, v[132:133]
	v_cmp_gt_f64_e32 vcc, s[2:3], v[144:145]
	s_mov_b32 s2, 0xbf559e2b
	s_mov_b32 s3, 0x3fc3ab76
	v_subbrev_co_u32_e32 v53, vcc, 0, v53, vcc
	v_sub_u32_e32 v71, 0, v53
	v_ldexp_f64 v[132:133], v[132:133], v71
	v_add_f64 v[144:145], v[132:133], -1.0
	v_add_f64 v[150:151], v[132:133], 1.0
	v_add_f64 v[146:147], v[144:145], 1.0
	v_add_f64 v[160:161], v[150:151], -1.0
	v_ldexp_f64 v[134:135], v[134:135], v71
	v_add_f64 v[146:147], v[132:133], -v[146:147]
	v_add_f64 v[132:133], v[132:133], -v[160:161]
	v_add_f64 v[132:133], v[134:135], v[132:133]
	v_add_f64 v[146:147], v[134:135], v[146:147]
	;; [unrolled: 1-line block ×3, first 2 shown]
	v_rcp_f64_e32 v[160:161], v[134:135]
	v_add_f64 v[148:149], v[144:145], v[146:147]
	v_add_f64 v[144:145], v[148:149], -v[144:145]
	v_add_f64 v[144:145], v[146:147], -v[144:145]
	;; [unrolled: 1-line block ×4, first 2 shown]
	v_fma_f64 v[146:147], -v[134:135], v[160:161], 1.0
	v_fmac_f64_e32 v[160:161], v[146:147], v[160:161]
	v_fma_f64 v[146:147], -v[134:135], v[160:161], 1.0
	v_fmac_f64_e32 v[160:161], v[146:147], v[160:161]
	v_mul_f64 v[146:147], v[148:149], v[160:161]
	v_mul_f64 v[150:151], v[134:135], v[146:147]
	v_fma_f64 v[162:163], v[146:147], v[134:135], -v[150:151]
	v_fmac_f64_e32 v[162:163], v[146:147], v[132:133]
	v_add_f64 v[164:165], v[150:151], v[162:163]
	v_add_f64 v[166:167], v[148:149], -v[164:165]
	v_add_f64 v[148:149], v[148:149], -v[166:167]
	;; [unrolled: 1-line block ×4, first 2 shown]
	v_add_f64 v[144:145], v[144:145], v[148:149]
	v_add_f64 v[148:149], v[150:151], -v[162:163]
	v_add_f64 v[144:145], v[148:149], v[144:145]
	v_add_f64 v[148:149], v[166:167], v[144:145]
	v_add_f64 v[150:151], v[166:167], -v[148:149]
	v_add_f64 v[144:145], v[144:145], v[150:151]
	v_mul_f64 v[150:151], v[160:161], v[148:149]
	v_mul_f64 v[162:163], v[134:135], v[150:151]
	v_fma_f64 v[134:135], v[150:151], v[134:135], -v[162:163]
	v_fmac_f64_e32 v[134:135], v[150:151], v[132:133]
	v_add_f64 v[132:133], v[162:163], v[134:135]
	v_add_f64 v[164:165], v[148:149], -v[132:133]
	v_add_f64 v[148:149], v[148:149], -v[164:165]
	;; [unrolled: 1-line block ×4, first 2 shown]
	v_add_f64 v[132:133], v[144:145], v[132:133]
	v_add_f64 v[134:135], v[162:163], -v[134:135]
	v_add_f64 v[132:133], v[134:135], v[132:133]
	v_add_f64 v[134:135], v[146:147], v[150:151]
	;; [unrolled: 1-line block ×3, first 2 shown]
	v_add_f64 v[144:145], v[134:135], -v[146:147]
	v_mul_f64 v[132:133], v[160:161], v[132:133]
	v_add_f64 v[144:145], v[150:151], -v[144:145]
	v_add_f64 v[132:133], v[144:145], v[132:133]
	v_add_f64 v[144:145], v[134:135], v[132:133]
	v_add_f64 v[134:135], v[144:145], -v[134:135]
	v_add_f64 v[132:133], v[132:133], -v[134:135]
	v_mul_f64 v[134:135], v[144:145], v[144:145]
	v_mov_b32_e32 v146, 0x6b47b09a
	v_mov_b32_e32 v147, 0x3fc38538
	v_fmac_f64_e32 v[146:147], s[2:3], v[134:135]
	v_mov_b32_e32 v148, 0xd7f4df2e
	v_mov_b32_e32 v149, 0x3fc7474d
	v_fmac_f64_e32 v[148:149], v[134:135], v[146:147]
	;; [unrolled: 3-line block ×6, first 2 shown]
	v_cvt_f64_i32_e32 v[146:147], v53
	s_mov_b32 s7, 0x3fe62e42
	v_mul_f64 v[150:151], v[146:147], s[6:7]
	v_fma_f64 v[160:161], v[146:147], s[6:7], -v[150:151]
	s_mov_b32 s9, 0x3c7abc9e
	v_fmac_f64_e32 v[160:161], s[8:9], v[146:147]
	v_add_f64 v[146:147], v[150:151], v[160:161]
	v_add_f64 v[150:151], v[146:147], -v[150:151]
	v_mul_f64 v[134:135], v[144:145], v[134:135]
	v_add_f64 v[150:151], v[160:161], -v[150:151]
	v_ldexp_f64 v[160:161], v[144:145], 1
	v_mul_f64 v[134:135], v[134:135], v[148:149]
	v_add_f64 v[144:145], v[160:161], v[134:135]
	v_add_f64 v[148:149], v[144:145], -v[160:161]
	v_ldexp_f64 v[132:133], v[132:133], 1
	v_add_f64 v[134:135], v[134:135], -v[148:149]
	v_add_f64 v[132:133], v[132:133], v[134:135]
	v_add_f64 v[134:135], v[144:145], v[132:133]
	v_add_f64 v[144:145], v[134:135], -v[144:145]
	v_add_f64 v[132:133], v[132:133], -v[144:145]
	v_add_f64 v[144:145], v[146:147], v[134:135]
	v_add_f64 v[148:149], v[144:145], -v[146:147]
	v_add_f64 v[160:161], v[144:145], -v[148:149]
	v_add_f64 v[146:147], v[146:147], -v[160:161]
	v_add_f64 v[134:135], v[134:135], -v[148:149]
	v_add_f64 v[134:135], v[134:135], v[146:147]
	v_add_f64 v[146:147], v[150:151], v[132:133]
	v_add_f64 v[148:149], v[146:147], -v[150:151]
	v_add_f64 v[134:135], v[146:147], v[134:135]
	v_add_f64 v[160:161], v[146:147], -v[148:149]
	;; [unrolled: 2-line block ×3, first 2 shown]
	v_add_f64 v[132:133], v[132:133], -v[148:149]
	v_add_f64 v[144:145], v[146:147], -v[144:145]
	v_add_f64 v[132:133], v[132:133], v[150:151]
	v_add_f64 v[134:135], v[134:135], -v[144:145]
	s_mov_b32 s2, 0
	v_add_f64 v[132:133], v[132:133], v[134:135]
	s_mov_b32 s3, 0x7ff00000
	v_add_f64 v[132:133], v[146:147], v[132:133]
	v_cmp_eq_f64_e32 vcc, s[2:3], v[12:13]
	s_nop 1
	v_cndmask_b32_e32 v53, v132, v12, vcc
	v_cndmask_b32_e32 v71, v133, v13, vcc
	v_mov_b32_e32 v132, 0x7ff80000
	v_cmp_ngt_f64_e32 vcc, -1.0, v[12:13]
	s_nop 1
	v_cndmask_b32_e32 v71, v132, v71, vcc
	v_cmp_nge_f64_e32 vcc, -1.0, v[12:13]
	s_nop 1
	v_cndmask_b32_e32 v132, 0, v53, vcc
	v_mov_b32_e32 v53, 0xfff00000
	v_cmp_neq_f64_e32 vcc, -1.0, v[12:13]
	s_nop 1
	v_cndmask_b32_e32 v133, v53, v71, vcc
	v_add_f64 v[12:13], v[14:15], v[132:133]
.LBB50_241:
	s_or_b64 exec, exec, s[4:5]
	v_max_f64 v[14:15], v[12:13], v[12:13]
	v_min_f64 v[132:133], v[14:15], v[16:17]
	v_cmp_u_f64_e32 vcc, v[12:13], v[12:13]
	v_max_f64 v[14:15], v[14:15], v[16:17]
	s_nop 0
	v_cndmask_b32_e32 v53, v132, v12, vcc
	v_cndmask_b32_e32 v71, v133, v13, vcc
	;; [unrolled: 1-line block ×4, first 2 shown]
	v_cndmask_b32_e64 v133, v71, v103, s[10:11]
	v_cndmask_b32_e64 v132, v53, v102, s[10:11]
	;; [unrolled: 1-line block ×4, first 2 shown]
	v_cmp_neq_f64_e32 vcc, v[132:133], v[16:17]
	v_cmp_class_f64_e64 s[2:3], v[132:133], s12
	s_or_b64 s[2:3], vcc, s[2:3]
	v_mov_b64_e32 v[14:15], v[12:13]
	s_and_saveexec_b64 s[4:5], s[2:3]
	s_cbranch_execz .LBB50_243
; %bb.242:
	s_mov_b32 s2, 0x652b82fe
	v_add_f64 v[14:15], v[132:133], -v[16:17]
	s_mov_b32 s3, 0x3ff71547
	v_mul_f64 v[132:133], v[14:15], s[2:3]
	v_rndne_f64_e32 v[132:133], v[132:133]
	s_mov_b32 s7, 0xbfe62e42
	s_mov_b32 s6, 0xfefa39ef
	v_fma_f64 v[134:135], s[6:7], v[132:133], v[14:15]
	s_mov_b32 s9, 0xbc7abc9e
	s_mov_b32 s8, 0x3b39803f
	;; [unrolled: 1-line block ×3, first 2 shown]
	v_fmac_f64_e32 v[134:135], s[8:9], v[132:133]
	v_mov_b32_e32 v144, 0xfca7ab0c
	v_mov_b32_e32 v145, 0x3e928af3
	s_mov_b32 s3, 0x3e5ade15
	v_fmac_f64_e32 v[144:145], s[2:3], v[134:135]
	v_mov_b32_e32 v146, 0x623fde64
	v_mov_b32_e32 v147, 0x3ec71dee
	v_fmac_f64_e32 v[146:147], v[134:135], v[144:145]
	v_mov_b32_e32 v144, 0x7c89e6b0
	v_mov_b32_e32 v145, 0x3efa0199
	;; [unrolled: 3-line block ×8, first 2 shown]
	s_mov_b32 s2, 0
	v_fmac_f64_e32 v[144:145], v[134:135], v[146:147]
	s_mov_b32 s3, 0x40900000
	v_fma_f64 v[144:145], v[134:135], v[144:145], 1.0
	v_cmp_nlt_f64_e32 vcc, s[2:3], v[14:15]
	s_mov_b32 s2, 0
	v_fma_f64 v[134:135], v[134:135], v[144:145], 1.0
	v_cvt_i32_f64_e32 v53, v[132:133]
	s_mov_b32 s3, 0xc090cc00
	v_ldexp_f64 v[132:133], v[134:135], v53
	v_mov_b32_e32 v53, 0x7ff00000
	v_cmp_ngt_f64_e64 s[2:3], s[2:3], v[14:15]
	v_cndmask_b32_e32 v53, v53, v133, vcc
	s_and_b64 vcc, s[2:3], vcc
	v_cndmask_b32_e64 v15, 0, v53, s[2:3]
	v_cndmask_b32_e32 v14, 0, v132, vcc
	v_add_f64 v[132:133], v[14:15], 1.0
	v_add_f64 v[134:135], v[132:133], -1.0
	v_add_f64 v[144:145], v[134:135], -v[132:133]
	v_add_f64 v[144:145], v[144:145], 1.0
	v_add_f64 v[134:135], v[14:15], -v[134:135]
	s_mov_b32 s2, 0x55555555
	v_add_f64 v[134:135], v[134:135], v[144:145]
	v_frexp_mant_f64_e32 v[144:145], v[132:133]
	s_mov_b32 s3, 0x3fe55555
	v_frexp_exp_i32_f64_e32 v53, v[132:133]
	v_cmp_gt_f64_e32 vcc, s[2:3], v[144:145]
	s_mov_b32 s2, 0xbf559e2b
	s_mov_b32 s3, 0x3fc3ab76
	v_subbrev_co_u32_e32 v53, vcc, 0, v53, vcc
	v_sub_u32_e32 v71, 0, v53
	v_ldexp_f64 v[132:133], v[132:133], v71
	v_add_f64 v[144:145], v[132:133], -1.0
	v_add_f64 v[150:151], v[132:133], 1.0
	v_add_f64 v[146:147], v[144:145], 1.0
	v_add_f64 v[160:161], v[150:151], -1.0
	v_ldexp_f64 v[134:135], v[134:135], v71
	v_add_f64 v[146:147], v[132:133], -v[146:147]
	v_add_f64 v[132:133], v[132:133], -v[160:161]
	v_add_f64 v[132:133], v[134:135], v[132:133]
	v_add_f64 v[146:147], v[134:135], v[146:147]
	;; [unrolled: 1-line block ×3, first 2 shown]
	v_rcp_f64_e32 v[160:161], v[134:135]
	v_add_f64 v[148:149], v[144:145], v[146:147]
	v_add_f64 v[144:145], v[148:149], -v[144:145]
	v_add_f64 v[144:145], v[146:147], -v[144:145]
	;; [unrolled: 1-line block ×4, first 2 shown]
	v_fma_f64 v[146:147], -v[134:135], v[160:161], 1.0
	v_fmac_f64_e32 v[160:161], v[146:147], v[160:161]
	v_fma_f64 v[146:147], -v[134:135], v[160:161], 1.0
	v_fmac_f64_e32 v[160:161], v[146:147], v[160:161]
	v_mul_f64 v[146:147], v[148:149], v[160:161]
	v_mul_f64 v[150:151], v[134:135], v[146:147]
	v_fma_f64 v[162:163], v[146:147], v[134:135], -v[150:151]
	v_fmac_f64_e32 v[162:163], v[146:147], v[132:133]
	v_add_f64 v[164:165], v[150:151], v[162:163]
	v_add_f64 v[166:167], v[148:149], -v[164:165]
	v_add_f64 v[148:149], v[148:149], -v[166:167]
	;; [unrolled: 1-line block ×4, first 2 shown]
	v_add_f64 v[144:145], v[144:145], v[148:149]
	v_add_f64 v[148:149], v[150:151], -v[162:163]
	v_add_f64 v[144:145], v[148:149], v[144:145]
	v_add_f64 v[148:149], v[166:167], v[144:145]
	v_add_f64 v[150:151], v[166:167], -v[148:149]
	v_add_f64 v[144:145], v[144:145], v[150:151]
	v_mul_f64 v[150:151], v[160:161], v[148:149]
	v_mul_f64 v[162:163], v[134:135], v[150:151]
	v_fma_f64 v[134:135], v[150:151], v[134:135], -v[162:163]
	v_fmac_f64_e32 v[134:135], v[150:151], v[132:133]
	v_add_f64 v[132:133], v[162:163], v[134:135]
	v_add_f64 v[164:165], v[148:149], -v[132:133]
	v_add_f64 v[148:149], v[148:149], -v[164:165]
	;; [unrolled: 1-line block ×4, first 2 shown]
	v_add_f64 v[132:133], v[144:145], v[132:133]
	v_add_f64 v[134:135], v[162:163], -v[134:135]
	v_add_f64 v[132:133], v[134:135], v[132:133]
	v_add_f64 v[134:135], v[146:147], v[150:151]
	;; [unrolled: 1-line block ×3, first 2 shown]
	v_add_f64 v[144:145], v[134:135], -v[146:147]
	v_mul_f64 v[132:133], v[160:161], v[132:133]
	v_add_f64 v[144:145], v[150:151], -v[144:145]
	v_add_f64 v[132:133], v[144:145], v[132:133]
	v_add_f64 v[144:145], v[134:135], v[132:133]
	v_add_f64 v[134:135], v[144:145], -v[134:135]
	v_add_f64 v[132:133], v[132:133], -v[134:135]
	v_mul_f64 v[134:135], v[144:145], v[144:145]
	v_mov_b32_e32 v146, 0x6b47b09a
	v_mov_b32_e32 v147, 0x3fc38538
	v_fmac_f64_e32 v[146:147], s[2:3], v[134:135]
	v_mov_b32_e32 v148, 0xd7f4df2e
	v_mov_b32_e32 v149, 0x3fc7474d
	v_fmac_f64_e32 v[148:149], v[134:135], v[146:147]
	;; [unrolled: 3-line block ×6, first 2 shown]
	v_cvt_f64_i32_e32 v[146:147], v53
	s_mov_b32 s7, 0x3fe62e42
	v_mul_f64 v[150:151], v[146:147], s[6:7]
	v_fma_f64 v[160:161], v[146:147], s[6:7], -v[150:151]
	s_mov_b32 s9, 0x3c7abc9e
	v_fmac_f64_e32 v[160:161], s[8:9], v[146:147]
	v_add_f64 v[146:147], v[150:151], v[160:161]
	v_add_f64 v[150:151], v[146:147], -v[150:151]
	v_mul_f64 v[134:135], v[144:145], v[134:135]
	v_add_f64 v[150:151], v[160:161], -v[150:151]
	v_ldexp_f64 v[160:161], v[144:145], 1
	v_mul_f64 v[134:135], v[134:135], v[148:149]
	v_add_f64 v[144:145], v[160:161], v[134:135]
	v_add_f64 v[148:149], v[144:145], -v[160:161]
	v_ldexp_f64 v[132:133], v[132:133], 1
	v_add_f64 v[134:135], v[134:135], -v[148:149]
	v_add_f64 v[132:133], v[132:133], v[134:135]
	v_add_f64 v[134:135], v[144:145], v[132:133]
	v_add_f64 v[144:145], v[134:135], -v[144:145]
	v_add_f64 v[132:133], v[132:133], -v[144:145]
	v_add_f64 v[144:145], v[146:147], v[134:135]
	v_add_f64 v[148:149], v[144:145], -v[146:147]
	v_add_f64 v[160:161], v[144:145], -v[148:149]
	;; [unrolled: 1-line block ×4, first 2 shown]
	v_add_f64 v[134:135], v[134:135], v[146:147]
	v_add_f64 v[146:147], v[150:151], v[132:133]
	v_add_f64 v[148:149], v[146:147], -v[150:151]
	v_add_f64 v[134:135], v[146:147], v[134:135]
	v_add_f64 v[160:161], v[146:147], -v[148:149]
	;; [unrolled: 2-line block ×3, first 2 shown]
	v_add_f64 v[132:133], v[132:133], -v[148:149]
	v_add_f64 v[144:145], v[146:147], -v[144:145]
	v_add_f64 v[132:133], v[132:133], v[150:151]
	v_add_f64 v[134:135], v[134:135], -v[144:145]
	s_mov_b32 s2, 0
	v_add_f64 v[132:133], v[132:133], v[134:135]
	s_mov_b32 s3, 0x7ff00000
	v_add_f64 v[132:133], v[146:147], v[132:133]
	v_cmp_eq_f64_e32 vcc, s[2:3], v[14:15]
	s_nop 1
	v_cndmask_b32_e32 v53, v132, v14, vcc
	v_cndmask_b32_e32 v71, v133, v15, vcc
	v_mov_b32_e32 v132, 0x7ff80000
	v_cmp_ngt_f64_e32 vcc, -1.0, v[14:15]
	s_nop 1
	v_cndmask_b32_e32 v71, v132, v71, vcc
	v_cmp_nge_f64_e32 vcc, -1.0, v[14:15]
	s_nop 1
	v_cndmask_b32_e32 v132, 0, v53, vcc
	v_mov_b32_e32 v53, 0xfff00000
	v_cmp_neq_f64_e32 vcc, -1.0, v[14:15]
	s_nop 1
	v_cndmask_b32_e32 v133, v53, v71, vcc
	v_add_f64 v[14:15], v[16:17], v[132:133]
.LBB50_243:
	s_or_b64 exec, exec, s[4:5]
	v_max_f64 v[16:17], v[14:15], v[14:15]
	v_min_f64 v[132:133], v[16:17], v[18:19]
	v_cmp_u_f64_e32 vcc, v[14:15], v[14:15]
	v_max_f64 v[16:17], v[16:17], v[18:19]
	s_movk_i32 s10, 0x1f8
	v_cndmask_b32_e32 v53, v132, v14, vcc
	v_cndmask_b32_e32 v71, v133, v15, vcc
	;; [unrolled: 1-line block ×4, first 2 shown]
	v_cndmask_b32_e64 v133, v71, v97, s[42:43]
	v_cndmask_b32_e64 v132, v53, v96, s[42:43]
	;; [unrolled: 1-line block ×4, first 2 shown]
	v_cmp_neq_f64_e32 vcc, v[132:133], v[18:19]
	v_cmp_class_f64_e64 s[2:3], v[132:133], s10
	s_or_b64 s[2:3], vcc, s[2:3]
	v_mov_b64_e32 v[16:17], v[14:15]
	s_and_saveexec_b64 s[4:5], s[2:3]
	s_cbranch_execz .LBB50_245
; %bb.244:
	s_mov_b32 s2, 0x652b82fe
	v_add_f64 v[16:17], v[132:133], -v[18:19]
	s_mov_b32 s3, 0x3ff71547
	v_mul_f64 v[132:133], v[16:17], s[2:3]
	v_rndne_f64_e32 v[132:133], v[132:133]
	s_mov_b32 s7, 0xbfe62e42
	s_mov_b32 s6, 0xfefa39ef
	v_fma_f64 v[134:135], s[6:7], v[132:133], v[16:17]
	s_mov_b32 s9, 0xbc7abc9e
	s_mov_b32 s8, 0x3b39803f
	;; [unrolled: 1-line block ×3, first 2 shown]
	v_fmac_f64_e32 v[134:135], s[8:9], v[132:133]
	v_mov_b32_e32 v144, 0xfca7ab0c
	v_mov_b32_e32 v145, 0x3e928af3
	s_mov_b32 s3, 0x3e5ade15
	v_fmac_f64_e32 v[144:145], s[2:3], v[134:135]
	v_mov_b32_e32 v146, 0x623fde64
	v_mov_b32_e32 v147, 0x3ec71dee
	v_fmac_f64_e32 v[146:147], v[134:135], v[144:145]
	v_mov_b32_e32 v144, 0x7c89e6b0
	v_mov_b32_e32 v145, 0x3efa0199
	;; [unrolled: 3-line block ×8, first 2 shown]
	s_mov_b32 s2, 0
	v_fmac_f64_e32 v[144:145], v[134:135], v[146:147]
	s_mov_b32 s3, 0x40900000
	v_fma_f64 v[144:145], v[134:135], v[144:145], 1.0
	v_cmp_nlt_f64_e32 vcc, s[2:3], v[16:17]
	s_mov_b32 s2, 0
	v_fma_f64 v[134:135], v[134:135], v[144:145], 1.0
	v_cvt_i32_f64_e32 v53, v[132:133]
	s_mov_b32 s3, 0xc090cc00
	v_ldexp_f64 v[132:133], v[134:135], v53
	v_mov_b32_e32 v53, 0x7ff00000
	v_cmp_ngt_f64_e64 s[2:3], s[2:3], v[16:17]
	v_cndmask_b32_e32 v53, v53, v133, vcc
	s_and_b64 vcc, s[2:3], vcc
	v_cndmask_b32_e64 v17, 0, v53, s[2:3]
	v_cndmask_b32_e32 v16, 0, v132, vcc
	v_add_f64 v[132:133], v[16:17], 1.0
	v_add_f64 v[134:135], v[132:133], -1.0
	v_add_f64 v[144:145], v[134:135], -v[132:133]
	v_add_f64 v[144:145], v[144:145], 1.0
	v_add_f64 v[134:135], v[16:17], -v[134:135]
	s_mov_b32 s2, 0x55555555
	v_add_f64 v[134:135], v[134:135], v[144:145]
	v_frexp_mant_f64_e32 v[144:145], v[132:133]
	s_mov_b32 s3, 0x3fe55555
	v_frexp_exp_i32_f64_e32 v53, v[132:133]
	v_cmp_gt_f64_e32 vcc, s[2:3], v[144:145]
	s_mov_b32 s2, 0xbf559e2b
	s_mov_b32 s3, 0x3fc3ab76
	v_subbrev_co_u32_e32 v53, vcc, 0, v53, vcc
	v_sub_u32_e32 v71, 0, v53
	v_ldexp_f64 v[132:133], v[132:133], v71
	v_add_f64 v[144:145], v[132:133], -1.0
	v_add_f64 v[150:151], v[132:133], 1.0
	v_add_f64 v[146:147], v[144:145], 1.0
	v_add_f64 v[160:161], v[150:151], -1.0
	v_ldexp_f64 v[134:135], v[134:135], v71
	v_add_f64 v[146:147], v[132:133], -v[146:147]
	v_add_f64 v[132:133], v[132:133], -v[160:161]
	v_add_f64 v[132:133], v[134:135], v[132:133]
	v_add_f64 v[146:147], v[134:135], v[146:147]
	;; [unrolled: 1-line block ×3, first 2 shown]
	v_rcp_f64_e32 v[160:161], v[134:135]
	v_add_f64 v[148:149], v[144:145], v[146:147]
	v_add_f64 v[144:145], v[148:149], -v[144:145]
	v_add_f64 v[144:145], v[146:147], -v[144:145]
	;; [unrolled: 1-line block ×4, first 2 shown]
	v_fma_f64 v[146:147], -v[134:135], v[160:161], 1.0
	v_fmac_f64_e32 v[160:161], v[146:147], v[160:161]
	v_fma_f64 v[146:147], -v[134:135], v[160:161], 1.0
	v_fmac_f64_e32 v[160:161], v[146:147], v[160:161]
	v_mul_f64 v[146:147], v[148:149], v[160:161]
	v_mul_f64 v[150:151], v[134:135], v[146:147]
	v_fma_f64 v[162:163], v[146:147], v[134:135], -v[150:151]
	v_fmac_f64_e32 v[162:163], v[146:147], v[132:133]
	v_add_f64 v[164:165], v[150:151], v[162:163]
	v_add_f64 v[166:167], v[148:149], -v[164:165]
	v_add_f64 v[148:149], v[148:149], -v[166:167]
	v_add_f64 v[150:151], v[164:165], -v[150:151]
	v_add_f64 v[148:149], v[148:149], -v[164:165]
	v_add_f64 v[144:145], v[144:145], v[148:149]
	v_add_f64 v[148:149], v[150:151], -v[162:163]
	v_add_f64 v[144:145], v[148:149], v[144:145]
	v_add_f64 v[148:149], v[166:167], v[144:145]
	v_add_f64 v[150:151], v[166:167], -v[148:149]
	v_add_f64 v[144:145], v[144:145], v[150:151]
	v_mul_f64 v[150:151], v[160:161], v[148:149]
	v_mul_f64 v[162:163], v[134:135], v[150:151]
	v_fma_f64 v[134:135], v[150:151], v[134:135], -v[162:163]
	v_fmac_f64_e32 v[134:135], v[150:151], v[132:133]
	v_add_f64 v[132:133], v[162:163], v[134:135]
	v_add_f64 v[164:165], v[148:149], -v[132:133]
	v_add_f64 v[148:149], v[148:149], -v[164:165]
	;; [unrolled: 1-line block ×4, first 2 shown]
	v_add_f64 v[132:133], v[144:145], v[132:133]
	v_add_f64 v[134:135], v[162:163], -v[134:135]
	v_add_f64 v[132:133], v[134:135], v[132:133]
	v_add_f64 v[134:135], v[146:147], v[150:151]
	;; [unrolled: 1-line block ×3, first 2 shown]
	v_add_f64 v[144:145], v[134:135], -v[146:147]
	v_mul_f64 v[132:133], v[160:161], v[132:133]
	v_add_f64 v[144:145], v[150:151], -v[144:145]
	v_add_f64 v[132:133], v[144:145], v[132:133]
	v_add_f64 v[144:145], v[134:135], v[132:133]
	v_add_f64 v[134:135], v[144:145], -v[134:135]
	v_add_f64 v[132:133], v[132:133], -v[134:135]
	v_mul_f64 v[134:135], v[144:145], v[144:145]
	v_mov_b32_e32 v146, 0x6b47b09a
	v_mov_b32_e32 v147, 0x3fc38538
	v_fmac_f64_e32 v[146:147], s[2:3], v[134:135]
	v_mov_b32_e32 v148, 0xd7f4df2e
	v_mov_b32_e32 v149, 0x3fc7474d
	v_fmac_f64_e32 v[148:149], v[134:135], v[146:147]
	v_mov_b32_e32 v146, 0x16291751
	v_mov_b32_e32 v147, 0x3fcc71c0
	v_fmac_f64_e32 v[146:147], v[134:135], v[148:149]
	v_mov_b32_e32 v148, 0x9b27acf1
	v_mov_b32_e32 v149, 0x3fd24924
	v_fmac_f64_e32 v[148:149], v[134:135], v[146:147]
	v_mov_b32_e32 v146, 0x998ef7b6
	v_mov_b32_e32 v147, 0x3fd99999
	v_fmac_f64_e32 v[146:147], v[134:135], v[148:149]
	v_mov_b32_e32 v148, 0x55555780
	v_mov_b32_e32 v149, 0x3fe55555
	v_fmac_f64_e32 v[148:149], v[134:135], v[146:147]
	v_cvt_f64_i32_e32 v[146:147], v53
	s_mov_b32 s7, 0x3fe62e42
	v_mul_f64 v[150:151], v[146:147], s[6:7]
	v_fma_f64 v[160:161], v[146:147], s[6:7], -v[150:151]
	s_mov_b32 s9, 0x3c7abc9e
	v_fmac_f64_e32 v[160:161], s[8:9], v[146:147]
	v_add_f64 v[146:147], v[150:151], v[160:161]
	v_add_f64 v[150:151], v[146:147], -v[150:151]
	v_mul_f64 v[134:135], v[144:145], v[134:135]
	v_add_f64 v[150:151], v[160:161], -v[150:151]
	v_ldexp_f64 v[160:161], v[144:145], 1
	v_mul_f64 v[134:135], v[134:135], v[148:149]
	v_add_f64 v[144:145], v[160:161], v[134:135]
	v_add_f64 v[148:149], v[144:145], -v[160:161]
	v_ldexp_f64 v[132:133], v[132:133], 1
	v_add_f64 v[134:135], v[134:135], -v[148:149]
	v_add_f64 v[132:133], v[132:133], v[134:135]
	v_add_f64 v[134:135], v[144:145], v[132:133]
	v_add_f64 v[144:145], v[134:135], -v[144:145]
	v_add_f64 v[132:133], v[132:133], -v[144:145]
	v_add_f64 v[144:145], v[146:147], v[134:135]
	v_add_f64 v[148:149], v[144:145], -v[146:147]
	v_add_f64 v[160:161], v[144:145], -v[148:149]
	;; [unrolled: 1-line block ×4, first 2 shown]
	v_add_f64 v[134:135], v[134:135], v[146:147]
	v_add_f64 v[146:147], v[150:151], v[132:133]
	v_add_f64 v[148:149], v[146:147], -v[150:151]
	v_add_f64 v[134:135], v[146:147], v[134:135]
	v_add_f64 v[160:161], v[146:147], -v[148:149]
	;; [unrolled: 2-line block ×3, first 2 shown]
	v_add_f64 v[132:133], v[132:133], -v[148:149]
	v_add_f64 v[144:145], v[146:147], -v[144:145]
	v_add_f64 v[132:133], v[132:133], v[150:151]
	v_add_f64 v[134:135], v[134:135], -v[144:145]
	s_mov_b32 s2, 0
	v_add_f64 v[132:133], v[132:133], v[134:135]
	s_mov_b32 s3, 0x7ff00000
	v_add_f64 v[132:133], v[146:147], v[132:133]
	v_cmp_eq_f64_e32 vcc, s[2:3], v[16:17]
	s_nop 1
	v_cndmask_b32_e32 v53, v132, v16, vcc
	v_cndmask_b32_e32 v71, v133, v17, vcc
	v_mov_b32_e32 v132, 0x7ff80000
	v_cmp_ngt_f64_e32 vcc, -1.0, v[16:17]
	s_nop 1
	v_cndmask_b32_e32 v71, v132, v71, vcc
	v_cmp_nge_f64_e32 vcc, -1.0, v[16:17]
	s_nop 1
	v_cndmask_b32_e32 v132, 0, v53, vcc
	v_mov_b32_e32 v53, 0xfff00000
	v_cmp_neq_f64_e32 vcc, -1.0, v[16:17]
	s_nop 1
	v_cndmask_b32_e32 v133, v53, v71, vcc
	v_add_f64 v[16:17], v[18:19], v[132:133]
.LBB50_245:
	s_or_b64 exec, exec, s[4:5]
	v_max_f64 v[18:19], v[16:17], v[16:17]
	v_min_f64 v[132:133], v[18:19], v[20:21]
	v_cmp_u_f64_e32 vcc, v[16:17], v[16:17]
	v_max_f64 v[18:19], v[18:19], v[20:21]
	s_nop 0
	v_cndmask_b32_e32 v53, v132, v16, vcc
	v_cndmask_b32_e32 v71, v133, v17, vcc
	;; [unrolled: 1-line block ×4, first 2 shown]
	v_cndmask_b32_e64 v133, v71, v99, s[14:15]
	v_cndmask_b32_e64 v132, v53, v98, s[14:15]
	;; [unrolled: 1-line block ×4, first 2 shown]
	v_cmp_neq_f64_e32 vcc, v[132:133], v[20:21]
	v_cmp_class_f64_e64 s[2:3], v[132:133], s10
	s_or_b64 s[2:3], vcc, s[2:3]
	v_mov_b64_e32 v[18:19], v[16:17]
	s_and_saveexec_b64 s[4:5], s[2:3]
	s_cbranch_execz .LBB50_247
; %bb.246:
	s_mov_b32 s2, 0x652b82fe
	v_add_f64 v[18:19], v[132:133], -v[20:21]
	s_mov_b32 s3, 0x3ff71547
	v_mul_f64 v[132:133], v[18:19], s[2:3]
	v_rndne_f64_e32 v[132:133], v[132:133]
	s_mov_b32 s7, 0xbfe62e42
	s_mov_b32 s6, 0xfefa39ef
	v_fma_f64 v[134:135], s[6:7], v[132:133], v[18:19]
	s_mov_b32 s9, 0xbc7abc9e
	s_mov_b32 s8, 0x3b39803f
	;; [unrolled: 1-line block ×3, first 2 shown]
	v_fmac_f64_e32 v[134:135], s[8:9], v[132:133]
	v_mov_b32_e32 v144, 0xfca7ab0c
	v_mov_b32_e32 v145, 0x3e928af3
	s_mov_b32 s3, 0x3e5ade15
	v_fmac_f64_e32 v[144:145], s[2:3], v[134:135]
	v_mov_b32_e32 v146, 0x623fde64
	v_mov_b32_e32 v147, 0x3ec71dee
	v_fmac_f64_e32 v[146:147], v[134:135], v[144:145]
	v_mov_b32_e32 v144, 0x7c89e6b0
	v_mov_b32_e32 v145, 0x3efa0199
	v_fmac_f64_e32 v[144:145], v[134:135], v[146:147]
	v_mov_b32_e32 v146, 0x14761f6e
	v_mov_b32_e32 v147, 0x3f2a01a0
	v_fmac_f64_e32 v[146:147], v[134:135], v[144:145]
	v_mov_b32_e32 v144, 0x1852b7b0
	v_mov_b32_e32 v145, 0x3f56c16c
	v_fmac_f64_e32 v[144:145], v[134:135], v[146:147]
	v_mov_b32_e32 v146, 0x11122322
	v_mov_b32_e32 v147, 0x3f811111
	v_fmac_f64_e32 v[146:147], v[134:135], v[144:145]
	v_mov_b32_e32 v144, 0x555502a1
	v_mov_b32_e32 v145, 0x3fa55555
	v_fmac_f64_e32 v[144:145], v[134:135], v[146:147]
	v_mov_b32_e32 v146, 0x55555511
	v_mov_b32_e32 v147, 0x3fc55555
	v_fmac_f64_e32 v[146:147], v[134:135], v[144:145]
	v_mov_b32_e32 v144, 11
	v_mov_b32_e32 v145, 0x3fe00000
	s_mov_b32 s2, 0
	v_fmac_f64_e32 v[144:145], v[134:135], v[146:147]
	s_mov_b32 s3, 0x40900000
	v_fma_f64 v[144:145], v[134:135], v[144:145], 1.0
	v_cmp_nlt_f64_e32 vcc, s[2:3], v[18:19]
	s_mov_b32 s2, 0
	v_fma_f64 v[134:135], v[134:135], v[144:145], 1.0
	v_cvt_i32_f64_e32 v53, v[132:133]
	s_mov_b32 s3, 0xc090cc00
	v_ldexp_f64 v[132:133], v[134:135], v53
	v_mov_b32_e32 v53, 0x7ff00000
	v_cmp_ngt_f64_e64 s[2:3], s[2:3], v[18:19]
	v_cndmask_b32_e32 v53, v53, v133, vcc
	s_and_b64 vcc, s[2:3], vcc
	v_cndmask_b32_e64 v19, 0, v53, s[2:3]
	v_cndmask_b32_e32 v18, 0, v132, vcc
	v_add_f64 v[132:133], v[18:19], 1.0
	v_add_f64 v[134:135], v[132:133], -1.0
	v_add_f64 v[144:145], v[134:135], -v[132:133]
	v_add_f64 v[144:145], v[144:145], 1.0
	v_add_f64 v[134:135], v[18:19], -v[134:135]
	s_mov_b32 s2, 0x55555555
	v_add_f64 v[134:135], v[134:135], v[144:145]
	v_frexp_mant_f64_e32 v[144:145], v[132:133]
	s_mov_b32 s3, 0x3fe55555
	v_frexp_exp_i32_f64_e32 v53, v[132:133]
	v_cmp_gt_f64_e32 vcc, s[2:3], v[144:145]
	s_mov_b32 s2, 0xbf559e2b
	s_mov_b32 s3, 0x3fc3ab76
	v_subbrev_co_u32_e32 v53, vcc, 0, v53, vcc
	v_sub_u32_e32 v71, 0, v53
	v_ldexp_f64 v[132:133], v[132:133], v71
	v_add_f64 v[144:145], v[132:133], -1.0
	v_add_f64 v[150:151], v[132:133], 1.0
	v_add_f64 v[146:147], v[144:145], 1.0
	v_add_f64 v[160:161], v[150:151], -1.0
	v_ldexp_f64 v[134:135], v[134:135], v71
	v_add_f64 v[146:147], v[132:133], -v[146:147]
	v_add_f64 v[132:133], v[132:133], -v[160:161]
	v_add_f64 v[132:133], v[134:135], v[132:133]
	v_add_f64 v[146:147], v[134:135], v[146:147]
	;; [unrolled: 1-line block ×3, first 2 shown]
	v_rcp_f64_e32 v[160:161], v[134:135]
	v_add_f64 v[148:149], v[144:145], v[146:147]
	v_add_f64 v[144:145], v[148:149], -v[144:145]
	v_add_f64 v[144:145], v[146:147], -v[144:145]
	v_add_f64 v[146:147], v[134:135], -v[150:151]
	v_add_f64 v[132:133], v[132:133], -v[146:147]
	v_fma_f64 v[146:147], -v[134:135], v[160:161], 1.0
	v_fmac_f64_e32 v[160:161], v[146:147], v[160:161]
	v_fma_f64 v[146:147], -v[134:135], v[160:161], 1.0
	v_fmac_f64_e32 v[160:161], v[146:147], v[160:161]
	v_mul_f64 v[146:147], v[148:149], v[160:161]
	v_mul_f64 v[150:151], v[134:135], v[146:147]
	v_fma_f64 v[162:163], v[146:147], v[134:135], -v[150:151]
	v_fmac_f64_e32 v[162:163], v[146:147], v[132:133]
	v_add_f64 v[164:165], v[150:151], v[162:163]
	v_add_f64 v[166:167], v[148:149], -v[164:165]
	v_add_f64 v[148:149], v[148:149], -v[166:167]
	v_add_f64 v[150:151], v[164:165], -v[150:151]
	v_add_f64 v[148:149], v[148:149], -v[164:165]
	v_add_f64 v[144:145], v[144:145], v[148:149]
	v_add_f64 v[148:149], v[150:151], -v[162:163]
	v_add_f64 v[144:145], v[148:149], v[144:145]
	v_add_f64 v[148:149], v[166:167], v[144:145]
	v_add_f64 v[150:151], v[166:167], -v[148:149]
	v_add_f64 v[144:145], v[144:145], v[150:151]
	v_mul_f64 v[150:151], v[160:161], v[148:149]
	v_mul_f64 v[162:163], v[134:135], v[150:151]
	v_fma_f64 v[134:135], v[150:151], v[134:135], -v[162:163]
	v_fmac_f64_e32 v[134:135], v[150:151], v[132:133]
	v_add_f64 v[132:133], v[162:163], v[134:135]
	v_add_f64 v[164:165], v[148:149], -v[132:133]
	v_add_f64 v[148:149], v[148:149], -v[164:165]
	;; [unrolled: 1-line block ×4, first 2 shown]
	v_add_f64 v[132:133], v[144:145], v[132:133]
	v_add_f64 v[134:135], v[162:163], -v[134:135]
	v_add_f64 v[132:133], v[134:135], v[132:133]
	v_add_f64 v[134:135], v[146:147], v[150:151]
	;; [unrolled: 1-line block ×3, first 2 shown]
	v_add_f64 v[144:145], v[134:135], -v[146:147]
	v_mul_f64 v[132:133], v[160:161], v[132:133]
	v_add_f64 v[144:145], v[150:151], -v[144:145]
	v_add_f64 v[132:133], v[144:145], v[132:133]
	v_add_f64 v[144:145], v[134:135], v[132:133]
	v_add_f64 v[134:135], v[144:145], -v[134:135]
	v_add_f64 v[132:133], v[132:133], -v[134:135]
	v_mul_f64 v[134:135], v[144:145], v[144:145]
	v_mov_b32_e32 v146, 0x6b47b09a
	v_mov_b32_e32 v147, 0x3fc38538
	v_fmac_f64_e32 v[146:147], s[2:3], v[134:135]
	v_mov_b32_e32 v148, 0xd7f4df2e
	v_mov_b32_e32 v149, 0x3fc7474d
	v_fmac_f64_e32 v[148:149], v[134:135], v[146:147]
	;; [unrolled: 3-line block ×6, first 2 shown]
	v_cvt_f64_i32_e32 v[146:147], v53
	s_mov_b32 s7, 0x3fe62e42
	v_mul_f64 v[150:151], v[146:147], s[6:7]
	v_fma_f64 v[160:161], v[146:147], s[6:7], -v[150:151]
	s_mov_b32 s9, 0x3c7abc9e
	v_fmac_f64_e32 v[160:161], s[8:9], v[146:147]
	v_add_f64 v[146:147], v[150:151], v[160:161]
	v_add_f64 v[150:151], v[146:147], -v[150:151]
	v_mul_f64 v[134:135], v[144:145], v[134:135]
	v_add_f64 v[150:151], v[160:161], -v[150:151]
	v_ldexp_f64 v[160:161], v[144:145], 1
	v_mul_f64 v[134:135], v[134:135], v[148:149]
	v_add_f64 v[144:145], v[160:161], v[134:135]
	v_add_f64 v[148:149], v[144:145], -v[160:161]
	v_ldexp_f64 v[132:133], v[132:133], 1
	v_add_f64 v[134:135], v[134:135], -v[148:149]
	v_add_f64 v[132:133], v[132:133], v[134:135]
	v_add_f64 v[134:135], v[144:145], v[132:133]
	v_add_f64 v[144:145], v[134:135], -v[144:145]
	v_add_f64 v[132:133], v[132:133], -v[144:145]
	v_add_f64 v[144:145], v[146:147], v[134:135]
	v_add_f64 v[148:149], v[144:145], -v[146:147]
	v_add_f64 v[160:161], v[144:145], -v[148:149]
	;; [unrolled: 1-line block ×4, first 2 shown]
	v_add_f64 v[134:135], v[134:135], v[146:147]
	v_add_f64 v[146:147], v[150:151], v[132:133]
	v_add_f64 v[148:149], v[146:147], -v[150:151]
	v_add_f64 v[134:135], v[146:147], v[134:135]
	v_add_f64 v[160:161], v[146:147], -v[148:149]
	;; [unrolled: 2-line block ×3, first 2 shown]
	v_add_f64 v[132:133], v[132:133], -v[148:149]
	v_add_f64 v[144:145], v[146:147], -v[144:145]
	v_add_f64 v[132:133], v[132:133], v[150:151]
	v_add_f64 v[134:135], v[134:135], -v[144:145]
	s_mov_b32 s2, 0
	v_add_f64 v[132:133], v[132:133], v[134:135]
	s_mov_b32 s3, 0x7ff00000
	v_add_f64 v[132:133], v[146:147], v[132:133]
	v_cmp_eq_f64_e32 vcc, s[2:3], v[18:19]
	s_nop 1
	v_cndmask_b32_e32 v53, v132, v18, vcc
	v_cndmask_b32_e32 v71, v133, v19, vcc
	v_mov_b32_e32 v132, 0x7ff80000
	v_cmp_ngt_f64_e32 vcc, -1.0, v[18:19]
	s_nop 1
	v_cndmask_b32_e32 v71, v132, v71, vcc
	v_cmp_nge_f64_e32 vcc, -1.0, v[18:19]
	s_nop 1
	v_cndmask_b32_e32 v132, 0, v53, vcc
	v_mov_b32_e32 v53, 0xfff00000
	v_cmp_neq_f64_e32 vcc, -1.0, v[18:19]
	s_nop 1
	v_cndmask_b32_e32 v133, v53, v71, vcc
	v_add_f64 v[18:19], v[20:21], v[132:133]
.LBB50_247:
	s_or_b64 exec, exec, s[4:5]
	v_max_f64 v[20:21], v[18:19], v[18:19]
	v_min_f64 v[132:133], v[20:21], v[22:23]
	v_cmp_u_f64_e32 vcc, v[18:19], v[18:19]
	v_max_f64 v[20:21], v[20:21], v[22:23]
	s_nop 0
	v_cndmask_b32_e32 v53, v132, v18, vcc
	v_cndmask_b32_e32 v71, v133, v19, vcc
	;; [unrolled: 1-line block ×4, first 2 shown]
	v_cndmask_b32_e64 v133, v71, v85, s[16:17]
	v_cndmask_b32_e64 v132, v53, v84, s[16:17]
	;; [unrolled: 1-line block ×4, first 2 shown]
	v_cmp_neq_f64_e32 vcc, v[132:133], v[22:23]
	v_cmp_class_f64_e64 s[2:3], v[132:133], s10
	s_or_b64 s[2:3], vcc, s[2:3]
	v_mov_b64_e32 v[20:21], v[18:19]
	s_and_saveexec_b64 s[4:5], s[2:3]
	s_cbranch_execz .LBB50_249
; %bb.248:
	s_mov_b32 s2, 0x652b82fe
	v_add_f64 v[20:21], v[132:133], -v[22:23]
	s_mov_b32 s3, 0x3ff71547
	v_mul_f64 v[132:133], v[20:21], s[2:3]
	v_rndne_f64_e32 v[132:133], v[132:133]
	s_mov_b32 s7, 0xbfe62e42
	s_mov_b32 s6, 0xfefa39ef
	v_fma_f64 v[134:135], s[6:7], v[132:133], v[20:21]
	s_mov_b32 s9, 0xbc7abc9e
	s_mov_b32 s8, 0x3b39803f
	;; [unrolled: 1-line block ×3, first 2 shown]
	v_fmac_f64_e32 v[134:135], s[8:9], v[132:133]
	v_mov_b32_e32 v144, 0xfca7ab0c
	v_mov_b32_e32 v145, 0x3e928af3
	s_mov_b32 s3, 0x3e5ade15
	v_fmac_f64_e32 v[144:145], s[2:3], v[134:135]
	v_mov_b32_e32 v146, 0x623fde64
	v_mov_b32_e32 v147, 0x3ec71dee
	v_fmac_f64_e32 v[146:147], v[134:135], v[144:145]
	v_mov_b32_e32 v144, 0x7c89e6b0
	v_mov_b32_e32 v145, 0x3efa0199
	;; [unrolled: 3-line block ×8, first 2 shown]
	s_mov_b32 s2, 0
	v_fmac_f64_e32 v[144:145], v[134:135], v[146:147]
	s_mov_b32 s3, 0x40900000
	v_fma_f64 v[144:145], v[134:135], v[144:145], 1.0
	v_cmp_nlt_f64_e32 vcc, s[2:3], v[20:21]
	s_mov_b32 s2, 0
	v_fma_f64 v[134:135], v[134:135], v[144:145], 1.0
	v_cvt_i32_f64_e32 v53, v[132:133]
	s_mov_b32 s3, 0xc090cc00
	v_ldexp_f64 v[132:133], v[134:135], v53
	v_mov_b32_e32 v53, 0x7ff00000
	v_cmp_ngt_f64_e64 s[2:3], s[2:3], v[20:21]
	v_cndmask_b32_e32 v53, v53, v133, vcc
	s_and_b64 vcc, s[2:3], vcc
	v_cndmask_b32_e64 v21, 0, v53, s[2:3]
	v_cndmask_b32_e32 v20, 0, v132, vcc
	v_add_f64 v[132:133], v[20:21], 1.0
	v_add_f64 v[134:135], v[132:133], -1.0
	v_add_f64 v[144:145], v[134:135], -v[132:133]
	v_add_f64 v[144:145], v[144:145], 1.0
	v_add_f64 v[134:135], v[20:21], -v[134:135]
	s_mov_b32 s2, 0x55555555
	v_add_f64 v[134:135], v[134:135], v[144:145]
	v_frexp_mant_f64_e32 v[144:145], v[132:133]
	s_mov_b32 s3, 0x3fe55555
	v_frexp_exp_i32_f64_e32 v53, v[132:133]
	v_cmp_gt_f64_e32 vcc, s[2:3], v[144:145]
	s_mov_b32 s2, 0xbf559e2b
	s_mov_b32 s3, 0x3fc3ab76
	v_subbrev_co_u32_e32 v53, vcc, 0, v53, vcc
	v_sub_u32_e32 v71, 0, v53
	v_ldexp_f64 v[132:133], v[132:133], v71
	v_add_f64 v[144:145], v[132:133], -1.0
	v_add_f64 v[150:151], v[132:133], 1.0
	v_add_f64 v[146:147], v[144:145], 1.0
	v_add_f64 v[160:161], v[150:151], -1.0
	v_ldexp_f64 v[134:135], v[134:135], v71
	v_add_f64 v[146:147], v[132:133], -v[146:147]
	v_add_f64 v[132:133], v[132:133], -v[160:161]
	v_add_f64 v[132:133], v[134:135], v[132:133]
	v_add_f64 v[146:147], v[134:135], v[146:147]
	;; [unrolled: 1-line block ×3, first 2 shown]
	v_rcp_f64_e32 v[160:161], v[134:135]
	v_add_f64 v[148:149], v[144:145], v[146:147]
	v_add_f64 v[144:145], v[148:149], -v[144:145]
	v_add_f64 v[144:145], v[146:147], -v[144:145]
	v_add_f64 v[146:147], v[134:135], -v[150:151]
	v_add_f64 v[132:133], v[132:133], -v[146:147]
	v_fma_f64 v[146:147], -v[134:135], v[160:161], 1.0
	v_fmac_f64_e32 v[160:161], v[146:147], v[160:161]
	v_fma_f64 v[146:147], -v[134:135], v[160:161], 1.0
	v_fmac_f64_e32 v[160:161], v[146:147], v[160:161]
	v_mul_f64 v[146:147], v[148:149], v[160:161]
	v_mul_f64 v[150:151], v[134:135], v[146:147]
	v_fma_f64 v[162:163], v[146:147], v[134:135], -v[150:151]
	v_fmac_f64_e32 v[162:163], v[146:147], v[132:133]
	v_add_f64 v[164:165], v[150:151], v[162:163]
	v_add_f64 v[166:167], v[148:149], -v[164:165]
	v_add_f64 v[148:149], v[148:149], -v[166:167]
	;; [unrolled: 1-line block ×4, first 2 shown]
	v_add_f64 v[144:145], v[144:145], v[148:149]
	v_add_f64 v[148:149], v[150:151], -v[162:163]
	v_add_f64 v[144:145], v[148:149], v[144:145]
	v_add_f64 v[148:149], v[166:167], v[144:145]
	v_add_f64 v[150:151], v[166:167], -v[148:149]
	v_add_f64 v[144:145], v[144:145], v[150:151]
	v_mul_f64 v[150:151], v[160:161], v[148:149]
	v_mul_f64 v[162:163], v[134:135], v[150:151]
	v_fma_f64 v[134:135], v[150:151], v[134:135], -v[162:163]
	v_fmac_f64_e32 v[134:135], v[150:151], v[132:133]
	v_add_f64 v[132:133], v[162:163], v[134:135]
	v_add_f64 v[164:165], v[148:149], -v[132:133]
	v_add_f64 v[148:149], v[148:149], -v[164:165]
	;; [unrolled: 1-line block ×4, first 2 shown]
	v_add_f64 v[132:133], v[144:145], v[132:133]
	v_add_f64 v[134:135], v[162:163], -v[134:135]
	v_add_f64 v[132:133], v[134:135], v[132:133]
	v_add_f64 v[134:135], v[146:147], v[150:151]
	;; [unrolled: 1-line block ×3, first 2 shown]
	v_add_f64 v[144:145], v[134:135], -v[146:147]
	v_mul_f64 v[132:133], v[160:161], v[132:133]
	v_add_f64 v[144:145], v[150:151], -v[144:145]
	v_add_f64 v[132:133], v[144:145], v[132:133]
	v_add_f64 v[144:145], v[134:135], v[132:133]
	v_add_f64 v[134:135], v[144:145], -v[134:135]
	v_add_f64 v[132:133], v[132:133], -v[134:135]
	v_mul_f64 v[134:135], v[144:145], v[144:145]
	v_mov_b32_e32 v146, 0x6b47b09a
	v_mov_b32_e32 v147, 0x3fc38538
	v_fmac_f64_e32 v[146:147], s[2:3], v[134:135]
	v_mov_b32_e32 v148, 0xd7f4df2e
	v_mov_b32_e32 v149, 0x3fc7474d
	v_fmac_f64_e32 v[148:149], v[134:135], v[146:147]
	v_mov_b32_e32 v146, 0x16291751
	v_mov_b32_e32 v147, 0x3fcc71c0
	v_fmac_f64_e32 v[146:147], v[134:135], v[148:149]
	v_mov_b32_e32 v148, 0x9b27acf1
	v_mov_b32_e32 v149, 0x3fd24924
	v_fmac_f64_e32 v[148:149], v[134:135], v[146:147]
	v_mov_b32_e32 v146, 0x998ef7b6
	v_mov_b32_e32 v147, 0x3fd99999
	v_fmac_f64_e32 v[146:147], v[134:135], v[148:149]
	v_mov_b32_e32 v148, 0x55555780
	v_mov_b32_e32 v149, 0x3fe55555
	v_fmac_f64_e32 v[148:149], v[134:135], v[146:147]
	v_cvt_f64_i32_e32 v[146:147], v53
	s_mov_b32 s7, 0x3fe62e42
	v_mul_f64 v[150:151], v[146:147], s[6:7]
	v_fma_f64 v[160:161], v[146:147], s[6:7], -v[150:151]
	s_mov_b32 s9, 0x3c7abc9e
	v_fmac_f64_e32 v[160:161], s[8:9], v[146:147]
	v_add_f64 v[146:147], v[150:151], v[160:161]
	v_add_f64 v[150:151], v[146:147], -v[150:151]
	v_mul_f64 v[134:135], v[144:145], v[134:135]
	v_add_f64 v[150:151], v[160:161], -v[150:151]
	v_ldexp_f64 v[160:161], v[144:145], 1
	v_mul_f64 v[134:135], v[134:135], v[148:149]
	v_add_f64 v[144:145], v[160:161], v[134:135]
	v_add_f64 v[148:149], v[144:145], -v[160:161]
	v_ldexp_f64 v[132:133], v[132:133], 1
	v_add_f64 v[134:135], v[134:135], -v[148:149]
	v_add_f64 v[132:133], v[132:133], v[134:135]
	v_add_f64 v[134:135], v[144:145], v[132:133]
	v_add_f64 v[144:145], v[134:135], -v[144:145]
	v_add_f64 v[132:133], v[132:133], -v[144:145]
	v_add_f64 v[144:145], v[146:147], v[134:135]
	v_add_f64 v[148:149], v[144:145], -v[146:147]
	v_add_f64 v[160:161], v[144:145], -v[148:149]
	v_add_f64 v[146:147], v[146:147], -v[160:161]
	v_add_f64 v[134:135], v[134:135], -v[148:149]
	v_add_f64 v[134:135], v[134:135], v[146:147]
	v_add_f64 v[146:147], v[150:151], v[132:133]
	v_add_f64 v[148:149], v[146:147], -v[150:151]
	v_add_f64 v[134:135], v[146:147], v[134:135]
	v_add_f64 v[160:161], v[146:147], -v[148:149]
	;; [unrolled: 2-line block ×3, first 2 shown]
	v_add_f64 v[132:133], v[132:133], -v[148:149]
	v_add_f64 v[144:145], v[146:147], -v[144:145]
	v_add_f64 v[132:133], v[132:133], v[150:151]
	v_add_f64 v[134:135], v[134:135], -v[144:145]
	s_mov_b32 s2, 0
	v_add_f64 v[132:133], v[132:133], v[134:135]
	s_mov_b32 s3, 0x7ff00000
	v_add_f64 v[132:133], v[146:147], v[132:133]
	v_cmp_eq_f64_e32 vcc, s[2:3], v[20:21]
	s_nop 1
	v_cndmask_b32_e32 v53, v132, v20, vcc
	v_cndmask_b32_e32 v71, v133, v21, vcc
	v_mov_b32_e32 v132, 0x7ff80000
	v_cmp_ngt_f64_e32 vcc, -1.0, v[20:21]
	s_nop 1
	v_cndmask_b32_e32 v71, v132, v71, vcc
	v_cmp_nge_f64_e32 vcc, -1.0, v[20:21]
	s_nop 1
	v_cndmask_b32_e32 v132, 0, v53, vcc
	v_mov_b32_e32 v53, 0xfff00000
	v_cmp_neq_f64_e32 vcc, -1.0, v[20:21]
	s_nop 1
	v_cndmask_b32_e32 v133, v53, v71, vcc
	v_add_f64 v[20:21], v[22:23], v[132:133]
.LBB50_249:
	s_or_b64 exec, exec, s[4:5]
	v_max_f64 v[22:23], v[20:21], v[20:21]
	v_min_f64 v[132:133], v[22:23], v[24:25]
	v_cmp_u_f64_e32 vcc, v[20:21], v[20:21]
	v_max_f64 v[22:23], v[22:23], v[24:25]
	s_nop 0
	v_cndmask_b32_e32 v53, v132, v20, vcc
	v_cndmask_b32_e32 v71, v133, v21, vcc
	;; [unrolled: 1-line block ×4, first 2 shown]
	v_cndmask_b32_e64 v133, v71, v87, s[18:19]
	v_cndmask_b32_e64 v132, v53, v86, s[18:19]
	;; [unrolled: 1-line block ×4, first 2 shown]
	v_cmp_neq_f64_e32 vcc, v[132:133], v[24:25]
	v_cmp_class_f64_e64 s[2:3], v[132:133], s10
	s_or_b64 s[2:3], vcc, s[2:3]
	v_mov_b64_e32 v[22:23], v[20:21]
	s_and_saveexec_b64 s[4:5], s[2:3]
	s_cbranch_execz .LBB50_251
; %bb.250:
	s_mov_b32 s2, 0x652b82fe
	v_add_f64 v[22:23], v[132:133], -v[24:25]
	s_mov_b32 s3, 0x3ff71547
	v_mul_f64 v[132:133], v[22:23], s[2:3]
	v_rndne_f64_e32 v[132:133], v[132:133]
	s_mov_b32 s7, 0xbfe62e42
	s_mov_b32 s6, 0xfefa39ef
	v_fma_f64 v[134:135], s[6:7], v[132:133], v[22:23]
	s_mov_b32 s9, 0xbc7abc9e
	s_mov_b32 s8, 0x3b39803f
	;; [unrolled: 1-line block ×3, first 2 shown]
	v_fmac_f64_e32 v[134:135], s[8:9], v[132:133]
	v_mov_b32_e32 v144, 0xfca7ab0c
	v_mov_b32_e32 v145, 0x3e928af3
	s_mov_b32 s3, 0x3e5ade15
	v_fmac_f64_e32 v[144:145], s[2:3], v[134:135]
	v_mov_b32_e32 v146, 0x623fde64
	v_mov_b32_e32 v147, 0x3ec71dee
	v_fmac_f64_e32 v[146:147], v[134:135], v[144:145]
	v_mov_b32_e32 v144, 0x7c89e6b0
	v_mov_b32_e32 v145, 0x3efa0199
	v_fmac_f64_e32 v[144:145], v[134:135], v[146:147]
	v_mov_b32_e32 v146, 0x14761f6e
	v_mov_b32_e32 v147, 0x3f2a01a0
	v_fmac_f64_e32 v[146:147], v[134:135], v[144:145]
	v_mov_b32_e32 v144, 0x1852b7b0
	v_mov_b32_e32 v145, 0x3f56c16c
	v_fmac_f64_e32 v[144:145], v[134:135], v[146:147]
	v_mov_b32_e32 v146, 0x11122322
	v_mov_b32_e32 v147, 0x3f811111
	v_fmac_f64_e32 v[146:147], v[134:135], v[144:145]
	v_mov_b32_e32 v144, 0x555502a1
	v_mov_b32_e32 v145, 0x3fa55555
	v_fmac_f64_e32 v[144:145], v[134:135], v[146:147]
	v_mov_b32_e32 v146, 0x55555511
	v_mov_b32_e32 v147, 0x3fc55555
	v_fmac_f64_e32 v[146:147], v[134:135], v[144:145]
	v_mov_b32_e32 v144, 11
	v_mov_b32_e32 v145, 0x3fe00000
	s_mov_b32 s2, 0
	v_fmac_f64_e32 v[144:145], v[134:135], v[146:147]
	s_mov_b32 s3, 0x40900000
	v_fma_f64 v[144:145], v[134:135], v[144:145], 1.0
	v_cmp_nlt_f64_e32 vcc, s[2:3], v[22:23]
	s_mov_b32 s2, 0
	v_fma_f64 v[134:135], v[134:135], v[144:145], 1.0
	v_cvt_i32_f64_e32 v53, v[132:133]
	s_mov_b32 s3, 0xc090cc00
	v_ldexp_f64 v[132:133], v[134:135], v53
	v_mov_b32_e32 v53, 0x7ff00000
	v_cmp_ngt_f64_e64 s[2:3], s[2:3], v[22:23]
	v_cndmask_b32_e32 v53, v53, v133, vcc
	s_and_b64 vcc, s[2:3], vcc
	v_cndmask_b32_e64 v23, 0, v53, s[2:3]
	v_cndmask_b32_e32 v22, 0, v132, vcc
	v_add_f64 v[132:133], v[22:23], 1.0
	v_add_f64 v[134:135], v[132:133], -1.0
	v_add_f64 v[144:145], v[134:135], -v[132:133]
	v_add_f64 v[144:145], v[144:145], 1.0
	v_add_f64 v[134:135], v[22:23], -v[134:135]
	s_mov_b32 s2, 0x55555555
	v_add_f64 v[134:135], v[134:135], v[144:145]
	v_frexp_mant_f64_e32 v[144:145], v[132:133]
	s_mov_b32 s3, 0x3fe55555
	v_frexp_exp_i32_f64_e32 v53, v[132:133]
	v_cmp_gt_f64_e32 vcc, s[2:3], v[144:145]
	s_mov_b32 s2, 0xbf559e2b
	s_mov_b32 s3, 0x3fc3ab76
	v_subbrev_co_u32_e32 v53, vcc, 0, v53, vcc
	v_sub_u32_e32 v71, 0, v53
	v_ldexp_f64 v[132:133], v[132:133], v71
	v_add_f64 v[144:145], v[132:133], -1.0
	v_add_f64 v[150:151], v[132:133], 1.0
	v_add_f64 v[146:147], v[144:145], 1.0
	v_add_f64 v[160:161], v[150:151], -1.0
	v_ldexp_f64 v[134:135], v[134:135], v71
	v_add_f64 v[146:147], v[132:133], -v[146:147]
	v_add_f64 v[132:133], v[132:133], -v[160:161]
	v_add_f64 v[132:133], v[134:135], v[132:133]
	v_add_f64 v[146:147], v[134:135], v[146:147]
	;; [unrolled: 1-line block ×3, first 2 shown]
	v_rcp_f64_e32 v[160:161], v[134:135]
	v_add_f64 v[148:149], v[144:145], v[146:147]
	v_add_f64 v[144:145], v[148:149], -v[144:145]
	v_add_f64 v[144:145], v[146:147], -v[144:145]
	;; [unrolled: 1-line block ×4, first 2 shown]
	v_fma_f64 v[146:147], -v[134:135], v[160:161], 1.0
	v_fmac_f64_e32 v[160:161], v[146:147], v[160:161]
	v_fma_f64 v[146:147], -v[134:135], v[160:161], 1.0
	v_fmac_f64_e32 v[160:161], v[146:147], v[160:161]
	v_mul_f64 v[146:147], v[148:149], v[160:161]
	v_mul_f64 v[150:151], v[134:135], v[146:147]
	v_fma_f64 v[162:163], v[146:147], v[134:135], -v[150:151]
	v_fmac_f64_e32 v[162:163], v[146:147], v[132:133]
	v_add_f64 v[164:165], v[150:151], v[162:163]
	v_add_f64 v[166:167], v[148:149], -v[164:165]
	v_add_f64 v[148:149], v[148:149], -v[166:167]
	;; [unrolled: 1-line block ×4, first 2 shown]
	v_add_f64 v[144:145], v[144:145], v[148:149]
	v_add_f64 v[148:149], v[150:151], -v[162:163]
	v_add_f64 v[144:145], v[148:149], v[144:145]
	v_add_f64 v[148:149], v[166:167], v[144:145]
	v_add_f64 v[150:151], v[166:167], -v[148:149]
	v_add_f64 v[144:145], v[144:145], v[150:151]
	v_mul_f64 v[150:151], v[160:161], v[148:149]
	v_mul_f64 v[162:163], v[134:135], v[150:151]
	v_fma_f64 v[134:135], v[150:151], v[134:135], -v[162:163]
	v_fmac_f64_e32 v[134:135], v[150:151], v[132:133]
	v_add_f64 v[132:133], v[162:163], v[134:135]
	v_add_f64 v[164:165], v[148:149], -v[132:133]
	v_add_f64 v[148:149], v[148:149], -v[164:165]
	;; [unrolled: 1-line block ×4, first 2 shown]
	v_add_f64 v[132:133], v[144:145], v[132:133]
	v_add_f64 v[134:135], v[162:163], -v[134:135]
	v_add_f64 v[132:133], v[134:135], v[132:133]
	v_add_f64 v[134:135], v[146:147], v[150:151]
	v_add_f64 v[132:133], v[164:165], v[132:133]
	v_add_f64 v[144:145], v[134:135], -v[146:147]
	v_mul_f64 v[132:133], v[160:161], v[132:133]
	v_add_f64 v[144:145], v[150:151], -v[144:145]
	v_add_f64 v[132:133], v[144:145], v[132:133]
	v_add_f64 v[144:145], v[134:135], v[132:133]
	v_add_f64 v[134:135], v[144:145], -v[134:135]
	v_add_f64 v[132:133], v[132:133], -v[134:135]
	v_mul_f64 v[134:135], v[144:145], v[144:145]
	v_mov_b32_e32 v146, 0x6b47b09a
	v_mov_b32_e32 v147, 0x3fc38538
	v_fmac_f64_e32 v[146:147], s[2:3], v[134:135]
	v_mov_b32_e32 v148, 0xd7f4df2e
	v_mov_b32_e32 v149, 0x3fc7474d
	v_fmac_f64_e32 v[148:149], v[134:135], v[146:147]
	;; [unrolled: 3-line block ×6, first 2 shown]
	v_cvt_f64_i32_e32 v[146:147], v53
	s_mov_b32 s7, 0x3fe62e42
	v_mul_f64 v[150:151], v[146:147], s[6:7]
	v_fma_f64 v[160:161], v[146:147], s[6:7], -v[150:151]
	s_mov_b32 s9, 0x3c7abc9e
	v_fmac_f64_e32 v[160:161], s[8:9], v[146:147]
	v_add_f64 v[146:147], v[150:151], v[160:161]
	v_add_f64 v[150:151], v[146:147], -v[150:151]
	v_mul_f64 v[134:135], v[144:145], v[134:135]
	v_add_f64 v[150:151], v[160:161], -v[150:151]
	v_ldexp_f64 v[160:161], v[144:145], 1
	v_mul_f64 v[134:135], v[134:135], v[148:149]
	v_add_f64 v[144:145], v[160:161], v[134:135]
	v_add_f64 v[148:149], v[144:145], -v[160:161]
	v_ldexp_f64 v[132:133], v[132:133], 1
	v_add_f64 v[134:135], v[134:135], -v[148:149]
	v_add_f64 v[132:133], v[132:133], v[134:135]
	v_add_f64 v[134:135], v[144:145], v[132:133]
	v_add_f64 v[144:145], v[134:135], -v[144:145]
	v_add_f64 v[132:133], v[132:133], -v[144:145]
	v_add_f64 v[144:145], v[146:147], v[134:135]
	v_add_f64 v[148:149], v[144:145], -v[146:147]
	v_add_f64 v[160:161], v[144:145], -v[148:149]
	v_add_f64 v[146:147], v[146:147], -v[160:161]
	v_add_f64 v[134:135], v[134:135], -v[148:149]
	v_add_f64 v[134:135], v[134:135], v[146:147]
	v_add_f64 v[146:147], v[150:151], v[132:133]
	v_add_f64 v[148:149], v[146:147], -v[150:151]
	v_add_f64 v[134:135], v[146:147], v[134:135]
	v_add_f64 v[160:161], v[146:147], -v[148:149]
	;; [unrolled: 2-line block ×3, first 2 shown]
	v_add_f64 v[132:133], v[132:133], -v[148:149]
	v_add_f64 v[144:145], v[146:147], -v[144:145]
	v_add_f64 v[132:133], v[132:133], v[150:151]
	v_add_f64 v[134:135], v[134:135], -v[144:145]
	s_mov_b32 s2, 0
	v_add_f64 v[132:133], v[132:133], v[134:135]
	s_mov_b32 s3, 0x7ff00000
	v_add_f64 v[132:133], v[146:147], v[132:133]
	v_cmp_eq_f64_e32 vcc, s[2:3], v[22:23]
	s_nop 1
	v_cndmask_b32_e32 v53, v132, v22, vcc
	v_cndmask_b32_e32 v71, v133, v23, vcc
	v_mov_b32_e32 v132, 0x7ff80000
	v_cmp_ngt_f64_e32 vcc, -1.0, v[22:23]
	s_nop 1
	v_cndmask_b32_e32 v71, v132, v71, vcc
	v_cmp_nge_f64_e32 vcc, -1.0, v[22:23]
	s_nop 1
	v_cndmask_b32_e32 v132, 0, v53, vcc
	v_mov_b32_e32 v53, 0xfff00000
	v_cmp_neq_f64_e32 vcc, -1.0, v[22:23]
	s_nop 1
	v_cndmask_b32_e32 v133, v53, v71, vcc
	v_add_f64 v[22:23], v[24:25], v[132:133]
.LBB50_251:
	s_or_b64 exec, exec, s[4:5]
	v_max_f64 v[24:25], v[22:23], v[22:23]
	v_min_f64 v[132:133], v[24:25], v[26:27]
	v_cmp_u_f64_e32 vcc, v[22:23], v[22:23]
	v_max_f64 v[24:25], v[24:25], v[26:27]
	s_nop 0
	v_cndmask_b32_e32 v53, v132, v22, vcc
	v_cndmask_b32_e32 v71, v133, v23, vcc
	;; [unrolled: 1-line block ×4, first 2 shown]
	v_cndmask_b32_e64 v133, v71, v81, s[20:21]
	v_cndmask_b32_e64 v132, v53, v80, s[20:21]
	;; [unrolled: 1-line block ×4, first 2 shown]
	v_cmp_neq_f64_e32 vcc, v[132:133], v[26:27]
	v_cmp_class_f64_e64 s[2:3], v[132:133], s10
	s_or_b64 s[2:3], vcc, s[2:3]
	v_mov_b64_e32 v[24:25], v[22:23]
	s_and_saveexec_b64 s[4:5], s[2:3]
	s_cbranch_execz .LBB50_253
; %bb.252:
	s_mov_b32 s2, 0x652b82fe
	v_add_f64 v[24:25], v[132:133], -v[26:27]
	s_mov_b32 s3, 0x3ff71547
	v_mul_f64 v[132:133], v[24:25], s[2:3]
	v_rndne_f64_e32 v[132:133], v[132:133]
	s_mov_b32 s7, 0xbfe62e42
	s_mov_b32 s6, 0xfefa39ef
	v_fma_f64 v[134:135], s[6:7], v[132:133], v[24:25]
	s_mov_b32 s9, 0xbc7abc9e
	s_mov_b32 s8, 0x3b39803f
	;; [unrolled: 1-line block ×3, first 2 shown]
	v_fmac_f64_e32 v[134:135], s[8:9], v[132:133]
	v_mov_b32_e32 v144, 0xfca7ab0c
	v_mov_b32_e32 v145, 0x3e928af3
	s_mov_b32 s3, 0x3e5ade15
	v_fmac_f64_e32 v[144:145], s[2:3], v[134:135]
	v_mov_b32_e32 v146, 0x623fde64
	v_mov_b32_e32 v147, 0x3ec71dee
	v_fmac_f64_e32 v[146:147], v[134:135], v[144:145]
	v_mov_b32_e32 v144, 0x7c89e6b0
	v_mov_b32_e32 v145, 0x3efa0199
	;; [unrolled: 3-line block ×8, first 2 shown]
	s_mov_b32 s2, 0
	v_fmac_f64_e32 v[144:145], v[134:135], v[146:147]
	s_mov_b32 s3, 0x40900000
	v_fma_f64 v[144:145], v[134:135], v[144:145], 1.0
	v_cmp_nlt_f64_e32 vcc, s[2:3], v[24:25]
	s_mov_b32 s2, 0
	v_fma_f64 v[134:135], v[134:135], v[144:145], 1.0
	v_cvt_i32_f64_e32 v53, v[132:133]
	s_mov_b32 s3, 0xc090cc00
	v_ldexp_f64 v[132:133], v[134:135], v53
	v_mov_b32_e32 v53, 0x7ff00000
	v_cmp_ngt_f64_e64 s[2:3], s[2:3], v[24:25]
	v_cndmask_b32_e32 v53, v53, v133, vcc
	s_and_b64 vcc, s[2:3], vcc
	v_cndmask_b32_e64 v25, 0, v53, s[2:3]
	v_cndmask_b32_e32 v24, 0, v132, vcc
	v_add_f64 v[132:133], v[24:25], 1.0
	v_add_f64 v[134:135], v[132:133], -1.0
	v_add_f64 v[144:145], v[134:135], -v[132:133]
	v_add_f64 v[144:145], v[144:145], 1.0
	v_add_f64 v[134:135], v[24:25], -v[134:135]
	s_mov_b32 s2, 0x55555555
	v_add_f64 v[134:135], v[134:135], v[144:145]
	v_frexp_mant_f64_e32 v[144:145], v[132:133]
	s_mov_b32 s3, 0x3fe55555
	v_frexp_exp_i32_f64_e32 v53, v[132:133]
	v_cmp_gt_f64_e32 vcc, s[2:3], v[144:145]
	s_mov_b32 s2, 0xbf559e2b
	s_mov_b32 s3, 0x3fc3ab76
	v_subbrev_co_u32_e32 v53, vcc, 0, v53, vcc
	v_sub_u32_e32 v71, 0, v53
	v_ldexp_f64 v[132:133], v[132:133], v71
	v_add_f64 v[144:145], v[132:133], -1.0
	v_add_f64 v[150:151], v[132:133], 1.0
	v_add_f64 v[146:147], v[144:145], 1.0
	v_add_f64 v[160:161], v[150:151], -1.0
	v_ldexp_f64 v[134:135], v[134:135], v71
	v_add_f64 v[146:147], v[132:133], -v[146:147]
	v_add_f64 v[132:133], v[132:133], -v[160:161]
	v_add_f64 v[132:133], v[134:135], v[132:133]
	v_add_f64 v[146:147], v[134:135], v[146:147]
	;; [unrolled: 1-line block ×3, first 2 shown]
	v_rcp_f64_e32 v[160:161], v[134:135]
	v_add_f64 v[148:149], v[144:145], v[146:147]
	v_add_f64 v[144:145], v[148:149], -v[144:145]
	v_add_f64 v[144:145], v[146:147], -v[144:145]
	;; [unrolled: 1-line block ×4, first 2 shown]
	v_fma_f64 v[146:147], -v[134:135], v[160:161], 1.0
	v_fmac_f64_e32 v[160:161], v[146:147], v[160:161]
	v_fma_f64 v[146:147], -v[134:135], v[160:161], 1.0
	v_fmac_f64_e32 v[160:161], v[146:147], v[160:161]
	v_mul_f64 v[146:147], v[148:149], v[160:161]
	v_mul_f64 v[150:151], v[134:135], v[146:147]
	v_fma_f64 v[162:163], v[146:147], v[134:135], -v[150:151]
	v_fmac_f64_e32 v[162:163], v[146:147], v[132:133]
	v_add_f64 v[164:165], v[150:151], v[162:163]
	v_add_f64 v[166:167], v[148:149], -v[164:165]
	v_add_f64 v[148:149], v[148:149], -v[166:167]
	;; [unrolled: 1-line block ×4, first 2 shown]
	v_add_f64 v[144:145], v[144:145], v[148:149]
	v_add_f64 v[148:149], v[150:151], -v[162:163]
	v_add_f64 v[144:145], v[148:149], v[144:145]
	v_add_f64 v[148:149], v[166:167], v[144:145]
	v_add_f64 v[150:151], v[166:167], -v[148:149]
	v_add_f64 v[144:145], v[144:145], v[150:151]
	v_mul_f64 v[150:151], v[160:161], v[148:149]
	v_mul_f64 v[162:163], v[134:135], v[150:151]
	v_fma_f64 v[134:135], v[150:151], v[134:135], -v[162:163]
	v_fmac_f64_e32 v[134:135], v[150:151], v[132:133]
	v_add_f64 v[132:133], v[162:163], v[134:135]
	v_add_f64 v[164:165], v[148:149], -v[132:133]
	v_add_f64 v[148:149], v[148:149], -v[164:165]
	;; [unrolled: 1-line block ×4, first 2 shown]
	v_add_f64 v[132:133], v[144:145], v[132:133]
	v_add_f64 v[134:135], v[162:163], -v[134:135]
	v_add_f64 v[132:133], v[134:135], v[132:133]
	v_add_f64 v[134:135], v[146:147], v[150:151]
	;; [unrolled: 1-line block ×3, first 2 shown]
	v_add_f64 v[144:145], v[134:135], -v[146:147]
	v_mul_f64 v[132:133], v[160:161], v[132:133]
	v_add_f64 v[144:145], v[150:151], -v[144:145]
	v_add_f64 v[132:133], v[144:145], v[132:133]
	v_add_f64 v[144:145], v[134:135], v[132:133]
	v_add_f64 v[134:135], v[144:145], -v[134:135]
	v_add_f64 v[132:133], v[132:133], -v[134:135]
	v_mul_f64 v[134:135], v[144:145], v[144:145]
	v_mov_b32_e32 v146, 0x6b47b09a
	v_mov_b32_e32 v147, 0x3fc38538
	v_fmac_f64_e32 v[146:147], s[2:3], v[134:135]
	v_mov_b32_e32 v148, 0xd7f4df2e
	v_mov_b32_e32 v149, 0x3fc7474d
	v_fmac_f64_e32 v[148:149], v[134:135], v[146:147]
	;; [unrolled: 3-line block ×6, first 2 shown]
	v_cvt_f64_i32_e32 v[146:147], v53
	s_mov_b32 s7, 0x3fe62e42
	v_mul_f64 v[150:151], v[146:147], s[6:7]
	v_fma_f64 v[160:161], v[146:147], s[6:7], -v[150:151]
	s_mov_b32 s9, 0x3c7abc9e
	v_fmac_f64_e32 v[160:161], s[8:9], v[146:147]
	v_add_f64 v[146:147], v[150:151], v[160:161]
	v_add_f64 v[150:151], v[146:147], -v[150:151]
	v_mul_f64 v[134:135], v[144:145], v[134:135]
	v_add_f64 v[150:151], v[160:161], -v[150:151]
	v_ldexp_f64 v[160:161], v[144:145], 1
	v_mul_f64 v[134:135], v[134:135], v[148:149]
	v_add_f64 v[144:145], v[160:161], v[134:135]
	v_add_f64 v[148:149], v[144:145], -v[160:161]
	v_ldexp_f64 v[132:133], v[132:133], 1
	v_add_f64 v[134:135], v[134:135], -v[148:149]
	v_add_f64 v[132:133], v[132:133], v[134:135]
	v_add_f64 v[134:135], v[144:145], v[132:133]
	v_add_f64 v[144:145], v[134:135], -v[144:145]
	v_add_f64 v[132:133], v[132:133], -v[144:145]
	v_add_f64 v[144:145], v[146:147], v[134:135]
	v_add_f64 v[148:149], v[144:145], -v[146:147]
	v_add_f64 v[160:161], v[144:145], -v[148:149]
	;; [unrolled: 1-line block ×4, first 2 shown]
	v_add_f64 v[134:135], v[134:135], v[146:147]
	v_add_f64 v[146:147], v[150:151], v[132:133]
	v_add_f64 v[148:149], v[146:147], -v[150:151]
	v_add_f64 v[134:135], v[146:147], v[134:135]
	v_add_f64 v[160:161], v[146:147], -v[148:149]
	;; [unrolled: 2-line block ×3, first 2 shown]
	v_add_f64 v[132:133], v[132:133], -v[148:149]
	v_add_f64 v[144:145], v[146:147], -v[144:145]
	v_add_f64 v[132:133], v[132:133], v[150:151]
	v_add_f64 v[134:135], v[134:135], -v[144:145]
	s_mov_b32 s2, 0
	v_add_f64 v[132:133], v[132:133], v[134:135]
	s_mov_b32 s3, 0x7ff00000
	v_add_f64 v[132:133], v[146:147], v[132:133]
	v_cmp_eq_f64_e32 vcc, s[2:3], v[24:25]
	s_nop 1
	v_cndmask_b32_e32 v53, v132, v24, vcc
	v_cndmask_b32_e32 v71, v133, v25, vcc
	v_mov_b32_e32 v132, 0x7ff80000
	v_cmp_ngt_f64_e32 vcc, -1.0, v[24:25]
	s_nop 1
	v_cndmask_b32_e32 v71, v132, v71, vcc
	v_cmp_nge_f64_e32 vcc, -1.0, v[24:25]
	s_nop 1
	v_cndmask_b32_e32 v132, 0, v53, vcc
	v_mov_b32_e32 v53, 0xfff00000
	v_cmp_neq_f64_e32 vcc, -1.0, v[24:25]
	s_nop 1
	v_cndmask_b32_e32 v133, v53, v71, vcc
	v_add_f64 v[24:25], v[26:27], v[132:133]
.LBB50_253:
	s_or_b64 exec, exec, s[4:5]
	v_max_f64 v[26:27], v[24:25], v[24:25]
	v_min_f64 v[132:133], v[26:27], v[28:29]
	v_cmp_u_f64_e32 vcc, v[24:25], v[24:25]
	v_max_f64 v[26:27], v[26:27], v[28:29]
	s_nop 0
	v_cndmask_b32_e32 v53, v132, v24, vcc
	v_cndmask_b32_e32 v71, v133, v25, vcc
	;; [unrolled: 1-line block ×4, first 2 shown]
	v_cndmask_b32_e64 v133, v71, v83, s[22:23]
	v_cndmask_b32_e64 v132, v53, v82, s[22:23]
	;; [unrolled: 1-line block ×4, first 2 shown]
	v_cmp_neq_f64_e32 vcc, v[132:133], v[28:29]
	v_cmp_class_f64_e64 s[2:3], v[132:133], s10
	s_or_b64 s[2:3], vcc, s[2:3]
	v_mov_b64_e32 v[26:27], v[24:25]
	s_and_saveexec_b64 s[4:5], s[2:3]
	s_cbranch_execz .LBB50_255
; %bb.254:
	s_mov_b32 s2, 0x652b82fe
	v_add_f64 v[26:27], v[132:133], -v[28:29]
	s_mov_b32 s3, 0x3ff71547
	v_mul_f64 v[132:133], v[26:27], s[2:3]
	v_rndne_f64_e32 v[132:133], v[132:133]
	s_mov_b32 s7, 0xbfe62e42
	s_mov_b32 s6, 0xfefa39ef
	v_fma_f64 v[134:135], s[6:7], v[132:133], v[26:27]
	s_mov_b32 s9, 0xbc7abc9e
	s_mov_b32 s8, 0x3b39803f
	;; [unrolled: 1-line block ×3, first 2 shown]
	v_fmac_f64_e32 v[134:135], s[8:9], v[132:133]
	v_mov_b32_e32 v144, 0xfca7ab0c
	v_mov_b32_e32 v145, 0x3e928af3
	s_mov_b32 s3, 0x3e5ade15
	v_fmac_f64_e32 v[144:145], s[2:3], v[134:135]
	v_mov_b32_e32 v146, 0x623fde64
	v_mov_b32_e32 v147, 0x3ec71dee
	v_fmac_f64_e32 v[146:147], v[134:135], v[144:145]
	v_mov_b32_e32 v144, 0x7c89e6b0
	v_mov_b32_e32 v145, 0x3efa0199
	;; [unrolled: 3-line block ×8, first 2 shown]
	s_mov_b32 s2, 0
	v_fmac_f64_e32 v[144:145], v[134:135], v[146:147]
	s_mov_b32 s3, 0x40900000
	v_fma_f64 v[144:145], v[134:135], v[144:145], 1.0
	v_cmp_nlt_f64_e32 vcc, s[2:3], v[26:27]
	s_mov_b32 s2, 0
	v_fma_f64 v[134:135], v[134:135], v[144:145], 1.0
	v_cvt_i32_f64_e32 v53, v[132:133]
	s_mov_b32 s3, 0xc090cc00
	v_ldexp_f64 v[132:133], v[134:135], v53
	v_mov_b32_e32 v53, 0x7ff00000
	v_cmp_ngt_f64_e64 s[2:3], s[2:3], v[26:27]
	v_cndmask_b32_e32 v53, v53, v133, vcc
	s_and_b64 vcc, s[2:3], vcc
	v_cndmask_b32_e64 v27, 0, v53, s[2:3]
	v_cndmask_b32_e32 v26, 0, v132, vcc
	v_add_f64 v[132:133], v[26:27], 1.0
	v_add_f64 v[134:135], v[132:133], -1.0
	v_add_f64 v[144:145], v[134:135], -v[132:133]
	v_add_f64 v[144:145], v[144:145], 1.0
	v_add_f64 v[134:135], v[26:27], -v[134:135]
	s_mov_b32 s2, 0x55555555
	v_add_f64 v[134:135], v[134:135], v[144:145]
	v_frexp_mant_f64_e32 v[144:145], v[132:133]
	s_mov_b32 s3, 0x3fe55555
	v_frexp_exp_i32_f64_e32 v53, v[132:133]
	v_cmp_gt_f64_e32 vcc, s[2:3], v[144:145]
	s_mov_b32 s2, 0xbf559e2b
	s_mov_b32 s3, 0x3fc3ab76
	v_subbrev_co_u32_e32 v53, vcc, 0, v53, vcc
	v_sub_u32_e32 v71, 0, v53
	v_ldexp_f64 v[132:133], v[132:133], v71
	v_add_f64 v[144:145], v[132:133], -1.0
	v_add_f64 v[150:151], v[132:133], 1.0
	v_add_f64 v[146:147], v[144:145], 1.0
	v_add_f64 v[160:161], v[150:151], -1.0
	v_ldexp_f64 v[134:135], v[134:135], v71
	v_add_f64 v[146:147], v[132:133], -v[146:147]
	v_add_f64 v[132:133], v[132:133], -v[160:161]
	v_add_f64 v[132:133], v[134:135], v[132:133]
	v_add_f64 v[146:147], v[134:135], v[146:147]
	;; [unrolled: 1-line block ×3, first 2 shown]
	v_rcp_f64_e32 v[160:161], v[134:135]
	v_add_f64 v[148:149], v[144:145], v[146:147]
	v_add_f64 v[144:145], v[148:149], -v[144:145]
	v_add_f64 v[144:145], v[146:147], -v[144:145]
	;; [unrolled: 1-line block ×4, first 2 shown]
	v_fma_f64 v[146:147], -v[134:135], v[160:161], 1.0
	v_fmac_f64_e32 v[160:161], v[146:147], v[160:161]
	v_fma_f64 v[146:147], -v[134:135], v[160:161], 1.0
	v_fmac_f64_e32 v[160:161], v[146:147], v[160:161]
	v_mul_f64 v[146:147], v[148:149], v[160:161]
	v_mul_f64 v[150:151], v[134:135], v[146:147]
	v_fma_f64 v[162:163], v[146:147], v[134:135], -v[150:151]
	v_fmac_f64_e32 v[162:163], v[146:147], v[132:133]
	v_add_f64 v[164:165], v[150:151], v[162:163]
	v_add_f64 v[166:167], v[148:149], -v[164:165]
	v_add_f64 v[148:149], v[148:149], -v[166:167]
	;; [unrolled: 1-line block ×4, first 2 shown]
	v_add_f64 v[144:145], v[144:145], v[148:149]
	v_add_f64 v[148:149], v[150:151], -v[162:163]
	v_add_f64 v[144:145], v[148:149], v[144:145]
	v_add_f64 v[148:149], v[166:167], v[144:145]
	v_add_f64 v[150:151], v[166:167], -v[148:149]
	v_add_f64 v[144:145], v[144:145], v[150:151]
	v_mul_f64 v[150:151], v[160:161], v[148:149]
	v_mul_f64 v[162:163], v[134:135], v[150:151]
	v_fma_f64 v[134:135], v[150:151], v[134:135], -v[162:163]
	v_fmac_f64_e32 v[134:135], v[150:151], v[132:133]
	v_add_f64 v[132:133], v[162:163], v[134:135]
	v_add_f64 v[164:165], v[148:149], -v[132:133]
	v_add_f64 v[148:149], v[148:149], -v[164:165]
	;; [unrolled: 1-line block ×4, first 2 shown]
	v_add_f64 v[132:133], v[144:145], v[132:133]
	v_add_f64 v[134:135], v[162:163], -v[134:135]
	v_add_f64 v[132:133], v[134:135], v[132:133]
	v_add_f64 v[134:135], v[146:147], v[150:151]
	;; [unrolled: 1-line block ×3, first 2 shown]
	v_add_f64 v[144:145], v[134:135], -v[146:147]
	v_mul_f64 v[132:133], v[160:161], v[132:133]
	v_add_f64 v[144:145], v[150:151], -v[144:145]
	v_add_f64 v[132:133], v[144:145], v[132:133]
	v_add_f64 v[144:145], v[134:135], v[132:133]
	v_add_f64 v[134:135], v[144:145], -v[134:135]
	v_add_f64 v[132:133], v[132:133], -v[134:135]
	v_mul_f64 v[134:135], v[144:145], v[144:145]
	v_mov_b32_e32 v146, 0x6b47b09a
	v_mov_b32_e32 v147, 0x3fc38538
	v_fmac_f64_e32 v[146:147], s[2:3], v[134:135]
	v_mov_b32_e32 v148, 0xd7f4df2e
	v_mov_b32_e32 v149, 0x3fc7474d
	v_fmac_f64_e32 v[148:149], v[134:135], v[146:147]
	;; [unrolled: 3-line block ×6, first 2 shown]
	v_cvt_f64_i32_e32 v[146:147], v53
	s_mov_b32 s7, 0x3fe62e42
	v_mul_f64 v[150:151], v[146:147], s[6:7]
	v_fma_f64 v[160:161], v[146:147], s[6:7], -v[150:151]
	s_mov_b32 s9, 0x3c7abc9e
	v_fmac_f64_e32 v[160:161], s[8:9], v[146:147]
	v_add_f64 v[146:147], v[150:151], v[160:161]
	v_add_f64 v[150:151], v[146:147], -v[150:151]
	v_mul_f64 v[134:135], v[144:145], v[134:135]
	v_add_f64 v[150:151], v[160:161], -v[150:151]
	v_ldexp_f64 v[160:161], v[144:145], 1
	v_mul_f64 v[134:135], v[134:135], v[148:149]
	v_add_f64 v[144:145], v[160:161], v[134:135]
	v_add_f64 v[148:149], v[144:145], -v[160:161]
	v_ldexp_f64 v[132:133], v[132:133], 1
	v_add_f64 v[134:135], v[134:135], -v[148:149]
	v_add_f64 v[132:133], v[132:133], v[134:135]
	v_add_f64 v[134:135], v[144:145], v[132:133]
	v_add_f64 v[144:145], v[134:135], -v[144:145]
	v_add_f64 v[132:133], v[132:133], -v[144:145]
	v_add_f64 v[144:145], v[146:147], v[134:135]
	v_add_f64 v[148:149], v[144:145], -v[146:147]
	v_add_f64 v[160:161], v[144:145], -v[148:149]
	v_add_f64 v[146:147], v[146:147], -v[160:161]
	v_add_f64 v[134:135], v[134:135], -v[148:149]
	v_add_f64 v[134:135], v[134:135], v[146:147]
	v_add_f64 v[146:147], v[150:151], v[132:133]
	v_add_f64 v[148:149], v[146:147], -v[150:151]
	v_add_f64 v[134:135], v[146:147], v[134:135]
	v_add_f64 v[160:161], v[146:147], -v[148:149]
	;; [unrolled: 2-line block ×3, first 2 shown]
	v_add_f64 v[132:133], v[132:133], -v[148:149]
	v_add_f64 v[144:145], v[146:147], -v[144:145]
	v_add_f64 v[132:133], v[132:133], v[150:151]
	v_add_f64 v[134:135], v[134:135], -v[144:145]
	s_mov_b32 s2, 0
	v_add_f64 v[132:133], v[132:133], v[134:135]
	s_mov_b32 s3, 0x7ff00000
	v_add_f64 v[132:133], v[146:147], v[132:133]
	v_cmp_eq_f64_e32 vcc, s[2:3], v[26:27]
	s_nop 1
	v_cndmask_b32_e32 v53, v132, v26, vcc
	v_cndmask_b32_e32 v71, v133, v27, vcc
	v_mov_b32_e32 v132, 0x7ff80000
	v_cmp_ngt_f64_e32 vcc, -1.0, v[26:27]
	s_nop 1
	v_cndmask_b32_e32 v71, v132, v71, vcc
	v_cmp_nge_f64_e32 vcc, -1.0, v[26:27]
	s_nop 1
	v_cndmask_b32_e32 v132, 0, v53, vcc
	v_mov_b32_e32 v53, 0xfff00000
	v_cmp_neq_f64_e32 vcc, -1.0, v[26:27]
	s_nop 1
	v_cndmask_b32_e32 v133, v53, v71, vcc
	v_add_f64 v[26:27], v[28:29], v[132:133]
.LBB50_255:
	s_or_b64 exec, exec, s[4:5]
	v_max_f64 v[28:29], v[26:27], v[26:27]
	v_min_f64 v[132:133], v[28:29], v[30:31]
	v_cmp_u_f64_e32 vcc, v[26:27], v[26:27]
	v_max_f64 v[28:29], v[28:29], v[30:31]
	s_nop 0
	v_cndmask_b32_e32 v53, v132, v26, vcc
	v_cndmask_b32_e32 v71, v133, v27, vcc
	;; [unrolled: 1-line block ×4, first 2 shown]
	v_cndmask_b32_e64 v133, v71, v67, s[24:25]
	v_cndmask_b32_e64 v132, v53, v66, s[24:25]
	;; [unrolled: 1-line block ×4, first 2 shown]
	v_cmp_neq_f64_e32 vcc, v[132:133], v[30:31]
	v_cmp_class_f64_e64 s[2:3], v[132:133], s10
	s_or_b64 s[2:3], vcc, s[2:3]
	v_mov_b64_e32 v[28:29], v[26:27]
	s_and_saveexec_b64 s[4:5], s[2:3]
	s_cbranch_execz .LBB50_257
; %bb.256:
	s_mov_b32 s2, 0x652b82fe
	v_add_f64 v[28:29], v[132:133], -v[30:31]
	s_mov_b32 s3, 0x3ff71547
	v_mul_f64 v[132:133], v[28:29], s[2:3]
	v_rndne_f64_e32 v[132:133], v[132:133]
	s_mov_b32 s7, 0xbfe62e42
	s_mov_b32 s6, 0xfefa39ef
	v_fma_f64 v[134:135], s[6:7], v[132:133], v[28:29]
	s_mov_b32 s9, 0xbc7abc9e
	s_mov_b32 s8, 0x3b39803f
	s_mov_b32 s2, 0x6a5dcb37
	v_fmac_f64_e32 v[134:135], s[8:9], v[132:133]
	v_mov_b32_e32 v144, 0xfca7ab0c
	v_mov_b32_e32 v145, 0x3e928af3
	s_mov_b32 s3, 0x3e5ade15
	v_fmac_f64_e32 v[144:145], s[2:3], v[134:135]
	v_mov_b32_e32 v146, 0x623fde64
	v_mov_b32_e32 v147, 0x3ec71dee
	v_fmac_f64_e32 v[146:147], v[134:135], v[144:145]
	v_mov_b32_e32 v144, 0x7c89e6b0
	v_mov_b32_e32 v145, 0x3efa0199
	v_fmac_f64_e32 v[144:145], v[134:135], v[146:147]
	v_mov_b32_e32 v146, 0x14761f6e
	v_mov_b32_e32 v147, 0x3f2a01a0
	v_fmac_f64_e32 v[146:147], v[134:135], v[144:145]
	v_mov_b32_e32 v144, 0x1852b7b0
	v_mov_b32_e32 v145, 0x3f56c16c
	v_fmac_f64_e32 v[144:145], v[134:135], v[146:147]
	v_mov_b32_e32 v146, 0x11122322
	v_mov_b32_e32 v147, 0x3f811111
	v_fmac_f64_e32 v[146:147], v[134:135], v[144:145]
	v_mov_b32_e32 v144, 0x555502a1
	v_mov_b32_e32 v145, 0x3fa55555
	v_fmac_f64_e32 v[144:145], v[134:135], v[146:147]
	v_mov_b32_e32 v146, 0x55555511
	v_mov_b32_e32 v147, 0x3fc55555
	v_fmac_f64_e32 v[146:147], v[134:135], v[144:145]
	v_mov_b32_e32 v144, 11
	v_mov_b32_e32 v145, 0x3fe00000
	s_mov_b32 s2, 0
	v_fmac_f64_e32 v[144:145], v[134:135], v[146:147]
	s_mov_b32 s3, 0x40900000
	v_fma_f64 v[144:145], v[134:135], v[144:145], 1.0
	v_cmp_nlt_f64_e32 vcc, s[2:3], v[28:29]
	s_mov_b32 s2, 0
	v_fma_f64 v[134:135], v[134:135], v[144:145], 1.0
	v_cvt_i32_f64_e32 v53, v[132:133]
	s_mov_b32 s3, 0xc090cc00
	v_ldexp_f64 v[132:133], v[134:135], v53
	v_mov_b32_e32 v53, 0x7ff00000
	v_cmp_ngt_f64_e64 s[2:3], s[2:3], v[28:29]
	v_cndmask_b32_e32 v53, v53, v133, vcc
	s_and_b64 vcc, s[2:3], vcc
	v_cndmask_b32_e64 v29, 0, v53, s[2:3]
	v_cndmask_b32_e32 v28, 0, v132, vcc
	v_add_f64 v[132:133], v[28:29], 1.0
	v_add_f64 v[134:135], v[132:133], -1.0
	v_add_f64 v[144:145], v[134:135], -v[132:133]
	v_add_f64 v[144:145], v[144:145], 1.0
	v_add_f64 v[134:135], v[28:29], -v[134:135]
	s_mov_b32 s2, 0x55555555
	v_add_f64 v[134:135], v[134:135], v[144:145]
	v_frexp_mant_f64_e32 v[144:145], v[132:133]
	s_mov_b32 s3, 0x3fe55555
	v_frexp_exp_i32_f64_e32 v53, v[132:133]
	v_cmp_gt_f64_e32 vcc, s[2:3], v[144:145]
	s_mov_b32 s2, 0xbf559e2b
	s_mov_b32 s3, 0x3fc3ab76
	v_subbrev_co_u32_e32 v53, vcc, 0, v53, vcc
	v_sub_u32_e32 v71, 0, v53
	v_ldexp_f64 v[132:133], v[132:133], v71
	v_add_f64 v[144:145], v[132:133], -1.0
	v_add_f64 v[150:151], v[132:133], 1.0
	v_add_f64 v[146:147], v[144:145], 1.0
	v_add_f64 v[160:161], v[150:151], -1.0
	v_ldexp_f64 v[134:135], v[134:135], v71
	v_add_f64 v[146:147], v[132:133], -v[146:147]
	v_add_f64 v[132:133], v[132:133], -v[160:161]
	v_add_f64 v[132:133], v[134:135], v[132:133]
	v_add_f64 v[146:147], v[134:135], v[146:147]
	;; [unrolled: 1-line block ×3, first 2 shown]
	v_rcp_f64_e32 v[160:161], v[134:135]
	v_add_f64 v[148:149], v[144:145], v[146:147]
	v_add_f64 v[144:145], v[148:149], -v[144:145]
	v_add_f64 v[144:145], v[146:147], -v[144:145]
	v_add_f64 v[146:147], v[134:135], -v[150:151]
	v_add_f64 v[132:133], v[132:133], -v[146:147]
	v_fma_f64 v[146:147], -v[134:135], v[160:161], 1.0
	v_fmac_f64_e32 v[160:161], v[146:147], v[160:161]
	v_fma_f64 v[146:147], -v[134:135], v[160:161], 1.0
	v_fmac_f64_e32 v[160:161], v[146:147], v[160:161]
	v_mul_f64 v[146:147], v[148:149], v[160:161]
	v_mul_f64 v[150:151], v[134:135], v[146:147]
	v_fma_f64 v[162:163], v[146:147], v[134:135], -v[150:151]
	v_fmac_f64_e32 v[162:163], v[146:147], v[132:133]
	v_add_f64 v[164:165], v[150:151], v[162:163]
	v_add_f64 v[166:167], v[148:149], -v[164:165]
	v_add_f64 v[148:149], v[148:149], -v[166:167]
	v_add_f64 v[150:151], v[164:165], -v[150:151]
	v_add_f64 v[148:149], v[148:149], -v[164:165]
	v_add_f64 v[144:145], v[144:145], v[148:149]
	v_add_f64 v[148:149], v[150:151], -v[162:163]
	v_add_f64 v[144:145], v[148:149], v[144:145]
	v_add_f64 v[148:149], v[166:167], v[144:145]
	v_add_f64 v[150:151], v[166:167], -v[148:149]
	v_add_f64 v[144:145], v[144:145], v[150:151]
	v_mul_f64 v[150:151], v[160:161], v[148:149]
	v_mul_f64 v[162:163], v[134:135], v[150:151]
	v_fma_f64 v[134:135], v[150:151], v[134:135], -v[162:163]
	v_fmac_f64_e32 v[134:135], v[150:151], v[132:133]
	v_add_f64 v[132:133], v[162:163], v[134:135]
	v_add_f64 v[164:165], v[148:149], -v[132:133]
	v_add_f64 v[148:149], v[148:149], -v[164:165]
	;; [unrolled: 1-line block ×4, first 2 shown]
	v_add_f64 v[132:133], v[144:145], v[132:133]
	v_add_f64 v[134:135], v[162:163], -v[134:135]
	v_add_f64 v[132:133], v[134:135], v[132:133]
	v_add_f64 v[134:135], v[146:147], v[150:151]
	;; [unrolled: 1-line block ×3, first 2 shown]
	v_add_f64 v[144:145], v[134:135], -v[146:147]
	v_mul_f64 v[132:133], v[160:161], v[132:133]
	v_add_f64 v[144:145], v[150:151], -v[144:145]
	v_add_f64 v[132:133], v[144:145], v[132:133]
	v_add_f64 v[144:145], v[134:135], v[132:133]
	v_add_f64 v[134:135], v[144:145], -v[134:135]
	v_add_f64 v[132:133], v[132:133], -v[134:135]
	v_mul_f64 v[134:135], v[144:145], v[144:145]
	v_mov_b32_e32 v146, 0x6b47b09a
	v_mov_b32_e32 v147, 0x3fc38538
	v_fmac_f64_e32 v[146:147], s[2:3], v[134:135]
	v_mov_b32_e32 v148, 0xd7f4df2e
	v_mov_b32_e32 v149, 0x3fc7474d
	v_fmac_f64_e32 v[148:149], v[134:135], v[146:147]
	;; [unrolled: 3-line block ×6, first 2 shown]
	v_cvt_f64_i32_e32 v[146:147], v53
	s_mov_b32 s7, 0x3fe62e42
	v_mul_f64 v[150:151], v[146:147], s[6:7]
	v_fma_f64 v[160:161], v[146:147], s[6:7], -v[150:151]
	s_mov_b32 s9, 0x3c7abc9e
	v_fmac_f64_e32 v[160:161], s[8:9], v[146:147]
	v_add_f64 v[146:147], v[150:151], v[160:161]
	v_add_f64 v[150:151], v[146:147], -v[150:151]
	v_mul_f64 v[134:135], v[144:145], v[134:135]
	v_add_f64 v[150:151], v[160:161], -v[150:151]
	v_ldexp_f64 v[160:161], v[144:145], 1
	v_mul_f64 v[134:135], v[134:135], v[148:149]
	v_add_f64 v[144:145], v[160:161], v[134:135]
	v_add_f64 v[148:149], v[144:145], -v[160:161]
	v_ldexp_f64 v[132:133], v[132:133], 1
	v_add_f64 v[134:135], v[134:135], -v[148:149]
	v_add_f64 v[132:133], v[132:133], v[134:135]
	v_add_f64 v[134:135], v[144:145], v[132:133]
	v_add_f64 v[144:145], v[134:135], -v[144:145]
	v_add_f64 v[132:133], v[132:133], -v[144:145]
	v_add_f64 v[144:145], v[146:147], v[134:135]
	v_add_f64 v[148:149], v[144:145], -v[146:147]
	v_add_f64 v[160:161], v[144:145], -v[148:149]
	;; [unrolled: 1-line block ×4, first 2 shown]
	v_add_f64 v[134:135], v[134:135], v[146:147]
	v_add_f64 v[146:147], v[150:151], v[132:133]
	v_add_f64 v[148:149], v[146:147], -v[150:151]
	v_add_f64 v[134:135], v[146:147], v[134:135]
	v_add_f64 v[160:161], v[146:147], -v[148:149]
	;; [unrolled: 2-line block ×3, first 2 shown]
	v_add_f64 v[132:133], v[132:133], -v[148:149]
	v_add_f64 v[144:145], v[146:147], -v[144:145]
	v_add_f64 v[132:133], v[132:133], v[150:151]
	v_add_f64 v[134:135], v[134:135], -v[144:145]
	s_mov_b32 s2, 0
	v_add_f64 v[132:133], v[132:133], v[134:135]
	s_mov_b32 s3, 0x7ff00000
	v_add_f64 v[132:133], v[146:147], v[132:133]
	v_cmp_eq_f64_e32 vcc, s[2:3], v[28:29]
	s_nop 1
	v_cndmask_b32_e32 v53, v132, v28, vcc
	v_cndmask_b32_e32 v71, v133, v29, vcc
	v_mov_b32_e32 v132, 0x7ff80000
	v_cmp_ngt_f64_e32 vcc, -1.0, v[28:29]
	s_nop 1
	v_cndmask_b32_e32 v71, v132, v71, vcc
	v_cmp_nge_f64_e32 vcc, -1.0, v[28:29]
	s_nop 1
	v_cndmask_b32_e32 v132, 0, v53, vcc
	v_mov_b32_e32 v53, 0xfff00000
	v_cmp_neq_f64_e32 vcc, -1.0, v[28:29]
	s_nop 1
	v_cndmask_b32_e32 v133, v53, v71, vcc
	v_add_f64 v[28:29], v[30:31], v[132:133]
.LBB50_257:
	s_or_b64 exec, exec, s[4:5]
	v_max_f64 v[30:31], v[28:29], v[28:29]
	v_min_f64 v[132:133], v[30:31], v[32:33]
	v_cmp_u_f64_e32 vcc, v[28:29], v[28:29]
	v_max_f64 v[30:31], v[30:31], v[32:33]
	s_nop 0
	v_cndmask_b32_e32 v53, v132, v28, vcc
	v_cndmask_b32_e32 v71, v133, v29, vcc
	;; [unrolled: 1-line block ×4, first 2 shown]
	v_cndmask_b32_e64 v133, v71, v69, s[26:27]
	v_cndmask_b32_e64 v132, v53, v68, s[26:27]
	;; [unrolled: 1-line block ×4, first 2 shown]
	v_cmp_neq_f64_e32 vcc, v[132:133], v[32:33]
	v_cmp_class_f64_e64 s[2:3], v[132:133], s10
	s_or_b64 s[2:3], vcc, s[2:3]
	v_mov_b64_e32 v[30:31], v[28:29]
	s_and_saveexec_b64 s[4:5], s[2:3]
	s_cbranch_execz .LBB50_259
; %bb.258:
	s_mov_b32 s2, 0x652b82fe
	v_add_f64 v[30:31], v[132:133], -v[32:33]
	s_mov_b32 s3, 0x3ff71547
	v_mul_f64 v[132:133], v[30:31], s[2:3]
	v_rndne_f64_e32 v[132:133], v[132:133]
	s_mov_b32 s7, 0xbfe62e42
	s_mov_b32 s6, 0xfefa39ef
	v_fma_f64 v[134:135], s[6:7], v[132:133], v[30:31]
	s_mov_b32 s9, 0xbc7abc9e
	s_mov_b32 s8, 0x3b39803f
	;; [unrolled: 1-line block ×3, first 2 shown]
	v_fmac_f64_e32 v[134:135], s[8:9], v[132:133]
	v_mov_b32_e32 v144, 0xfca7ab0c
	v_mov_b32_e32 v145, 0x3e928af3
	s_mov_b32 s3, 0x3e5ade15
	v_fmac_f64_e32 v[144:145], s[2:3], v[134:135]
	v_mov_b32_e32 v146, 0x623fde64
	v_mov_b32_e32 v147, 0x3ec71dee
	v_fmac_f64_e32 v[146:147], v[134:135], v[144:145]
	v_mov_b32_e32 v144, 0x7c89e6b0
	v_mov_b32_e32 v145, 0x3efa0199
	;; [unrolled: 3-line block ×8, first 2 shown]
	s_mov_b32 s2, 0
	v_fmac_f64_e32 v[144:145], v[134:135], v[146:147]
	s_mov_b32 s3, 0x40900000
	v_fma_f64 v[144:145], v[134:135], v[144:145], 1.0
	v_cmp_nlt_f64_e32 vcc, s[2:3], v[30:31]
	s_mov_b32 s2, 0
	v_fma_f64 v[134:135], v[134:135], v[144:145], 1.0
	v_cvt_i32_f64_e32 v53, v[132:133]
	s_mov_b32 s3, 0xc090cc00
	v_ldexp_f64 v[132:133], v[134:135], v53
	v_mov_b32_e32 v53, 0x7ff00000
	v_cmp_ngt_f64_e64 s[2:3], s[2:3], v[30:31]
	v_cndmask_b32_e32 v53, v53, v133, vcc
	s_and_b64 vcc, s[2:3], vcc
	v_cndmask_b32_e64 v31, 0, v53, s[2:3]
	v_cndmask_b32_e32 v30, 0, v132, vcc
	v_add_f64 v[132:133], v[30:31], 1.0
	v_add_f64 v[134:135], v[132:133], -1.0
	v_add_f64 v[144:145], v[134:135], -v[132:133]
	v_add_f64 v[144:145], v[144:145], 1.0
	v_add_f64 v[134:135], v[30:31], -v[134:135]
	s_mov_b32 s2, 0x55555555
	v_add_f64 v[134:135], v[134:135], v[144:145]
	v_frexp_mant_f64_e32 v[144:145], v[132:133]
	s_mov_b32 s3, 0x3fe55555
	v_frexp_exp_i32_f64_e32 v53, v[132:133]
	v_cmp_gt_f64_e32 vcc, s[2:3], v[144:145]
	s_mov_b32 s2, 0xbf559e2b
	s_mov_b32 s3, 0x3fc3ab76
	v_subbrev_co_u32_e32 v53, vcc, 0, v53, vcc
	v_sub_u32_e32 v71, 0, v53
	v_ldexp_f64 v[132:133], v[132:133], v71
	v_add_f64 v[144:145], v[132:133], -1.0
	v_add_f64 v[150:151], v[132:133], 1.0
	v_add_f64 v[146:147], v[144:145], 1.0
	v_add_f64 v[160:161], v[150:151], -1.0
	v_ldexp_f64 v[134:135], v[134:135], v71
	v_add_f64 v[146:147], v[132:133], -v[146:147]
	v_add_f64 v[132:133], v[132:133], -v[160:161]
	v_add_f64 v[132:133], v[134:135], v[132:133]
	v_add_f64 v[146:147], v[134:135], v[146:147]
	;; [unrolled: 1-line block ×3, first 2 shown]
	v_rcp_f64_e32 v[160:161], v[134:135]
	v_add_f64 v[148:149], v[144:145], v[146:147]
	v_add_f64 v[144:145], v[148:149], -v[144:145]
	v_add_f64 v[144:145], v[146:147], -v[144:145]
	;; [unrolled: 1-line block ×4, first 2 shown]
	v_fma_f64 v[146:147], -v[134:135], v[160:161], 1.0
	v_fmac_f64_e32 v[160:161], v[146:147], v[160:161]
	v_fma_f64 v[146:147], -v[134:135], v[160:161], 1.0
	v_fmac_f64_e32 v[160:161], v[146:147], v[160:161]
	v_mul_f64 v[146:147], v[148:149], v[160:161]
	v_mul_f64 v[150:151], v[134:135], v[146:147]
	v_fma_f64 v[162:163], v[146:147], v[134:135], -v[150:151]
	v_fmac_f64_e32 v[162:163], v[146:147], v[132:133]
	v_add_f64 v[164:165], v[150:151], v[162:163]
	v_add_f64 v[166:167], v[148:149], -v[164:165]
	v_add_f64 v[148:149], v[148:149], -v[166:167]
	;; [unrolled: 1-line block ×4, first 2 shown]
	v_add_f64 v[144:145], v[144:145], v[148:149]
	v_add_f64 v[148:149], v[150:151], -v[162:163]
	v_add_f64 v[144:145], v[148:149], v[144:145]
	v_add_f64 v[148:149], v[166:167], v[144:145]
	v_add_f64 v[150:151], v[166:167], -v[148:149]
	v_add_f64 v[144:145], v[144:145], v[150:151]
	v_mul_f64 v[150:151], v[160:161], v[148:149]
	v_mul_f64 v[162:163], v[134:135], v[150:151]
	v_fma_f64 v[134:135], v[150:151], v[134:135], -v[162:163]
	v_fmac_f64_e32 v[134:135], v[150:151], v[132:133]
	v_add_f64 v[132:133], v[162:163], v[134:135]
	v_add_f64 v[164:165], v[148:149], -v[132:133]
	v_add_f64 v[148:149], v[148:149], -v[164:165]
	;; [unrolled: 1-line block ×4, first 2 shown]
	v_add_f64 v[132:133], v[144:145], v[132:133]
	v_add_f64 v[134:135], v[162:163], -v[134:135]
	v_add_f64 v[132:133], v[134:135], v[132:133]
	v_add_f64 v[134:135], v[146:147], v[150:151]
	;; [unrolled: 1-line block ×3, first 2 shown]
	v_add_f64 v[144:145], v[134:135], -v[146:147]
	v_mul_f64 v[132:133], v[160:161], v[132:133]
	v_add_f64 v[144:145], v[150:151], -v[144:145]
	v_add_f64 v[132:133], v[144:145], v[132:133]
	v_add_f64 v[144:145], v[134:135], v[132:133]
	v_add_f64 v[134:135], v[144:145], -v[134:135]
	v_add_f64 v[132:133], v[132:133], -v[134:135]
	v_mul_f64 v[134:135], v[144:145], v[144:145]
	v_mov_b32_e32 v146, 0x6b47b09a
	v_mov_b32_e32 v147, 0x3fc38538
	v_fmac_f64_e32 v[146:147], s[2:3], v[134:135]
	v_mov_b32_e32 v148, 0xd7f4df2e
	v_mov_b32_e32 v149, 0x3fc7474d
	v_fmac_f64_e32 v[148:149], v[134:135], v[146:147]
	;; [unrolled: 3-line block ×6, first 2 shown]
	v_cvt_f64_i32_e32 v[146:147], v53
	s_mov_b32 s7, 0x3fe62e42
	v_mul_f64 v[150:151], v[146:147], s[6:7]
	v_fma_f64 v[160:161], v[146:147], s[6:7], -v[150:151]
	s_mov_b32 s9, 0x3c7abc9e
	v_fmac_f64_e32 v[160:161], s[8:9], v[146:147]
	v_add_f64 v[146:147], v[150:151], v[160:161]
	v_add_f64 v[150:151], v[146:147], -v[150:151]
	v_mul_f64 v[134:135], v[144:145], v[134:135]
	v_add_f64 v[150:151], v[160:161], -v[150:151]
	v_ldexp_f64 v[160:161], v[144:145], 1
	v_mul_f64 v[134:135], v[134:135], v[148:149]
	v_add_f64 v[144:145], v[160:161], v[134:135]
	v_add_f64 v[148:149], v[144:145], -v[160:161]
	v_ldexp_f64 v[132:133], v[132:133], 1
	v_add_f64 v[134:135], v[134:135], -v[148:149]
	v_add_f64 v[132:133], v[132:133], v[134:135]
	v_add_f64 v[134:135], v[144:145], v[132:133]
	v_add_f64 v[144:145], v[134:135], -v[144:145]
	v_add_f64 v[132:133], v[132:133], -v[144:145]
	v_add_f64 v[144:145], v[146:147], v[134:135]
	v_add_f64 v[148:149], v[144:145], -v[146:147]
	v_add_f64 v[160:161], v[144:145], -v[148:149]
	;; [unrolled: 1-line block ×4, first 2 shown]
	v_add_f64 v[134:135], v[134:135], v[146:147]
	v_add_f64 v[146:147], v[150:151], v[132:133]
	v_add_f64 v[148:149], v[146:147], -v[150:151]
	v_add_f64 v[134:135], v[146:147], v[134:135]
	v_add_f64 v[160:161], v[146:147], -v[148:149]
	;; [unrolled: 2-line block ×3, first 2 shown]
	v_add_f64 v[132:133], v[132:133], -v[148:149]
	v_add_f64 v[144:145], v[146:147], -v[144:145]
	v_add_f64 v[132:133], v[132:133], v[150:151]
	v_add_f64 v[134:135], v[134:135], -v[144:145]
	s_mov_b32 s2, 0
	v_add_f64 v[132:133], v[132:133], v[134:135]
	s_mov_b32 s3, 0x7ff00000
	v_add_f64 v[132:133], v[146:147], v[132:133]
	v_cmp_eq_f64_e32 vcc, s[2:3], v[30:31]
	s_nop 1
	v_cndmask_b32_e32 v53, v132, v30, vcc
	v_cndmask_b32_e32 v71, v133, v31, vcc
	v_mov_b32_e32 v132, 0x7ff80000
	v_cmp_ngt_f64_e32 vcc, -1.0, v[30:31]
	s_nop 1
	v_cndmask_b32_e32 v71, v132, v71, vcc
	v_cmp_nge_f64_e32 vcc, -1.0, v[30:31]
	s_nop 1
	v_cndmask_b32_e32 v132, 0, v53, vcc
	v_mov_b32_e32 v53, 0xfff00000
	v_cmp_neq_f64_e32 vcc, -1.0, v[30:31]
	s_nop 1
	v_cndmask_b32_e32 v133, v53, v71, vcc
	v_add_f64 v[30:31], v[32:33], v[132:133]
.LBB50_259:
	s_or_b64 exec, exec, s[4:5]
	v_max_f64 v[32:33], v[30:31], v[30:31]
	v_min_f64 v[132:133], v[32:33], v[34:35]
	v_cmp_u_f64_e32 vcc, v[30:31], v[30:31]
	v_max_f64 v[32:33], v[32:33], v[34:35]
	s_movk_i32 s2, 0x1f8
	v_cndmask_b32_e32 v53, v132, v30, vcc
	v_cndmask_b32_e32 v71, v133, v31, vcc
	;; [unrolled: 1-line block ×4, first 2 shown]
	v_cndmask_b32_e64 v133, v71, v129, s[28:29]
	v_cndmask_b32_e64 v132, v53, v128, s[28:29]
	;; [unrolled: 1-line block ×4, first 2 shown]
	v_cmp_neq_f64_e32 vcc, v[132:133], v[34:35]
	v_cmp_class_f64_e64 s[2:3], v[132:133], s2
	s_or_b64 s[2:3], vcc, s[2:3]
	v_mov_b64_e32 v[32:33], v[30:31]
	s_and_saveexec_b64 s[4:5], s[2:3]
	s_cbranch_execz .LBB50_261
; %bb.260:
	s_mov_b32 s2, 0x652b82fe
	v_add_f64 v[32:33], v[132:133], -v[34:35]
	s_mov_b32 s3, 0x3ff71547
	v_mul_f64 v[132:133], v[32:33], s[2:3]
	v_rndne_f64_e32 v[132:133], v[132:133]
	s_mov_b32 s7, 0xbfe62e42
	s_mov_b32 s6, 0xfefa39ef
	v_fma_f64 v[134:135], s[6:7], v[132:133], v[32:33]
	s_mov_b32 s9, 0xbc7abc9e
	s_mov_b32 s8, 0x3b39803f
	;; [unrolled: 1-line block ×3, first 2 shown]
	v_fmac_f64_e32 v[134:135], s[8:9], v[132:133]
	v_mov_b32_e32 v144, 0xfca7ab0c
	v_mov_b32_e32 v145, 0x3e928af3
	s_mov_b32 s3, 0x3e5ade15
	v_fmac_f64_e32 v[144:145], s[2:3], v[134:135]
	v_mov_b32_e32 v146, 0x623fde64
	v_mov_b32_e32 v147, 0x3ec71dee
	v_fmac_f64_e32 v[146:147], v[134:135], v[144:145]
	v_mov_b32_e32 v144, 0x7c89e6b0
	v_mov_b32_e32 v145, 0x3efa0199
	;; [unrolled: 3-line block ×8, first 2 shown]
	s_mov_b32 s2, 0
	v_fmac_f64_e32 v[144:145], v[134:135], v[146:147]
	s_mov_b32 s3, 0x40900000
	v_fma_f64 v[144:145], v[134:135], v[144:145], 1.0
	v_cmp_nlt_f64_e32 vcc, s[2:3], v[32:33]
	s_mov_b32 s2, 0
	v_fma_f64 v[134:135], v[134:135], v[144:145], 1.0
	v_cvt_i32_f64_e32 v53, v[132:133]
	s_mov_b32 s3, 0xc090cc00
	v_ldexp_f64 v[132:133], v[134:135], v53
	v_mov_b32_e32 v53, 0x7ff00000
	v_cmp_ngt_f64_e64 s[2:3], s[2:3], v[32:33]
	v_cndmask_b32_e32 v53, v53, v133, vcc
	s_and_b64 vcc, s[2:3], vcc
	v_cndmask_b32_e64 v33, 0, v53, s[2:3]
	v_cndmask_b32_e32 v32, 0, v132, vcc
	v_add_f64 v[132:133], v[32:33], 1.0
	v_add_f64 v[134:135], v[132:133], -1.0
	v_add_f64 v[144:145], v[134:135], -v[132:133]
	v_add_f64 v[144:145], v[144:145], 1.0
	v_add_f64 v[134:135], v[32:33], -v[134:135]
	s_mov_b32 s2, 0x55555555
	v_add_f64 v[134:135], v[134:135], v[144:145]
	v_frexp_mant_f64_e32 v[144:145], v[132:133]
	s_mov_b32 s3, 0x3fe55555
	v_frexp_exp_i32_f64_e32 v53, v[132:133]
	v_cmp_gt_f64_e32 vcc, s[2:3], v[144:145]
	s_mov_b32 s2, 0xbf559e2b
	s_mov_b32 s3, 0x3fc3ab76
	v_subbrev_co_u32_e32 v53, vcc, 0, v53, vcc
	v_sub_u32_e32 v71, 0, v53
	v_ldexp_f64 v[132:133], v[132:133], v71
	v_add_f64 v[144:145], v[132:133], -1.0
	v_add_f64 v[150:151], v[132:133], 1.0
	v_add_f64 v[146:147], v[144:145], 1.0
	v_add_f64 v[160:161], v[150:151], -1.0
	v_ldexp_f64 v[134:135], v[134:135], v71
	v_add_f64 v[146:147], v[132:133], -v[146:147]
	v_add_f64 v[132:133], v[132:133], -v[160:161]
	v_add_f64 v[132:133], v[134:135], v[132:133]
	v_add_f64 v[146:147], v[134:135], v[146:147]
	;; [unrolled: 1-line block ×3, first 2 shown]
	v_rcp_f64_e32 v[160:161], v[134:135]
	v_add_f64 v[148:149], v[144:145], v[146:147]
	v_add_f64 v[144:145], v[148:149], -v[144:145]
	v_add_f64 v[144:145], v[146:147], -v[144:145]
	;; [unrolled: 1-line block ×4, first 2 shown]
	v_fma_f64 v[146:147], -v[134:135], v[160:161], 1.0
	v_fmac_f64_e32 v[160:161], v[146:147], v[160:161]
	v_fma_f64 v[146:147], -v[134:135], v[160:161], 1.0
	v_fmac_f64_e32 v[160:161], v[146:147], v[160:161]
	v_mul_f64 v[146:147], v[148:149], v[160:161]
	v_mul_f64 v[150:151], v[134:135], v[146:147]
	v_fma_f64 v[162:163], v[146:147], v[134:135], -v[150:151]
	v_fmac_f64_e32 v[162:163], v[146:147], v[132:133]
	v_add_f64 v[164:165], v[150:151], v[162:163]
	v_add_f64 v[166:167], v[148:149], -v[164:165]
	v_add_f64 v[148:149], v[148:149], -v[166:167]
	;; [unrolled: 1-line block ×4, first 2 shown]
	v_add_f64 v[144:145], v[144:145], v[148:149]
	v_add_f64 v[148:149], v[150:151], -v[162:163]
	v_add_f64 v[144:145], v[148:149], v[144:145]
	v_add_f64 v[148:149], v[166:167], v[144:145]
	v_add_f64 v[150:151], v[166:167], -v[148:149]
	v_add_f64 v[144:145], v[144:145], v[150:151]
	v_mul_f64 v[150:151], v[160:161], v[148:149]
	v_mul_f64 v[162:163], v[134:135], v[150:151]
	v_fma_f64 v[134:135], v[150:151], v[134:135], -v[162:163]
	v_fmac_f64_e32 v[134:135], v[150:151], v[132:133]
	v_add_f64 v[132:133], v[162:163], v[134:135]
	v_add_f64 v[164:165], v[148:149], -v[132:133]
	v_add_f64 v[148:149], v[148:149], -v[164:165]
	;; [unrolled: 1-line block ×4, first 2 shown]
	v_add_f64 v[132:133], v[144:145], v[132:133]
	v_add_f64 v[134:135], v[162:163], -v[134:135]
	v_add_f64 v[132:133], v[134:135], v[132:133]
	v_add_f64 v[134:135], v[146:147], v[150:151]
	;; [unrolled: 1-line block ×3, first 2 shown]
	v_add_f64 v[144:145], v[134:135], -v[146:147]
	v_mul_f64 v[132:133], v[160:161], v[132:133]
	v_add_f64 v[144:145], v[150:151], -v[144:145]
	v_add_f64 v[132:133], v[144:145], v[132:133]
	v_add_f64 v[144:145], v[134:135], v[132:133]
	v_add_f64 v[134:135], v[144:145], -v[134:135]
	v_add_f64 v[132:133], v[132:133], -v[134:135]
	v_mul_f64 v[134:135], v[144:145], v[144:145]
	v_mov_b32_e32 v146, 0x6b47b09a
	v_mov_b32_e32 v147, 0x3fc38538
	v_fmac_f64_e32 v[146:147], s[2:3], v[134:135]
	v_mov_b32_e32 v148, 0xd7f4df2e
	v_mov_b32_e32 v149, 0x3fc7474d
	v_fmac_f64_e32 v[148:149], v[134:135], v[146:147]
	;; [unrolled: 3-line block ×6, first 2 shown]
	v_cvt_f64_i32_e32 v[146:147], v53
	s_mov_b32 s7, 0x3fe62e42
	v_mul_f64 v[150:151], v[146:147], s[6:7]
	v_fma_f64 v[160:161], v[146:147], s[6:7], -v[150:151]
	s_mov_b32 s9, 0x3c7abc9e
	v_fmac_f64_e32 v[160:161], s[8:9], v[146:147]
	v_add_f64 v[146:147], v[150:151], v[160:161]
	v_add_f64 v[150:151], v[146:147], -v[150:151]
	v_mul_f64 v[134:135], v[144:145], v[134:135]
	v_add_f64 v[150:151], v[160:161], -v[150:151]
	v_ldexp_f64 v[160:161], v[144:145], 1
	v_mul_f64 v[134:135], v[134:135], v[148:149]
	v_add_f64 v[144:145], v[160:161], v[134:135]
	v_add_f64 v[148:149], v[144:145], -v[160:161]
	v_ldexp_f64 v[132:133], v[132:133], 1
	v_add_f64 v[134:135], v[134:135], -v[148:149]
	v_add_f64 v[132:133], v[132:133], v[134:135]
	v_add_f64 v[134:135], v[144:145], v[132:133]
	v_add_f64 v[144:145], v[134:135], -v[144:145]
	v_add_f64 v[132:133], v[132:133], -v[144:145]
	v_add_f64 v[144:145], v[146:147], v[134:135]
	v_add_f64 v[148:149], v[144:145], -v[146:147]
	v_add_f64 v[160:161], v[144:145], -v[148:149]
	;; [unrolled: 1-line block ×4, first 2 shown]
	v_add_f64 v[134:135], v[134:135], v[146:147]
	v_add_f64 v[146:147], v[150:151], v[132:133]
	v_add_f64 v[148:149], v[146:147], -v[150:151]
	v_add_f64 v[134:135], v[146:147], v[134:135]
	v_add_f64 v[160:161], v[146:147], -v[148:149]
	;; [unrolled: 2-line block ×3, first 2 shown]
	v_add_f64 v[132:133], v[132:133], -v[148:149]
	v_add_f64 v[144:145], v[146:147], -v[144:145]
	v_add_f64 v[132:133], v[132:133], v[150:151]
	v_add_f64 v[134:135], v[134:135], -v[144:145]
	s_mov_b32 s2, 0
	v_add_f64 v[132:133], v[132:133], v[134:135]
	s_mov_b32 s3, 0x7ff00000
	v_add_f64 v[132:133], v[146:147], v[132:133]
	v_cmp_eq_f64_e32 vcc, s[2:3], v[32:33]
	s_nop 1
	v_cndmask_b32_e32 v53, v132, v32, vcc
	v_cndmask_b32_e32 v71, v133, v33, vcc
	v_mov_b32_e32 v132, 0x7ff80000
	v_cmp_ngt_f64_e32 vcc, -1.0, v[32:33]
	s_nop 1
	v_cndmask_b32_e32 v71, v132, v71, vcc
	v_cmp_nge_f64_e32 vcc, -1.0, v[32:33]
	s_nop 1
	v_cndmask_b32_e32 v132, 0, v53, vcc
	v_mov_b32_e32 v53, 0xfff00000
	v_cmp_neq_f64_e32 vcc, -1.0, v[32:33]
	s_nop 1
	v_cndmask_b32_e32 v133, v53, v71, vcc
	v_add_f64 v[32:33], v[34:35], v[132:133]
.LBB50_261:
	s_or_b64 exec, exec, s[4:5]
	s_branch .LBB50_379
.LBB50_262:
	v_cmp_ne_u64_e64 s[2:3], 0, v[48:49]
	v_cmp_eq_u32_e64 s[34:35], 0, v70
	v_cmp_ne_u32_e32 vcc, 0, v70
	s_and_b64 s[2:3], s[34:35], s[2:3]
	s_and_saveexec_b64 s[6:7], s[2:3]
	s_cbranch_execz .LBB50_266
; %bb.263:
	flat_load_dwordx2 v[4:5], v[36:37]
	v_max_f64 v[6:7], v[0:1], v[0:1]
	s_movk_i32 s4, 0x1f8
	s_waitcnt vmcnt(0) lgkmcnt(0)
	v_max_f64 v[8:9], v[4:5], v[4:5]
	v_min_f64 v[10:11], v[8:9], v[6:7]
	v_max_f64 v[6:7], v[8:9], v[6:7]
	v_cmp_u_f64_e64 s[2:3], v[4:5], v[4:5]
	s_nop 1
	v_cndmask_b32_e64 v8, v10, v4, s[2:3]
	v_cndmask_b32_e64 v9, v11, v5, s[2:3]
	;; [unrolled: 1-line block ×4, first 2 shown]
	v_cmp_u_f64_e64 s[2:3], v[0:1], v[0:1]
	s_nop 1
	v_cndmask_b32_e64 v7, v9, v1, s[2:3]
	v_cndmask_b32_e64 v6, v8, v0, s[2:3]
	;; [unrolled: 1-line block ×4, first 2 shown]
	v_cmp_neq_f64_e64 s[2:3], v[6:7], v[0:1]
	v_cmp_class_f64_e64 s[4:5], v[6:7], s4
	s_or_b64 s[2:3], s[2:3], s[4:5]
	s_and_saveexec_b64 s[8:9], s[2:3]
	s_cbranch_execz .LBB50_265
; %bb.264:
	s_mov_b32 s2, 0x652b82fe
	v_add_f64 v[4:5], v[6:7], -v[0:1]
	s_mov_b32 s3, 0x3ff71547
	v_mul_f64 v[6:7], v[4:5], s[2:3]
	v_rndne_f64_e32 v[6:7], v[6:7]
	s_mov_b32 s11, 0xbfe62e42
	s_mov_b32 s10, 0xfefa39ef
	v_fma_f64 v[8:9], s[10:11], v[6:7], v[4:5]
	s_mov_b32 s13, 0xbc7abc9e
	s_mov_b32 s12, 0x3b39803f
	;; [unrolled: 1-line block ×3, first 2 shown]
	v_fmac_f64_e32 v[8:9], s[12:13], v[6:7]
	v_mov_b32_e32 v10, 0xfca7ab0c
	v_mov_b32_e32 v11, 0x3e928af3
	s_mov_b32 s3, 0x3e5ade15
	v_fmac_f64_e32 v[10:11], s[2:3], v[8:9]
	v_mov_b32_e32 v12, 0x623fde64
	v_mov_b32_e32 v13, 0x3ec71dee
	v_fmac_f64_e32 v[12:13], v[8:9], v[10:11]
	v_mov_b32_e32 v10, 0x7c89e6b0
	v_mov_b32_e32 v11, 0x3efa0199
	;; [unrolled: 3-line block ×8, first 2 shown]
	v_fmac_f64_e32 v[10:11], v[8:9], v[12:13]
	v_fma_f64 v[10:11], v[8:9], v[10:11], 1.0
	s_mov_b32 s2, 0
	s_mov_b32 s4, 0
	v_fma_f64 v[8:9], v[8:9], v[10:11], 1.0
	v_cvt_i32_f64_e32 v6, v[6:7]
	s_mov_b32 s3, 0x40900000
	s_mov_b32 s5, 0xc090cc00
	v_ldexp_f64 v[6:7], v[8:9], v6
	v_mov_b32_e32 v8, 0x7ff00000
	v_cmp_nlt_f64_e64 s[2:3], s[2:3], v[4:5]
	v_cmp_ngt_f64_e64 s[4:5], s[4:5], v[4:5]
	s_mov_b32 s11, 0x3fe62e42
	v_cndmask_b32_e64 v7, v8, v7, s[2:3]
	s_and_b64 s[2:3], s[4:5], s[2:3]
	v_cndmask_b32_e64 v5, 0, v7, s[4:5]
	v_cndmask_b32_e64 v4, 0, v6, s[2:3]
	v_add_f64 v[6:7], v[4:5], 1.0
	v_add_f64 v[8:9], v[6:7], -1.0
	v_add_f64 v[10:11], v[8:9], -v[6:7]
	v_add_f64 v[10:11], v[10:11], 1.0
	v_add_f64 v[8:9], v[4:5], -v[8:9]
	s_mov_b32 s2, 0x55555555
	v_add_f64 v[8:9], v[8:9], v[10:11]
	v_frexp_mant_f64_e32 v[10:11], v[6:7]
	s_mov_b32 s3, 0x3fe55555
	v_frexp_exp_i32_f64_e32 v12, v[6:7]
	v_cmp_gt_f64_e64 s[2:3], s[2:3], v[10:11]
	s_mov_b32 s13, 0x3c7abc9e
	s_nop 0
	v_subbrev_co_u32_e64 v26, s[2:3], 0, v12, s[2:3]
	v_sub_u32_e32 v10, 0, v26
	v_ldexp_f64 v[6:7], v[6:7], v10
	v_ldexp_f64 v[8:9], v[8:9], v10
	v_add_f64 v[10:11], v[6:7], -1.0
	v_add_f64 v[16:17], v[6:7], 1.0
	v_add_f64 v[12:13], v[10:11], 1.0
	v_add_f64 v[18:19], v[16:17], -1.0
	v_add_f64 v[12:13], v[6:7], -v[12:13]
	v_add_f64 v[6:7], v[6:7], -v[18:19]
	v_add_f64 v[6:7], v[8:9], v[6:7]
	v_add_f64 v[12:13], v[8:9], v[12:13]
	;; [unrolled: 1-line block ×3, first 2 shown]
	v_rcp_f64_e32 v[18:19], v[8:9]
	v_add_f64 v[14:15], v[10:11], v[12:13]
	v_add_f64 v[10:11], v[14:15], -v[10:11]
	v_add_f64 v[10:11], v[12:13], -v[10:11]
	;; [unrolled: 1-line block ×4, first 2 shown]
	v_fma_f64 v[12:13], -v[8:9], v[18:19], 1.0
	v_fmac_f64_e32 v[18:19], v[12:13], v[18:19]
	v_fma_f64 v[12:13], -v[8:9], v[18:19], 1.0
	v_fmac_f64_e32 v[18:19], v[12:13], v[18:19]
	v_mul_f64 v[12:13], v[14:15], v[18:19]
	v_mul_f64 v[16:17], v[8:9], v[12:13]
	v_fma_f64 v[20:21], v[12:13], v[8:9], -v[16:17]
	v_fmac_f64_e32 v[20:21], v[12:13], v[6:7]
	v_add_f64 v[22:23], v[16:17], v[20:21]
	v_add_f64 v[24:25], v[14:15], -v[22:23]
	v_add_f64 v[14:15], v[14:15], -v[24:25]
	;; [unrolled: 1-line block ×4, first 2 shown]
	v_add_f64 v[10:11], v[10:11], v[14:15]
	v_add_f64 v[14:15], v[16:17], -v[20:21]
	v_add_f64 v[10:11], v[14:15], v[10:11]
	v_add_f64 v[14:15], v[24:25], v[10:11]
	v_add_f64 v[16:17], v[24:25], -v[14:15]
	v_add_f64 v[10:11], v[10:11], v[16:17]
	v_mul_f64 v[16:17], v[18:19], v[14:15]
	v_mul_f64 v[20:21], v[8:9], v[16:17]
	v_fma_f64 v[8:9], v[16:17], v[8:9], -v[20:21]
	v_fmac_f64_e32 v[8:9], v[16:17], v[6:7]
	v_add_f64 v[6:7], v[20:21], v[8:9]
	v_add_f64 v[22:23], v[14:15], -v[6:7]
	v_add_f64 v[14:15], v[14:15], -v[22:23]
	;; [unrolled: 1-line block ×4, first 2 shown]
	v_add_f64 v[6:7], v[10:11], v[6:7]
	v_add_f64 v[8:9], v[20:21], -v[8:9]
	v_add_f64 v[6:7], v[8:9], v[6:7]
	v_add_f64 v[8:9], v[12:13], v[16:17]
	;; [unrolled: 1-line block ×3, first 2 shown]
	v_add_f64 v[10:11], v[8:9], -v[12:13]
	v_mul_f64 v[6:7], v[18:19], v[6:7]
	v_add_f64 v[10:11], v[16:17], -v[10:11]
	v_add_f64 v[6:7], v[10:11], v[6:7]
	v_add_f64 v[10:11], v[8:9], v[6:7]
	v_add_f64 v[8:9], v[10:11], -v[8:9]
	s_mov_b32 s2, 0xbf559e2b
	v_add_f64 v[6:7], v[6:7], -v[8:9]
	v_mul_f64 v[8:9], v[10:11], v[10:11]
	v_mov_b32_e32 v12, 0x6b47b09a
	v_mov_b32_e32 v13, 0x3fc38538
	s_mov_b32 s3, 0x3fc3ab76
	v_fmac_f64_e32 v[12:13], s[2:3], v[8:9]
	v_mov_b32_e32 v14, 0xd7f4df2e
	v_mov_b32_e32 v15, 0x3fc7474d
	v_fmac_f64_e32 v[14:15], v[8:9], v[12:13]
	v_mov_b32_e32 v12, 0x16291751
	v_mov_b32_e32 v13, 0x3fcc71c0
	;; [unrolled: 3-line block ×5, first 2 shown]
	v_fmac_f64_e32 v[14:15], v[8:9], v[12:13]
	v_cvt_f64_i32_e32 v[12:13], v26
	v_mul_f64 v[16:17], v[12:13], s[10:11]
	v_fma_f64 v[18:19], v[12:13], s[10:11], -v[16:17]
	v_fmac_f64_e32 v[18:19], s[12:13], v[12:13]
	v_add_f64 v[12:13], v[16:17], v[18:19]
	v_add_f64 v[16:17], v[12:13], -v[16:17]
	v_mul_f64 v[8:9], v[10:11], v[8:9]
	v_add_f64 v[16:17], v[18:19], -v[16:17]
	v_ldexp_f64 v[18:19], v[10:11], 1
	v_mul_f64 v[8:9], v[8:9], v[14:15]
	v_add_f64 v[10:11], v[18:19], v[8:9]
	v_add_f64 v[14:15], v[10:11], -v[18:19]
	v_ldexp_f64 v[6:7], v[6:7], 1
	v_add_f64 v[8:9], v[8:9], -v[14:15]
	v_add_f64 v[6:7], v[6:7], v[8:9]
	v_add_f64 v[8:9], v[10:11], v[6:7]
	v_add_f64 v[10:11], v[8:9], -v[10:11]
	v_add_f64 v[6:7], v[6:7], -v[10:11]
	v_add_f64 v[10:11], v[12:13], v[8:9]
	v_add_f64 v[14:15], v[10:11], -v[12:13]
	v_add_f64 v[18:19], v[10:11], -v[14:15]
	;; [unrolled: 1-line block ×4, first 2 shown]
	v_add_f64 v[8:9], v[8:9], v[12:13]
	v_add_f64 v[12:13], v[16:17], v[6:7]
	v_add_f64 v[14:15], v[12:13], -v[16:17]
	v_add_f64 v[8:9], v[12:13], v[8:9]
	v_add_f64 v[18:19], v[12:13], -v[14:15]
	;; [unrolled: 2-line block ×3, first 2 shown]
	v_add_f64 v[6:7], v[6:7], -v[14:15]
	v_add_f64 v[10:11], v[12:13], -v[10:11]
	v_add_f64 v[6:7], v[6:7], v[16:17]
	v_add_f64 v[8:9], v[8:9], -v[10:11]
	s_mov_b32 s2, 0
	v_add_f64 v[6:7], v[6:7], v[8:9]
	s_mov_b32 s3, 0x7ff00000
	v_add_f64 v[6:7], v[12:13], v[6:7]
	v_cmp_eq_f64_e64 s[2:3], s[2:3], v[4:5]
	v_mov_b32_e32 v8, 0x7ff80000
	s_nop 0
	v_cndmask_b32_e64 v6, v6, v4, s[2:3]
	v_cndmask_b32_e64 v7, v7, v5, s[2:3]
	v_cmp_ngt_f64_e64 s[2:3], -1.0, v[4:5]
	s_nop 1
	v_cndmask_b32_e64 v7, v8, v7, s[2:3]
	v_cmp_nge_f64_e64 s[2:3], -1.0, v[4:5]
	v_mov_b32_e32 v8, 0xfff00000
	s_nop 0
	v_cndmask_b32_e64 v6, 0, v6, s[2:3]
	v_cmp_neq_f64_e64 s[2:3], -1.0, v[4:5]
	s_nop 1
	v_cndmask_b32_e64 v7, v8, v7, s[2:3]
	v_add_f64 v[4:5], v[0:1], v[6:7]
.LBB50_265:
	s_or_b64 exec, exec, s[8:9]
	v_mov_b64_e32 v[0:1], v[4:5]
.LBB50_266:
	s_or_b64 exec, exec, s[6:7]
	v_max_f64 v[34:35], v[0:1], v[0:1]
	v_min_f64 v[36:37], v[34:35], v[130:131]
	v_cmp_u_f64_e64 s[30:31], v[0:1], v[0:1]
	v_cmp_u_f64_e64 s[2:3], v[2:3], v[2:3]
	v_max_f64 v[48:49], v[34:35], v[130:131]
	v_cndmask_b32_e64 v4, v36, v0, s[30:31]
	v_cndmask_b32_e64 v5, v37, v1, s[30:31]
	;; [unrolled: 1-line block ×8, first 2 shown]
	s_movk_i32 s14, 0x1f8
	v_cmp_neq_f64_e64 s[4:5], v[6:7], v[4:5]
	v_cmp_class_f64_e64 s[6:7], v[6:7], s14
	s_or_b64 s[4:5], s[4:5], s[6:7]
	v_mov_b64_e32 v[132:133], v[0:1]
	s_and_saveexec_b64 s[8:9], s[4:5]
	s_cbranch_execz .LBB50_268
; %bb.267:
	s_mov_b32 s4, 0x652b82fe
	v_add_f64 v[6:7], v[6:7], -v[4:5]
	s_mov_b32 s5, 0x3ff71547
	v_mul_f64 v[8:9], v[6:7], s[4:5]
	v_rndne_f64_e32 v[8:9], v[8:9]
	s_mov_b32 s11, 0xbfe62e42
	s_mov_b32 s10, 0xfefa39ef
	v_fma_f64 v[10:11], s[10:11], v[8:9], v[6:7]
	s_mov_b32 s13, 0xbc7abc9e
	s_mov_b32 s12, 0x3b39803f
	;; [unrolled: 1-line block ×3, first 2 shown]
	v_fmac_f64_e32 v[10:11], s[12:13], v[8:9]
	v_mov_b32_e32 v12, 0xfca7ab0c
	v_mov_b32_e32 v13, 0x3e928af3
	s_mov_b32 s5, 0x3e5ade15
	v_fmac_f64_e32 v[12:13], s[4:5], v[10:11]
	v_mov_b32_e32 v14, 0x623fde64
	v_mov_b32_e32 v15, 0x3ec71dee
	v_fmac_f64_e32 v[14:15], v[10:11], v[12:13]
	v_mov_b32_e32 v12, 0x7c89e6b0
	v_mov_b32_e32 v13, 0x3efa0199
	;; [unrolled: 3-line block ×8, first 2 shown]
	v_fmac_f64_e32 v[12:13], v[10:11], v[14:15]
	v_fma_f64 v[12:13], v[10:11], v[12:13], 1.0
	s_mov_b32 s4, 0
	s_mov_b32 s6, 0
	v_fma_f64 v[10:11], v[10:11], v[12:13], 1.0
	v_cvt_i32_f64_e32 v8, v[8:9]
	s_mov_b32 s5, 0x40900000
	s_mov_b32 s7, 0xc090cc00
	v_ldexp_f64 v[8:9], v[10:11], v8
	v_mov_b32_e32 v10, 0x7ff00000
	v_cmp_nlt_f64_e64 s[4:5], s[4:5], v[6:7]
	v_cmp_ngt_f64_e64 s[6:7], s[6:7], v[6:7]
	s_mov_b32 s11, 0x3fe62e42
	v_cndmask_b32_e64 v9, v10, v9, s[4:5]
	s_and_b64 s[4:5], s[6:7], s[4:5]
	v_cndmask_b32_e64 v7, 0, v9, s[6:7]
	v_cndmask_b32_e64 v6, 0, v8, s[4:5]
	v_add_f64 v[8:9], v[6:7], 1.0
	v_add_f64 v[10:11], v[8:9], -1.0
	v_add_f64 v[12:13], v[10:11], -v[8:9]
	v_add_f64 v[12:13], v[12:13], 1.0
	v_add_f64 v[10:11], v[6:7], -v[10:11]
	s_mov_b32 s4, 0x55555555
	v_add_f64 v[10:11], v[10:11], v[12:13]
	v_frexp_mant_f64_e32 v[12:13], v[8:9]
	s_mov_b32 s5, 0x3fe55555
	v_frexp_exp_i32_f64_e32 v14, v[8:9]
	v_cmp_gt_f64_e64 s[4:5], s[4:5], v[12:13]
	s_mov_b32 s13, 0x3c7abc9e
	s_nop 0
	v_subbrev_co_u32_e64 v28, s[4:5], 0, v14, s[4:5]
	v_sub_u32_e32 v12, 0, v28
	v_ldexp_f64 v[8:9], v[8:9], v12
	v_ldexp_f64 v[10:11], v[10:11], v12
	v_add_f64 v[12:13], v[8:9], -1.0
	v_add_f64 v[18:19], v[8:9], 1.0
	v_add_f64 v[14:15], v[12:13], 1.0
	v_add_f64 v[20:21], v[18:19], -1.0
	v_add_f64 v[14:15], v[8:9], -v[14:15]
	v_add_f64 v[8:9], v[8:9], -v[20:21]
	v_add_f64 v[8:9], v[10:11], v[8:9]
	v_add_f64 v[14:15], v[10:11], v[14:15]
	;; [unrolled: 1-line block ×3, first 2 shown]
	v_rcp_f64_e32 v[20:21], v[10:11]
	v_add_f64 v[16:17], v[12:13], v[14:15]
	v_add_f64 v[12:13], v[16:17], -v[12:13]
	v_add_f64 v[12:13], v[14:15], -v[12:13]
	v_add_f64 v[14:15], v[10:11], -v[18:19]
	v_add_f64 v[8:9], v[8:9], -v[14:15]
	v_fma_f64 v[14:15], -v[10:11], v[20:21], 1.0
	v_fmac_f64_e32 v[20:21], v[14:15], v[20:21]
	v_fma_f64 v[14:15], -v[10:11], v[20:21], 1.0
	v_fmac_f64_e32 v[20:21], v[14:15], v[20:21]
	v_mul_f64 v[14:15], v[16:17], v[20:21]
	v_mul_f64 v[18:19], v[10:11], v[14:15]
	v_fma_f64 v[22:23], v[14:15], v[10:11], -v[18:19]
	v_fmac_f64_e32 v[22:23], v[14:15], v[8:9]
	v_add_f64 v[24:25], v[18:19], v[22:23]
	v_add_f64 v[26:27], v[16:17], -v[24:25]
	v_add_f64 v[16:17], v[16:17], -v[26:27]
	;; [unrolled: 1-line block ×4, first 2 shown]
	v_add_f64 v[12:13], v[12:13], v[16:17]
	v_add_f64 v[16:17], v[18:19], -v[22:23]
	v_add_f64 v[12:13], v[16:17], v[12:13]
	v_add_f64 v[16:17], v[26:27], v[12:13]
	v_add_f64 v[18:19], v[26:27], -v[16:17]
	v_add_f64 v[12:13], v[12:13], v[18:19]
	v_mul_f64 v[18:19], v[20:21], v[16:17]
	v_mul_f64 v[22:23], v[10:11], v[18:19]
	v_fma_f64 v[10:11], v[18:19], v[10:11], -v[22:23]
	v_fmac_f64_e32 v[10:11], v[18:19], v[8:9]
	v_add_f64 v[8:9], v[22:23], v[10:11]
	v_add_f64 v[24:25], v[16:17], -v[8:9]
	v_add_f64 v[16:17], v[16:17], -v[24:25]
	;; [unrolled: 1-line block ×4, first 2 shown]
	v_add_f64 v[8:9], v[12:13], v[8:9]
	v_add_f64 v[10:11], v[22:23], -v[10:11]
	v_add_f64 v[8:9], v[10:11], v[8:9]
	v_add_f64 v[10:11], v[14:15], v[18:19]
	;; [unrolled: 1-line block ×3, first 2 shown]
	v_add_f64 v[12:13], v[10:11], -v[14:15]
	v_mul_f64 v[8:9], v[20:21], v[8:9]
	v_add_f64 v[12:13], v[18:19], -v[12:13]
	v_add_f64 v[8:9], v[12:13], v[8:9]
	v_add_f64 v[12:13], v[10:11], v[8:9]
	v_add_f64 v[10:11], v[12:13], -v[10:11]
	s_mov_b32 s4, 0xbf559e2b
	v_add_f64 v[8:9], v[8:9], -v[10:11]
	v_mul_f64 v[10:11], v[12:13], v[12:13]
	v_mov_b32_e32 v14, 0x6b47b09a
	v_mov_b32_e32 v15, 0x3fc38538
	s_mov_b32 s5, 0x3fc3ab76
	v_fmac_f64_e32 v[14:15], s[4:5], v[10:11]
	v_mov_b32_e32 v16, 0xd7f4df2e
	v_mov_b32_e32 v17, 0x3fc7474d
	v_fmac_f64_e32 v[16:17], v[10:11], v[14:15]
	v_mov_b32_e32 v14, 0x16291751
	v_mov_b32_e32 v15, 0x3fcc71c0
	;; [unrolled: 3-line block ×5, first 2 shown]
	v_fmac_f64_e32 v[16:17], v[10:11], v[14:15]
	v_cvt_f64_i32_e32 v[14:15], v28
	v_mul_f64 v[18:19], v[14:15], s[10:11]
	v_fma_f64 v[20:21], v[14:15], s[10:11], -v[18:19]
	v_fmac_f64_e32 v[20:21], s[12:13], v[14:15]
	v_add_f64 v[14:15], v[18:19], v[20:21]
	v_add_f64 v[18:19], v[14:15], -v[18:19]
	v_mul_f64 v[10:11], v[12:13], v[10:11]
	v_add_f64 v[18:19], v[20:21], -v[18:19]
	v_ldexp_f64 v[20:21], v[12:13], 1
	v_mul_f64 v[10:11], v[10:11], v[16:17]
	v_add_f64 v[12:13], v[20:21], v[10:11]
	v_add_f64 v[16:17], v[12:13], -v[20:21]
	v_ldexp_f64 v[8:9], v[8:9], 1
	v_add_f64 v[10:11], v[10:11], -v[16:17]
	v_add_f64 v[8:9], v[8:9], v[10:11]
	v_add_f64 v[10:11], v[12:13], v[8:9]
	v_add_f64 v[12:13], v[10:11], -v[12:13]
	v_add_f64 v[8:9], v[8:9], -v[12:13]
	v_add_f64 v[12:13], v[14:15], v[10:11]
	v_add_f64 v[16:17], v[12:13], -v[14:15]
	v_add_f64 v[20:21], v[12:13], -v[16:17]
	;; [unrolled: 1-line block ×4, first 2 shown]
	v_add_f64 v[10:11], v[10:11], v[14:15]
	v_add_f64 v[14:15], v[18:19], v[8:9]
	v_add_f64 v[16:17], v[14:15], -v[18:19]
	v_add_f64 v[10:11], v[14:15], v[10:11]
	v_add_f64 v[20:21], v[14:15], -v[16:17]
	;; [unrolled: 2-line block ×3, first 2 shown]
	v_add_f64 v[8:9], v[8:9], -v[16:17]
	v_add_f64 v[12:13], v[14:15], -v[12:13]
	v_add_f64 v[8:9], v[8:9], v[18:19]
	v_add_f64 v[10:11], v[10:11], -v[12:13]
	s_mov_b32 s4, 0
	v_add_f64 v[8:9], v[8:9], v[10:11]
	s_mov_b32 s5, 0x7ff00000
	v_add_f64 v[8:9], v[14:15], v[8:9]
	v_cmp_eq_f64_e64 s[4:5], s[4:5], v[6:7]
	v_mov_b32_e32 v10, 0x7ff80000
	s_nop 0
	v_cndmask_b32_e64 v8, v8, v6, s[4:5]
	v_cndmask_b32_e64 v9, v9, v7, s[4:5]
	v_cmp_ngt_f64_e64 s[4:5], -1.0, v[6:7]
	s_nop 1
	v_cndmask_b32_e64 v9, v10, v9, s[4:5]
	v_cmp_nge_f64_e64 s[4:5], -1.0, v[6:7]
	v_mov_b32_e32 v10, 0xfff00000
	s_nop 0
	v_cndmask_b32_e64 v8, 0, v8, s[4:5]
	v_cmp_neq_f64_e64 s[4:5], -1.0, v[6:7]
	s_nop 1
	v_cndmask_b32_e64 v9, v10, v9, s[4:5]
	v_add_f64 v[132:133], v[4:5], v[8:9]
.LBB50_268:
	s_or_b64 exec, exec, s[8:9]
	v_max_f64 v[8:9], v[112:113], v[112:113]
	v_max_f64 v[4:5], v[132:133], v[132:133]
	v_min_f64 v[6:7], v[4:5], v[8:9]
	v_cmp_u_f64_e64 s[6:7], v[132:133], v[132:133]
	v_max_f64 v[4:5], v[4:5], v[8:9]
	v_cmp_u_f64_e64 s[4:5], v[112:113], v[112:113]
	v_cndmask_b32_e64 v6, v6, v132, s[6:7]
	v_cndmask_b32_e64 v7, v7, v133, s[6:7]
	;; [unrolled: 1-line block ×8, first 2 shown]
	v_cmp_neq_f64_e64 s[6:7], v[6:7], v[4:5]
	v_cmp_class_f64_e64 s[8:9], v[6:7], s14
	s_or_b64 s[6:7], s[6:7], s[8:9]
	s_and_saveexec_b64 s[10:11], s[6:7]
	s_cbranch_execz .LBB50_270
; %bb.269:
	s_mov_b32 s6, 0x652b82fe
	v_add_f64 v[6:7], v[6:7], -v[4:5]
	s_mov_b32 s7, 0x3ff71547
	v_mul_f64 v[10:11], v[6:7], s[6:7]
	v_rndne_f64_e32 v[10:11], v[10:11]
	s_mov_b32 s13, 0xbfe62e42
	s_mov_b32 s12, 0xfefa39ef
	v_fma_f64 v[12:13], s[12:13], v[10:11], v[6:7]
	s_mov_b32 s15, 0xbc7abc9e
	s_mov_b32 s14, 0x3b39803f
	;; [unrolled: 1-line block ×3, first 2 shown]
	v_fmac_f64_e32 v[12:13], s[14:15], v[10:11]
	v_mov_b32_e32 v14, 0xfca7ab0c
	v_mov_b32_e32 v15, 0x3e928af3
	s_mov_b32 s7, 0x3e5ade15
	v_fmac_f64_e32 v[14:15], s[6:7], v[12:13]
	v_mov_b32_e32 v16, 0x623fde64
	v_mov_b32_e32 v17, 0x3ec71dee
	v_fmac_f64_e32 v[16:17], v[12:13], v[14:15]
	v_mov_b32_e32 v14, 0x7c89e6b0
	v_mov_b32_e32 v15, 0x3efa0199
	;; [unrolled: 3-line block ×8, first 2 shown]
	v_fmac_f64_e32 v[14:15], v[12:13], v[16:17]
	v_fma_f64 v[14:15], v[12:13], v[14:15], 1.0
	s_mov_b32 s6, 0
	s_mov_b32 s8, 0
	v_fma_f64 v[12:13], v[12:13], v[14:15], 1.0
	v_cvt_i32_f64_e32 v10, v[10:11]
	s_mov_b32 s7, 0x40900000
	s_mov_b32 s9, 0xc090cc00
	v_ldexp_f64 v[10:11], v[12:13], v10
	v_mov_b32_e32 v12, 0x7ff00000
	v_cmp_nlt_f64_e64 s[6:7], s[6:7], v[6:7]
	v_cmp_ngt_f64_e64 s[8:9], s[8:9], v[6:7]
	s_mov_b32 s13, 0x3fe62e42
	v_cndmask_b32_e64 v11, v12, v11, s[6:7]
	s_and_b64 s[6:7], s[8:9], s[6:7]
	v_cndmask_b32_e64 v7, 0, v11, s[8:9]
	v_cndmask_b32_e64 v6, 0, v10, s[6:7]
	v_add_f64 v[10:11], v[6:7], 1.0
	v_add_f64 v[12:13], v[10:11], -1.0
	v_add_f64 v[14:15], v[12:13], -v[10:11]
	v_add_f64 v[14:15], v[14:15], 1.0
	v_add_f64 v[12:13], v[6:7], -v[12:13]
	s_mov_b32 s6, 0x55555555
	v_add_f64 v[12:13], v[12:13], v[14:15]
	v_frexp_mant_f64_e32 v[14:15], v[10:11]
	s_mov_b32 s7, 0x3fe55555
	v_frexp_exp_i32_f64_e32 v16, v[10:11]
	v_cmp_gt_f64_e64 s[6:7], s[6:7], v[14:15]
	s_mov_b32 s15, 0x3c7abc9e
	s_nop 0
	v_subbrev_co_u32_e64 v30, s[6:7], 0, v16, s[6:7]
	v_sub_u32_e32 v14, 0, v30
	v_ldexp_f64 v[10:11], v[10:11], v14
	v_ldexp_f64 v[12:13], v[12:13], v14
	v_add_f64 v[14:15], v[10:11], -1.0
	v_add_f64 v[20:21], v[10:11], 1.0
	v_add_f64 v[16:17], v[14:15], 1.0
	v_add_f64 v[22:23], v[20:21], -1.0
	v_add_f64 v[16:17], v[10:11], -v[16:17]
	v_add_f64 v[10:11], v[10:11], -v[22:23]
	v_add_f64 v[10:11], v[12:13], v[10:11]
	v_add_f64 v[16:17], v[12:13], v[16:17]
	;; [unrolled: 1-line block ×3, first 2 shown]
	v_rcp_f64_e32 v[22:23], v[12:13]
	v_add_f64 v[18:19], v[14:15], v[16:17]
	v_add_f64 v[14:15], v[18:19], -v[14:15]
	v_add_f64 v[14:15], v[16:17], -v[14:15]
	;; [unrolled: 1-line block ×4, first 2 shown]
	v_fma_f64 v[16:17], -v[12:13], v[22:23], 1.0
	v_fmac_f64_e32 v[22:23], v[16:17], v[22:23]
	v_fma_f64 v[16:17], -v[12:13], v[22:23], 1.0
	v_fmac_f64_e32 v[22:23], v[16:17], v[22:23]
	v_mul_f64 v[16:17], v[18:19], v[22:23]
	v_mul_f64 v[20:21], v[12:13], v[16:17]
	v_fma_f64 v[24:25], v[16:17], v[12:13], -v[20:21]
	v_fmac_f64_e32 v[24:25], v[16:17], v[10:11]
	v_add_f64 v[26:27], v[20:21], v[24:25]
	v_add_f64 v[28:29], v[18:19], -v[26:27]
	v_add_f64 v[18:19], v[18:19], -v[28:29]
	;; [unrolled: 1-line block ×4, first 2 shown]
	v_add_f64 v[14:15], v[14:15], v[18:19]
	v_add_f64 v[18:19], v[20:21], -v[24:25]
	v_add_f64 v[14:15], v[18:19], v[14:15]
	v_add_f64 v[18:19], v[28:29], v[14:15]
	v_add_f64 v[20:21], v[28:29], -v[18:19]
	v_add_f64 v[14:15], v[14:15], v[20:21]
	v_mul_f64 v[20:21], v[22:23], v[18:19]
	v_mul_f64 v[24:25], v[12:13], v[20:21]
	v_fma_f64 v[12:13], v[20:21], v[12:13], -v[24:25]
	v_fmac_f64_e32 v[12:13], v[20:21], v[10:11]
	v_add_f64 v[10:11], v[24:25], v[12:13]
	v_add_f64 v[26:27], v[18:19], -v[10:11]
	v_add_f64 v[18:19], v[18:19], -v[26:27]
	;; [unrolled: 1-line block ×4, first 2 shown]
	v_add_f64 v[10:11], v[14:15], v[10:11]
	v_add_f64 v[12:13], v[24:25], -v[12:13]
	v_add_f64 v[10:11], v[12:13], v[10:11]
	v_add_f64 v[12:13], v[16:17], v[20:21]
	;; [unrolled: 1-line block ×3, first 2 shown]
	v_add_f64 v[14:15], v[12:13], -v[16:17]
	v_mul_f64 v[10:11], v[22:23], v[10:11]
	v_add_f64 v[14:15], v[20:21], -v[14:15]
	v_add_f64 v[10:11], v[14:15], v[10:11]
	v_add_f64 v[14:15], v[12:13], v[10:11]
	v_add_f64 v[12:13], v[14:15], -v[12:13]
	s_mov_b32 s6, 0xbf559e2b
	v_add_f64 v[10:11], v[10:11], -v[12:13]
	v_mul_f64 v[12:13], v[14:15], v[14:15]
	v_mov_b32_e32 v16, 0x6b47b09a
	v_mov_b32_e32 v17, 0x3fc38538
	s_mov_b32 s7, 0x3fc3ab76
	v_fmac_f64_e32 v[16:17], s[6:7], v[12:13]
	v_mov_b32_e32 v18, 0xd7f4df2e
	v_mov_b32_e32 v19, 0x3fc7474d
	v_fmac_f64_e32 v[18:19], v[12:13], v[16:17]
	v_mov_b32_e32 v16, 0x16291751
	v_mov_b32_e32 v17, 0x3fcc71c0
	;; [unrolled: 3-line block ×5, first 2 shown]
	v_fmac_f64_e32 v[18:19], v[12:13], v[16:17]
	v_cvt_f64_i32_e32 v[16:17], v30
	v_mul_f64 v[20:21], v[16:17], s[12:13]
	v_fma_f64 v[22:23], v[16:17], s[12:13], -v[20:21]
	v_fmac_f64_e32 v[22:23], s[14:15], v[16:17]
	v_add_f64 v[16:17], v[20:21], v[22:23]
	v_add_f64 v[20:21], v[16:17], -v[20:21]
	v_mul_f64 v[12:13], v[14:15], v[12:13]
	v_add_f64 v[20:21], v[22:23], -v[20:21]
	v_ldexp_f64 v[22:23], v[14:15], 1
	v_mul_f64 v[12:13], v[12:13], v[18:19]
	v_add_f64 v[14:15], v[22:23], v[12:13]
	v_add_f64 v[18:19], v[14:15], -v[22:23]
	v_ldexp_f64 v[10:11], v[10:11], 1
	v_add_f64 v[12:13], v[12:13], -v[18:19]
	v_add_f64 v[10:11], v[10:11], v[12:13]
	v_add_f64 v[12:13], v[14:15], v[10:11]
	v_add_f64 v[14:15], v[12:13], -v[14:15]
	v_add_f64 v[10:11], v[10:11], -v[14:15]
	v_add_f64 v[14:15], v[16:17], v[12:13]
	v_add_f64 v[18:19], v[14:15], -v[16:17]
	v_add_f64 v[22:23], v[14:15], -v[18:19]
	;; [unrolled: 1-line block ×4, first 2 shown]
	v_add_f64 v[12:13], v[12:13], v[16:17]
	v_add_f64 v[16:17], v[20:21], v[10:11]
	v_add_f64 v[18:19], v[16:17], -v[20:21]
	v_add_f64 v[12:13], v[16:17], v[12:13]
	v_add_f64 v[22:23], v[16:17], -v[18:19]
	;; [unrolled: 2-line block ×3, first 2 shown]
	v_add_f64 v[10:11], v[10:11], -v[18:19]
	v_add_f64 v[14:15], v[16:17], -v[14:15]
	v_add_f64 v[10:11], v[10:11], v[20:21]
	v_add_f64 v[12:13], v[12:13], -v[14:15]
	s_mov_b32 s6, 0
	v_add_f64 v[10:11], v[10:11], v[12:13]
	s_mov_b32 s7, 0x7ff00000
	v_add_f64 v[10:11], v[16:17], v[10:11]
	v_cmp_eq_f64_e64 s[6:7], s[6:7], v[6:7]
	v_mov_b32_e32 v12, 0x7ff80000
	s_nop 0
	v_cndmask_b32_e64 v10, v10, v6, s[6:7]
	v_cndmask_b32_e64 v11, v11, v7, s[6:7]
	v_cmp_ngt_f64_e64 s[6:7], -1.0, v[6:7]
	s_nop 1
	v_cndmask_b32_e64 v11, v12, v11, s[6:7]
	v_cmp_nge_f64_e64 s[6:7], -1.0, v[6:7]
	v_mov_b32_e32 v12, 0xfff00000
	s_nop 0
	v_cndmask_b32_e64 v10, 0, v10, s[6:7]
	v_cmp_neq_f64_e64 s[6:7], -1.0, v[6:7]
	s_nop 1
	v_cndmask_b32_e64 v11, v12, v11, s[6:7]
	v_add_f64 v[132:133], v[4:5], v[10:11]
.LBB50_270:
	s_or_b64 exec, exec, s[10:11]
	v_max_f64 v[10:11], v[114:115], v[114:115]
	v_max_f64 v[4:5], v[132:133], v[132:133]
	v_min_f64 v[6:7], v[4:5], v[10:11]
	v_cmp_u_f64_e64 s[8:9], v[132:133], v[132:133]
	v_max_f64 v[4:5], v[4:5], v[10:11]
	v_cmp_u_f64_e64 s[6:7], v[114:115], v[114:115]
	v_cndmask_b32_e64 v6, v6, v132, s[8:9]
	v_cndmask_b32_e64 v7, v7, v133, s[8:9]
	;; [unrolled: 1-line block ×8, first 2 shown]
	s_movk_i32 s18, 0x1f8
	v_cmp_neq_f64_e64 s[8:9], v[6:7], v[4:5]
	v_cmp_class_f64_e64 s[10:11], v[6:7], s18
	s_or_b64 s[8:9], s[8:9], s[10:11]
	s_and_saveexec_b64 s[12:13], s[8:9]
	s_cbranch_execz .LBB50_272
; %bb.271:
	s_mov_b32 s8, 0x652b82fe
	v_add_f64 v[6:7], v[6:7], -v[4:5]
	s_mov_b32 s9, 0x3ff71547
	v_mul_f64 v[12:13], v[6:7], s[8:9]
	v_rndne_f64_e32 v[12:13], v[12:13]
	s_mov_b32 s15, 0xbfe62e42
	s_mov_b32 s14, 0xfefa39ef
	v_fma_f64 v[14:15], s[14:15], v[12:13], v[6:7]
	s_mov_b32 s17, 0xbc7abc9e
	s_mov_b32 s16, 0x3b39803f
	;; [unrolled: 1-line block ×3, first 2 shown]
	v_fmac_f64_e32 v[14:15], s[16:17], v[12:13]
	v_mov_b32_e32 v16, 0xfca7ab0c
	v_mov_b32_e32 v17, 0x3e928af3
	s_mov_b32 s9, 0x3e5ade15
	v_fmac_f64_e32 v[16:17], s[8:9], v[14:15]
	v_mov_b32_e32 v18, 0x623fde64
	v_mov_b32_e32 v19, 0x3ec71dee
	v_fmac_f64_e32 v[18:19], v[14:15], v[16:17]
	v_mov_b32_e32 v16, 0x7c89e6b0
	v_mov_b32_e32 v17, 0x3efa0199
	;; [unrolled: 3-line block ×8, first 2 shown]
	v_fmac_f64_e32 v[16:17], v[14:15], v[18:19]
	v_fma_f64 v[16:17], v[14:15], v[16:17], 1.0
	s_mov_b32 s8, 0
	s_mov_b32 s10, 0
	v_fma_f64 v[14:15], v[14:15], v[16:17], 1.0
	v_cvt_i32_f64_e32 v12, v[12:13]
	s_mov_b32 s9, 0x40900000
	s_mov_b32 s11, 0xc090cc00
	v_ldexp_f64 v[12:13], v[14:15], v12
	v_mov_b32_e32 v14, 0x7ff00000
	v_cmp_nlt_f64_e64 s[8:9], s[8:9], v[6:7]
	v_cmp_ngt_f64_e64 s[10:11], s[10:11], v[6:7]
	s_mov_b32 s15, 0x3fe62e42
	v_cndmask_b32_e64 v13, v14, v13, s[8:9]
	s_and_b64 s[8:9], s[10:11], s[8:9]
	v_cndmask_b32_e64 v7, 0, v13, s[10:11]
	v_cndmask_b32_e64 v6, 0, v12, s[8:9]
	v_add_f64 v[12:13], v[6:7], 1.0
	v_add_f64 v[14:15], v[12:13], -1.0
	v_add_f64 v[16:17], v[14:15], -v[12:13]
	v_add_f64 v[16:17], v[16:17], 1.0
	v_add_f64 v[14:15], v[6:7], -v[14:15]
	s_mov_b32 s8, 0x55555555
	v_add_f64 v[14:15], v[14:15], v[16:17]
	v_frexp_mant_f64_e32 v[16:17], v[12:13]
	s_mov_b32 s9, 0x3fe55555
	v_frexp_exp_i32_f64_e32 v18, v[12:13]
	v_cmp_gt_f64_e64 s[8:9], s[8:9], v[16:17]
	s_mov_b32 s17, 0x3c7abc9e
	s_nop 0
	v_subbrev_co_u32_e64 v32, s[8:9], 0, v18, s[8:9]
	v_sub_u32_e32 v16, 0, v32
	v_ldexp_f64 v[12:13], v[12:13], v16
	v_ldexp_f64 v[14:15], v[14:15], v16
	v_add_f64 v[16:17], v[12:13], -1.0
	v_add_f64 v[22:23], v[12:13], 1.0
	v_add_f64 v[18:19], v[16:17], 1.0
	v_add_f64 v[24:25], v[22:23], -1.0
	v_add_f64 v[18:19], v[12:13], -v[18:19]
	v_add_f64 v[12:13], v[12:13], -v[24:25]
	v_add_f64 v[12:13], v[14:15], v[12:13]
	v_add_f64 v[18:19], v[14:15], v[18:19]
	;; [unrolled: 1-line block ×3, first 2 shown]
	v_rcp_f64_e32 v[24:25], v[14:15]
	v_add_f64 v[20:21], v[16:17], v[18:19]
	v_add_f64 v[16:17], v[20:21], -v[16:17]
	v_add_f64 v[16:17], v[18:19], -v[16:17]
	v_add_f64 v[18:19], v[14:15], -v[22:23]
	v_add_f64 v[12:13], v[12:13], -v[18:19]
	v_fma_f64 v[18:19], -v[14:15], v[24:25], 1.0
	v_fmac_f64_e32 v[24:25], v[18:19], v[24:25]
	v_fma_f64 v[18:19], -v[14:15], v[24:25], 1.0
	v_fmac_f64_e32 v[24:25], v[18:19], v[24:25]
	v_mul_f64 v[18:19], v[20:21], v[24:25]
	v_mul_f64 v[22:23], v[14:15], v[18:19]
	v_fma_f64 v[26:27], v[18:19], v[14:15], -v[22:23]
	v_fmac_f64_e32 v[26:27], v[18:19], v[12:13]
	v_add_f64 v[28:29], v[22:23], v[26:27]
	v_add_f64 v[30:31], v[20:21], -v[28:29]
	v_add_f64 v[20:21], v[20:21], -v[30:31]
	;; [unrolled: 1-line block ×4, first 2 shown]
	v_add_f64 v[16:17], v[16:17], v[20:21]
	v_add_f64 v[20:21], v[22:23], -v[26:27]
	v_add_f64 v[16:17], v[20:21], v[16:17]
	v_add_f64 v[20:21], v[30:31], v[16:17]
	v_add_f64 v[22:23], v[30:31], -v[20:21]
	v_add_f64 v[16:17], v[16:17], v[22:23]
	v_mul_f64 v[22:23], v[24:25], v[20:21]
	v_mul_f64 v[26:27], v[14:15], v[22:23]
	v_fma_f64 v[14:15], v[22:23], v[14:15], -v[26:27]
	v_fmac_f64_e32 v[14:15], v[22:23], v[12:13]
	v_add_f64 v[12:13], v[26:27], v[14:15]
	v_add_f64 v[28:29], v[20:21], -v[12:13]
	v_add_f64 v[20:21], v[20:21], -v[28:29]
	;; [unrolled: 1-line block ×4, first 2 shown]
	v_add_f64 v[12:13], v[16:17], v[12:13]
	v_add_f64 v[14:15], v[26:27], -v[14:15]
	v_add_f64 v[12:13], v[14:15], v[12:13]
	v_add_f64 v[14:15], v[18:19], v[22:23]
	;; [unrolled: 1-line block ×3, first 2 shown]
	v_add_f64 v[16:17], v[14:15], -v[18:19]
	v_mul_f64 v[12:13], v[24:25], v[12:13]
	v_add_f64 v[16:17], v[22:23], -v[16:17]
	v_add_f64 v[12:13], v[16:17], v[12:13]
	v_add_f64 v[16:17], v[14:15], v[12:13]
	v_add_f64 v[14:15], v[16:17], -v[14:15]
	s_mov_b32 s8, 0xbf559e2b
	v_add_f64 v[12:13], v[12:13], -v[14:15]
	v_mul_f64 v[14:15], v[16:17], v[16:17]
	v_mov_b32_e32 v18, 0x6b47b09a
	v_mov_b32_e32 v19, 0x3fc38538
	s_mov_b32 s9, 0x3fc3ab76
	v_fmac_f64_e32 v[18:19], s[8:9], v[14:15]
	v_mov_b32_e32 v20, 0xd7f4df2e
	v_mov_b32_e32 v21, 0x3fc7474d
	v_fmac_f64_e32 v[20:21], v[14:15], v[18:19]
	v_mov_b32_e32 v18, 0x16291751
	v_mov_b32_e32 v19, 0x3fcc71c0
	;; [unrolled: 3-line block ×5, first 2 shown]
	v_fmac_f64_e32 v[20:21], v[14:15], v[18:19]
	v_cvt_f64_i32_e32 v[18:19], v32
	v_mul_f64 v[22:23], v[18:19], s[14:15]
	v_fma_f64 v[24:25], v[18:19], s[14:15], -v[22:23]
	v_fmac_f64_e32 v[24:25], s[16:17], v[18:19]
	v_add_f64 v[18:19], v[22:23], v[24:25]
	v_add_f64 v[22:23], v[18:19], -v[22:23]
	v_mul_f64 v[14:15], v[16:17], v[14:15]
	v_add_f64 v[22:23], v[24:25], -v[22:23]
	v_ldexp_f64 v[24:25], v[16:17], 1
	v_mul_f64 v[14:15], v[14:15], v[20:21]
	v_add_f64 v[16:17], v[24:25], v[14:15]
	v_add_f64 v[20:21], v[16:17], -v[24:25]
	v_ldexp_f64 v[12:13], v[12:13], 1
	v_add_f64 v[14:15], v[14:15], -v[20:21]
	v_add_f64 v[12:13], v[12:13], v[14:15]
	v_add_f64 v[14:15], v[16:17], v[12:13]
	v_add_f64 v[16:17], v[14:15], -v[16:17]
	v_add_f64 v[12:13], v[12:13], -v[16:17]
	v_add_f64 v[16:17], v[18:19], v[14:15]
	v_add_f64 v[20:21], v[16:17], -v[18:19]
	v_add_f64 v[24:25], v[16:17], -v[20:21]
	;; [unrolled: 1-line block ×4, first 2 shown]
	v_add_f64 v[14:15], v[14:15], v[18:19]
	v_add_f64 v[18:19], v[22:23], v[12:13]
	v_add_f64 v[20:21], v[18:19], -v[22:23]
	v_add_f64 v[14:15], v[18:19], v[14:15]
	v_add_f64 v[24:25], v[18:19], -v[20:21]
	;; [unrolled: 2-line block ×3, first 2 shown]
	v_add_f64 v[12:13], v[12:13], -v[20:21]
	v_add_f64 v[16:17], v[18:19], -v[16:17]
	v_add_f64 v[12:13], v[12:13], v[22:23]
	v_add_f64 v[14:15], v[14:15], -v[16:17]
	s_mov_b32 s8, 0
	v_add_f64 v[12:13], v[12:13], v[14:15]
	s_mov_b32 s9, 0x7ff00000
	v_add_f64 v[12:13], v[18:19], v[12:13]
	v_cmp_eq_f64_e64 s[8:9], s[8:9], v[6:7]
	v_mov_b32_e32 v14, 0x7ff80000
	s_nop 0
	v_cndmask_b32_e64 v12, v12, v6, s[8:9]
	v_cndmask_b32_e64 v13, v13, v7, s[8:9]
	v_cmp_ngt_f64_e64 s[8:9], -1.0, v[6:7]
	s_nop 1
	v_cndmask_b32_e64 v13, v14, v13, s[8:9]
	v_cmp_nge_f64_e64 s[8:9], -1.0, v[6:7]
	v_mov_b32_e32 v14, 0xfff00000
	s_nop 0
	v_cndmask_b32_e64 v12, 0, v12, s[8:9]
	v_cmp_neq_f64_e64 s[8:9], -1.0, v[6:7]
	s_nop 1
	v_cndmask_b32_e64 v13, v14, v13, s[8:9]
	v_add_f64 v[132:133], v[4:5], v[12:13]
.LBB50_272:
	s_or_b64 exec, exec, s[12:13]
	v_max_f64 v[12:13], v[100:101], v[100:101]
	v_max_f64 v[4:5], v[132:133], v[132:133]
	v_min_f64 v[6:7], v[4:5], v[12:13]
	v_cmp_u_f64_e64 s[10:11], v[132:133], v[132:133]
	v_max_f64 v[4:5], v[4:5], v[12:13]
	v_cmp_u_f64_e64 s[8:9], v[100:101], v[100:101]
	v_cndmask_b32_e64 v6, v6, v132, s[10:11]
	v_cndmask_b32_e64 v7, v7, v133, s[10:11]
	;; [unrolled: 1-line block ×8, first 2 shown]
	v_cmp_neq_f64_e64 s[10:11], v[6:7], v[4:5]
	v_cmp_class_f64_e64 s[12:13], v[6:7], s18
	s_or_b64 s[10:11], s[10:11], s[12:13]
	s_and_saveexec_b64 s[14:15], s[10:11]
	s_cbranch_execz .LBB50_274
; %bb.273:
	s_mov_b32 s10, 0x652b82fe
	v_add_f64 v[6:7], v[6:7], -v[4:5]
	s_mov_b32 s11, 0x3ff71547
	v_mul_f64 v[14:15], v[6:7], s[10:11]
	v_rndne_f64_e32 v[14:15], v[14:15]
	s_mov_b32 s17, 0xbfe62e42
	s_mov_b32 s16, 0xfefa39ef
	v_fma_f64 v[16:17], s[16:17], v[14:15], v[6:7]
	s_mov_b32 s19, 0xbc7abc9e
	s_mov_b32 s18, 0x3b39803f
	;; [unrolled: 1-line block ×3, first 2 shown]
	v_fmac_f64_e32 v[16:17], s[18:19], v[14:15]
	v_mov_b32_e32 v18, 0xfca7ab0c
	v_mov_b32_e32 v19, 0x3e928af3
	s_mov_b32 s11, 0x3e5ade15
	v_fmac_f64_e32 v[18:19], s[10:11], v[16:17]
	v_mov_b32_e32 v20, 0x623fde64
	v_mov_b32_e32 v21, 0x3ec71dee
	v_fmac_f64_e32 v[20:21], v[16:17], v[18:19]
	v_mov_b32_e32 v18, 0x7c89e6b0
	v_mov_b32_e32 v19, 0x3efa0199
	;; [unrolled: 3-line block ×8, first 2 shown]
	v_fmac_f64_e32 v[18:19], v[16:17], v[20:21]
	v_fma_f64 v[18:19], v[16:17], v[18:19], 1.0
	s_mov_b32 s10, 0
	s_mov_b32 s12, 0
	v_fma_f64 v[16:17], v[16:17], v[18:19], 1.0
	v_cvt_i32_f64_e32 v14, v[14:15]
	s_mov_b32 s11, 0x40900000
	s_mov_b32 s13, 0xc090cc00
	v_ldexp_f64 v[14:15], v[16:17], v14
	v_mov_b32_e32 v16, 0x7ff00000
	v_cmp_nlt_f64_e64 s[10:11], s[10:11], v[6:7]
	v_cmp_ngt_f64_e64 s[12:13], s[12:13], v[6:7]
	s_mov_b32 s17, 0x3fe62e42
	v_cndmask_b32_e64 v15, v16, v15, s[10:11]
	s_and_b64 s[10:11], s[12:13], s[10:11]
	v_cndmask_b32_e64 v7, 0, v15, s[12:13]
	v_cndmask_b32_e64 v6, 0, v14, s[10:11]
	v_add_f64 v[14:15], v[6:7], 1.0
	v_add_f64 v[16:17], v[14:15], -1.0
	v_add_f64 v[18:19], v[16:17], -v[14:15]
	v_add_f64 v[18:19], v[18:19], 1.0
	v_add_f64 v[16:17], v[6:7], -v[16:17]
	s_mov_b32 s10, 0x55555555
	v_add_f64 v[16:17], v[16:17], v[18:19]
	v_frexp_mant_f64_e32 v[18:19], v[14:15]
	s_mov_b32 s11, 0x3fe55555
	v_frexp_exp_i32_f64_e32 v20, v[14:15]
	v_cmp_gt_f64_e64 s[10:11], s[10:11], v[18:19]
	s_mov_b32 s19, 0x3c7abc9e
	s_nop 0
	v_subbrev_co_u32_e64 v53, s[10:11], 0, v20, s[10:11]
	v_sub_u32_e32 v18, 0, v53
	v_ldexp_f64 v[14:15], v[14:15], v18
	v_ldexp_f64 v[16:17], v[16:17], v18
	v_add_f64 v[18:19], v[14:15], -1.0
	v_add_f64 v[24:25], v[14:15], 1.0
	v_add_f64 v[20:21], v[18:19], 1.0
	v_add_f64 v[26:27], v[24:25], -1.0
	v_add_f64 v[20:21], v[14:15], -v[20:21]
	v_add_f64 v[14:15], v[14:15], -v[26:27]
	v_add_f64 v[14:15], v[16:17], v[14:15]
	v_add_f64 v[20:21], v[16:17], v[20:21]
	;; [unrolled: 1-line block ×3, first 2 shown]
	v_rcp_f64_e32 v[26:27], v[16:17]
	v_add_f64 v[22:23], v[18:19], v[20:21]
	v_add_f64 v[18:19], v[22:23], -v[18:19]
	v_add_f64 v[18:19], v[20:21], -v[18:19]
	;; [unrolled: 1-line block ×4, first 2 shown]
	v_fma_f64 v[20:21], -v[16:17], v[26:27], 1.0
	v_fmac_f64_e32 v[26:27], v[20:21], v[26:27]
	v_fma_f64 v[20:21], -v[16:17], v[26:27], 1.0
	v_fmac_f64_e32 v[26:27], v[20:21], v[26:27]
	v_mul_f64 v[20:21], v[22:23], v[26:27]
	v_mul_f64 v[24:25], v[16:17], v[20:21]
	v_fma_f64 v[28:29], v[20:21], v[16:17], -v[24:25]
	v_fmac_f64_e32 v[28:29], v[20:21], v[14:15]
	v_add_f64 v[30:31], v[24:25], v[28:29]
	v_add_f64 v[32:33], v[22:23], -v[30:31]
	v_add_f64 v[22:23], v[22:23], -v[32:33]
	;; [unrolled: 1-line block ×4, first 2 shown]
	v_add_f64 v[18:19], v[18:19], v[22:23]
	v_add_f64 v[22:23], v[24:25], -v[28:29]
	v_add_f64 v[18:19], v[22:23], v[18:19]
	v_add_f64 v[22:23], v[32:33], v[18:19]
	v_add_f64 v[24:25], v[32:33], -v[22:23]
	v_add_f64 v[18:19], v[18:19], v[24:25]
	v_mul_f64 v[24:25], v[26:27], v[22:23]
	v_mul_f64 v[28:29], v[16:17], v[24:25]
	v_fma_f64 v[16:17], v[24:25], v[16:17], -v[28:29]
	v_fmac_f64_e32 v[16:17], v[24:25], v[14:15]
	v_add_f64 v[14:15], v[28:29], v[16:17]
	v_add_f64 v[30:31], v[22:23], -v[14:15]
	v_add_f64 v[22:23], v[22:23], -v[30:31]
	;; [unrolled: 1-line block ×4, first 2 shown]
	v_add_f64 v[14:15], v[18:19], v[14:15]
	v_add_f64 v[16:17], v[28:29], -v[16:17]
	v_add_f64 v[14:15], v[16:17], v[14:15]
	v_add_f64 v[16:17], v[20:21], v[24:25]
	;; [unrolled: 1-line block ×3, first 2 shown]
	v_add_f64 v[18:19], v[16:17], -v[20:21]
	v_mul_f64 v[14:15], v[26:27], v[14:15]
	v_add_f64 v[18:19], v[24:25], -v[18:19]
	v_add_f64 v[14:15], v[18:19], v[14:15]
	v_add_f64 v[18:19], v[16:17], v[14:15]
	v_add_f64 v[16:17], v[18:19], -v[16:17]
	s_mov_b32 s10, 0xbf559e2b
	v_add_f64 v[14:15], v[14:15], -v[16:17]
	v_mul_f64 v[16:17], v[18:19], v[18:19]
	v_mov_b32_e32 v20, 0x6b47b09a
	v_mov_b32_e32 v21, 0x3fc38538
	s_mov_b32 s11, 0x3fc3ab76
	v_fmac_f64_e32 v[20:21], s[10:11], v[16:17]
	v_mov_b32_e32 v22, 0xd7f4df2e
	v_mov_b32_e32 v23, 0x3fc7474d
	v_fmac_f64_e32 v[22:23], v[16:17], v[20:21]
	v_mov_b32_e32 v20, 0x16291751
	v_mov_b32_e32 v21, 0x3fcc71c0
	;; [unrolled: 3-line block ×5, first 2 shown]
	v_fmac_f64_e32 v[22:23], v[16:17], v[20:21]
	v_cvt_f64_i32_e32 v[20:21], v53
	v_mul_f64 v[24:25], v[20:21], s[16:17]
	v_fma_f64 v[26:27], v[20:21], s[16:17], -v[24:25]
	v_fmac_f64_e32 v[26:27], s[18:19], v[20:21]
	v_add_f64 v[20:21], v[24:25], v[26:27]
	v_add_f64 v[24:25], v[20:21], -v[24:25]
	v_mul_f64 v[16:17], v[18:19], v[16:17]
	v_add_f64 v[24:25], v[26:27], -v[24:25]
	v_ldexp_f64 v[26:27], v[18:19], 1
	v_mul_f64 v[16:17], v[16:17], v[22:23]
	v_add_f64 v[18:19], v[26:27], v[16:17]
	v_add_f64 v[22:23], v[18:19], -v[26:27]
	v_ldexp_f64 v[14:15], v[14:15], 1
	v_add_f64 v[16:17], v[16:17], -v[22:23]
	v_add_f64 v[14:15], v[14:15], v[16:17]
	v_add_f64 v[16:17], v[18:19], v[14:15]
	v_add_f64 v[18:19], v[16:17], -v[18:19]
	v_add_f64 v[14:15], v[14:15], -v[18:19]
	v_add_f64 v[18:19], v[20:21], v[16:17]
	v_add_f64 v[22:23], v[18:19], -v[20:21]
	v_add_f64 v[26:27], v[18:19], -v[22:23]
	;; [unrolled: 1-line block ×4, first 2 shown]
	v_add_f64 v[16:17], v[16:17], v[20:21]
	v_add_f64 v[20:21], v[24:25], v[14:15]
	v_add_f64 v[22:23], v[20:21], -v[24:25]
	v_add_f64 v[16:17], v[20:21], v[16:17]
	v_add_f64 v[26:27], v[20:21], -v[22:23]
	;; [unrolled: 2-line block ×3, first 2 shown]
	v_add_f64 v[14:15], v[14:15], -v[22:23]
	v_add_f64 v[18:19], v[20:21], -v[18:19]
	v_add_f64 v[14:15], v[14:15], v[24:25]
	v_add_f64 v[16:17], v[16:17], -v[18:19]
	s_mov_b32 s10, 0
	v_add_f64 v[14:15], v[14:15], v[16:17]
	s_mov_b32 s11, 0x7ff00000
	v_add_f64 v[14:15], v[20:21], v[14:15]
	v_cmp_eq_f64_e64 s[10:11], s[10:11], v[6:7]
	v_mov_b32_e32 v16, 0x7ff80000
	s_nop 0
	v_cndmask_b32_e64 v14, v14, v6, s[10:11]
	v_cndmask_b32_e64 v15, v15, v7, s[10:11]
	v_cmp_ngt_f64_e64 s[10:11], -1.0, v[6:7]
	s_nop 1
	v_cndmask_b32_e64 v15, v16, v15, s[10:11]
	v_cmp_nge_f64_e64 s[10:11], -1.0, v[6:7]
	v_mov_b32_e32 v16, 0xfff00000
	s_nop 0
	v_cndmask_b32_e64 v14, 0, v14, s[10:11]
	v_cmp_neq_f64_e64 s[10:11], -1.0, v[6:7]
	s_nop 1
	v_cndmask_b32_e64 v15, v16, v15, s[10:11]
	v_add_f64 v[132:133], v[4:5], v[14:15]
.LBB50_274:
	s_or_b64 exec, exec, s[14:15]
	v_max_f64 v[14:15], v[102:103], v[102:103]
	v_max_f64 v[4:5], v[132:133], v[132:133]
	v_min_f64 v[6:7], v[4:5], v[14:15]
	v_cmp_u_f64_e64 s[12:13], v[132:133], v[132:133]
	v_max_f64 v[4:5], v[4:5], v[14:15]
	v_cmp_u_f64_e64 s[10:11], v[102:103], v[102:103]
	v_cndmask_b32_e64 v6, v6, v132, s[12:13]
	v_cndmask_b32_e64 v7, v7, v133, s[12:13]
	;; [unrolled: 1-line block ×8, first 2 shown]
	s_movk_i32 s22, 0x1f8
	v_cmp_neq_f64_e64 s[12:13], v[6:7], v[4:5]
	v_cmp_class_f64_e64 s[14:15], v[6:7], s22
	s_or_b64 s[12:13], s[12:13], s[14:15]
	s_and_saveexec_b64 s[16:17], s[12:13]
	s_cbranch_execz .LBB50_276
; %bb.275:
	s_mov_b32 s12, 0x652b82fe
	v_add_f64 v[6:7], v[6:7], -v[4:5]
	s_mov_b32 s13, 0x3ff71547
	v_mul_f64 v[16:17], v[6:7], s[12:13]
	v_rndne_f64_e32 v[16:17], v[16:17]
	s_mov_b32 s19, 0xbfe62e42
	s_mov_b32 s18, 0xfefa39ef
	v_fma_f64 v[18:19], s[18:19], v[16:17], v[6:7]
	s_mov_b32 s21, 0xbc7abc9e
	s_mov_b32 s20, 0x3b39803f
	;; [unrolled: 1-line block ×3, first 2 shown]
	v_fmac_f64_e32 v[18:19], s[20:21], v[16:17]
	v_mov_b32_e32 v20, 0xfca7ab0c
	v_mov_b32_e32 v21, 0x3e928af3
	s_mov_b32 s13, 0x3e5ade15
	v_fmac_f64_e32 v[20:21], s[12:13], v[18:19]
	v_mov_b32_e32 v22, 0x623fde64
	v_mov_b32_e32 v23, 0x3ec71dee
	v_fmac_f64_e32 v[22:23], v[18:19], v[20:21]
	v_mov_b32_e32 v20, 0x7c89e6b0
	v_mov_b32_e32 v21, 0x3efa0199
	;; [unrolled: 3-line block ×8, first 2 shown]
	v_fmac_f64_e32 v[20:21], v[18:19], v[22:23]
	v_fma_f64 v[20:21], v[18:19], v[20:21], 1.0
	s_mov_b32 s12, 0
	s_mov_b32 s14, 0
	v_fma_f64 v[18:19], v[18:19], v[20:21], 1.0
	v_cvt_i32_f64_e32 v16, v[16:17]
	s_mov_b32 s13, 0x40900000
	s_mov_b32 s15, 0xc090cc00
	v_ldexp_f64 v[16:17], v[18:19], v16
	v_mov_b32_e32 v18, 0x7ff00000
	v_cmp_nlt_f64_e64 s[12:13], s[12:13], v[6:7]
	v_cmp_ngt_f64_e64 s[14:15], s[14:15], v[6:7]
	s_mov_b32 s19, 0x3fe62e42
	v_cndmask_b32_e64 v17, v18, v17, s[12:13]
	s_and_b64 s[12:13], s[14:15], s[12:13]
	v_cndmask_b32_e64 v7, 0, v17, s[14:15]
	v_cndmask_b32_e64 v6, 0, v16, s[12:13]
	v_add_f64 v[16:17], v[6:7], 1.0
	v_add_f64 v[18:19], v[16:17], -1.0
	v_add_f64 v[20:21], v[18:19], -v[16:17]
	v_add_f64 v[20:21], v[20:21], 1.0
	v_add_f64 v[18:19], v[6:7], -v[18:19]
	s_mov_b32 s12, 0x55555555
	v_add_f64 v[18:19], v[18:19], v[20:21]
	v_frexp_mant_f64_e32 v[20:21], v[16:17]
	s_mov_b32 s13, 0x3fe55555
	v_frexp_exp_i32_f64_e32 v22, v[16:17]
	v_cmp_gt_f64_e64 s[12:13], s[12:13], v[20:21]
	s_mov_b32 s21, 0x3c7abc9e
	s_nop 0
	v_subbrev_co_u32_e64 v53, s[12:13], 0, v22, s[12:13]
	v_sub_u32_e32 v20, 0, v53
	v_ldexp_f64 v[16:17], v[16:17], v20
	v_ldexp_f64 v[18:19], v[18:19], v20
	v_add_f64 v[20:21], v[16:17], -1.0
	v_add_f64 v[26:27], v[16:17], 1.0
	v_add_f64 v[22:23], v[20:21], 1.0
	v_add_f64 v[28:29], v[26:27], -1.0
	v_add_f64 v[22:23], v[16:17], -v[22:23]
	v_add_f64 v[16:17], v[16:17], -v[28:29]
	v_add_f64 v[16:17], v[18:19], v[16:17]
	v_add_f64 v[22:23], v[18:19], v[22:23]
	;; [unrolled: 1-line block ×3, first 2 shown]
	v_rcp_f64_e32 v[28:29], v[18:19]
	v_add_f64 v[24:25], v[20:21], v[22:23]
	v_add_f64 v[20:21], v[24:25], -v[20:21]
	v_add_f64 v[20:21], v[22:23], -v[20:21]
	;; [unrolled: 1-line block ×4, first 2 shown]
	v_fma_f64 v[22:23], -v[18:19], v[28:29], 1.0
	v_fmac_f64_e32 v[28:29], v[22:23], v[28:29]
	v_fma_f64 v[22:23], -v[18:19], v[28:29], 1.0
	v_fmac_f64_e32 v[28:29], v[22:23], v[28:29]
	v_mul_f64 v[22:23], v[24:25], v[28:29]
	v_mul_f64 v[26:27], v[18:19], v[22:23]
	v_fma_f64 v[30:31], v[22:23], v[18:19], -v[26:27]
	v_fmac_f64_e32 v[30:31], v[22:23], v[16:17]
	v_add_f64 v[32:33], v[26:27], v[30:31]
	v_add_f64 v[132:133], v[24:25], -v[32:33]
	v_add_f64 v[24:25], v[24:25], -v[132:133]
	;; [unrolled: 1-line block ×4, first 2 shown]
	v_add_f64 v[20:21], v[20:21], v[24:25]
	v_add_f64 v[24:25], v[26:27], -v[30:31]
	v_add_f64 v[20:21], v[24:25], v[20:21]
	v_add_f64 v[24:25], v[132:133], v[20:21]
	v_add_f64 v[26:27], v[132:133], -v[24:25]
	v_add_f64 v[20:21], v[20:21], v[26:27]
	v_mul_f64 v[26:27], v[28:29], v[24:25]
	v_mul_f64 v[30:31], v[18:19], v[26:27]
	v_fma_f64 v[18:19], v[26:27], v[18:19], -v[30:31]
	v_fmac_f64_e32 v[18:19], v[26:27], v[16:17]
	v_add_f64 v[16:17], v[30:31], v[18:19]
	v_add_f64 v[32:33], v[24:25], -v[16:17]
	v_add_f64 v[24:25], v[24:25], -v[32:33]
	;; [unrolled: 1-line block ×4, first 2 shown]
	v_add_f64 v[16:17], v[20:21], v[16:17]
	v_add_f64 v[18:19], v[30:31], -v[18:19]
	v_add_f64 v[16:17], v[18:19], v[16:17]
	v_add_f64 v[18:19], v[22:23], v[26:27]
	;; [unrolled: 1-line block ×3, first 2 shown]
	v_add_f64 v[20:21], v[18:19], -v[22:23]
	v_mul_f64 v[16:17], v[28:29], v[16:17]
	v_add_f64 v[20:21], v[26:27], -v[20:21]
	v_add_f64 v[16:17], v[20:21], v[16:17]
	v_add_f64 v[20:21], v[18:19], v[16:17]
	v_add_f64 v[18:19], v[20:21], -v[18:19]
	s_mov_b32 s12, 0xbf559e2b
	v_add_f64 v[16:17], v[16:17], -v[18:19]
	v_mul_f64 v[18:19], v[20:21], v[20:21]
	v_mov_b32_e32 v22, 0x6b47b09a
	v_mov_b32_e32 v23, 0x3fc38538
	s_mov_b32 s13, 0x3fc3ab76
	v_fmac_f64_e32 v[22:23], s[12:13], v[18:19]
	v_mov_b32_e32 v24, 0xd7f4df2e
	v_mov_b32_e32 v25, 0x3fc7474d
	v_fmac_f64_e32 v[24:25], v[18:19], v[22:23]
	v_mov_b32_e32 v22, 0x16291751
	v_mov_b32_e32 v23, 0x3fcc71c0
	v_fmac_f64_e32 v[22:23], v[18:19], v[24:25]
	v_mov_b32_e32 v24, 0x9b27acf1
	v_mov_b32_e32 v25, 0x3fd24924
	v_fmac_f64_e32 v[24:25], v[18:19], v[22:23]
	v_mov_b32_e32 v22, 0x998ef7b6
	v_mov_b32_e32 v23, 0x3fd99999
	v_fmac_f64_e32 v[22:23], v[18:19], v[24:25]
	v_mov_b32_e32 v24, 0x55555780
	v_mov_b32_e32 v25, 0x3fe55555
	v_fmac_f64_e32 v[24:25], v[18:19], v[22:23]
	v_cvt_f64_i32_e32 v[22:23], v53
	v_mul_f64 v[26:27], v[22:23], s[18:19]
	v_fma_f64 v[28:29], v[22:23], s[18:19], -v[26:27]
	v_fmac_f64_e32 v[28:29], s[20:21], v[22:23]
	v_add_f64 v[22:23], v[26:27], v[28:29]
	v_add_f64 v[26:27], v[22:23], -v[26:27]
	v_mul_f64 v[18:19], v[20:21], v[18:19]
	v_add_f64 v[26:27], v[28:29], -v[26:27]
	v_ldexp_f64 v[28:29], v[20:21], 1
	v_mul_f64 v[18:19], v[18:19], v[24:25]
	v_add_f64 v[20:21], v[28:29], v[18:19]
	v_add_f64 v[24:25], v[20:21], -v[28:29]
	v_ldexp_f64 v[16:17], v[16:17], 1
	v_add_f64 v[18:19], v[18:19], -v[24:25]
	v_add_f64 v[16:17], v[16:17], v[18:19]
	v_add_f64 v[18:19], v[20:21], v[16:17]
	v_add_f64 v[20:21], v[18:19], -v[20:21]
	v_add_f64 v[16:17], v[16:17], -v[20:21]
	v_add_f64 v[20:21], v[22:23], v[18:19]
	v_add_f64 v[24:25], v[20:21], -v[22:23]
	v_add_f64 v[28:29], v[20:21], -v[24:25]
	;; [unrolled: 1-line block ×4, first 2 shown]
	v_add_f64 v[18:19], v[18:19], v[22:23]
	v_add_f64 v[22:23], v[26:27], v[16:17]
	v_add_f64 v[24:25], v[22:23], -v[26:27]
	v_add_f64 v[18:19], v[22:23], v[18:19]
	v_add_f64 v[28:29], v[22:23], -v[24:25]
	;; [unrolled: 2-line block ×3, first 2 shown]
	v_add_f64 v[16:17], v[16:17], -v[24:25]
	v_add_f64 v[20:21], v[22:23], -v[20:21]
	v_add_f64 v[16:17], v[16:17], v[26:27]
	v_add_f64 v[18:19], v[18:19], -v[20:21]
	s_mov_b32 s12, 0
	v_add_f64 v[16:17], v[16:17], v[18:19]
	s_mov_b32 s13, 0x7ff00000
	v_add_f64 v[16:17], v[22:23], v[16:17]
	v_cmp_eq_f64_e64 s[12:13], s[12:13], v[6:7]
	v_mov_b32_e32 v18, 0x7ff80000
	s_nop 0
	v_cndmask_b32_e64 v16, v16, v6, s[12:13]
	v_cndmask_b32_e64 v17, v17, v7, s[12:13]
	v_cmp_ngt_f64_e64 s[12:13], -1.0, v[6:7]
	s_nop 1
	v_cndmask_b32_e64 v17, v18, v17, s[12:13]
	v_cmp_nge_f64_e64 s[12:13], -1.0, v[6:7]
	v_mov_b32_e32 v18, 0xfff00000
	s_nop 0
	v_cndmask_b32_e64 v16, 0, v16, s[12:13]
	v_cmp_neq_f64_e64 s[12:13], -1.0, v[6:7]
	s_nop 1
	v_cndmask_b32_e64 v17, v18, v17, s[12:13]
	v_add_f64 v[132:133], v[4:5], v[16:17]
.LBB50_276:
	s_or_b64 exec, exec, s[16:17]
	v_max_f64 v[16:17], v[96:97], v[96:97]
	v_max_f64 v[4:5], v[132:133], v[132:133]
	v_min_f64 v[6:7], v[4:5], v[16:17]
	v_cmp_u_f64_e64 s[14:15], v[132:133], v[132:133]
	v_max_f64 v[4:5], v[4:5], v[16:17]
	v_cmp_u_f64_e64 s[12:13], v[96:97], v[96:97]
	v_cndmask_b32_e64 v6, v6, v132, s[14:15]
	v_cndmask_b32_e64 v7, v7, v133, s[14:15]
	;; [unrolled: 1-line block ×8, first 2 shown]
	v_cmp_neq_f64_e64 s[14:15], v[6:7], v[4:5]
	v_cmp_class_f64_e64 s[16:17], v[6:7], s22
	s_or_b64 s[14:15], s[14:15], s[16:17]
	s_and_saveexec_b64 s[18:19], s[14:15]
	s_cbranch_execz .LBB50_278
; %bb.277:
	s_mov_b32 s14, 0x652b82fe
	v_add_f64 v[6:7], v[6:7], -v[4:5]
	s_mov_b32 s15, 0x3ff71547
	v_mul_f64 v[18:19], v[6:7], s[14:15]
	v_rndne_f64_e32 v[18:19], v[18:19]
	s_mov_b32 s21, 0xbfe62e42
	s_mov_b32 s20, 0xfefa39ef
	v_fma_f64 v[20:21], s[20:21], v[18:19], v[6:7]
	s_mov_b32 s23, 0xbc7abc9e
	s_mov_b32 s22, 0x3b39803f
	;; [unrolled: 1-line block ×3, first 2 shown]
	v_fmac_f64_e32 v[20:21], s[22:23], v[18:19]
	v_mov_b32_e32 v22, 0xfca7ab0c
	v_mov_b32_e32 v23, 0x3e928af3
	s_mov_b32 s15, 0x3e5ade15
	v_fmac_f64_e32 v[22:23], s[14:15], v[20:21]
	v_mov_b32_e32 v24, 0x623fde64
	v_mov_b32_e32 v25, 0x3ec71dee
	v_fmac_f64_e32 v[24:25], v[20:21], v[22:23]
	v_mov_b32_e32 v22, 0x7c89e6b0
	v_mov_b32_e32 v23, 0x3efa0199
	;; [unrolled: 3-line block ×8, first 2 shown]
	v_fmac_f64_e32 v[22:23], v[20:21], v[24:25]
	v_fma_f64 v[22:23], v[20:21], v[22:23], 1.0
	s_mov_b32 s14, 0
	s_mov_b32 s16, 0
	v_fma_f64 v[20:21], v[20:21], v[22:23], 1.0
	v_cvt_i32_f64_e32 v18, v[18:19]
	s_mov_b32 s15, 0x40900000
	s_mov_b32 s17, 0xc090cc00
	v_ldexp_f64 v[18:19], v[20:21], v18
	v_mov_b32_e32 v20, 0x7ff00000
	v_cmp_nlt_f64_e64 s[14:15], s[14:15], v[6:7]
	v_cmp_ngt_f64_e64 s[16:17], s[16:17], v[6:7]
	s_mov_b32 s21, 0x3fe62e42
	v_cndmask_b32_e64 v19, v20, v19, s[14:15]
	s_and_b64 s[14:15], s[16:17], s[14:15]
	v_cndmask_b32_e64 v7, 0, v19, s[16:17]
	v_cndmask_b32_e64 v6, 0, v18, s[14:15]
	v_add_f64 v[18:19], v[6:7], 1.0
	v_add_f64 v[20:21], v[18:19], -1.0
	v_add_f64 v[22:23], v[20:21], -v[18:19]
	v_add_f64 v[22:23], v[22:23], 1.0
	v_add_f64 v[20:21], v[6:7], -v[20:21]
	s_mov_b32 s14, 0x55555555
	v_add_f64 v[20:21], v[20:21], v[22:23]
	v_frexp_mant_f64_e32 v[22:23], v[18:19]
	s_mov_b32 s15, 0x3fe55555
	v_frexp_exp_i32_f64_e32 v24, v[18:19]
	v_cmp_gt_f64_e64 s[14:15], s[14:15], v[22:23]
	s_mov_b32 s23, 0x3c7abc9e
	s_nop 0
	v_subbrev_co_u32_e64 v53, s[14:15], 0, v24, s[14:15]
	v_sub_u32_e32 v22, 0, v53
	v_ldexp_f64 v[18:19], v[18:19], v22
	v_ldexp_f64 v[20:21], v[20:21], v22
	v_add_f64 v[22:23], v[18:19], -1.0
	v_add_f64 v[28:29], v[18:19], 1.0
	v_add_f64 v[24:25], v[22:23], 1.0
	v_add_f64 v[30:31], v[28:29], -1.0
	v_add_f64 v[24:25], v[18:19], -v[24:25]
	v_add_f64 v[18:19], v[18:19], -v[30:31]
	v_add_f64 v[18:19], v[20:21], v[18:19]
	v_add_f64 v[24:25], v[20:21], v[24:25]
	v_add_f64 v[20:21], v[28:29], v[18:19]
	v_rcp_f64_e32 v[30:31], v[20:21]
	v_add_f64 v[26:27], v[22:23], v[24:25]
	v_add_f64 v[22:23], v[26:27], -v[22:23]
	v_add_f64 v[22:23], v[24:25], -v[22:23]
	;; [unrolled: 1-line block ×4, first 2 shown]
	v_fma_f64 v[24:25], -v[20:21], v[30:31], 1.0
	v_fmac_f64_e32 v[30:31], v[24:25], v[30:31]
	v_fma_f64 v[24:25], -v[20:21], v[30:31], 1.0
	v_fmac_f64_e32 v[30:31], v[24:25], v[30:31]
	v_mul_f64 v[24:25], v[26:27], v[30:31]
	v_mul_f64 v[28:29], v[20:21], v[24:25]
	v_fma_f64 v[32:33], v[24:25], v[20:21], -v[28:29]
	v_fmac_f64_e32 v[32:33], v[24:25], v[18:19]
	v_add_f64 v[132:133], v[28:29], v[32:33]
	v_add_f64 v[134:135], v[26:27], -v[132:133]
	v_add_f64 v[26:27], v[26:27], -v[134:135]
	;; [unrolled: 1-line block ×4, first 2 shown]
	v_add_f64 v[22:23], v[22:23], v[26:27]
	v_add_f64 v[26:27], v[28:29], -v[32:33]
	v_add_f64 v[22:23], v[26:27], v[22:23]
	v_add_f64 v[26:27], v[134:135], v[22:23]
	v_add_f64 v[28:29], v[134:135], -v[26:27]
	v_add_f64 v[22:23], v[22:23], v[28:29]
	v_mul_f64 v[28:29], v[30:31], v[26:27]
	v_mul_f64 v[32:33], v[20:21], v[28:29]
	v_fma_f64 v[20:21], v[28:29], v[20:21], -v[32:33]
	v_fmac_f64_e32 v[20:21], v[28:29], v[18:19]
	v_add_f64 v[18:19], v[32:33], v[20:21]
	v_add_f64 v[132:133], v[26:27], -v[18:19]
	v_add_f64 v[26:27], v[26:27], -v[132:133]
	v_add_f64 v[32:33], v[18:19], -v[32:33]
	v_add_f64 v[18:19], v[26:27], -v[18:19]
	v_add_f64 v[18:19], v[22:23], v[18:19]
	v_add_f64 v[20:21], v[32:33], -v[20:21]
	v_add_f64 v[18:19], v[20:21], v[18:19]
	v_add_f64 v[20:21], v[24:25], v[28:29]
	;; [unrolled: 1-line block ×3, first 2 shown]
	v_add_f64 v[22:23], v[20:21], -v[24:25]
	v_mul_f64 v[18:19], v[30:31], v[18:19]
	v_add_f64 v[22:23], v[28:29], -v[22:23]
	v_add_f64 v[18:19], v[22:23], v[18:19]
	v_add_f64 v[22:23], v[20:21], v[18:19]
	v_add_f64 v[20:21], v[22:23], -v[20:21]
	s_mov_b32 s14, 0xbf559e2b
	v_add_f64 v[18:19], v[18:19], -v[20:21]
	v_mul_f64 v[20:21], v[22:23], v[22:23]
	v_mov_b32_e32 v24, 0x6b47b09a
	v_mov_b32_e32 v25, 0x3fc38538
	s_mov_b32 s15, 0x3fc3ab76
	v_fmac_f64_e32 v[24:25], s[14:15], v[20:21]
	v_mov_b32_e32 v26, 0xd7f4df2e
	v_mov_b32_e32 v27, 0x3fc7474d
	v_fmac_f64_e32 v[26:27], v[20:21], v[24:25]
	v_mov_b32_e32 v24, 0x16291751
	v_mov_b32_e32 v25, 0x3fcc71c0
	;; [unrolled: 3-line block ×5, first 2 shown]
	v_fmac_f64_e32 v[26:27], v[20:21], v[24:25]
	v_cvt_f64_i32_e32 v[24:25], v53
	v_mul_f64 v[28:29], v[24:25], s[20:21]
	v_fma_f64 v[30:31], v[24:25], s[20:21], -v[28:29]
	v_fmac_f64_e32 v[30:31], s[22:23], v[24:25]
	v_add_f64 v[24:25], v[28:29], v[30:31]
	v_add_f64 v[28:29], v[24:25], -v[28:29]
	v_mul_f64 v[20:21], v[22:23], v[20:21]
	v_add_f64 v[28:29], v[30:31], -v[28:29]
	v_ldexp_f64 v[30:31], v[22:23], 1
	v_mul_f64 v[20:21], v[20:21], v[26:27]
	v_add_f64 v[22:23], v[30:31], v[20:21]
	v_add_f64 v[26:27], v[22:23], -v[30:31]
	v_ldexp_f64 v[18:19], v[18:19], 1
	v_add_f64 v[20:21], v[20:21], -v[26:27]
	v_add_f64 v[18:19], v[18:19], v[20:21]
	v_add_f64 v[20:21], v[22:23], v[18:19]
	v_add_f64 v[22:23], v[20:21], -v[22:23]
	v_add_f64 v[18:19], v[18:19], -v[22:23]
	v_add_f64 v[22:23], v[24:25], v[20:21]
	v_add_f64 v[26:27], v[22:23], -v[24:25]
	v_add_f64 v[30:31], v[22:23], -v[26:27]
	;; [unrolled: 1-line block ×4, first 2 shown]
	v_add_f64 v[20:21], v[20:21], v[24:25]
	v_add_f64 v[24:25], v[28:29], v[18:19]
	v_add_f64 v[26:27], v[24:25], -v[28:29]
	v_add_f64 v[20:21], v[24:25], v[20:21]
	v_add_f64 v[30:31], v[24:25], -v[26:27]
	;; [unrolled: 2-line block ×3, first 2 shown]
	v_add_f64 v[18:19], v[18:19], -v[26:27]
	v_add_f64 v[22:23], v[24:25], -v[22:23]
	v_add_f64 v[18:19], v[18:19], v[28:29]
	v_add_f64 v[20:21], v[20:21], -v[22:23]
	s_mov_b32 s14, 0
	v_add_f64 v[18:19], v[18:19], v[20:21]
	s_mov_b32 s15, 0x7ff00000
	v_add_f64 v[18:19], v[24:25], v[18:19]
	v_cmp_eq_f64_e64 s[14:15], s[14:15], v[6:7]
	v_mov_b32_e32 v20, 0x7ff80000
	s_nop 0
	v_cndmask_b32_e64 v18, v18, v6, s[14:15]
	v_cndmask_b32_e64 v19, v19, v7, s[14:15]
	v_cmp_ngt_f64_e64 s[14:15], -1.0, v[6:7]
	s_nop 1
	v_cndmask_b32_e64 v19, v20, v19, s[14:15]
	v_cmp_nge_f64_e64 s[14:15], -1.0, v[6:7]
	v_mov_b32_e32 v20, 0xfff00000
	s_nop 0
	v_cndmask_b32_e64 v18, 0, v18, s[14:15]
	v_cmp_neq_f64_e64 s[14:15], -1.0, v[6:7]
	s_nop 1
	v_cndmask_b32_e64 v19, v20, v19, s[14:15]
	v_add_f64 v[132:133], v[4:5], v[18:19]
.LBB50_278:
	s_or_b64 exec, exec, s[18:19]
	v_max_f64 v[18:19], v[98:99], v[98:99]
	v_max_f64 v[4:5], v[132:133], v[132:133]
	v_min_f64 v[6:7], v[4:5], v[18:19]
	v_cmp_u_f64_e64 s[16:17], v[132:133], v[132:133]
	v_max_f64 v[4:5], v[4:5], v[18:19]
	v_cmp_u_f64_e64 s[14:15], v[98:99], v[98:99]
	v_cndmask_b32_e64 v6, v6, v132, s[16:17]
	v_cndmask_b32_e64 v7, v7, v133, s[16:17]
	;; [unrolled: 1-line block ×8, first 2 shown]
	s_movk_i32 s26, 0x1f8
	v_cmp_neq_f64_e64 s[16:17], v[6:7], v[4:5]
	v_cmp_class_f64_e64 s[18:19], v[6:7], s26
	s_or_b64 s[16:17], s[16:17], s[18:19]
	s_and_saveexec_b64 s[20:21], s[16:17]
	s_cbranch_execz .LBB50_280
; %bb.279:
	s_mov_b32 s16, 0x652b82fe
	v_add_f64 v[6:7], v[6:7], -v[4:5]
	s_mov_b32 s17, 0x3ff71547
	v_mul_f64 v[20:21], v[6:7], s[16:17]
	v_rndne_f64_e32 v[20:21], v[20:21]
	s_mov_b32 s23, 0xbfe62e42
	s_mov_b32 s22, 0xfefa39ef
	v_fma_f64 v[22:23], s[22:23], v[20:21], v[6:7]
	s_mov_b32 s25, 0xbc7abc9e
	s_mov_b32 s24, 0x3b39803f
	;; [unrolled: 1-line block ×3, first 2 shown]
	v_fmac_f64_e32 v[22:23], s[24:25], v[20:21]
	v_mov_b32_e32 v24, 0xfca7ab0c
	v_mov_b32_e32 v25, 0x3e928af3
	s_mov_b32 s17, 0x3e5ade15
	v_fmac_f64_e32 v[24:25], s[16:17], v[22:23]
	v_mov_b32_e32 v26, 0x623fde64
	v_mov_b32_e32 v27, 0x3ec71dee
	v_fmac_f64_e32 v[26:27], v[22:23], v[24:25]
	v_mov_b32_e32 v24, 0x7c89e6b0
	v_mov_b32_e32 v25, 0x3efa0199
	;; [unrolled: 3-line block ×8, first 2 shown]
	v_fmac_f64_e32 v[24:25], v[22:23], v[26:27]
	v_fma_f64 v[24:25], v[22:23], v[24:25], 1.0
	s_mov_b32 s16, 0
	s_mov_b32 s18, 0
	v_fma_f64 v[22:23], v[22:23], v[24:25], 1.0
	v_cvt_i32_f64_e32 v20, v[20:21]
	s_mov_b32 s17, 0x40900000
	s_mov_b32 s19, 0xc090cc00
	v_ldexp_f64 v[20:21], v[22:23], v20
	v_mov_b32_e32 v22, 0x7ff00000
	v_cmp_nlt_f64_e64 s[16:17], s[16:17], v[6:7]
	v_cmp_ngt_f64_e64 s[18:19], s[18:19], v[6:7]
	s_mov_b32 s23, 0x3fe62e42
	v_cndmask_b32_e64 v21, v22, v21, s[16:17]
	s_and_b64 s[16:17], s[18:19], s[16:17]
	v_cndmask_b32_e64 v7, 0, v21, s[18:19]
	v_cndmask_b32_e64 v6, 0, v20, s[16:17]
	v_add_f64 v[20:21], v[6:7], 1.0
	v_add_f64 v[22:23], v[20:21], -1.0
	v_add_f64 v[24:25], v[22:23], -v[20:21]
	v_add_f64 v[24:25], v[24:25], 1.0
	v_add_f64 v[22:23], v[6:7], -v[22:23]
	s_mov_b32 s16, 0x55555555
	v_add_f64 v[22:23], v[22:23], v[24:25]
	v_frexp_mant_f64_e32 v[24:25], v[20:21]
	s_mov_b32 s17, 0x3fe55555
	v_frexp_exp_i32_f64_e32 v26, v[20:21]
	v_cmp_gt_f64_e64 s[16:17], s[16:17], v[24:25]
	s_mov_b32 s25, 0x3c7abc9e
	s_nop 0
	v_subbrev_co_u32_e64 v53, s[16:17], 0, v26, s[16:17]
	v_sub_u32_e32 v24, 0, v53
	v_ldexp_f64 v[20:21], v[20:21], v24
	v_ldexp_f64 v[22:23], v[22:23], v24
	v_add_f64 v[24:25], v[20:21], -1.0
	v_add_f64 v[30:31], v[20:21], 1.0
	v_add_f64 v[26:27], v[24:25], 1.0
	v_add_f64 v[32:33], v[30:31], -1.0
	v_add_f64 v[26:27], v[20:21], -v[26:27]
	v_add_f64 v[20:21], v[20:21], -v[32:33]
	v_add_f64 v[20:21], v[22:23], v[20:21]
	v_add_f64 v[26:27], v[22:23], v[26:27]
	;; [unrolled: 1-line block ×3, first 2 shown]
	v_rcp_f64_e32 v[32:33], v[22:23]
	v_add_f64 v[28:29], v[24:25], v[26:27]
	v_add_f64 v[24:25], v[28:29], -v[24:25]
	v_add_f64 v[24:25], v[26:27], -v[24:25]
	;; [unrolled: 1-line block ×4, first 2 shown]
	v_fma_f64 v[26:27], -v[22:23], v[32:33], 1.0
	v_fmac_f64_e32 v[32:33], v[26:27], v[32:33]
	v_fma_f64 v[26:27], -v[22:23], v[32:33], 1.0
	v_fmac_f64_e32 v[32:33], v[26:27], v[32:33]
	v_mul_f64 v[26:27], v[28:29], v[32:33]
	v_mul_f64 v[30:31], v[22:23], v[26:27]
	v_fma_f64 v[132:133], v[26:27], v[22:23], -v[30:31]
	v_fmac_f64_e32 v[132:133], v[26:27], v[20:21]
	v_add_f64 v[134:135], v[30:31], v[132:133]
	v_add_f64 v[144:145], v[28:29], -v[134:135]
	v_add_f64 v[28:29], v[28:29], -v[144:145]
	;; [unrolled: 1-line block ×4, first 2 shown]
	v_add_f64 v[24:25], v[24:25], v[28:29]
	v_add_f64 v[28:29], v[30:31], -v[132:133]
	v_add_f64 v[24:25], v[28:29], v[24:25]
	v_add_f64 v[28:29], v[144:145], v[24:25]
	v_add_f64 v[30:31], v[144:145], -v[28:29]
	v_add_f64 v[24:25], v[24:25], v[30:31]
	v_mul_f64 v[30:31], v[32:33], v[28:29]
	v_mul_f64 v[132:133], v[22:23], v[30:31]
	v_fma_f64 v[22:23], v[30:31], v[22:23], -v[132:133]
	v_fmac_f64_e32 v[22:23], v[30:31], v[20:21]
	v_add_f64 v[20:21], v[132:133], v[22:23]
	v_add_f64 v[134:135], v[28:29], -v[20:21]
	v_add_f64 v[28:29], v[28:29], -v[134:135]
	;; [unrolled: 1-line block ×4, first 2 shown]
	v_add_f64 v[20:21], v[24:25], v[20:21]
	v_add_f64 v[22:23], v[132:133], -v[22:23]
	v_add_f64 v[20:21], v[22:23], v[20:21]
	v_add_f64 v[22:23], v[26:27], v[30:31]
	;; [unrolled: 1-line block ×3, first 2 shown]
	v_add_f64 v[24:25], v[22:23], -v[26:27]
	v_mul_f64 v[20:21], v[32:33], v[20:21]
	v_add_f64 v[24:25], v[30:31], -v[24:25]
	v_add_f64 v[20:21], v[24:25], v[20:21]
	v_add_f64 v[24:25], v[22:23], v[20:21]
	v_add_f64 v[22:23], v[24:25], -v[22:23]
	s_mov_b32 s16, 0xbf559e2b
	v_add_f64 v[20:21], v[20:21], -v[22:23]
	v_mul_f64 v[22:23], v[24:25], v[24:25]
	v_mov_b32_e32 v26, 0x6b47b09a
	v_mov_b32_e32 v27, 0x3fc38538
	s_mov_b32 s17, 0x3fc3ab76
	v_fmac_f64_e32 v[26:27], s[16:17], v[22:23]
	v_mov_b32_e32 v28, 0xd7f4df2e
	v_mov_b32_e32 v29, 0x3fc7474d
	v_fmac_f64_e32 v[28:29], v[22:23], v[26:27]
	v_mov_b32_e32 v26, 0x16291751
	v_mov_b32_e32 v27, 0x3fcc71c0
	;; [unrolled: 3-line block ×5, first 2 shown]
	v_fmac_f64_e32 v[28:29], v[22:23], v[26:27]
	v_cvt_f64_i32_e32 v[26:27], v53
	v_mul_f64 v[30:31], v[26:27], s[22:23]
	v_fma_f64 v[32:33], v[26:27], s[22:23], -v[30:31]
	v_fmac_f64_e32 v[32:33], s[24:25], v[26:27]
	v_add_f64 v[26:27], v[30:31], v[32:33]
	v_add_f64 v[30:31], v[26:27], -v[30:31]
	v_mul_f64 v[22:23], v[24:25], v[22:23]
	v_add_f64 v[30:31], v[32:33], -v[30:31]
	v_ldexp_f64 v[32:33], v[24:25], 1
	v_mul_f64 v[22:23], v[22:23], v[28:29]
	v_add_f64 v[24:25], v[32:33], v[22:23]
	v_add_f64 v[28:29], v[24:25], -v[32:33]
	v_ldexp_f64 v[20:21], v[20:21], 1
	v_add_f64 v[22:23], v[22:23], -v[28:29]
	v_add_f64 v[20:21], v[20:21], v[22:23]
	v_add_f64 v[22:23], v[24:25], v[20:21]
	v_add_f64 v[24:25], v[22:23], -v[24:25]
	v_add_f64 v[20:21], v[20:21], -v[24:25]
	v_add_f64 v[24:25], v[26:27], v[22:23]
	v_add_f64 v[28:29], v[24:25], -v[26:27]
	v_add_f64 v[32:33], v[24:25], -v[28:29]
	;; [unrolled: 1-line block ×4, first 2 shown]
	v_add_f64 v[22:23], v[22:23], v[26:27]
	v_add_f64 v[26:27], v[30:31], v[20:21]
	v_add_f64 v[28:29], v[26:27], -v[30:31]
	v_add_f64 v[22:23], v[26:27], v[22:23]
	v_add_f64 v[32:33], v[26:27], -v[28:29]
	;; [unrolled: 2-line block ×3, first 2 shown]
	v_add_f64 v[20:21], v[20:21], -v[28:29]
	v_add_f64 v[24:25], v[26:27], -v[24:25]
	v_add_f64 v[20:21], v[20:21], v[30:31]
	v_add_f64 v[22:23], v[22:23], -v[24:25]
	s_mov_b32 s16, 0
	v_add_f64 v[20:21], v[20:21], v[22:23]
	s_mov_b32 s17, 0x7ff00000
	v_add_f64 v[20:21], v[26:27], v[20:21]
	v_cmp_eq_f64_e64 s[16:17], s[16:17], v[6:7]
	v_mov_b32_e32 v22, 0x7ff80000
	s_nop 0
	v_cndmask_b32_e64 v20, v20, v6, s[16:17]
	v_cndmask_b32_e64 v21, v21, v7, s[16:17]
	v_cmp_ngt_f64_e64 s[16:17], -1.0, v[6:7]
	s_nop 1
	v_cndmask_b32_e64 v21, v22, v21, s[16:17]
	v_cmp_nge_f64_e64 s[16:17], -1.0, v[6:7]
	v_mov_b32_e32 v22, 0xfff00000
	s_nop 0
	v_cndmask_b32_e64 v20, 0, v20, s[16:17]
	v_cmp_neq_f64_e64 s[16:17], -1.0, v[6:7]
	s_nop 1
	v_cndmask_b32_e64 v21, v22, v21, s[16:17]
	v_add_f64 v[132:133], v[4:5], v[20:21]
.LBB50_280:
	s_or_b64 exec, exec, s[20:21]
	v_max_f64 v[20:21], v[84:85], v[84:85]
	v_max_f64 v[4:5], v[132:133], v[132:133]
	v_min_f64 v[6:7], v[4:5], v[20:21]
	v_cmp_u_f64_e64 s[18:19], v[132:133], v[132:133]
	v_max_f64 v[4:5], v[4:5], v[20:21]
	v_cmp_u_f64_e64 s[16:17], v[84:85], v[84:85]
	v_cndmask_b32_e64 v6, v6, v132, s[18:19]
	v_cndmask_b32_e64 v7, v7, v133, s[18:19]
	;; [unrolled: 1-line block ×8, first 2 shown]
	v_cmp_neq_f64_e64 s[18:19], v[6:7], v[4:5]
	v_cmp_class_f64_e64 s[20:21], v[6:7], s26
	s_or_b64 s[18:19], s[18:19], s[20:21]
	s_and_saveexec_b64 s[22:23], s[18:19]
	s_cbranch_execz .LBB50_282
; %bb.281:
	s_mov_b32 s18, 0x652b82fe
	v_add_f64 v[6:7], v[6:7], -v[4:5]
	s_mov_b32 s19, 0x3ff71547
	v_mul_f64 v[22:23], v[6:7], s[18:19]
	v_rndne_f64_e32 v[22:23], v[22:23]
	s_mov_b32 s25, 0xbfe62e42
	s_mov_b32 s24, 0xfefa39ef
	v_fma_f64 v[24:25], s[24:25], v[22:23], v[6:7]
	s_mov_b32 s27, 0xbc7abc9e
	s_mov_b32 s26, 0x3b39803f
	;; [unrolled: 1-line block ×3, first 2 shown]
	v_fmac_f64_e32 v[24:25], s[26:27], v[22:23]
	v_mov_b32_e32 v26, 0xfca7ab0c
	v_mov_b32_e32 v27, 0x3e928af3
	s_mov_b32 s19, 0x3e5ade15
	v_fmac_f64_e32 v[26:27], s[18:19], v[24:25]
	v_mov_b32_e32 v28, 0x623fde64
	v_mov_b32_e32 v29, 0x3ec71dee
	v_fmac_f64_e32 v[28:29], v[24:25], v[26:27]
	v_mov_b32_e32 v26, 0x7c89e6b0
	v_mov_b32_e32 v27, 0x3efa0199
	;; [unrolled: 3-line block ×8, first 2 shown]
	v_fmac_f64_e32 v[26:27], v[24:25], v[28:29]
	v_fma_f64 v[26:27], v[24:25], v[26:27], 1.0
	s_mov_b32 s18, 0
	s_mov_b32 s20, 0
	v_fma_f64 v[24:25], v[24:25], v[26:27], 1.0
	v_cvt_i32_f64_e32 v22, v[22:23]
	s_mov_b32 s19, 0x40900000
	s_mov_b32 s21, 0xc090cc00
	v_ldexp_f64 v[22:23], v[24:25], v22
	v_mov_b32_e32 v24, 0x7ff00000
	v_cmp_nlt_f64_e64 s[18:19], s[18:19], v[6:7]
	v_cmp_ngt_f64_e64 s[20:21], s[20:21], v[6:7]
	s_mov_b32 s25, 0x3fe62e42
	v_cndmask_b32_e64 v23, v24, v23, s[18:19]
	s_and_b64 s[18:19], s[20:21], s[18:19]
	v_cndmask_b32_e64 v7, 0, v23, s[20:21]
	v_cndmask_b32_e64 v6, 0, v22, s[18:19]
	v_add_f64 v[22:23], v[6:7], 1.0
	v_add_f64 v[24:25], v[22:23], -1.0
	v_add_f64 v[26:27], v[24:25], -v[22:23]
	v_add_f64 v[26:27], v[26:27], 1.0
	v_add_f64 v[24:25], v[6:7], -v[24:25]
	s_mov_b32 s18, 0x55555555
	v_add_f64 v[24:25], v[24:25], v[26:27]
	v_frexp_mant_f64_e32 v[26:27], v[22:23]
	s_mov_b32 s19, 0x3fe55555
	v_frexp_exp_i32_f64_e32 v28, v[22:23]
	v_cmp_gt_f64_e64 s[18:19], s[18:19], v[26:27]
	s_mov_b32 s27, 0x3c7abc9e
	s_nop 0
	v_subbrev_co_u32_e64 v53, s[18:19], 0, v28, s[18:19]
	v_sub_u32_e32 v26, 0, v53
	v_ldexp_f64 v[22:23], v[22:23], v26
	v_ldexp_f64 v[24:25], v[24:25], v26
	v_add_f64 v[26:27], v[22:23], -1.0
	v_add_f64 v[32:33], v[22:23], 1.0
	v_add_f64 v[28:29], v[26:27], 1.0
	v_add_f64 v[132:133], v[32:33], -1.0
	v_add_f64 v[28:29], v[22:23], -v[28:29]
	v_add_f64 v[22:23], v[22:23], -v[132:133]
	v_add_f64 v[22:23], v[24:25], v[22:23]
	v_add_f64 v[28:29], v[24:25], v[28:29]
	;; [unrolled: 1-line block ×3, first 2 shown]
	v_rcp_f64_e32 v[132:133], v[24:25]
	v_add_f64 v[30:31], v[26:27], v[28:29]
	v_add_f64 v[26:27], v[30:31], -v[26:27]
	v_add_f64 v[26:27], v[28:29], -v[26:27]
	;; [unrolled: 1-line block ×4, first 2 shown]
	v_fma_f64 v[28:29], -v[24:25], v[132:133], 1.0
	v_fmac_f64_e32 v[132:133], v[28:29], v[132:133]
	v_fma_f64 v[28:29], -v[24:25], v[132:133], 1.0
	v_fmac_f64_e32 v[132:133], v[28:29], v[132:133]
	v_mul_f64 v[28:29], v[30:31], v[132:133]
	v_mul_f64 v[32:33], v[24:25], v[28:29]
	v_fma_f64 v[134:135], v[28:29], v[24:25], -v[32:33]
	v_fmac_f64_e32 v[134:135], v[28:29], v[22:23]
	v_add_f64 v[144:145], v[32:33], v[134:135]
	v_add_f64 v[146:147], v[30:31], -v[144:145]
	v_add_f64 v[30:31], v[30:31], -v[146:147]
	v_add_f64 v[32:33], v[144:145], -v[32:33]
	v_add_f64 v[30:31], v[30:31], -v[144:145]
	v_add_f64 v[26:27], v[26:27], v[30:31]
	v_add_f64 v[30:31], v[32:33], -v[134:135]
	v_add_f64 v[26:27], v[30:31], v[26:27]
	v_add_f64 v[30:31], v[146:147], v[26:27]
	v_add_f64 v[32:33], v[146:147], -v[30:31]
	v_add_f64 v[26:27], v[26:27], v[32:33]
	v_mul_f64 v[32:33], v[132:133], v[30:31]
	v_mul_f64 v[134:135], v[24:25], v[32:33]
	v_fma_f64 v[24:25], v[32:33], v[24:25], -v[134:135]
	v_fmac_f64_e32 v[24:25], v[32:33], v[22:23]
	v_add_f64 v[22:23], v[134:135], v[24:25]
	v_add_f64 v[144:145], v[30:31], -v[22:23]
	v_add_f64 v[30:31], v[30:31], -v[144:145]
	;; [unrolled: 1-line block ×4, first 2 shown]
	v_add_f64 v[22:23], v[26:27], v[22:23]
	v_add_f64 v[24:25], v[134:135], -v[24:25]
	v_add_f64 v[22:23], v[24:25], v[22:23]
	v_add_f64 v[24:25], v[28:29], v[32:33]
	;; [unrolled: 1-line block ×3, first 2 shown]
	v_add_f64 v[26:27], v[24:25], -v[28:29]
	v_mul_f64 v[22:23], v[132:133], v[22:23]
	v_add_f64 v[26:27], v[32:33], -v[26:27]
	v_add_f64 v[22:23], v[26:27], v[22:23]
	v_add_f64 v[26:27], v[24:25], v[22:23]
	v_add_f64 v[24:25], v[26:27], -v[24:25]
	s_mov_b32 s18, 0xbf559e2b
	v_add_f64 v[22:23], v[22:23], -v[24:25]
	v_mul_f64 v[24:25], v[26:27], v[26:27]
	v_mov_b32_e32 v28, 0x6b47b09a
	v_mov_b32_e32 v29, 0x3fc38538
	s_mov_b32 s19, 0x3fc3ab76
	v_fmac_f64_e32 v[28:29], s[18:19], v[24:25]
	v_mov_b32_e32 v30, 0xd7f4df2e
	v_mov_b32_e32 v31, 0x3fc7474d
	v_fmac_f64_e32 v[30:31], v[24:25], v[28:29]
	v_mov_b32_e32 v28, 0x16291751
	v_mov_b32_e32 v29, 0x3fcc71c0
	;; [unrolled: 3-line block ×5, first 2 shown]
	v_fmac_f64_e32 v[30:31], v[24:25], v[28:29]
	v_cvt_f64_i32_e32 v[28:29], v53
	v_mul_f64 v[32:33], v[28:29], s[24:25]
	v_fma_f64 v[132:133], v[28:29], s[24:25], -v[32:33]
	v_fmac_f64_e32 v[132:133], s[26:27], v[28:29]
	v_add_f64 v[28:29], v[32:33], v[132:133]
	v_add_f64 v[32:33], v[28:29], -v[32:33]
	v_mul_f64 v[24:25], v[26:27], v[24:25]
	v_add_f64 v[32:33], v[132:133], -v[32:33]
	v_ldexp_f64 v[132:133], v[26:27], 1
	v_mul_f64 v[24:25], v[24:25], v[30:31]
	v_add_f64 v[26:27], v[132:133], v[24:25]
	v_add_f64 v[30:31], v[26:27], -v[132:133]
	v_ldexp_f64 v[22:23], v[22:23], 1
	v_add_f64 v[24:25], v[24:25], -v[30:31]
	v_add_f64 v[22:23], v[22:23], v[24:25]
	v_add_f64 v[24:25], v[26:27], v[22:23]
	v_add_f64 v[26:27], v[24:25], -v[26:27]
	v_add_f64 v[22:23], v[22:23], -v[26:27]
	v_add_f64 v[26:27], v[28:29], v[24:25]
	v_add_f64 v[30:31], v[26:27], -v[28:29]
	v_add_f64 v[132:133], v[26:27], -v[30:31]
	;; [unrolled: 1-line block ×4, first 2 shown]
	v_add_f64 v[24:25], v[24:25], v[28:29]
	v_add_f64 v[28:29], v[32:33], v[22:23]
	v_add_f64 v[30:31], v[28:29], -v[32:33]
	v_add_f64 v[24:25], v[28:29], v[24:25]
	v_add_f64 v[132:133], v[28:29], -v[30:31]
	;; [unrolled: 2-line block ×3, first 2 shown]
	v_add_f64 v[22:23], v[22:23], -v[30:31]
	v_add_f64 v[26:27], v[28:29], -v[26:27]
	v_add_f64 v[22:23], v[22:23], v[32:33]
	v_add_f64 v[24:25], v[24:25], -v[26:27]
	s_mov_b32 s18, 0
	v_add_f64 v[22:23], v[22:23], v[24:25]
	s_mov_b32 s19, 0x7ff00000
	v_add_f64 v[22:23], v[28:29], v[22:23]
	v_cmp_eq_f64_e64 s[18:19], s[18:19], v[6:7]
	v_mov_b32_e32 v24, 0x7ff80000
	s_nop 0
	v_cndmask_b32_e64 v22, v22, v6, s[18:19]
	v_cndmask_b32_e64 v23, v23, v7, s[18:19]
	v_cmp_ngt_f64_e64 s[18:19], -1.0, v[6:7]
	s_nop 1
	v_cndmask_b32_e64 v23, v24, v23, s[18:19]
	v_cmp_nge_f64_e64 s[18:19], -1.0, v[6:7]
	v_mov_b32_e32 v24, 0xfff00000
	s_nop 0
	v_cndmask_b32_e64 v22, 0, v22, s[18:19]
	v_cmp_neq_f64_e64 s[18:19], -1.0, v[6:7]
	s_nop 1
	v_cndmask_b32_e64 v23, v24, v23, s[18:19]
	v_add_f64 v[132:133], v[4:5], v[22:23]
.LBB50_282:
	s_or_b64 exec, exec, s[22:23]
	v_max_f64 v[22:23], v[86:87], v[86:87]
	v_max_f64 v[4:5], v[132:133], v[132:133]
	v_min_f64 v[6:7], v[4:5], v[22:23]
	v_cmp_u_f64_e64 s[20:21], v[132:133], v[132:133]
	v_max_f64 v[4:5], v[4:5], v[22:23]
	v_cmp_u_f64_e64 s[18:19], v[86:87], v[86:87]
	v_cndmask_b32_e64 v6, v6, v132, s[20:21]
	v_cndmask_b32_e64 v7, v7, v133, s[20:21]
	;; [unrolled: 1-line block ×8, first 2 shown]
	s_movk_i32 s36, 0x1f8
	v_cmp_neq_f64_e64 s[20:21], v[6:7], v[4:5]
	v_cmp_class_f64_e64 s[22:23], v[6:7], s36
	s_or_b64 s[20:21], s[20:21], s[22:23]
	s_and_saveexec_b64 s[24:25], s[20:21]
	s_cbranch_execz .LBB50_284
; %bb.283:
	s_mov_b32 s20, 0x652b82fe
	v_add_f64 v[6:7], v[6:7], -v[4:5]
	s_mov_b32 s21, 0x3ff71547
	v_mul_f64 v[24:25], v[6:7], s[20:21]
	v_rndne_f64_e32 v[24:25], v[24:25]
	s_mov_b32 s27, 0xbfe62e42
	s_mov_b32 s26, 0xfefa39ef
	v_fma_f64 v[26:27], s[26:27], v[24:25], v[6:7]
	s_mov_b32 s29, 0xbc7abc9e
	s_mov_b32 s28, 0x3b39803f
	;; [unrolled: 1-line block ×3, first 2 shown]
	v_fmac_f64_e32 v[26:27], s[28:29], v[24:25]
	v_mov_b32_e32 v28, 0xfca7ab0c
	v_mov_b32_e32 v29, 0x3e928af3
	s_mov_b32 s21, 0x3e5ade15
	v_fmac_f64_e32 v[28:29], s[20:21], v[26:27]
	v_mov_b32_e32 v30, 0x623fde64
	v_mov_b32_e32 v31, 0x3ec71dee
	v_fmac_f64_e32 v[30:31], v[26:27], v[28:29]
	v_mov_b32_e32 v28, 0x7c89e6b0
	v_mov_b32_e32 v29, 0x3efa0199
	;; [unrolled: 3-line block ×8, first 2 shown]
	v_fmac_f64_e32 v[28:29], v[26:27], v[30:31]
	v_fma_f64 v[28:29], v[26:27], v[28:29], 1.0
	s_mov_b32 s20, 0
	s_mov_b32 s22, 0
	v_fma_f64 v[26:27], v[26:27], v[28:29], 1.0
	v_cvt_i32_f64_e32 v24, v[24:25]
	s_mov_b32 s21, 0x40900000
	s_mov_b32 s23, 0xc090cc00
	v_ldexp_f64 v[24:25], v[26:27], v24
	v_mov_b32_e32 v26, 0x7ff00000
	v_cmp_nlt_f64_e64 s[20:21], s[20:21], v[6:7]
	v_cmp_ngt_f64_e64 s[22:23], s[22:23], v[6:7]
	s_mov_b32 s27, 0x3fe62e42
	v_cndmask_b32_e64 v25, v26, v25, s[20:21]
	s_and_b64 s[20:21], s[22:23], s[20:21]
	v_cndmask_b32_e64 v7, 0, v25, s[22:23]
	v_cndmask_b32_e64 v6, 0, v24, s[20:21]
	v_add_f64 v[24:25], v[6:7], 1.0
	v_add_f64 v[26:27], v[24:25], -1.0
	v_add_f64 v[28:29], v[26:27], -v[24:25]
	v_add_f64 v[28:29], v[28:29], 1.0
	v_add_f64 v[26:27], v[6:7], -v[26:27]
	s_mov_b32 s20, 0x55555555
	v_add_f64 v[26:27], v[26:27], v[28:29]
	v_frexp_mant_f64_e32 v[28:29], v[24:25]
	s_mov_b32 s21, 0x3fe55555
	v_frexp_exp_i32_f64_e32 v30, v[24:25]
	v_cmp_gt_f64_e64 s[20:21], s[20:21], v[28:29]
	s_mov_b32 s29, 0x3c7abc9e
	s_nop 0
	v_subbrev_co_u32_e64 v53, s[20:21], 0, v30, s[20:21]
	v_sub_u32_e32 v28, 0, v53
	v_ldexp_f64 v[24:25], v[24:25], v28
	v_ldexp_f64 v[26:27], v[26:27], v28
	v_add_f64 v[28:29], v[24:25], -1.0
	v_add_f64 v[132:133], v[24:25], 1.0
	v_add_f64 v[30:31], v[28:29], 1.0
	v_add_f64 v[134:135], v[132:133], -1.0
	v_add_f64 v[30:31], v[24:25], -v[30:31]
	v_add_f64 v[24:25], v[24:25], -v[134:135]
	v_add_f64 v[24:25], v[26:27], v[24:25]
	v_add_f64 v[30:31], v[26:27], v[30:31]
	;; [unrolled: 1-line block ×3, first 2 shown]
	v_rcp_f64_e32 v[134:135], v[26:27]
	v_add_f64 v[32:33], v[28:29], v[30:31]
	v_add_f64 v[28:29], v[32:33], -v[28:29]
	v_add_f64 v[28:29], v[30:31], -v[28:29]
	;; [unrolled: 1-line block ×4, first 2 shown]
	v_fma_f64 v[30:31], -v[26:27], v[134:135], 1.0
	v_fmac_f64_e32 v[134:135], v[30:31], v[134:135]
	v_fma_f64 v[30:31], -v[26:27], v[134:135], 1.0
	v_fmac_f64_e32 v[134:135], v[30:31], v[134:135]
	v_mul_f64 v[30:31], v[32:33], v[134:135]
	v_mul_f64 v[132:133], v[26:27], v[30:31]
	v_fma_f64 v[144:145], v[30:31], v[26:27], -v[132:133]
	v_fmac_f64_e32 v[144:145], v[30:31], v[24:25]
	v_add_f64 v[146:147], v[132:133], v[144:145]
	v_add_f64 v[148:149], v[32:33], -v[146:147]
	v_add_f64 v[32:33], v[32:33], -v[148:149]
	;; [unrolled: 1-line block ×4, first 2 shown]
	v_add_f64 v[28:29], v[28:29], v[32:33]
	v_add_f64 v[32:33], v[132:133], -v[144:145]
	v_add_f64 v[28:29], v[32:33], v[28:29]
	v_add_f64 v[32:33], v[148:149], v[28:29]
	v_add_f64 v[132:133], v[148:149], -v[32:33]
	v_add_f64 v[28:29], v[28:29], v[132:133]
	v_mul_f64 v[132:133], v[134:135], v[32:33]
	v_mul_f64 v[144:145], v[26:27], v[132:133]
	v_fma_f64 v[26:27], v[132:133], v[26:27], -v[144:145]
	v_fmac_f64_e32 v[26:27], v[132:133], v[24:25]
	v_add_f64 v[24:25], v[144:145], v[26:27]
	v_add_f64 v[146:147], v[32:33], -v[24:25]
	v_add_f64 v[32:33], v[32:33], -v[146:147]
	;; [unrolled: 1-line block ×4, first 2 shown]
	v_add_f64 v[24:25], v[28:29], v[24:25]
	v_add_f64 v[26:27], v[144:145], -v[26:27]
	v_add_f64 v[24:25], v[26:27], v[24:25]
	v_add_f64 v[26:27], v[30:31], v[132:133]
	;; [unrolled: 1-line block ×3, first 2 shown]
	v_add_f64 v[28:29], v[26:27], -v[30:31]
	v_mul_f64 v[24:25], v[134:135], v[24:25]
	v_add_f64 v[28:29], v[132:133], -v[28:29]
	v_add_f64 v[24:25], v[28:29], v[24:25]
	v_add_f64 v[28:29], v[26:27], v[24:25]
	v_add_f64 v[26:27], v[28:29], -v[26:27]
	s_mov_b32 s20, 0xbf559e2b
	v_add_f64 v[24:25], v[24:25], -v[26:27]
	v_mul_f64 v[26:27], v[28:29], v[28:29]
	v_mov_b32_e32 v30, 0x6b47b09a
	v_mov_b32_e32 v31, 0x3fc38538
	s_mov_b32 s21, 0x3fc3ab76
	v_fmac_f64_e32 v[30:31], s[20:21], v[26:27]
	v_mov_b32_e32 v32, 0xd7f4df2e
	v_mov_b32_e32 v33, 0x3fc7474d
	v_fmac_f64_e32 v[32:33], v[26:27], v[30:31]
	v_mov_b32_e32 v30, 0x16291751
	v_mov_b32_e32 v31, 0x3fcc71c0
	;; [unrolled: 3-line block ×5, first 2 shown]
	v_fmac_f64_e32 v[32:33], v[26:27], v[30:31]
	v_cvt_f64_i32_e32 v[30:31], v53
	v_mul_f64 v[132:133], v[30:31], s[26:27]
	v_fma_f64 v[134:135], v[30:31], s[26:27], -v[132:133]
	v_fmac_f64_e32 v[134:135], s[28:29], v[30:31]
	v_add_f64 v[30:31], v[132:133], v[134:135]
	v_add_f64 v[132:133], v[30:31], -v[132:133]
	v_mul_f64 v[26:27], v[28:29], v[26:27]
	v_add_f64 v[132:133], v[134:135], -v[132:133]
	v_ldexp_f64 v[134:135], v[28:29], 1
	v_mul_f64 v[26:27], v[26:27], v[32:33]
	v_add_f64 v[28:29], v[134:135], v[26:27]
	v_add_f64 v[32:33], v[28:29], -v[134:135]
	v_ldexp_f64 v[24:25], v[24:25], 1
	v_add_f64 v[26:27], v[26:27], -v[32:33]
	v_add_f64 v[24:25], v[24:25], v[26:27]
	v_add_f64 v[26:27], v[28:29], v[24:25]
	v_add_f64 v[28:29], v[26:27], -v[28:29]
	v_add_f64 v[24:25], v[24:25], -v[28:29]
	v_add_f64 v[28:29], v[30:31], v[26:27]
	v_add_f64 v[32:33], v[28:29], -v[30:31]
	v_add_f64 v[134:135], v[28:29], -v[32:33]
	;; [unrolled: 1-line block ×4, first 2 shown]
	v_add_f64 v[26:27], v[26:27], v[30:31]
	v_add_f64 v[30:31], v[132:133], v[24:25]
	v_add_f64 v[32:33], v[30:31], -v[132:133]
	v_add_f64 v[26:27], v[30:31], v[26:27]
	v_add_f64 v[134:135], v[30:31], -v[32:33]
	v_add_f64 v[30:31], v[28:29], v[26:27]
	v_add_f64 v[132:133], v[132:133], -v[134:135]
	v_add_f64 v[24:25], v[24:25], -v[32:33]
	v_add_f64 v[28:29], v[30:31], -v[28:29]
	v_add_f64 v[24:25], v[24:25], v[132:133]
	v_add_f64 v[26:27], v[26:27], -v[28:29]
	s_mov_b32 s20, 0
	v_add_f64 v[24:25], v[24:25], v[26:27]
	s_mov_b32 s21, 0x7ff00000
	v_add_f64 v[24:25], v[30:31], v[24:25]
	v_cmp_eq_f64_e64 s[20:21], s[20:21], v[6:7]
	v_mov_b32_e32 v26, 0x7ff80000
	s_nop 0
	v_cndmask_b32_e64 v24, v24, v6, s[20:21]
	v_cndmask_b32_e64 v25, v25, v7, s[20:21]
	v_cmp_ngt_f64_e64 s[20:21], -1.0, v[6:7]
	s_nop 1
	v_cndmask_b32_e64 v25, v26, v25, s[20:21]
	v_cmp_nge_f64_e64 s[20:21], -1.0, v[6:7]
	v_mov_b32_e32 v26, 0xfff00000
	s_nop 0
	v_cndmask_b32_e64 v24, 0, v24, s[20:21]
	v_cmp_neq_f64_e64 s[20:21], -1.0, v[6:7]
	s_nop 1
	v_cndmask_b32_e64 v25, v26, v25, s[20:21]
	v_add_f64 v[132:133], v[4:5], v[24:25]
.LBB50_284:
	s_or_b64 exec, exec, s[24:25]
	v_max_f64 v[24:25], v[80:81], v[80:81]
	v_max_f64 v[4:5], v[132:133], v[132:133]
	v_min_f64 v[6:7], v[4:5], v[24:25]
	v_cmp_u_f64_e64 s[22:23], v[132:133], v[132:133]
	v_max_f64 v[4:5], v[4:5], v[24:25]
	v_cmp_u_f64_e64 s[20:21], v[80:81], v[80:81]
	v_cndmask_b32_e64 v6, v6, v132, s[22:23]
	v_cndmask_b32_e64 v7, v7, v133, s[22:23]
	;; [unrolled: 1-line block ×8, first 2 shown]
	v_cmp_neq_f64_e64 s[22:23], v[6:7], v[4:5]
	v_cmp_class_f64_e64 s[24:25], v[6:7], s36
	s_or_b64 s[22:23], s[22:23], s[24:25]
	s_and_saveexec_b64 s[26:27], s[22:23]
	s_cbranch_execz .LBB50_286
; %bb.285:
	s_mov_b32 s22, 0x652b82fe
	v_add_f64 v[6:7], v[6:7], -v[4:5]
	s_mov_b32 s23, 0x3ff71547
	v_mul_f64 v[26:27], v[6:7], s[22:23]
	v_rndne_f64_e32 v[26:27], v[26:27]
	s_mov_b32 s29, 0xbfe62e42
	s_mov_b32 s28, 0xfefa39ef
	v_fma_f64 v[28:29], s[28:29], v[26:27], v[6:7]
	s_mov_b32 s37, 0xbc7abc9e
	s_mov_b32 s36, 0x3b39803f
	;; [unrolled: 1-line block ×3, first 2 shown]
	v_fmac_f64_e32 v[28:29], s[36:37], v[26:27]
	v_mov_b32_e32 v30, 0xfca7ab0c
	v_mov_b32_e32 v31, 0x3e928af3
	s_mov_b32 s23, 0x3e5ade15
	v_fmac_f64_e32 v[30:31], s[22:23], v[28:29]
	v_mov_b32_e32 v32, 0x623fde64
	v_mov_b32_e32 v33, 0x3ec71dee
	v_fmac_f64_e32 v[32:33], v[28:29], v[30:31]
	v_mov_b32_e32 v30, 0x7c89e6b0
	v_mov_b32_e32 v31, 0x3efa0199
	;; [unrolled: 3-line block ×8, first 2 shown]
	v_fmac_f64_e32 v[30:31], v[28:29], v[32:33]
	v_fma_f64 v[30:31], v[28:29], v[30:31], 1.0
	s_mov_b32 s22, 0
	s_mov_b32 s24, 0
	v_fma_f64 v[28:29], v[28:29], v[30:31], 1.0
	v_cvt_i32_f64_e32 v26, v[26:27]
	s_mov_b32 s23, 0x40900000
	s_mov_b32 s25, 0xc090cc00
	v_ldexp_f64 v[26:27], v[28:29], v26
	v_mov_b32_e32 v28, 0x7ff00000
	v_cmp_nlt_f64_e64 s[22:23], s[22:23], v[6:7]
	v_cmp_ngt_f64_e64 s[24:25], s[24:25], v[6:7]
	s_mov_b32 s29, 0x3fe62e42
	v_cndmask_b32_e64 v27, v28, v27, s[22:23]
	s_and_b64 s[22:23], s[24:25], s[22:23]
	v_cndmask_b32_e64 v7, 0, v27, s[24:25]
	v_cndmask_b32_e64 v6, 0, v26, s[22:23]
	v_add_f64 v[26:27], v[6:7], 1.0
	v_add_f64 v[28:29], v[26:27], -1.0
	v_add_f64 v[30:31], v[28:29], -v[26:27]
	v_add_f64 v[30:31], v[30:31], 1.0
	v_add_f64 v[28:29], v[6:7], -v[28:29]
	s_mov_b32 s22, 0x55555555
	v_add_f64 v[28:29], v[28:29], v[30:31]
	v_frexp_mant_f64_e32 v[30:31], v[26:27]
	s_mov_b32 s23, 0x3fe55555
	v_frexp_exp_i32_f64_e32 v32, v[26:27]
	v_cmp_gt_f64_e64 s[22:23], s[22:23], v[30:31]
	s_mov_b32 s37, 0x3c7abc9e
	s_nop 0
	v_subbrev_co_u32_e64 v53, s[22:23], 0, v32, s[22:23]
	v_sub_u32_e32 v30, 0, v53
	v_ldexp_f64 v[26:27], v[26:27], v30
	v_ldexp_f64 v[28:29], v[28:29], v30
	v_add_f64 v[30:31], v[26:27], -1.0
	v_add_f64 v[134:135], v[26:27], 1.0
	v_add_f64 v[32:33], v[30:31], 1.0
	v_add_f64 v[144:145], v[134:135], -1.0
	v_add_f64 v[32:33], v[26:27], -v[32:33]
	v_add_f64 v[26:27], v[26:27], -v[144:145]
	v_add_f64 v[26:27], v[28:29], v[26:27]
	v_add_f64 v[32:33], v[28:29], v[32:33]
	;; [unrolled: 1-line block ×3, first 2 shown]
	v_rcp_f64_e32 v[144:145], v[28:29]
	v_add_f64 v[132:133], v[30:31], v[32:33]
	v_add_f64 v[30:31], v[132:133], -v[30:31]
	v_add_f64 v[30:31], v[32:33], -v[30:31]
	;; [unrolled: 1-line block ×4, first 2 shown]
	v_fma_f64 v[32:33], -v[28:29], v[144:145], 1.0
	v_fmac_f64_e32 v[144:145], v[32:33], v[144:145]
	v_fma_f64 v[32:33], -v[28:29], v[144:145], 1.0
	v_fmac_f64_e32 v[144:145], v[32:33], v[144:145]
	v_mul_f64 v[32:33], v[132:133], v[144:145]
	v_mul_f64 v[134:135], v[28:29], v[32:33]
	v_fma_f64 v[146:147], v[32:33], v[28:29], -v[134:135]
	v_fmac_f64_e32 v[146:147], v[32:33], v[26:27]
	v_add_f64 v[148:149], v[134:135], v[146:147]
	v_add_f64 v[150:151], v[132:133], -v[148:149]
	v_add_f64 v[132:133], v[132:133], -v[150:151]
	;; [unrolled: 1-line block ×4, first 2 shown]
	v_add_f64 v[30:31], v[30:31], v[132:133]
	v_add_f64 v[132:133], v[134:135], -v[146:147]
	v_add_f64 v[30:31], v[132:133], v[30:31]
	v_add_f64 v[132:133], v[150:151], v[30:31]
	v_add_f64 v[134:135], v[150:151], -v[132:133]
	v_add_f64 v[30:31], v[30:31], v[134:135]
	v_mul_f64 v[134:135], v[144:145], v[132:133]
	v_mul_f64 v[146:147], v[28:29], v[134:135]
	v_fma_f64 v[28:29], v[134:135], v[28:29], -v[146:147]
	v_fmac_f64_e32 v[28:29], v[134:135], v[26:27]
	v_add_f64 v[26:27], v[146:147], v[28:29]
	v_add_f64 v[148:149], v[132:133], -v[26:27]
	v_add_f64 v[132:133], v[132:133], -v[148:149]
	;; [unrolled: 1-line block ×4, first 2 shown]
	v_add_f64 v[26:27], v[30:31], v[26:27]
	v_add_f64 v[28:29], v[146:147], -v[28:29]
	v_add_f64 v[26:27], v[28:29], v[26:27]
	v_add_f64 v[28:29], v[32:33], v[134:135]
	v_add_f64 v[26:27], v[148:149], v[26:27]
	v_add_f64 v[30:31], v[28:29], -v[32:33]
	v_mul_f64 v[26:27], v[144:145], v[26:27]
	v_add_f64 v[30:31], v[134:135], -v[30:31]
	v_add_f64 v[26:27], v[30:31], v[26:27]
	v_add_f64 v[30:31], v[28:29], v[26:27]
	v_add_f64 v[28:29], v[30:31], -v[28:29]
	s_mov_b32 s22, 0xbf559e2b
	v_add_f64 v[26:27], v[26:27], -v[28:29]
	v_mul_f64 v[28:29], v[30:31], v[30:31]
	v_mov_b32_e32 v32, 0x6b47b09a
	v_mov_b32_e32 v33, 0x3fc38538
	s_mov_b32 s23, 0x3fc3ab76
	v_fmac_f64_e32 v[32:33], s[22:23], v[28:29]
	v_mov_b32_e32 v132, 0xd7f4df2e
	v_mov_b32_e32 v133, 0x3fc7474d
	v_fmac_f64_e32 v[132:133], v[28:29], v[32:33]
	v_mov_b32_e32 v32, 0x16291751
	v_mov_b32_e32 v33, 0x3fcc71c0
	;; [unrolled: 3-line block ×5, first 2 shown]
	v_fmac_f64_e32 v[132:133], v[28:29], v[32:33]
	v_cvt_f64_i32_e32 v[32:33], v53
	v_mul_f64 v[134:135], v[32:33], s[28:29]
	v_fma_f64 v[144:145], v[32:33], s[28:29], -v[134:135]
	v_fmac_f64_e32 v[144:145], s[36:37], v[32:33]
	v_add_f64 v[32:33], v[134:135], v[144:145]
	v_add_f64 v[134:135], v[32:33], -v[134:135]
	v_mul_f64 v[28:29], v[30:31], v[28:29]
	v_add_f64 v[134:135], v[144:145], -v[134:135]
	v_ldexp_f64 v[144:145], v[30:31], 1
	v_mul_f64 v[28:29], v[28:29], v[132:133]
	v_add_f64 v[30:31], v[144:145], v[28:29]
	v_add_f64 v[132:133], v[30:31], -v[144:145]
	v_ldexp_f64 v[26:27], v[26:27], 1
	v_add_f64 v[28:29], v[28:29], -v[132:133]
	v_add_f64 v[26:27], v[26:27], v[28:29]
	v_add_f64 v[28:29], v[30:31], v[26:27]
	v_add_f64 v[30:31], v[28:29], -v[30:31]
	v_add_f64 v[26:27], v[26:27], -v[30:31]
	v_add_f64 v[30:31], v[32:33], v[28:29]
	v_add_f64 v[132:133], v[30:31], -v[32:33]
	v_add_f64 v[144:145], v[30:31], -v[132:133]
	;; [unrolled: 1-line block ×4, first 2 shown]
	v_add_f64 v[28:29], v[28:29], v[32:33]
	v_add_f64 v[32:33], v[134:135], v[26:27]
	v_add_f64 v[132:133], v[32:33], -v[134:135]
	v_add_f64 v[28:29], v[32:33], v[28:29]
	v_add_f64 v[144:145], v[32:33], -v[132:133]
	;; [unrolled: 2-line block ×3, first 2 shown]
	v_add_f64 v[26:27], v[26:27], -v[132:133]
	v_add_f64 v[30:31], v[32:33], -v[30:31]
	v_add_f64 v[26:27], v[26:27], v[134:135]
	v_add_f64 v[28:29], v[28:29], -v[30:31]
	s_mov_b32 s22, 0
	v_add_f64 v[26:27], v[26:27], v[28:29]
	s_mov_b32 s23, 0x7ff00000
	v_add_f64 v[26:27], v[32:33], v[26:27]
	v_cmp_eq_f64_e64 s[22:23], s[22:23], v[6:7]
	v_mov_b32_e32 v28, 0x7ff80000
	s_nop 0
	v_cndmask_b32_e64 v26, v26, v6, s[22:23]
	v_cndmask_b32_e64 v27, v27, v7, s[22:23]
	v_cmp_ngt_f64_e64 s[22:23], -1.0, v[6:7]
	s_nop 1
	v_cndmask_b32_e64 v27, v28, v27, s[22:23]
	v_cmp_nge_f64_e64 s[22:23], -1.0, v[6:7]
	v_mov_b32_e32 v28, 0xfff00000
	s_nop 0
	v_cndmask_b32_e64 v26, 0, v26, s[22:23]
	v_cmp_neq_f64_e64 s[22:23], -1.0, v[6:7]
	s_nop 1
	v_cndmask_b32_e64 v27, v28, v27, s[22:23]
	v_add_f64 v[132:133], v[4:5], v[26:27]
.LBB50_286:
	s_or_b64 exec, exec, s[26:27]
	v_max_f64 v[26:27], v[82:83], v[82:83]
	v_max_f64 v[4:5], v[132:133], v[132:133]
	v_min_f64 v[6:7], v[4:5], v[26:27]
	v_cmp_u_f64_e64 s[24:25], v[132:133], v[132:133]
	v_max_f64 v[4:5], v[4:5], v[26:27]
	v_cmp_u_f64_e64 s[22:23], v[82:83], v[82:83]
	v_cndmask_b32_e64 v6, v6, v132, s[24:25]
	v_cndmask_b32_e64 v7, v7, v133, s[24:25]
	;; [unrolled: 1-line block ×8, first 2 shown]
	s_movk_i32 s40, 0x1f8
	v_cmp_neq_f64_e64 s[24:25], v[6:7], v[4:5]
	v_cmp_class_f64_e64 s[26:27], v[6:7], s40
	s_or_b64 s[24:25], s[24:25], s[26:27]
	s_and_saveexec_b64 s[28:29], s[24:25]
	s_cbranch_execz .LBB50_288
; %bb.287:
	s_mov_b32 s24, 0x652b82fe
	v_add_f64 v[6:7], v[6:7], -v[4:5]
	s_mov_b32 s25, 0x3ff71547
	v_mul_f64 v[28:29], v[6:7], s[24:25]
	v_rndne_f64_e32 v[28:29], v[28:29]
	s_mov_b32 s37, 0xbfe62e42
	s_mov_b32 s36, 0xfefa39ef
	v_fma_f64 v[30:31], s[36:37], v[28:29], v[6:7]
	s_mov_b32 s39, 0xbc7abc9e
	s_mov_b32 s38, 0x3b39803f
	;; [unrolled: 1-line block ×3, first 2 shown]
	v_fmac_f64_e32 v[30:31], s[38:39], v[28:29]
	v_mov_b32_e32 v32, 0xfca7ab0c
	v_mov_b32_e32 v33, 0x3e928af3
	s_mov_b32 s25, 0x3e5ade15
	v_fmac_f64_e32 v[32:33], s[24:25], v[30:31]
	v_mov_b32_e32 v132, 0x623fde64
	v_mov_b32_e32 v133, 0x3ec71dee
	v_fmac_f64_e32 v[132:133], v[30:31], v[32:33]
	v_mov_b32_e32 v32, 0x7c89e6b0
	v_mov_b32_e32 v33, 0x3efa0199
	;; [unrolled: 3-line block ×8, first 2 shown]
	v_fmac_f64_e32 v[32:33], v[30:31], v[132:133]
	v_fma_f64 v[32:33], v[30:31], v[32:33], 1.0
	s_mov_b32 s24, 0
	s_mov_b32 s26, 0
	v_fma_f64 v[30:31], v[30:31], v[32:33], 1.0
	v_cvt_i32_f64_e32 v28, v[28:29]
	s_mov_b32 s25, 0x40900000
	s_mov_b32 s27, 0xc090cc00
	v_ldexp_f64 v[28:29], v[30:31], v28
	v_mov_b32_e32 v30, 0x7ff00000
	v_cmp_nlt_f64_e64 s[24:25], s[24:25], v[6:7]
	v_cmp_ngt_f64_e64 s[26:27], s[26:27], v[6:7]
	s_mov_b32 s37, 0x3fe62e42
	v_cndmask_b32_e64 v29, v30, v29, s[24:25]
	s_and_b64 s[24:25], s[26:27], s[24:25]
	v_cndmask_b32_e64 v7, 0, v29, s[26:27]
	v_cndmask_b32_e64 v6, 0, v28, s[24:25]
	v_add_f64 v[28:29], v[6:7], 1.0
	v_add_f64 v[30:31], v[28:29], -1.0
	v_add_f64 v[32:33], v[30:31], -v[28:29]
	v_add_f64 v[32:33], v[32:33], 1.0
	v_add_f64 v[30:31], v[6:7], -v[30:31]
	s_mov_b32 s24, 0x55555555
	v_add_f64 v[30:31], v[30:31], v[32:33]
	v_frexp_mant_f64_e32 v[32:33], v[28:29]
	s_mov_b32 s25, 0x3fe55555
	v_frexp_exp_i32_f64_e32 v53, v[28:29]
	v_cmp_gt_f64_e64 s[24:25], s[24:25], v[32:33]
	s_mov_b32 s39, 0x3c7abc9e
	s_nop 0
	v_subbrev_co_u32_e64 v53, s[24:25], 0, v53, s[24:25]
	v_sub_u32_e32 v32, 0, v53
	v_ldexp_f64 v[28:29], v[28:29], v32
	v_ldexp_f64 v[30:31], v[30:31], v32
	v_add_f64 v[32:33], v[28:29], -1.0
	v_add_f64 v[144:145], v[28:29], 1.0
	v_add_f64 v[132:133], v[32:33], 1.0
	v_add_f64 v[146:147], v[144:145], -1.0
	v_add_f64 v[132:133], v[28:29], -v[132:133]
	v_add_f64 v[28:29], v[28:29], -v[146:147]
	v_add_f64 v[28:29], v[30:31], v[28:29]
	v_add_f64 v[132:133], v[30:31], v[132:133]
	;; [unrolled: 1-line block ×3, first 2 shown]
	v_rcp_f64_e32 v[146:147], v[30:31]
	v_add_f64 v[134:135], v[32:33], v[132:133]
	v_add_f64 v[32:33], v[134:135], -v[32:33]
	v_add_f64 v[32:33], v[132:133], -v[32:33]
	;; [unrolled: 1-line block ×4, first 2 shown]
	v_fma_f64 v[132:133], -v[30:31], v[146:147], 1.0
	v_fmac_f64_e32 v[146:147], v[132:133], v[146:147]
	v_fma_f64 v[132:133], -v[30:31], v[146:147], 1.0
	v_fmac_f64_e32 v[146:147], v[132:133], v[146:147]
	v_mul_f64 v[132:133], v[134:135], v[146:147]
	v_mul_f64 v[144:145], v[30:31], v[132:133]
	v_fma_f64 v[148:149], v[132:133], v[30:31], -v[144:145]
	v_fmac_f64_e32 v[148:149], v[132:133], v[28:29]
	v_add_f64 v[150:151], v[144:145], v[148:149]
	v_add_f64 v[160:161], v[134:135], -v[150:151]
	v_add_f64 v[134:135], v[134:135], -v[160:161]
	;; [unrolled: 1-line block ×4, first 2 shown]
	v_add_f64 v[32:33], v[32:33], v[134:135]
	v_add_f64 v[134:135], v[144:145], -v[148:149]
	v_add_f64 v[32:33], v[134:135], v[32:33]
	v_add_f64 v[134:135], v[160:161], v[32:33]
	v_add_f64 v[144:145], v[160:161], -v[134:135]
	v_add_f64 v[32:33], v[32:33], v[144:145]
	v_mul_f64 v[144:145], v[146:147], v[134:135]
	v_mul_f64 v[148:149], v[30:31], v[144:145]
	v_fma_f64 v[30:31], v[144:145], v[30:31], -v[148:149]
	v_fmac_f64_e32 v[30:31], v[144:145], v[28:29]
	v_add_f64 v[28:29], v[148:149], v[30:31]
	v_add_f64 v[150:151], v[134:135], -v[28:29]
	v_add_f64 v[134:135], v[134:135], -v[150:151]
	v_add_f64 v[148:149], v[28:29], -v[148:149]
	v_add_f64 v[28:29], v[134:135], -v[28:29]
	v_add_f64 v[28:29], v[32:33], v[28:29]
	v_add_f64 v[30:31], v[148:149], -v[30:31]
	v_add_f64 v[28:29], v[30:31], v[28:29]
	v_add_f64 v[30:31], v[132:133], v[144:145]
	v_add_f64 v[28:29], v[150:151], v[28:29]
	v_add_f64 v[32:33], v[30:31], -v[132:133]
	v_mul_f64 v[28:29], v[146:147], v[28:29]
	v_add_f64 v[32:33], v[144:145], -v[32:33]
	v_add_f64 v[28:29], v[32:33], v[28:29]
	v_add_f64 v[32:33], v[30:31], v[28:29]
	v_add_f64 v[30:31], v[32:33], -v[30:31]
	s_mov_b32 s24, 0xbf559e2b
	v_add_f64 v[28:29], v[28:29], -v[30:31]
	v_mul_f64 v[30:31], v[32:33], v[32:33]
	v_mov_b32_e32 v132, 0x6b47b09a
	v_mov_b32_e32 v133, 0x3fc38538
	s_mov_b32 s25, 0x3fc3ab76
	v_fmac_f64_e32 v[132:133], s[24:25], v[30:31]
	v_mov_b32_e32 v134, 0xd7f4df2e
	v_mov_b32_e32 v135, 0x3fc7474d
	v_fmac_f64_e32 v[134:135], v[30:31], v[132:133]
	v_mov_b32_e32 v132, 0x16291751
	v_mov_b32_e32 v133, 0x3fcc71c0
	v_fmac_f64_e32 v[132:133], v[30:31], v[134:135]
	v_mov_b32_e32 v134, 0x9b27acf1
	v_mov_b32_e32 v135, 0x3fd24924
	v_fmac_f64_e32 v[134:135], v[30:31], v[132:133]
	v_mov_b32_e32 v132, 0x998ef7b6
	v_mov_b32_e32 v133, 0x3fd99999
	v_fmac_f64_e32 v[132:133], v[30:31], v[134:135]
	v_mov_b32_e32 v134, 0x55555780
	v_mov_b32_e32 v135, 0x3fe55555
	v_fmac_f64_e32 v[134:135], v[30:31], v[132:133]
	v_cvt_f64_i32_e32 v[132:133], v53
	v_mul_f64 v[144:145], v[132:133], s[36:37]
	v_fma_f64 v[146:147], v[132:133], s[36:37], -v[144:145]
	v_fmac_f64_e32 v[146:147], s[38:39], v[132:133]
	v_add_f64 v[132:133], v[144:145], v[146:147]
	v_add_f64 v[144:145], v[132:133], -v[144:145]
	v_mul_f64 v[30:31], v[32:33], v[30:31]
	v_add_f64 v[144:145], v[146:147], -v[144:145]
	v_ldexp_f64 v[146:147], v[32:33], 1
	v_mul_f64 v[30:31], v[30:31], v[134:135]
	v_add_f64 v[32:33], v[146:147], v[30:31]
	v_add_f64 v[134:135], v[32:33], -v[146:147]
	v_ldexp_f64 v[28:29], v[28:29], 1
	v_add_f64 v[30:31], v[30:31], -v[134:135]
	v_add_f64 v[28:29], v[28:29], v[30:31]
	v_add_f64 v[30:31], v[32:33], v[28:29]
	v_add_f64 v[32:33], v[30:31], -v[32:33]
	v_add_f64 v[28:29], v[28:29], -v[32:33]
	v_add_f64 v[32:33], v[132:133], v[30:31]
	v_add_f64 v[134:135], v[32:33], -v[132:133]
	v_add_f64 v[146:147], v[32:33], -v[134:135]
	;; [unrolled: 1-line block ×4, first 2 shown]
	v_add_f64 v[30:31], v[30:31], v[132:133]
	v_add_f64 v[132:133], v[144:145], v[28:29]
	v_add_f64 v[134:135], v[132:133], -v[144:145]
	v_add_f64 v[30:31], v[132:133], v[30:31]
	v_add_f64 v[146:147], v[132:133], -v[134:135]
	;; [unrolled: 2-line block ×3, first 2 shown]
	v_add_f64 v[28:29], v[28:29], -v[134:135]
	v_add_f64 v[32:33], v[132:133], -v[32:33]
	v_add_f64 v[28:29], v[28:29], v[144:145]
	v_add_f64 v[30:31], v[30:31], -v[32:33]
	s_mov_b32 s24, 0
	v_add_f64 v[28:29], v[28:29], v[30:31]
	s_mov_b32 s25, 0x7ff00000
	v_add_f64 v[28:29], v[132:133], v[28:29]
	v_cmp_eq_f64_e64 s[24:25], s[24:25], v[6:7]
	v_mov_b32_e32 v30, 0x7ff80000
	s_nop 0
	v_cndmask_b32_e64 v28, v28, v6, s[24:25]
	v_cndmask_b32_e64 v29, v29, v7, s[24:25]
	v_cmp_ngt_f64_e64 s[24:25], -1.0, v[6:7]
	s_nop 1
	v_cndmask_b32_e64 v29, v30, v29, s[24:25]
	v_cmp_nge_f64_e64 s[24:25], -1.0, v[6:7]
	v_mov_b32_e32 v30, 0xfff00000
	s_nop 0
	v_cndmask_b32_e64 v28, 0, v28, s[24:25]
	v_cmp_neq_f64_e64 s[24:25], -1.0, v[6:7]
	s_nop 1
	v_cndmask_b32_e64 v29, v30, v29, s[24:25]
	v_add_f64 v[132:133], v[4:5], v[28:29]
.LBB50_288:
	s_or_b64 exec, exec, s[28:29]
	v_max_f64 v[28:29], v[66:67], v[66:67]
	v_max_f64 v[4:5], v[132:133], v[132:133]
	v_min_f64 v[6:7], v[4:5], v[28:29]
	v_cmp_u_f64_e64 s[26:27], v[132:133], v[132:133]
	v_max_f64 v[4:5], v[4:5], v[28:29]
	v_cmp_u_f64_e64 s[24:25], v[66:67], v[66:67]
	v_cndmask_b32_e64 v6, v6, v132, s[26:27]
	v_cndmask_b32_e64 v7, v7, v133, s[26:27]
	v_cndmask_b32_e64 v4, v4, v132, s[26:27]
	v_cndmask_b32_e64 v5, v5, v133, s[26:27]
	v_cndmask_b32_e64 v7, v7, v67, s[24:25]
	v_cndmask_b32_e64 v6, v6, v66, s[24:25]
	v_cndmask_b32_e64 v5, v5, v67, s[24:25]
	v_cndmask_b32_e64 v4, v4, v66, s[24:25]
	v_cmp_neq_f64_e64 s[26:27], v[6:7], v[4:5]
	v_cmp_class_f64_e64 s[28:29], v[6:7], s40
	s_or_b64 s[26:27], s[26:27], s[28:29]
	s_and_saveexec_b64 s[36:37], s[26:27]
	s_cbranch_execz .LBB50_290
; %bb.289:
	s_mov_b32 s26, 0x652b82fe
	v_add_f64 v[6:7], v[6:7], -v[4:5]
	s_mov_b32 s27, 0x3ff71547
	v_mul_f64 v[30:31], v[6:7], s[26:27]
	v_rndne_f64_e32 v[30:31], v[30:31]
	s_mov_b32 s39, 0xbfe62e42
	s_mov_b32 s38, 0xfefa39ef
	v_fma_f64 v[32:33], s[38:39], v[30:31], v[6:7]
	s_mov_b32 s41, 0xbc7abc9e
	s_mov_b32 s40, 0x3b39803f
	;; [unrolled: 1-line block ×3, first 2 shown]
	v_fmac_f64_e32 v[32:33], s[40:41], v[30:31]
	v_mov_b32_e32 v132, 0xfca7ab0c
	v_mov_b32_e32 v133, 0x3e928af3
	s_mov_b32 s27, 0x3e5ade15
	v_fmac_f64_e32 v[132:133], s[26:27], v[32:33]
	v_mov_b32_e32 v134, 0x623fde64
	v_mov_b32_e32 v135, 0x3ec71dee
	v_fmac_f64_e32 v[134:135], v[32:33], v[132:133]
	v_mov_b32_e32 v132, 0x7c89e6b0
	v_mov_b32_e32 v133, 0x3efa0199
	;; [unrolled: 3-line block ×8, first 2 shown]
	v_fmac_f64_e32 v[132:133], v[32:33], v[134:135]
	v_fma_f64 v[132:133], v[32:33], v[132:133], 1.0
	s_mov_b32 s26, 0
	s_mov_b32 s28, 0
	v_fma_f64 v[32:33], v[32:33], v[132:133], 1.0
	v_cvt_i32_f64_e32 v30, v[30:31]
	s_mov_b32 s27, 0x40900000
	s_mov_b32 s29, 0xc090cc00
	v_ldexp_f64 v[30:31], v[32:33], v30
	v_mov_b32_e32 v32, 0x7ff00000
	v_cmp_nlt_f64_e64 s[26:27], s[26:27], v[6:7]
	v_cmp_ngt_f64_e64 s[28:29], s[28:29], v[6:7]
	s_mov_b32 s39, 0x3fe62e42
	v_cndmask_b32_e64 v31, v32, v31, s[26:27]
	s_and_b64 s[26:27], s[28:29], s[26:27]
	v_cndmask_b32_e64 v7, 0, v31, s[28:29]
	v_cndmask_b32_e64 v6, 0, v30, s[26:27]
	v_add_f64 v[30:31], v[6:7], 1.0
	v_add_f64 v[32:33], v[30:31], -1.0
	v_add_f64 v[132:133], v[32:33], -v[30:31]
	v_add_f64 v[132:133], v[132:133], 1.0
	v_add_f64 v[32:33], v[6:7], -v[32:33]
	s_mov_b32 s26, 0x55555555
	v_add_f64 v[32:33], v[32:33], v[132:133]
	v_frexp_mant_f64_e32 v[132:133], v[30:31]
	s_mov_b32 s27, 0x3fe55555
	v_frexp_exp_i32_f64_e32 v53, v[30:31]
	v_cmp_gt_f64_e64 s[26:27], s[26:27], v[132:133]
	s_mov_b32 s41, 0x3c7abc9e
	s_nop 0
	v_subbrev_co_u32_e64 v53, s[26:27], 0, v53, s[26:27]
	v_sub_u32_e32 v71, 0, v53
	v_ldexp_f64 v[30:31], v[30:31], v71
	v_add_f64 v[132:133], v[30:31], -1.0
	v_add_f64 v[146:147], v[30:31], 1.0
	v_add_f64 v[134:135], v[132:133], 1.0
	v_add_f64 v[148:149], v[146:147], -1.0
	v_ldexp_f64 v[32:33], v[32:33], v71
	v_add_f64 v[134:135], v[30:31], -v[134:135]
	v_add_f64 v[30:31], v[30:31], -v[148:149]
	v_add_f64 v[30:31], v[32:33], v[30:31]
	v_add_f64 v[134:135], v[32:33], v[134:135]
	v_add_f64 v[32:33], v[146:147], v[30:31]
	v_rcp_f64_e32 v[148:149], v[32:33]
	v_add_f64 v[144:145], v[132:133], v[134:135]
	v_add_f64 v[132:133], v[144:145], -v[132:133]
	v_add_f64 v[132:133], v[134:135], -v[132:133]
	;; [unrolled: 1-line block ×4, first 2 shown]
	v_fma_f64 v[134:135], -v[32:33], v[148:149], 1.0
	v_fmac_f64_e32 v[148:149], v[134:135], v[148:149]
	v_fma_f64 v[134:135], -v[32:33], v[148:149], 1.0
	v_fmac_f64_e32 v[148:149], v[134:135], v[148:149]
	v_mul_f64 v[134:135], v[144:145], v[148:149]
	v_mul_f64 v[146:147], v[32:33], v[134:135]
	v_fma_f64 v[150:151], v[134:135], v[32:33], -v[146:147]
	v_fmac_f64_e32 v[150:151], v[134:135], v[30:31]
	v_add_f64 v[160:161], v[146:147], v[150:151]
	v_add_f64 v[162:163], v[144:145], -v[160:161]
	v_add_f64 v[144:145], v[144:145], -v[162:163]
	v_add_f64 v[146:147], v[160:161], -v[146:147]
	v_add_f64 v[144:145], v[144:145], -v[160:161]
	v_add_f64 v[132:133], v[132:133], v[144:145]
	v_add_f64 v[144:145], v[146:147], -v[150:151]
	v_add_f64 v[132:133], v[144:145], v[132:133]
	v_add_f64 v[144:145], v[162:163], v[132:133]
	v_add_f64 v[146:147], v[162:163], -v[144:145]
	v_add_f64 v[132:133], v[132:133], v[146:147]
	v_mul_f64 v[146:147], v[148:149], v[144:145]
	v_mul_f64 v[150:151], v[32:33], v[146:147]
	v_fma_f64 v[32:33], v[146:147], v[32:33], -v[150:151]
	v_fmac_f64_e32 v[32:33], v[146:147], v[30:31]
	v_add_f64 v[30:31], v[150:151], v[32:33]
	v_add_f64 v[160:161], v[144:145], -v[30:31]
	v_add_f64 v[144:145], v[144:145], -v[160:161]
	;; [unrolled: 1-line block ×4, first 2 shown]
	v_add_f64 v[30:31], v[132:133], v[30:31]
	v_add_f64 v[32:33], v[150:151], -v[32:33]
	v_add_f64 v[30:31], v[32:33], v[30:31]
	v_add_f64 v[32:33], v[134:135], v[146:147]
	;; [unrolled: 1-line block ×3, first 2 shown]
	v_add_f64 v[132:133], v[32:33], -v[134:135]
	v_mul_f64 v[30:31], v[148:149], v[30:31]
	v_add_f64 v[132:133], v[146:147], -v[132:133]
	v_add_f64 v[30:31], v[132:133], v[30:31]
	v_add_f64 v[132:133], v[32:33], v[30:31]
	v_add_f64 v[32:33], v[132:133], -v[32:33]
	s_mov_b32 s26, 0xbf559e2b
	v_add_f64 v[30:31], v[30:31], -v[32:33]
	v_mul_f64 v[32:33], v[132:133], v[132:133]
	v_mov_b32_e32 v134, 0x6b47b09a
	v_mov_b32_e32 v135, 0x3fc38538
	s_mov_b32 s27, 0x3fc3ab76
	v_fmac_f64_e32 v[134:135], s[26:27], v[32:33]
	v_mov_b32_e32 v144, 0xd7f4df2e
	v_mov_b32_e32 v145, 0x3fc7474d
	v_fmac_f64_e32 v[144:145], v[32:33], v[134:135]
	v_mov_b32_e32 v134, 0x16291751
	v_mov_b32_e32 v135, 0x3fcc71c0
	;; [unrolled: 3-line block ×5, first 2 shown]
	v_fmac_f64_e32 v[144:145], v[32:33], v[134:135]
	v_cvt_f64_i32_e32 v[134:135], v53
	v_mul_f64 v[146:147], v[134:135], s[38:39]
	v_fma_f64 v[148:149], v[134:135], s[38:39], -v[146:147]
	v_fmac_f64_e32 v[148:149], s[40:41], v[134:135]
	v_add_f64 v[134:135], v[146:147], v[148:149]
	v_add_f64 v[146:147], v[134:135], -v[146:147]
	v_mul_f64 v[32:33], v[132:133], v[32:33]
	v_add_f64 v[146:147], v[148:149], -v[146:147]
	v_ldexp_f64 v[148:149], v[132:133], 1
	v_mul_f64 v[32:33], v[32:33], v[144:145]
	v_add_f64 v[132:133], v[148:149], v[32:33]
	v_add_f64 v[144:145], v[132:133], -v[148:149]
	v_ldexp_f64 v[30:31], v[30:31], 1
	v_add_f64 v[32:33], v[32:33], -v[144:145]
	v_add_f64 v[30:31], v[30:31], v[32:33]
	v_add_f64 v[32:33], v[132:133], v[30:31]
	v_add_f64 v[132:133], v[32:33], -v[132:133]
	v_add_f64 v[30:31], v[30:31], -v[132:133]
	v_add_f64 v[132:133], v[134:135], v[32:33]
	v_add_f64 v[144:145], v[132:133], -v[134:135]
	v_add_f64 v[148:149], v[132:133], -v[144:145]
	;; [unrolled: 1-line block ×4, first 2 shown]
	v_add_f64 v[32:33], v[32:33], v[134:135]
	v_add_f64 v[134:135], v[146:147], v[30:31]
	v_add_f64 v[144:145], v[134:135], -v[146:147]
	v_add_f64 v[32:33], v[134:135], v[32:33]
	v_add_f64 v[148:149], v[134:135], -v[144:145]
	v_add_f64 v[134:135], v[132:133], v[32:33]
	v_add_f64 v[146:147], v[146:147], -v[148:149]
	v_add_f64 v[30:31], v[30:31], -v[144:145]
	v_add_f64 v[132:133], v[134:135], -v[132:133]
	v_add_f64 v[30:31], v[30:31], v[146:147]
	v_add_f64 v[32:33], v[32:33], -v[132:133]
	s_mov_b32 s26, 0
	v_add_f64 v[30:31], v[30:31], v[32:33]
	s_mov_b32 s27, 0x7ff00000
	v_add_f64 v[30:31], v[134:135], v[30:31]
	v_cmp_eq_f64_e64 s[26:27], s[26:27], v[6:7]
	v_mov_b32_e32 v32, 0x7ff80000
	s_nop 0
	v_cndmask_b32_e64 v30, v30, v6, s[26:27]
	v_cndmask_b32_e64 v31, v31, v7, s[26:27]
	v_cmp_ngt_f64_e64 s[26:27], -1.0, v[6:7]
	s_nop 1
	v_cndmask_b32_e64 v31, v32, v31, s[26:27]
	v_cmp_nge_f64_e64 s[26:27], -1.0, v[6:7]
	v_mov_b32_e32 v32, 0xfff00000
	s_nop 0
	v_cndmask_b32_e64 v30, 0, v30, s[26:27]
	v_cmp_neq_f64_e64 s[26:27], -1.0, v[6:7]
	s_nop 1
	v_cndmask_b32_e64 v31, v32, v31, s[26:27]
	v_add_f64 v[132:133], v[4:5], v[30:31]
.LBB50_290:
	s_or_b64 exec, exec, s[36:37]
	v_max_f64 v[30:31], v[68:69], v[68:69]
	v_max_f64 v[4:5], v[132:133], v[132:133]
	v_min_f64 v[6:7], v[4:5], v[30:31]
	v_cmp_u_f64_e64 s[28:29], v[132:133], v[132:133]
	v_max_f64 v[4:5], v[4:5], v[30:31]
	v_cmp_u_f64_e64 s[26:27], v[68:69], v[68:69]
	v_cndmask_b32_e64 v6, v6, v132, s[28:29]
	v_cndmask_b32_e64 v7, v7, v133, s[28:29]
	;; [unrolled: 1-line block ×8, first 2 shown]
	s_movk_i32 s44, 0x1f8
	v_cmp_neq_f64_e64 s[28:29], v[6:7], v[4:5]
	v_cmp_class_f64_e64 s[36:37], v[6:7], s44
	s_or_b64 s[28:29], s[28:29], s[36:37]
	s_and_saveexec_b64 s[38:39], s[28:29]
	s_cbranch_execz .LBB50_292
; %bb.291:
	s_mov_b32 s28, 0x652b82fe
	v_add_f64 v[6:7], v[6:7], -v[4:5]
	s_mov_b32 s29, 0x3ff71547
	v_mul_f64 v[32:33], v[6:7], s[28:29]
	v_rndne_f64_e32 v[32:33], v[32:33]
	s_mov_b32 s41, 0xbfe62e42
	s_mov_b32 s40, 0xfefa39ef
	v_fma_f64 v[132:133], s[40:41], v[32:33], v[6:7]
	s_mov_b32 s43, 0xbc7abc9e
	s_mov_b32 s42, 0x3b39803f
	;; [unrolled: 1-line block ×3, first 2 shown]
	v_fmac_f64_e32 v[132:133], s[42:43], v[32:33]
	v_mov_b32_e32 v134, 0xfca7ab0c
	v_mov_b32_e32 v135, 0x3e928af3
	s_mov_b32 s29, 0x3e5ade15
	v_fmac_f64_e32 v[134:135], s[28:29], v[132:133]
	v_mov_b32_e32 v144, 0x623fde64
	v_mov_b32_e32 v145, 0x3ec71dee
	v_fmac_f64_e32 v[144:145], v[132:133], v[134:135]
	v_mov_b32_e32 v134, 0x7c89e6b0
	v_mov_b32_e32 v135, 0x3efa0199
	v_fmac_f64_e32 v[134:135], v[132:133], v[144:145]
	v_mov_b32_e32 v144, 0x14761f6e
	v_mov_b32_e32 v145, 0x3f2a01a0
	v_fmac_f64_e32 v[144:145], v[132:133], v[134:135]
	v_mov_b32_e32 v134, 0x1852b7b0
	v_mov_b32_e32 v135, 0x3f56c16c
	v_fmac_f64_e32 v[134:135], v[132:133], v[144:145]
	v_mov_b32_e32 v144, 0x11122322
	v_mov_b32_e32 v145, 0x3f811111
	v_fmac_f64_e32 v[144:145], v[132:133], v[134:135]
	v_mov_b32_e32 v134, 0x555502a1
	v_mov_b32_e32 v135, 0x3fa55555
	v_fmac_f64_e32 v[134:135], v[132:133], v[144:145]
	v_mov_b32_e32 v144, 0x55555511
	v_mov_b32_e32 v145, 0x3fc55555
	v_fmac_f64_e32 v[144:145], v[132:133], v[134:135]
	v_mov_b32_e32 v134, 11
	v_mov_b32_e32 v135, 0x3fe00000
	v_fmac_f64_e32 v[134:135], v[132:133], v[144:145]
	v_fma_f64 v[134:135], v[132:133], v[134:135], 1.0
	s_mov_b32 s28, 0
	s_mov_b32 s36, 0
	v_fma_f64 v[132:133], v[132:133], v[134:135], 1.0
	v_cvt_i32_f64_e32 v32, v[32:33]
	s_mov_b32 s29, 0x40900000
	s_mov_b32 s37, 0xc090cc00
	v_ldexp_f64 v[32:33], v[132:133], v32
	v_mov_b32_e32 v53, 0x7ff00000
	v_cmp_nlt_f64_e64 s[28:29], s[28:29], v[6:7]
	v_cmp_ngt_f64_e64 s[36:37], s[36:37], v[6:7]
	s_mov_b32 s41, 0x3fe62e42
	v_cndmask_b32_e64 v33, v53, v33, s[28:29]
	s_and_b64 s[28:29], s[36:37], s[28:29]
	v_cndmask_b32_e64 v7, 0, v33, s[36:37]
	v_cndmask_b32_e64 v6, 0, v32, s[28:29]
	v_add_f64 v[32:33], v[6:7], 1.0
	v_add_f64 v[132:133], v[32:33], -1.0
	v_add_f64 v[134:135], v[132:133], -v[32:33]
	v_add_f64 v[134:135], v[134:135], 1.0
	v_add_f64 v[132:133], v[6:7], -v[132:133]
	s_mov_b32 s28, 0x55555555
	v_add_f64 v[132:133], v[132:133], v[134:135]
	v_frexp_mant_f64_e32 v[134:135], v[32:33]
	s_mov_b32 s29, 0x3fe55555
	v_frexp_exp_i32_f64_e32 v53, v[32:33]
	v_cmp_gt_f64_e64 s[28:29], s[28:29], v[134:135]
	s_mov_b32 s43, 0x3c7abc9e
	s_nop 0
	v_subbrev_co_u32_e64 v53, s[28:29], 0, v53, s[28:29]
	v_sub_u32_e32 v71, 0, v53
	v_ldexp_f64 v[32:33], v[32:33], v71
	v_add_f64 v[134:135], v[32:33], -1.0
	v_add_f64 v[148:149], v[32:33], 1.0
	v_add_f64 v[144:145], v[134:135], 1.0
	v_add_f64 v[150:151], v[148:149], -1.0
	v_ldexp_f64 v[132:133], v[132:133], v71
	v_add_f64 v[144:145], v[32:33], -v[144:145]
	v_add_f64 v[32:33], v[32:33], -v[150:151]
	v_add_f64 v[32:33], v[132:133], v[32:33]
	v_add_f64 v[144:145], v[132:133], v[144:145]
	;; [unrolled: 1-line block ×3, first 2 shown]
	v_rcp_f64_e32 v[150:151], v[132:133]
	v_add_f64 v[146:147], v[134:135], v[144:145]
	v_add_f64 v[134:135], v[146:147], -v[134:135]
	v_add_f64 v[134:135], v[144:145], -v[134:135]
	;; [unrolled: 1-line block ×4, first 2 shown]
	v_fma_f64 v[144:145], -v[132:133], v[150:151], 1.0
	v_fmac_f64_e32 v[150:151], v[144:145], v[150:151]
	v_fma_f64 v[144:145], -v[132:133], v[150:151], 1.0
	v_fmac_f64_e32 v[150:151], v[144:145], v[150:151]
	v_mul_f64 v[144:145], v[146:147], v[150:151]
	v_mul_f64 v[148:149], v[132:133], v[144:145]
	v_fma_f64 v[160:161], v[144:145], v[132:133], -v[148:149]
	v_fmac_f64_e32 v[160:161], v[144:145], v[32:33]
	v_add_f64 v[162:163], v[148:149], v[160:161]
	v_add_f64 v[164:165], v[146:147], -v[162:163]
	v_add_f64 v[146:147], v[146:147], -v[164:165]
	;; [unrolled: 1-line block ×4, first 2 shown]
	v_add_f64 v[134:135], v[134:135], v[146:147]
	v_add_f64 v[146:147], v[148:149], -v[160:161]
	v_add_f64 v[134:135], v[146:147], v[134:135]
	v_add_f64 v[146:147], v[164:165], v[134:135]
	v_add_f64 v[148:149], v[164:165], -v[146:147]
	v_add_f64 v[134:135], v[134:135], v[148:149]
	v_mul_f64 v[148:149], v[150:151], v[146:147]
	v_mul_f64 v[160:161], v[132:133], v[148:149]
	v_fma_f64 v[132:133], v[148:149], v[132:133], -v[160:161]
	v_fmac_f64_e32 v[132:133], v[148:149], v[32:33]
	v_add_f64 v[32:33], v[160:161], v[132:133]
	v_add_f64 v[162:163], v[146:147], -v[32:33]
	v_add_f64 v[146:147], v[146:147], -v[162:163]
	;; [unrolled: 1-line block ×4, first 2 shown]
	v_add_f64 v[32:33], v[134:135], v[32:33]
	v_add_f64 v[132:133], v[160:161], -v[132:133]
	v_add_f64 v[32:33], v[132:133], v[32:33]
	v_add_f64 v[132:133], v[144:145], v[148:149]
	;; [unrolled: 1-line block ×3, first 2 shown]
	v_add_f64 v[134:135], v[132:133], -v[144:145]
	v_mul_f64 v[32:33], v[150:151], v[32:33]
	v_add_f64 v[134:135], v[148:149], -v[134:135]
	v_add_f64 v[32:33], v[134:135], v[32:33]
	v_add_f64 v[134:135], v[132:133], v[32:33]
	v_add_f64 v[132:133], v[134:135], -v[132:133]
	s_mov_b32 s28, 0xbf559e2b
	v_add_f64 v[32:33], v[32:33], -v[132:133]
	v_mul_f64 v[132:133], v[134:135], v[134:135]
	v_mov_b32_e32 v144, 0x6b47b09a
	v_mov_b32_e32 v145, 0x3fc38538
	s_mov_b32 s29, 0x3fc3ab76
	v_fmac_f64_e32 v[144:145], s[28:29], v[132:133]
	v_mov_b32_e32 v146, 0xd7f4df2e
	v_mov_b32_e32 v147, 0x3fc7474d
	v_fmac_f64_e32 v[146:147], v[132:133], v[144:145]
	v_mov_b32_e32 v144, 0x16291751
	v_mov_b32_e32 v145, 0x3fcc71c0
	;; [unrolled: 3-line block ×5, first 2 shown]
	v_fmac_f64_e32 v[146:147], v[132:133], v[144:145]
	v_cvt_f64_i32_e32 v[144:145], v53
	v_mul_f64 v[148:149], v[144:145], s[40:41]
	v_fma_f64 v[150:151], v[144:145], s[40:41], -v[148:149]
	v_fmac_f64_e32 v[150:151], s[42:43], v[144:145]
	v_add_f64 v[144:145], v[148:149], v[150:151]
	v_add_f64 v[148:149], v[144:145], -v[148:149]
	v_mul_f64 v[132:133], v[134:135], v[132:133]
	v_add_f64 v[148:149], v[150:151], -v[148:149]
	v_ldexp_f64 v[150:151], v[134:135], 1
	v_mul_f64 v[132:133], v[132:133], v[146:147]
	v_add_f64 v[134:135], v[150:151], v[132:133]
	v_add_f64 v[146:147], v[134:135], -v[150:151]
	v_ldexp_f64 v[32:33], v[32:33], 1
	v_add_f64 v[132:133], v[132:133], -v[146:147]
	v_add_f64 v[32:33], v[32:33], v[132:133]
	v_add_f64 v[132:133], v[134:135], v[32:33]
	v_add_f64 v[134:135], v[132:133], -v[134:135]
	v_add_f64 v[32:33], v[32:33], -v[134:135]
	v_add_f64 v[134:135], v[144:145], v[132:133]
	v_add_f64 v[146:147], v[134:135], -v[144:145]
	v_add_f64 v[150:151], v[134:135], -v[146:147]
	;; [unrolled: 1-line block ×4, first 2 shown]
	v_add_f64 v[132:133], v[132:133], v[144:145]
	v_add_f64 v[144:145], v[148:149], v[32:33]
	v_add_f64 v[146:147], v[144:145], -v[148:149]
	v_add_f64 v[132:133], v[144:145], v[132:133]
	v_add_f64 v[150:151], v[144:145], -v[146:147]
	;; [unrolled: 2-line block ×3, first 2 shown]
	v_add_f64 v[32:33], v[32:33], -v[146:147]
	v_add_f64 v[134:135], v[144:145], -v[134:135]
	v_add_f64 v[32:33], v[32:33], v[148:149]
	v_add_f64 v[132:133], v[132:133], -v[134:135]
	s_mov_b32 s28, 0
	v_add_f64 v[32:33], v[32:33], v[132:133]
	s_mov_b32 s29, 0x7ff00000
	v_add_f64 v[32:33], v[144:145], v[32:33]
	v_cmp_eq_f64_e64 s[28:29], s[28:29], v[6:7]
	v_mov_b32_e32 v53, 0x7ff80000
	s_nop 0
	v_cndmask_b32_e64 v32, v32, v6, s[28:29]
	v_cndmask_b32_e64 v33, v33, v7, s[28:29]
	v_cmp_ngt_f64_e64 s[28:29], -1.0, v[6:7]
	s_nop 1
	v_cndmask_b32_e64 v33, v53, v33, s[28:29]
	v_cmp_nge_f64_e64 s[28:29], -1.0, v[6:7]
	v_mov_b32_e32 v53, 0xfff00000
	s_nop 0
	v_cndmask_b32_e64 v32, 0, v32, s[28:29]
	v_cmp_neq_f64_e64 s[28:29], -1.0, v[6:7]
	s_nop 1
	v_cndmask_b32_e64 v33, v53, v33, s[28:29]
	v_add_f64 v[132:133], v[4:5], v[32:33]
.LBB50_292:
	s_or_b64 exec, exec, s[38:39]
	v_max_f64 v[32:33], v[128:129], v[128:129]
	v_max_f64 v[4:5], v[132:133], v[132:133]
	v_min_f64 v[6:7], v[4:5], v[32:33]
	v_cmp_u_f64_e64 s[36:37], v[132:133], v[132:133]
	v_max_f64 v[4:5], v[4:5], v[32:33]
	v_cmp_u_f64_e64 s[28:29], v[128:129], v[128:129]
	v_cndmask_b32_e64 v6, v6, v132, s[36:37]
	v_cndmask_b32_e64 v7, v7, v133, s[36:37]
	;; [unrolled: 1-line block ×8, first 2 shown]
	v_cmp_neq_f64_e64 s[36:37], v[6:7], v[4:5]
	v_cmp_class_f64_e64 s[38:39], v[6:7], s44
	s_or_b64 s[36:37], s[36:37], s[38:39]
	s_and_saveexec_b64 s[40:41], s[36:37]
	s_cbranch_execz .LBB50_294
; %bb.293:
	s_mov_b32 s36, 0x652b82fe
	v_add_f64 v[6:7], v[6:7], -v[4:5]
	s_mov_b32 s37, 0x3ff71547
	v_mul_f64 v[132:133], v[6:7], s[36:37]
	v_rndne_f64_e32 v[132:133], v[132:133]
	s_mov_b32 s43, 0xbfe62e42
	s_mov_b32 s42, 0xfefa39ef
	v_fma_f64 v[134:135], s[42:43], v[132:133], v[6:7]
	s_mov_b32 s45, 0xbc7abc9e
	s_mov_b32 s44, 0x3b39803f
	;; [unrolled: 1-line block ×3, first 2 shown]
	v_fmac_f64_e32 v[134:135], s[44:45], v[132:133]
	v_mov_b32_e32 v144, 0xfca7ab0c
	v_mov_b32_e32 v145, 0x3e928af3
	s_mov_b32 s37, 0x3e5ade15
	v_fmac_f64_e32 v[144:145], s[36:37], v[134:135]
	v_mov_b32_e32 v146, 0x623fde64
	v_mov_b32_e32 v147, 0x3ec71dee
	v_fmac_f64_e32 v[146:147], v[134:135], v[144:145]
	v_mov_b32_e32 v144, 0x7c89e6b0
	v_mov_b32_e32 v145, 0x3efa0199
	;; [unrolled: 3-line block ×8, first 2 shown]
	v_fmac_f64_e32 v[144:145], v[134:135], v[146:147]
	v_fma_f64 v[144:145], v[134:135], v[144:145], 1.0
	s_mov_b32 s36, 0
	s_mov_b32 s38, 0
	v_fma_f64 v[134:135], v[134:135], v[144:145], 1.0
	v_cvt_i32_f64_e32 v53, v[132:133]
	s_mov_b32 s37, 0x40900000
	s_mov_b32 s39, 0xc090cc00
	v_ldexp_f64 v[132:133], v[134:135], v53
	v_mov_b32_e32 v53, 0x7ff00000
	v_cmp_nlt_f64_e64 s[36:37], s[36:37], v[6:7]
	v_cmp_ngt_f64_e64 s[38:39], s[38:39], v[6:7]
	s_mov_b32 s43, 0x3fe62e42
	v_cndmask_b32_e64 v53, v53, v133, s[36:37]
	s_and_b64 s[36:37], s[38:39], s[36:37]
	v_cndmask_b32_e64 v7, 0, v53, s[38:39]
	v_cndmask_b32_e64 v6, 0, v132, s[36:37]
	v_add_f64 v[132:133], v[6:7], 1.0
	v_add_f64 v[134:135], v[132:133], -1.0
	v_add_f64 v[144:145], v[134:135], -v[132:133]
	v_add_f64 v[144:145], v[144:145], 1.0
	v_add_f64 v[134:135], v[6:7], -v[134:135]
	s_mov_b32 s36, 0x55555555
	v_add_f64 v[134:135], v[134:135], v[144:145]
	v_frexp_mant_f64_e32 v[144:145], v[132:133]
	s_mov_b32 s37, 0x3fe55555
	v_frexp_exp_i32_f64_e32 v53, v[132:133]
	v_cmp_gt_f64_e64 s[36:37], s[36:37], v[144:145]
	s_mov_b32 s45, 0x3c7abc9e
	s_nop 0
	v_subbrev_co_u32_e64 v53, s[36:37], 0, v53, s[36:37]
	v_sub_u32_e32 v71, 0, v53
	v_ldexp_f64 v[132:133], v[132:133], v71
	v_add_f64 v[144:145], v[132:133], -1.0
	v_add_f64 v[150:151], v[132:133], 1.0
	v_add_f64 v[146:147], v[144:145], 1.0
	v_add_f64 v[160:161], v[150:151], -1.0
	v_ldexp_f64 v[134:135], v[134:135], v71
	v_add_f64 v[146:147], v[132:133], -v[146:147]
	v_add_f64 v[132:133], v[132:133], -v[160:161]
	v_add_f64 v[132:133], v[134:135], v[132:133]
	v_add_f64 v[146:147], v[134:135], v[146:147]
	v_add_f64 v[134:135], v[150:151], v[132:133]
	v_rcp_f64_e32 v[160:161], v[134:135]
	v_add_f64 v[148:149], v[144:145], v[146:147]
	v_add_f64 v[144:145], v[148:149], -v[144:145]
	v_add_f64 v[144:145], v[146:147], -v[144:145]
	;; [unrolled: 1-line block ×4, first 2 shown]
	v_fma_f64 v[146:147], -v[134:135], v[160:161], 1.0
	v_fmac_f64_e32 v[160:161], v[146:147], v[160:161]
	v_fma_f64 v[146:147], -v[134:135], v[160:161], 1.0
	v_fmac_f64_e32 v[160:161], v[146:147], v[160:161]
	v_mul_f64 v[146:147], v[148:149], v[160:161]
	v_mul_f64 v[150:151], v[134:135], v[146:147]
	v_fma_f64 v[162:163], v[146:147], v[134:135], -v[150:151]
	v_fmac_f64_e32 v[162:163], v[146:147], v[132:133]
	v_add_f64 v[164:165], v[150:151], v[162:163]
	v_add_f64 v[166:167], v[148:149], -v[164:165]
	v_add_f64 v[148:149], v[148:149], -v[166:167]
	;; [unrolled: 1-line block ×4, first 2 shown]
	v_add_f64 v[144:145], v[144:145], v[148:149]
	v_add_f64 v[148:149], v[150:151], -v[162:163]
	v_add_f64 v[144:145], v[148:149], v[144:145]
	v_add_f64 v[148:149], v[166:167], v[144:145]
	v_add_f64 v[150:151], v[166:167], -v[148:149]
	v_add_f64 v[144:145], v[144:145], v[150:151]
	v_mul_f64 v[150:151], v[160:161], v[148:149]
	v_mul_f64 v[162:163], v[134:135], v[150:151]
	v_fma_f64 v[134:135], v[150:151], v[134:135], -v[162:163]
	v_fmac_f64_e32 v[134:135], v[150:151], v[132:133]
	v_add_f64 v[132:133], v[162:163], v[134:135]
	v_add_f64 v[164:165], v[148:149], -v[132:133]
	v_add_f64 v[148:149], v[148:149], -v[164:165]
	;; [unrolled: 1-line block ×4, first 2 shown]
	v_add_f64 v[132:133], v[144:145], v[132:133]
	v_add_f64 v[134:135], v[162:163], -v[134:135]
	v_add_f64 v[132:133], v[134:135], v[132:133]
	v_add_f64 v[134:135], v[146:147], v[150:151]
	;; [unrolled: 1-line block ×3, first 2 shown]
	v_add_f64 v[144:145], v[134:135], -v[146:147]
	v_mul_f64 v[132:133], v[160:161], v[132:133]
	v_add_f64 v[144:145], v[150:151], -v[144:145]
	v_add_f64 v[132:133], v[144:145], v[132:133]
	v_add_f64 v[144:145], v[134:135], v[132:133]
	v_add_f64 v[134:135], v[144:145], -v[134:135]
	s_mov_b32 s36, 0xbf559e2b
	v_add_f64 v[132:133], v[132:133], -v[134:135]
	v_mul_f64 v[134:135], v[144:145], v[144:145]
	v_mov_b32_e32 v146, 0x6b47b09a
	v_mov_b32_e32 v147, 0x3fc38538
	s_mov_b32 s37, 0x3fc3ab76
	v_fmac_f64_e32 v[146:147], s[36:37], v[134:135]
	v_mov_b32_e32 v148, 0xd7f4df2e
	v_mov_b32_e32 v149, 0x3fc7474d
	v_fmac_f64_e32 v[148:149], v[134:135], v[146:147]
	v_mov_b32_e32 v146, 0x16291751
	v_mov_b32_e32 v147, 0x3fcc71c0
	v_fmac_f64_e32 v[146:147], v[134:135], v[148:149]
	v_mov_b32_e32 v148, 0x9b27acf1
	v_mov_b32_e32 v149, 0x3fd24924
	v_fmac_f64_e32 v[148:149], v[134:135], v[146:147]
	v_mov_b32_e32 v146, 0x998ef7b6
	v_mov_b32_e32 v147, 0x3fd99999
	v_fmac_f64_e32 v[146:147], v[134:135], v[148:149]
	v_mov_b32_e32 v148, 0x55555780
	v_mov_b32_e32 v149, 0x3fe55555
	v_fmac_f64_e32 v[148:149], v[134:135], v[146:147]
	v_cvt_f64_i32_e32 v[146:147], v53
	v_mul_f64 v[150:151], v[146:147], s[42:43]
	v_fma_f64 v[160:161], v[146:147], s[42:43], -v[150:151]
	v_fmac_f64_e32 v[160:161], s[44:45], v[146:147]
	v_add_f64 v[146:147], v[150:151], v[160:161]
	v_add_f64 v[150:151], v[146:147], -v[150:151]
	v_mul_f64 v[134:135], v[144:145], v[134:135]
	v_add_f64 v[150:151], v[160:161], -v[150:151]
	v_ldexp_f64 v[160:161], v[144:145], 1
	v_mul_f64 v[134:135], v[134:135], v[148:149]
	v_add_f64 v[144:145], v[160:161], v[134:135]
	v_add_f64 v[148:149], v[144:145], -v[160:161]
	v_ldexp_f64 v[132:133], v[132:133], 1
	v_add_f64 v[134:135], v[134:135], -v[148:149]
	v_add_f64 v[132:133], v[132:133], v[134:135]
	v_add_f64 v[134:135], v[144:145], v[132:133]
	v_add_f64 v[144:145], v[134:135], -v[144:145]
	v_add_f64 v[132:133], v[132:133], -v[144:145]
	v_add_f64 v[144:145], v[146:147], v[134:135]
	v_add_f64 v[148:149], v[144:145], -v[146:147]
	v_add_f64 v[160:161], v[144:145], -v[148:149]
	;; [unrolled: 1-line block ×4, first 2 shown]
	v_add_f64 v[134:135], v[134:135], v[146:147]
	v_add_f64 v[146:147], v[150:151], v[132:133]
	v_add_f64 v[148:149], v[146:147], -v[150:151]
	v_add_f64 v[134:135], v[146:147], v[134:135]
	v_add_f64 v[160:161], v[146:147], -v[148:149]
	;; [unrolled: 2-line block ×3, first 2 shown]
	v_add_f64 v[132:133], v[132:133], -v[148:149]
	v_add_f64 v[144:145], v[146:147], -v[144:145]
	v_add_f64 v[132:133], v[132:133], v[150:151]
	v_add_f64 v[134:135], v[134:135], -v[144:145]
	s_mov_b32 s36, 0
	v_add_f64 v[132:133], v[132:133], v[134:135]
	s_mov_b32 s37, 0x7ff00000
	v_add_f64 v[132:133], v[146:147], v[132:133]
	v_cmp_eq_f64_e64 s[36:37], s[36:37], v[6:7]
	s_nop 1
	v_cndmask_b32_e64 v53, v132, v6, s[36:37]
	v_cndmask_b32_e64 v71, v133, v7, s[36:37]
	v_mov_b32_e32 v132, 0x7ff80000
	v_cmp_ngt_f64_e64 s[36:37], -1.0, v[6:7]
	s_nop 1
	v_cndmask_b32_e64 v71, v132, v71, s[36:37]
	v_cmp_nge_f64_e64 s[36:37], -1.0, v[6:7]
	s_nop 1
	v_cndmask_b32_e64 v132, 0, v53, s[36:37]
	v_mov_b32_e32 v53, 0xfff00000
	v_cmp_neq_f64_e64 s[36:37], -1.0, v[6:7]
	s_nop 1
	v_cndmask_b32_e64 v133, v53, v71, s[36:37]
	v_add_f64 v[132:133], v[4:5], v[132:133]
.LBB50_294:
	s_or_b64 exec, exec, s[40:41]
	v_lshrrev_b32_e32 v4, 5, v70
	v_add_lshl_u32 v4, v4, v70, 3
	v_cmp_gt_u32_e64 s[36:37], 64, v70
	ds_write_b64 v4, v[132:133]
	s_waitcnt lgkmcnt(0)
	s_barrier
	s_and_saveexec_b64 s[42:43], s[36:37]
	s_cbranch_execz .LBB50_334
; %bb.295:
	v_lshlrev_b32_e32 v4, 2, v70
	v_lshrrev_b32_e32 v5, 3, v70
	v_add_lshl_u32 v53, v5, v4, 3
	ds_read2_b64 v[4:7], v53 offset1:1
	s_movk_i32 s52, 0x1f8
	s_waitcnt lgkmcnt(0)
	v_max_f64 v[144:145], v[6:7], v[6:7]
	v_max_f64 v[134:135], v[4:5], v[4:5]
	v_min_f64 v[146:147], v[134:135], v[144:145]
	v_cmp_u_f64_e64 s[36:37], v[4:5], v[4:5]
	v_cmp_u_f64_e64 s[38:39], v[6:7], v[6:7]
	v_max_f64 v[144:145], v[134:135], v[144:145]
	v_cndmask_b32_e64 v71, v146, v4, s[36:37]
	v_cndmask_b32_e64 v146, v147, v5, s[36:37]
	;; [unrolled: 1-line block ×8, first 2 shown]
	v_cmp_neq_f64_e64 s[38:39], v[146:147], v[144:145]
	v_cmp_class_f64_e64 s[40:41], v[146:147], s52
	s_or_b64 s[38:39], s[38:39], s[40:41]
	v_mov_b64_e32 v[6:7], v[4:5]
	s_and_saveexec_b64 s[44:45], s[38:39]
	s_cbranch_execz .LBB50_297
; %bb.296:
	s_mov_b32 s38, 0x652b82fe
	v_add_f64 v[6:7], v[146:147], -v[144:145]
	s_mov_b32 s39, 0x3ff71547
	v_mul_f64 v[146:147], v[6:7], s[38:39]
	v_rndne_f64_e32 v[146:147], v[146:147]
	s_mov_b32 s49, 0xbfe62e42
	s_mov_b32 s48, 0xfefa39ef
	v_fma_f64 v[148:149], s[48:49], v[146:147], v[6:7]
	s_mov_b32 s51, 0xbc7abc9e
	s_mov_b32 s50, 0x3b39803f
	;; [unrolled: 1-line block ×3, first 2 shown]
	v_fmac_f64_e32 v[148:149], s[50:51], v[146:147]
	v_mov_b32_e32 v150, 0xfca7ab0c
	v_mov_b32_e32 v151, 0x3e928af3
	s_mov_b32 s39, 0x3e5ade15
	v_fmac_f64_e32 v[150:151], s[38:39], v[148:149]
	v_mov_b32_e32 v160, 0x623fde64
	v_mov_b32_e32 v161, 0x3ec71dee
	v_fmac_f64_e32 v[160:161], v[148:149], v[150:151]
	v_mov_b32_e32 v150, 0x7c89e6b0
	v_mov_b32_e32 v151, 0x3efa0199
	;; [unrolled: 3-line block ×8, first 2 shown]
	v_fmac_f64_e32 v[150:151], v[148:149], v[160:161]
	v_fma_f64 v[150:151], v[148:149], v[150:151], 1.0
	s_mov_b32 s38, 0
	s_mov_b32 s40, 0
	v_fma_f64 v[148:149], v[148:149], v[150:151], 1.0
	v_cvt_i32_f64_e32 v71, v[146:147]
	s_mov_b32 s39, 0x40900000
	s_mov_b32 s41, 0xc090cc00
	v_ldexp_f64 v[146:147], v[148:149], v71
	v_mov_b32_e32 v71, 0x7ff00000
	v_cmp_nlt_f64_e64 s[38:39], s[38:39], v[6:7]
	v_cmp_ngt_f64_e64 s[40:41], s[40:41], v[6:7]
	s_mov_b32 s49, 0x3fe62e42
	v_cndmask_b32_e64 v71, v71, v147, s[38:39]
	s_and_b64 s[38:39], s[40:41], s[38:39]
	v_cndmask_b32_e64 v7, 0, v71, s[40:41]
	v_cndmask_b32_e64 v6, 0, v146, s[38:39]
	v_add_f64 v[146:147], v[6:7], 1.0
	v_add_f64 v[148:149], v[146:147], -1.0
	v_add_f64 v[150:151], v[148:149], -v[146:147]
	v_add_f64 v[150:151], v[150:151], 1.0
	v_add_f64 v[148:149], v[6:7], -v[148:149]
	s_mov_b32 s38, 0x55555555
	v_add_f64 v[148:149], v[148:149], v[150:151]
	v_frexp_mant_f64_e32 v[150:151], v[146:147]
	s_mov_b32 s39, 0x3fe55555
	v_frexp_exp_i32_f64_e32 v71, v[146:147]
	v_cmp_gt_f64_e64 s[38:39], s[38:39], v[150:151]
	s_mov_b32 s51, 0x3c7abc9e
	s_nop 0
	v_subbrev_co_u32_e64 v71, s[38:39], 0, v71, s[38:39]
	v_sub_u32_e32 v150, 0, v71
	v_ldexp_f64 v[146:147], v[146:147], v150
	v_ldexp_f64 v[148:149], v[148:149], v150
	v_add_f64 v[150:151], v[146:147], -1.0
	v_add_f64 v[164:165], v[146:147], 1.0
	v_add_f64 v[160:161], v[150:151], 1.0
	v_add_f64 v[166:167], v[164:165], -1.0
	v_add_f64 v[160:161], v[146:147], -v[160:161]
	v_add_f64 v[146:147], v[146:147], -v[166:167]
	v_add_f64 v[146:147], v[148:149], v[146:147]
	v_add_f64 v[160:161], v[148:149], v[160:161]
	;; [unrolled: 1-line block ×3, first 2 shown]
	v_rcp_f64_e32 v[166:167], v[148:149]
	v_add_f64 v[162:163], v[150:151], v[160:161]
	v_add_f64 v[150:151], v[162:163], -v[150:151]
	v_add_f64 v[150:151], v[160:161], -v[150:151]
	;; [unrolled: 1-line block ×4, first 2 shown]
	v_fma_f64 v[160:161], -v[148:149], v[166:167], 1.0
	v_fmac_f64_e32 v[166:167], v[160:161], v[166:167]
	v_fma_f64 v[160:161], -v[148:149], v[166:167], 1.0
	v_fmac_f64_e32 v[166:167], v[160:161], v[166:167]
	v_mul_f64 v[160:161], v[162:163], v[166:167]
	v_mul_f64 v[164:165], v[148:149], v[160:161]
	v_fma_f64 v[176:177], v[160:161], v[148:149], -v[164:165]
	v_fmac_f64_e32 v[176:177], v[160:161], v[146:147]
	v_add_f64 v[178:179], v[164:165], v[176:177]
	v_add_f64 v[180:181], v[162:163], -v[178:179]
	v_add_f64 v[162:163], v[162:163], -v[180:181]
	;; [unrolled: 1-line block ×4, first 2 shown]
	v_add_f64 v[150:151], v[150:151], v[162:163]
	v_add_f64 v[162:163], v[164:165], -v[176:177]
	v_add_f64 v[150:151], v[162:163], v[150:151]
	v_add_f64 v[162:163], v[180:181], v[150:151]
	v_add_f64 v[164:165], v[180:181], -v[162:163]
	v_add_f64 v[150:151], v[150:151], v[164:165]
	v_mul_f64 v[164:165], v[166:167], v[162:163]
	v_mul_f64 v[176:177], v[148:149], v[164:165]
	v_fma_f64 v[148:149], v[164:165], v[148:149], -v[176:177]
	v_fmac_f64_e32 v[148:149], v[164:165], v[146:147]
	v_add_f64 v[146:147], v[176:177], v[148:149]
	v_add_f64 v[178:179], v[162:163], -v[146:147]
	v_add_f64 v[162:163], v[162:163], -v[178:179]
	;; [unrolled: 1-line block ×4, first 2 shown]
	v_add_f64 v[146:147], v[150:151], v[146:147]
	v_add_f64 v[148:149], v[176:177], -v[148:149]
	v_add_f64 v[146:147], v[148:149], v[146:147]
	v_add_f64 v[148:149], v[160:161], v[164:165]
	;; [unrolled: 1-line block ×3, first 2 shown]
	v_add_f64 v[150:151], v[148:149], -v[160:161]
	v_mul_f64 v[146:147], v[166:167], v[146:147]
	v_add_f64 v[150:151], v[164:165], -v[150:151]
	v_add_f64 v[146:147], v[150:151], v[146:147]
	v_add_f64 v[150:151], v[148:149], v[146:147]
	v_add_f64 v[148:149], v[150:151], -v[148:149]
	s_mov_b32 s38, 0xbf559e2b
	v_add_f64 v[146:147], v[146:147], -v[148:149]
	v_mul_f64 v[148:149], v[150:151], v[150:151]
	v_mov_b32_e32 v160, 0x6b47b09a
	v_mov_b32_e32 v161, 0x3fc38538
	s_mov_b32 s39, 0x3fc3ab76
	v_fmac_f64_e32 v[160:161], s[38:39], v[148:149]
	v_mov_b32_e32 v162, 0xd7f4df2e
	v_mov_b32_e32 v163, 0x3fc7474d
	v_fmac_f64_e32 v[162:163], v[148:149], v[160:161]
	v_mov_b32_e32 v160, 0x16291751
	v_mov_b32_e32 v161, 0x3fcc71c0
	;; [unrolled: 3-line block ×5, first 2 shown]
	v_fmac_f64_e32 v[162:163], v[148:149], v[160:161]
	v_cvt_f64_i32_e32 v[160:161], v71
	v_mul_f64 v[164:165], v[160:161], s[48:49]
	v_fma_f64 v[166:167], v[160:161], s[48:49], -v[164:165]
	v_fmac_f64_e32 v[166:167], s[50:51], v[160:161]
	v_add_f64 v[160:161], v[164:165], v[166:167]
	v_add_f64 v[164:165], v[160:161], -v[164:165]
	v_mul_f64 v[148:149], v[150:151], v[148:149]
	v_add_f64 v[164:165], v[166:167], -v[164:165]
	v_ldexp_f64 v[166:167], v[150:151], 1
	v_mul_f64 v[148:149], v[148:149], v[162:163]
	v_add_f64 v[150:151], v[166:167], v[148:149]
	v_add_f64 v[162:163], v[150:151], -v[166:167]
	v_ldexp_f64 v[146:147], v[146:147], 1
	v_add_f64 v[148:149], v[148:149], -v[162:163]
	v_add_f64 v[146:147], v[146:147], v[148:149]
	v_add_f64 v[148:149], v[150:151], v[146:147]
	v_add_f64 v[150:151], v[148:149], -v[150:151]
	v_add_f64 v[146:147], v[146:147], -v[150:151]
	v_add_f64 v[150:151], v[160:161], v[148:149]
	v_add_f64 v[162:163], v[150:151], -v[160:161]
	v_add_f64 v[166:167], v[150:151], -v[162:163]
	;; [unrolled: 1-line block ×4, first 2 shown]
	v_add_f64 v[148:149], v[148:149], v[160:161]
	v_add_f64 v[160:161], v[164:165], v[146:147]
	v_add_f64 v[162:163], v[160:161], -v[164:165]
	v_add_f64 v[148:149], v[160:161], v[148:149]
	v_add_f64 v[166:167], v[160:161], -v[162:163]
	v_add_f64 v[160:161], v[150:151], v[148:149]
	v_add_f64 v[164:165], v[164:165], -v[166:167]
	v_add_f64 v[146:147], v[146:147], -v[162:163]
	v_add_f64 v[150:151], v[160:161], -v[150:151]
	v_add_f64 v[146:147], v[146:147], v[164:165]
	v_add_f64 v[148:149], v[148:149], -v[150:151]
	s_mov_b32 s38, 0
	v_add_f64 v[146:147], v[146:147], v[148:149]
	s_mov_b32 s39, 0x7ff00000
	v_add_f64 v[146:147], v[160:161], v[146:147]
	v_cmp_eq_f64_e64 s[38:39], s[38:39], v[6:7]
	s_nop 1
	v_cndmask_b32_e64 v71, v146, v6, s[38:39]
	v_cndmask_b32_e64 v146, v147, v7, s[38:39]
	v_mov_b32_e32 v147, 0x7ff80000
	v_cmp_ngt_f64_e64 s[38:39], -1.0, v[6:7]
	s_nop 1
	v_cndmask_b32_e64 v147, v147, v146, s[38:39]
	v_cmp_nge_f64_e64 s[38:39], -1.0, v[6:7]
	s_nop 1
	v_cndmask_b32_e64 v146, 0, v71, s[38:39]
	v_mov_b32_e32 v71, 0xfff00000
	v_cmp_neq_f64_e64 s[38:39], -1.0, v[6:7]
	s_nop 1
	v_cndmask_b32_e64 v147, v71, v147, s[38:39]
	v_add_f64 v[6:7], v[144:145], v[146:147]
.LBB50_297:
	s_or_b64 exec, exec, s[44:45]
	ds_read_b64 v[144:145], v53 offset:16
	v_max_f64 v[148:149], v[6:7], v[6:7]
	v_cmp_u_f64_e64 s[38:39], v[6:7], v[6:7]
	s_waitcnt lgkmcnt(0)
	v_max_f64 v[150:151], v[144:145], v[144:145]
	v_min_f64 v[146:147], v[148:149], v[150:151]
	v_cndmask_b32_e64 v71, v146, v6, s[38:39]
	v_cndmask_b32_e64 v146, v147, v7, s[38:39]
	v_cmp_u_f64_e64 s[40:41], v[144:145], v[144:145]
	v_max_f64 v[148:149], v[148:149], v[150:151]
	s_nop 0
	v_cndmask_b32_e64 v147, v146, v145, s[40:41]
	v_cndmask_b32_e64 v146, v71, v144, s[40:41]
	;; [unrolled: 1-line block ×6, first 2 shown]
	v_cmp_neq_f64_e64 s[38:39], v[146:147], v[144:145]
	v_cmp_class_f64_e64 s[40:41], v[146:147], s52
	s_or_b64 s[38:39], s[38:39], s[40:41]
	s_and_saveexec_b64 s[44:45], s[38:39]
	s_cbranch_execz .LBB50_299
; %bb.298:
	s_mov_b32 s38, 0x652b82fe
	v_add_f64 v[6:7], v[146:147], -v[144:145]
	s_mov_b32 s39, 0x3ff71547
	v_mul_f64 v[146:147], v[6:7], s[38:39]
	v_rndne_f64_e32 v[146:147], v[146:147]
	s_mov_b32 s49, 0xbfe62e42
	s_mov_b32 s48, 0xfefa39ef
	v_fma_f64 v[148:149], s[48:49], v[146:147], v[6:7]
	s_mov_b32 s51, 0xbc7abc9e
	s_mov_b32 s50, 0x3b39803f
	;; [unrolled: 1-line block ×3, first 2 shown]
	v_fmac_f64_e32 v[148:149], s[50:51], v[146:147]
	v_mov_b32_e32 v150, 0xfca7ab0c
	v_mov_b32_e32 v151, 0x3e928af3
	s_mov_b32 s39, 0x3e5ade15
	v_fmac_f64_e32 v[150:151], s[38:39], v[148:149]
	v_mov_b32_e32 v160, 0x623fde64
	v_mov_b32_e32 v161, 0x3ec71dee
	v_fmac_f64_e32 v[160:161], v[148:149], v[150:151]
	v_mov_b32_e32 v150, 0x7c89e6b0
	v_mov_b32_e32 v151, 0x3efa0199
	;; [unrolled: 3-line block ×8, first 2 shown]
	v_fmac_f64_e32 v[150:151], v[148:149], v[160:161]
	v_fma_f64 v[150:151], v[148:149], v[150:151], 1.0
	s_mov_b32 s38, 0
	s_mov_b32 s40, 0
	v_fma_f64 v[148:149], v[148:149], v[150:151], 1.0
	v_cvt_i32_f64_e32 v71, v[146:147]
	s_mov_b32 s39, 0x40900000
	s_mov_b32 s41, 0xc090cc00
	v_ldexp_f64 v[146:147], v[148:149], v71
	v_mov_b32_e32 v71, 0x7ff00000
	v_cmp_nlt_f64_e64 s[38:39], s[38:39], v[6:7]
	v_cmp_ngt_f64_e64 s[40:41], s[40:41], v[6:7]
	s_mov_b32 s49, 0x3fe62e42
	v_cndmask_b32_e64 v71, v71, v147, s[38:39]
	s_and_b64 s[38:39], s[40:41], s[38:39]
	v_cndmask_b32_e64 v7, 0, v71, s[40:41]
	v_cndmask_b32_e64 v6, 0, v146, s[38:39]
	v_add_f64 v[146:147], v[6:7], 1.0
	v_add_f64 v[148:149], v[146:147], -1.0
	v_add_f64 v[150:151], v[148:149], -v[146:147]
	v_add_f64 v[150:151], v[150:151], 1.0
	v_add_f64 v[148:149], v[6:7], -v[148:149]
	s_mov_b32 s38, 0x55555555
	v_add_f64 v[148:149], v[148:149], v[150:151]
	v_frexp_mant_f64_e32 v[150:151], v[146:147]
	s_mov_b32 s39, 0x3fe55555
	v_frexp_exp_i32_f64_e32 v71, v[146:147]
	v_cmp_gt_f64_e64 s[38:39], s[38:39], v[150:151]
	s_mov_b32 s51, 0x3c7abc9e
	s_nop 0
	v_subbrev_co_u32_e64 v71, s[38:39], 0, v71, s[38:39]
	v_sub_u32_e32 v150, 0, v71
	v_ldexp_f64 v[146:147], v[146:147], v150
	v_ldexp_f64 v[148:149], v[148:149], v150
	v_add_f64 v[150:151], v[146:147], -1.0
	v_add_f64 v[164:165], v[146:147], 1.0
	v_add_f64 v[160:161], v[150:151], 1.0
	v_add_f64 v[166:167], v[164:165], -1.0
	v_add_f64 v[160:161], v[146:147], -v[160:161]
	v_add_f64 v[146:147], v[146:147], -v[166:167]
	v_add_f64 v[146:147], v[148:149], v[146:147]
	v_add_f64 v[160:161], v[148:149], v[160:161]
	;; [unrolled: 1-line block ×3, first 2 shown]
	v_rcp_f64_e32 v[166:167], v[148:149]
	v_add_f64 v[162:163], v[150:151], v[160:161]
	v_add_f64 v[150:151], v[162:163], -v[150:151]
	v_add_f64 v[150:151], v[160:161], -v[150:151]
	;; [unrolled: 1-line block ×4, first 2 shown]
	v_fma_f64 v[160:161], -v[148:149], v[166:167], 1.0
	v_fmac_f64_e32 v[166:167], v[160:161], v[166:167]
	v_fma_f64 v[160:161], -v[148:149], v[166:167], 1.0
	v_fmac_f64_e32 v[166:167], v[160:161], v[166:167]
	v_mul_f64 v[160:161], v[162:163], v[166:167]
	v_mul_f64 v[164:165], v[148:149], v[160:161]
	v_fma_f64 v[176:177], v[160:161], v[148:149], -v[164:165]
	v_fmac_f64_e32 v[176:177], v[160:161], v[146:147]
	v_add_f64 v[178:179], v[164:165], v[176:177]
	v_add_f64 v[180:181], v[162:163], -v[178:179]
	v_add_f64 v[162:163], v[162:163], -v[180:181]
	;; [unrolled: 1-line block ×4, first 2 shown]
	v_add_f64 v[150:151], v[150:151], v[162:163]
	v_add_f64 v[162:163], v[164:165], -v[176:177]
	v_add_f64 v[150:151], v[162:163], v[150:151]
	v_add_f64 v[162:163], v[180:181], v[150:151]
	v_add_f64 v[164:165], v[180:181], -v[162:163]
	v_add_f64 v[150:151], v[150:151], v[164:165]
	v_mul_f64 v[164:165], v[166:167], v[162:163]
	v_mul_f64 v[176:177], v[148:149], v[164:165]
	v_fma_f64 v[148:149], v[164:165], v[148:149], -v[176:177]
	v_fmac_f64_e32 v[148:149], v[164:165], v[146:147]
	v_add_f64 v[146:147], v[176:177], v[148:149]
	v_add_f64 v[178:179], v[162:163], -v[146:147]
	v_add_f64 v[162:163], v[162:163], -v[178:179]
	;; [unrolled: 1-line block ×4, first 2 shown]
	v_add_f64 v[146:147], v[150:151], v[146:147]
	v_add_f64 v[148:149], v[176:177], -v[148:149]
	v_add_f64 v[146:147], v[148:149], v[146:147]
	v_add_f64 v[148:149], v[160:161], v[164:165]
	;; [unrolled: 1-line block ×3, first 2 shown]
	v_add_f64 v[150:151], v[148:149], -v[160:161]
	v_mul_f64 v[146:147], v[166:167], v[146:147]
	v_add_f64 v[150:151], v[164:165], -v[150:151]
	v_add_f64 v[146:147], v[150:151], v[146:147]
	v_add_f64 v[150:151], v[148:149], v[146:147]
	v_add_f64 v[148:149], v[150:151], -v[148:149]
	s_mov_b32 s38, 0xbf559e2b
	v_add_f64 v[146:147], v[146:147], -v[148:149]
	v_mul_f64 v[148:149], v[150:151], v[150:151]
	v_mov_b32_e32 v160, 0x6b47b09a
	v_mov_b32_e32 v161, 0x3fc38538
	s_mov_b32 s39, 0x3fc3ab76
	v_fmac_f64_e32 v[160:161], s[38:39], v[148:149]
	v_mov_b32_e32 v162, 0xd7f4df2e
	v_mov_b32_e32 v163, 0x3fc7474d
	v_fmac_f64_e32 v[162:163], v[148:149], v[160:161]
	v_mov_b32_e32 v160, 0x16291751
	v_mov_b32_e32 v161, 0x3fcc71c0
	;; [unrolled: 3-line block ×5, first 2 shown]
	v_fmac_f64_e32 v[162:163], v[148:149], v[160:161]
	v_cvt_f64_i32_e32 v[160:161], v71
	v_mul_f64 v[164:165], v[160:161], s[48:49]
	v_fma_f64 v[166:167], v[160:161], s[48:49], -v[164:165]
	v_fmac_f64_e32 v[166:167], s[50:51], v[160:161]
	v_add_f64 v[160:161], v[164:165], v[166:167]
	v_add_f64 v[164:165], v[160:161], -v[164:165]
	v_mul_f64 v[148:149], v[150:151], v[148:149]
	v_add_f64 v[164:165], v[166:167], -v[164:165]
	v_ldexp_f64 v[166:167], v[150:151], 1
	v_mul_f64 v[148:149], v[148:149], v[162:163]
	v_add_f64 v[150:151], v[166:167], v[148:149]
	v_add_f64 v[162:163], v[150:151], -v[166:167]
	v_ldexp_f64 v[146:147], v[146:147], 1
	v_add_f64 v[148:149], v[148:149], -v[162:163]
	v_add_f64 v[146:147], v[146:147], v[148:149]
	v_add_f64 v[148:149], v[150:151], v[146:147]
	v_add_f64 v[150:151], v[148:149], -v[150:151]
	v_add_f64 v[146:147], v[146:147], -v[150:151]
	v_add_f64 v[150:151], v[160:161], v[148:149]
	v_add_f64 v[162:163], v[150:151], -v[160:161]
	v_add_f64 v[166:167], v[150:151], -v[162:163]
	;; [unrolled: 1-line block ×4, first 2 shown]
	v_add_f64 v[148:149], v[148:149], v[160:161]
	v_add_f64 v[160:161], v[164:165], v[146:147]
	v_add_f64 v[162:163], v[160:161], -v[164:165]
	v_add_f64 v[148:149], v[160:161], v[148:149]
	v_add_f64 v[166:167], v[160:161], -v[162:163]
	v_add_f64 v[160:161], v[150:151], v[148:149]
	v_add_f64 v[164:165], v[164:165], -v[166:167]
	v_add_f64 v[146:147], v[146:147], -v[162:163]
	v_add_f64 v[150:151], v[160:161], -v[150:151]
	v_add_f64 v[146:147], v[146:147], v[164:165]
	v_add_f64 v[148:149], v[148:149], -v[150:151]
	s_mov_b32 s38, 0
	v_add_f64 v[146:147], v[146:147], v[148:149]
	s_mov_b32 s39, 0x7ff00000
	v_add_f64 v[146:147], v[160:161], v[146:147]
	v_cmp_eq_f64_e64 s[38:39], s[38:39], v[6:7]
	s_nop 1
	v_cndmask_b32_e64 v71, v146, v6, s[38:39]
	v_cndmask_b32_e64 v146, v147, v7, s[38:39]
	v_mov_b32_e32 v147, 0x7ff80000
	v_cmp_ngt_f64_e64 s[38:39], -1.0, v[6:7]
	s_nop 1
	v_cndmask_b32_e64 v147, v147, v146, s[38:39]
	v_cmp_nge_f64_e64 s[38:39], -1.0, v[6:7]
	s_nop 1
	v_cndmask_b32_e64 v146, 0, v71, s[38:39]
	v_mov_b32_e32 v71, 0xfff00000
	v_cmp_neq_f64_e64 s[38:39], -1.0, v[6:7]
	s_nop 1
	v_cndmask_b32_e64 v147, v71, v147, s[38:39]
	v_add_f64 v[6:7], v[144:145], v[146:147]
.LBB50_299:
	s_or_b64 exec, exec, s[44:45]
	ds_read_b64 v[144:145], v53 offset:24
	v_max_f64 v[148:149], v[6:7], v[6:7]
	v_cmp_u_f64_e64 s[38:39], v[6:7], v[6:7]
	s_waitcnt lgkmcnt(0)
	v_max_f64 v[150:151], v[144:145], v[144:145]
	v_min_f64 v[146:147], v[148:149], v[150:151]
	v_cndmask_b32_e64 v71, v146, v6, s[38:39]
	v_cndmask_b32_e64 v146, v147, v7, s[38:39]
	v_cmp_u_f64_e64 s[40:41], v[144:145], v[144:145]
	v_max_f64 v[148:149], v[148:149], v[150:151]
	s_nop 0
	v_cndmask_b32_e64 v147, v146, v145, s[40:41]
	v_cndmask_b32_e64 v146, v71, v144, s[40:41]
	;; [unrolled: 1-line block ×6, first 2 shown]
	s_movk_i32 s40, 0x1f8
	v_cmp_neq_f64_e64 s[38:39], v[146:147], v[144:145]
	v_cmp_class_f64_e64 s[40:41], v[146:147], s40
	s_or_b64 s[38:39], s[38:39], s[40:41]
	s_and_saveexec_b64 s[44:45], s[38:39]
	s_cbranch_execz .LBB50_301
; %bb.300:
	s_mov_b32 s38, 0x652b82fe
	v_add_f64 v[6:7], v[146:147], -v[144:145]
	s_mov_b32 s39, 0x3ff71547
	v_mul_f64 v[146:147], v[6:7], s[38:39]
	v_rndne_f64_e32 v[146:147], v[146:147]
	s_mov_b32 s49, 0xbfe62e42
	s_mov_b32 s48, 0xfefa39ef
	v_fma_f64 v[148:149], s[48:49], v[146:147], v[6:7]
	s_mov_b32 s51, 0xbc7abc9e
	s_mov_b32 s50, 0x3b39803f
	;; [unrolled: 1-line block ×3, first 2 shown]
	v_fmac_f64_e32 v[148:149], s[50:51], v[146:147]
	v_mov_b32_e32 v150, 0xfca7ab0c
	v_mov_b32_e32 v151, 0x3e928af3
	s_mov_b32 s39, 0x3e5ade15
	v_fmac_f64_e32 v[150:151], s[38:39], v[148:149]
	v_mov_b32_e32 v160, 0x623fde64
	v_mov_b32_e32 v161, 0x3ec71dee
	v_fmac_f64_e32 v[160:161], v[148:149], v[150:151]
	v_mov_b32_e32 v150, 0x7c89e6b0
	v_mov_b32_e32 v151, 0x3efa0199
	;; [unrolled: 3-line block ×8, first 2 shown]
	v_fmac_f64_e32 v[150:151], v[148:149], v[160:161]
	v_fma_f64 v[150:151], v[148:149], v[150:151], 1.0
	s_mov_b32 s38, 0
	s_mov_b32 s40, 0
	v_fma_f64 v[148:149], v[148:149], v[150:151], 1.0
	v_cvt_i32_f64_e32 v71, v[146:147]
	s_mov_b32 s39, 0x40900000
	s_mov_b32 s41, 0xc090cc00
	v_ldexp_f64 v[146:147], v[148:149], v71
	v_mov_b32_e32 v71, 0x7ff00000
	v_cmp_nlt_f64_e64 s[38:39], s[38:39], v[6:7]
	v_cmp_ngt_f64_e64 s[40:41], s[40:41], v[6:7]
	s_mov_b32 s49, 0x3fe62e42
	v_cndmask_b32_e64 v71, v71, v147, s[38:39]
	s_and_b64 s[38:39], s[40:41], s[38:39]
	v_cndmask_b32_e64 v7, 0, v71, s[40:41]
	v_cndmask_b32_e64 v6, 0, v146, s[38:39]
	v_add_f64 v[146:147], v[6:7], 1.0
	v_add_f64 v[148:149], v[146:147], -1.0
	v_add_f64 v[150:151], v[148:149], -v[146:147]
	v_add_f64 v[150:151], v[150:151], 1.0
	v_add_f64 v[148:149], v[6:7], -v[148:149]
	s_mov_b32 s38, 0x55555555
	v_add_f64 v[148:149], v[148:149], v[150:151]
	v_frexp_mant_f64_e32 v[150:151], v[146:147]
	s_mov_b32 s39, 0x3fe55555
	v_frexp_exp_i32_f64_e32 v71, v[146:147]
	v_cmp_gt_f64_e64 s[38:39], s[38:39], v[150:151]
	s_mov_b32 s51, 0x3c7abc9e
	s_nop 0
	v_subbrev_co_u32_e64 v71, s[38:39], 0, v71, s[38:39]
	v_sub_u32_e32 v150, 0, v71
	v_ldexp_f64 v[146:147], v[146:147], v150
	v_ldexp_f64 v[148:149], v[148:149], v150
	v_add_f64 v[150:151], v[146:147], -1.0
	v_add_f64 v[164:165], v[146:147], 1.0
	v_add_f64 v[160:161], v[150:151], 1.0
	v_add_f64 v[166:167], v[164:165], -1.0
	v_add_f64 v[160:161], v[146:147], -v[160:161]
	v_add_f64 v[146:147], v[146:147], -v[166:167]
	v_add_f64 v[146:147], v[148:149], v[146:147]
	v_add_f64 v[160:161], v[148:149], v[160:161]
	;; [unrolled: 1-line block ×3, first 2 shown]
	v_rcp_f64_e32 v[166:167], v[148:149]
	v_add_f64 v[162:163], v[150:151], v[160:161]
	v_add_f64 v[150:151], v[162:163], -v[150:151]
	v_add_f64 v[150:151], v[160:161], -v[150:151]
	;; [unrolled: 1-line block ×4, first 2 shown]
	v_fma_f64 v[160:161], -v[148:149], v[166:167], 1.0
	v_fmac_f64_e32 v[166:167], v[160:161], v[166:167]
	v_fma_f64 v[160:161], -v[148:149], v[166:167], 1.0
	v_fmac_f64_e32 v[166:167], v[160:161], v[166:167]
	v_mul_f64 v[160:161], v[162:163], v[166:167]
	v_mul_f64 v[164:165], v[148:149], v[160:161]
	v_fma_f64 v[176:177], v[160:161], v[148:149], -v[164:165]
	v_fmac_f64_e32 v[176:177], v[160:161], v[146:147]
	v_add_f64 v[178:179], v[164:165], v[176:177]
	v_add_f64 v[180:181], v[162:163], -v[178:179]
	v_add_f64 v[162:163], v[162:163], -v[180:181]
	;; [unrolled: 1-line block ×4, first 2 shown]
	v_add_f64 v[150:151], v[150:151], v[162:163]
	v_add_f64 v[162:163], v[164:165], -v[176:177]
	v_add_f64 v[150:151], v[162:163], v[150:151]
	v_add_f64 v[162:163], v[180:181], v[150:151]
	v_add_f64 v[164:165], v[180:181], -v[162:163]
	v_add_f64 v[150:151], v[150:151], v[164:165]
	v_mul_f64 v[164:165], v[166:167], v[162:163]
	v_mul_f64 v[176:177], v[148:149], v[164:165]
	v_fma_f64 v[148:149], v[164:165], v[148:149], -v[176:177]
	v_fmac_f64_e32 v[148:149], v[164:165], v[146:147]
	v_add_f64 v[146:147], v[176:177], v[148:149]
	v_add_f64 v[178:179], v[162:163], -v[146:147]
	v_add_f64 v[162:163], v[162:163], -v[178:179]
	v_add_f64 v[176:177], v[146:147], -v[176:177]
	v_add_f64 v[146:147], v[162:163], -v[146:147]
	v_add_f64 v[146:147], v[150:151], v[146:147]
	v_add_f64 v[148:149], v[176:177], -v[148:149]
	v_add_f64 v[146:147], v[148:149], v[146:147]
	v_add_f64 v[148:149], v[160:161], v[164:165]
	;; [unrolled: 1-line block ×3, first 2 shown]
	v_add_f64 v[150:151], v[148:149], -v[160:161]
	v_mul_f64 v[146:147], v[166:167], v[146:147]
	v_add_f64 v[150:151], v[164:165], -v[150:151]
	v_add_f64 v[146:147], v[150:151], v[146:147]
	v_add_f64 v[150:151], v[148:149], v[146:147]
	v_add_f64 v[148:149], v[150:151], -v[148:149]
	s_mov_b32 s38, 0xbf559e2b
	v_add_f64 v[146:147], v[146:147], -v[148:149]
	v_mul_f64 v[148:149], v[150:151], v[150:151]
	v_mov_b32_e32 v160, 0x6b47b09a
	v_mov_b32_e32 v161, 0x3fc38538
	s_mov_b32 s39, 0x3fc3ab76
	v_fmac_f64_e32 v[160:161], s[38:39], v[148:149]
	v_mov_b32_e32 v162, 0xd7f4df2e
	v_mov_b32_e32 v163, 0x3fc7474d
	v_fmac_f64_e32 v[162:163], v[148:149], v[160:161]
	v_mov_b32_e32 v160, 0x16291751
	v_mov_b32_e32 v161, 0x3fcc71c0
	;; [unrolled: 3-line block ×5, first 2 shown]
	v_fmac_f64_e32 v[162:163], v[148:149], v[160:161]
	v_cvt_f64_i32_e32 v[160:161], v71
	v_mul_f64 v[164:165], v[160:161], s[48:49]
	v_fma_f64 v[166:167], v[160:161], s[48:49], -v[164:165]
	v_fmac_f64_e32 v[166:167], s[50:51], v[160:161]
	v_add_f64 v[160:161], v[164:165], v[166:167]
	v_add_f64 v[164:165], v[160:161], -v[164:165]
	v_mul_f64 v[148:149], v[150:151], v[148:149]
	v_add_f64 v[164:165], v[166:167], -v[164:165]
	v_ldexp_f64 v[166:167], v[150:151], 1
	v_mul_f64 v[148:149], v[148:149], v[162:163]
	v_add_f64 v[150:151], v[166:167], v[148:149]
	v_add_f64 v[162:163], v[150:151], -v[166:167]
	v_ldexp_f64 v[146:147], v[146:147], 1
	v_add_f64 v[148:149], v[148:149], -v[162:163]
	v_add_f64 v[146:147], v[146:147], v[148:149]
	v_add_f64 v[148:149], v[150:151], v[146:147]
	v_add_f64 v[150:151], v[148:149], -v[150:151]
	v_add_f64 v[146:147], v[146:147], -v[150:151]
	v_add_f64 v[150:151], v[160:161], v[148:149]
	v_add_f64 v[162:163], v[150:151], -v[160:161]
	v_add_f64 v[166:167], v[150:151], -v[162:163]
	;; [unrolled: 1-line block ×4, first 2 shown]
	v_add_f64 v[148:149], v[148:149], v[160:161]
	v_add_f64 v[160:161], v[164:165], v[146:147]
	v_add_f64 v[162:163], v[160:161], -v[164:165]
	v_add_f64 v[148:149], v[160:161], v[148:149]
	v_add_f64 v[166:167], v[160:161], -v[162:163]
	;; [unrolled: 2-line block ×3, first 2 shown]
	v_add_f64 v[146:147], v[146:147], -v[162:163]
	v_add_f64 v[150:151], v[160:161], -v[150:151]
	v_add_f64 v[146:147], v[146:147], v[164:165]
	v_add_f64 v[148:149], v[148:149], -v[150:151]
	s_mov_b32 s38, 0
	v_add_f64 v[146:147], v[146:147], v[148:149]
	s_mov_b32 s39, 0x7ff00000
	v_add_f64 v[146:147], v[160:161], v[146:147]
	v_cmp_eq_f64_e64 s[38:39], s[38:39], v[6:7]
	s_nop 1
	v_cndmask_b32_e64 v71, v146, v6, s[38:39]
	v_cndmask_b32_e64 v146, v147, v7, s[38:39]
	v_mov_b32_e32 v147, 0x7ff80000
	v_cmp_ngt_f64_e64 s[38:39], -1.0, v[6:7]
	s_nop 1
	v_cndmask_b32_e64 v147, v147, v146, s[38:39]
	v_cmp_nge_f64_e64 s[38:39], -1.0, v[6:7]
	s_nop 1
	v_cndmask_b32_e64 v146, 0, v71, s[38:39]
	v_mov_b32_e32 v71, 0xfff00000
	v_cmp_neq_f64_e64 s[38:39], -1.0, v[6:7]
	s_nop 1
	v_cndmask_b32_e64 v147, v71, v147, s[38:39]
	v_add_f64 v[6:7], v[144:145], v[146:147]
.LBB50_301:
	s_or_b64 exec, exec, s[44:45]
	v_mbcnt_lo_u32_b32 v71, -1, 0
	v_mbcnt_hi_u32_b32 v71, -1, v71
	v_and_b32_e32 v148, 15, v71
	v_mov_b32_dpp v144, v6 row_shr:1 row_mask:0xf bank_mask:0xf
	v_mov_b32_dpp v145, v7 row_shr:1 row_mask:0xf bank_mask:0xf
	v_cmp_ne_u32_e64 s[38:39], 0, v148
	v_mov_b32_e32 v146, v6
	v_mov_b32_e32 v147, v7
	s_and_saveexec_b64 s[40:41], s[38:39]
	s_xor_b64 s[44:45], exec, s[40:41]
	s_cbranch_execz .LBB50_305
; %bb.302:
	v_max_f64 v[150:151], v[144:145], v[144:145]
	v_max_f64 v[160:161], v[6:7], v[6:7]
	v_min_f64 v[146:147], v[150:151], v[160:161]
	v_cmp_u_f64_e64 s[38:39], v[144:145], v[144:145]
	v_max_f64 v[150:151], v[150:151], v[160:161]
	v_cmp_u_f64_e64 s[40:41], v[6:7], v[6:7]
	v_cndmask_b32_e64 v146, v146, v144, s[38:39]
	v_cndmask_b32_e64 v147, v147, v145, s[38:39]
	;; [unrolled: 1-line block ×8, first 2 shown]
	s_movk_i32 s40, 0x1f8
	v_cmp_neq_f64_e64 s[38:39], v[146:147], v[6:7]
	v_cmp_class_f64_e64 s[40:41], v[146:147], s40
	s_or_b64 s[38:39], s[38:39], s[40:41]
	s_and_saveexec_b64 s[48:49], s[38:39]
	s_cbranch_execz .LBB50_304
; %bb.303:
	s_mov_b32 s38, 0x652b82fe
	v_add_f64 v[144:145], v[146:147], -v[6:7]
	s_mov_b32 s39, 0x3ff71547
	v_mul_f64 v[146:147], v[144:145], s[38:39]
	v_rndne_f64_e32 v[146:147], v[146:147]
	s_mov_b32 s51, 0xbfe62e42
	s_mov_b32 s50, 0xfefa39ef
	v_fma_f64 v[150:151], s[50:51], v[146:147], v[144:145]
	s_mov_b32 s53, 0xbc7abc9e
	s_mov_b32 s52, 0x3b39803f
	;; [unrolled: 1-line block ×3, first 2 shown]
	v_fmac_f64_e32 v[150:151], s[52:53], v[146:147]
	v_mov_b32_e32 v160, 0xfca7ab0c
	v_mov_b32_e32 v161, 0x3e928af3
	s_mov_b32 s39, 0x3e5ade15
	v_fmac_f64_e32 v[160:161], s[38:39], v[150:151]
	v_mov_b32_e32 v162, 0x623fde64
	v_mov_b32_e32 v163, 0x3ec71dee
	v_fmac_f64_e32 v[162:163], v[150:151], v[160:161]
	v_mov_b32_e32 v160, 0x7c89e6b0
	v_mov_b32_e32 v161, 0x3efa0199
	;; [unrolled: 3-line block ×8, first 2 shown]
	v_fmac_f64_e32 v[160:161], v[150:151], v[162:163]
	v_fma_f64 v[160:161], v[150:151], v[160:161], 1.0
	s_mov_b32 s38, 0
	s_mov_b32 s40, 0
	v_fma_f64 v[150:151], v[150:151], v[160:161], 1.0
	v_cvt_i32_f64_e32 v146, v[146:147]
	s_mov_b32 s39, 0x40900000
	s_mov_b32 s41, 0xc090cc00
	v_ldexp_f64 v[146:147], v[150:151], v146
	v_mov_b32_e32 v149, 0x7ff00000
	v_cmp_nlt_f64_e64 s[38:39], s[38:39], v[144:145]
	v_cmp_ngt_f64_e64 s[40:41], s[40:41], v[144:145]
	s_mov_b32 s51, 0x3fe62e42
	v_cndmask_b32_e64 v147, v149, v147, s[38:39]
	s_and_b64 s[38:39], s[40:41], s[38:39]
	v_cndmask_b32_e64 v145, 0, v147, s[40:41]
	v_cndmask_b32_e64 v144, 0, v146, s[38:39]
	v_add_f64 v[146:147], v[144:145], 1.0
	v_add_f64 v[150:151], v[146:147], -1.0
	v_add_f64 v[160:161], v[150:151], -v[146:147]
	v_add_f64 v[160:161], v[160:161], 1.0
	v_add_f64 v[150:151], v[144:145], -v[150:151]
	s_mov_b32 s38, 0x55555555
	v_add_f64 v[150:151], v[150:151], v[160:161]
	v_frexp_mant_f64_e32 v[160:161], v[146:147]
	s_mov_b32 s39, 0x3fe55555
	v_frexp_exp_i32_f64_e32 v149, v[146:147]
	v_cmp_gt_f64_e64 s[38:39], s[38:39], v[160:161]
	s_mov_b32 s53, 0x3c7abc9e
	s_nop 0
	v_subbrev_co_u32_e64 v149, s[38:39], 0, v149, s[38:39]
	v_sub_u32_e32 v160, 0, v149
	v_ldexp_f64 v[146:147], v[146:147], v160
	v_ldexp_f64 v[150:151], v[150:151], v160
	v_add_f64 v[160:161], v[146:147], -1.0
	v_add_f64 v[166:167], v[146:147], 1.0
	v_add_f64 v[162:163], v[160:161], 1.0
	v_add_f64 v[176:177], v[166:167], -1.0
	v_add_f64 v[162:163], v[146:147], -v[162:163]
	v_add_f64 v[146:147], v[146:147], -v[176:177]
	v_add_f64 v[146:147], v[150:151], v[146:147]
	v_add_f64 v[162:163], v[150:151], v[162:163]
	;; [unrolled: 1-line block ×3, first 2 shown]
	v_rcp_f64_e32 v[176:177], v[150:151]
	v_add_f64 v[164:165], v[160:161], v[162:163]
	v_add_f64 v[160:161], v[164:165], -v[160:161]
	v_add_f64 v[160:161], v[162:163], -v[160:161]
	;; [unrolled: 1-line block ×4, first 2 shown]
	v_fma_f64 v[162:163], -v[150:151], v[176:177], 1.0
	v_fmac_f64_e32 v[176:177], v[162:163], v[176:177]
	v_fma_f64 v[162:163], -v[150:151], v[176:177], 1.0
	v_fmac_f64_e32 v[176:177], v[162:163], v[176:177]
	v_mul_f64 v[162:163], v[164:165], v[176:177]
	v_mul_f64 v[166:167], v[150:151], v[162:163]
	v_fma_f64 v[178:179], v[162:163], v[150:151], -v[166:167]
	v_fmac_f64_e32 v[178:179], v[162:163], v[146:147]
	v_add_f64 v[180:181], v[166:167], v[178:179]
	v_add_f64 v[182:183], v[164:165], -v[180:181]
	v_add_f64 v[164:165], v[164:165], -v[182:183]
	;; [unrolled: 1-line block ×4, first 2 shown]
	v_add_f64 v[160:161], v[160:161], v[164:165]
	v_add_f64 v[164:165], v[166:167], -v[178:179]
	v_add_f64 v[160:161], v[164:165], v[160:161]
	v_add_f64 v[164:165], v[182:183], v[160:161]
	v_add_f64 v[166:167], v[182:183], -v[164:165]
	v_add_f64 v[160:161], v[160:161], v[166:167]
	v_mul_f64 v[166:167], v[176:177], v[164:165]
	v_mul_f64 v[178:179], v[150:151], v[166:167]
	v_fma_f64 v[150:151], v[166:167], v[150:151], -v[178:179]
	v_fmac_f64_e32 v[150:151], v[166:167], v[146:147]
	v_add_f64 v[146:147], v[178:179], v[150:151]
	v_add_f64 v[180:181], v[164:165], -v[146:147]
	v_add_f64 v[164:165], v[164:165], -v[180:181]
	;; [unrolled: 1-line block ×4, first 2 shown]
	v_add_f64 v[146:147], v[160:161], v[146:147]
	v_add_f64 v[150:151], v[178:179], -v[150:151]
	v_add_f64 v[146:147], v[150:151], v[146:147]
	v_add_f64 v[150:151], v[162:163], v[166:167]
	;; [unrolled: 1-line block ×3, first 2 shown]
	v_add_f64 v[160:161], v[150:151], -v[162:163]
	v_mul_f64 v[146:147], v[176:177], v[146:147]
	v_add_f64 v[160:161], v[166:167], -v[160:161]
	v_add_f64 v[146:147], v[160:161], v[146:147]
	v_add_f64 v[160:161], v[150:151], v[146:147]
	v_add_f64 v[150:151], v[160:161], -v[150:151]
	s_mov_b32 s38, 0xbf559e2b
	v_add_f64 v[146:147], v[146:147], -v[150:151]
	v_mul_f64 v[150:151], v[160:161], v[160:161]
	v_mov_b32_e32 v162, 0x6b47b09a
	v_mov_b32_e32 v163, 0x3fc38538
	s_mov_b32 s39, 0x3fc3ab76
	v_fmac_f64_e32 v[162:163], s[38:39], v[150:151]
	v_mov_b32_e32 v164, 0xd7f4df2e
	v_mov_b32_e32 v165, 0x3fc7474d
	v_fmac_f64_e32 v[164:165], v[150:151], v[162:163]
	v_mov_b32_e32 v162, 0x16291751
	v_mov_b32_e32 v163, 0x3fcc71c0
	;; [unrolled: 3-line block ×5, first 2 shown]
	v_fmac_f64_e32 v[164:165], v[150:151], v[162:163]
	v_cvt_f64_i32_e32 v[162:163], v149
	v_mul_f64 v[166:167], v[162:163], s[50:51]
	v_fma_f64 v[176:177], v[162:163], s[50:51], -v[166:167]
	v_fmac_f64_e32 v[176:177], s[52:53], v[162:163]
	v_add_f64 v[162:163], v[166:167], v[176:177]
	v_add_f64 v[166:167], v[162:163], -v[166:167]
	v_mul_f64 v[150:151], v[160:161], v[150:151]
	v_add_f64 v[166:167], v[176:177], -v[166:167]
	v_ldexp_f64 v[176:177], v[160:161], 1
	v_mul_f64 v[150:151], v[150:151], v[164:165]
	v_add_f64 v[160:161], v[176:177], v[150:151]
	v_add_f64 v[164:165], v[160:161], -v[176:177]
	v_ldexp_f64 v[146:147], v[146:147], 1
	v_add_f64 v[150:151], v[150:151], -v[164:165]
	v_add_f64 v[146:147], v[146:147], v[150:151]
	v_add_f64 v[150:151], v[160:161], v[146:147]
	v_add_f64 v[160:161], v[150:151], -v[160:161]
	v_add_f64 v[146:147], v[146:147], -v[160:161]
	v_add_f64 v[160:161], v[162:163], v[150:151]
	v_add_f64 v[164:165], v[160:161], -v[162:163]
	v_add_f64 v[176:177], v[160:161], -v[164:165]
	;; [unrolled: 1-line block ×4, first 2 shown]
	v_add_f64 v[150:151], v[150:151], v[162:163]
	v_add_f64 v[162:163], v[166:167], v[146:147]
	v_add_f64 v[164:165], v[162:163], -v[166:167]
	v_add_f64 v[150:151], v[162:163], v[150:151]
	v_add_f64 v[176:177], v[162:163], -v[164:165]
	v_add_f64 v[162:163], v[160:161], v[150:151]
	v_add_f64 v[166:167], v[166:167], -v[176:177]
	v_add_f64 v[146:147], v[146:147], -v[164:165]
	v_add_f64 v[160:161], v[162:163], -v[160:161]
	v_add_f64 v[146:147], v[146:147], v[166:167]
	v_add_f64 v[150:151], v[150:151], -v[160:161]
	s_mov_b32 s38, 0
	v_add_f64 v[146:147], v[146:147], v[150:151]
	s_mov_b32 s39, 0x7ff00000
	v_add_f64 v[146:147], v[162:163], v[146:147]
	v_cmp_eq_f64_e64 s[38:39], s[38:39], v[144:145]
	v_mov_b32_e32 v149, 0x7ff80000
	s_nop 0
	v_cndmask_b32_e64 v146, v146, v144, s[38:39]
	v_cndmask_b32_e64 v147, v147, v145, s[38:39]
	v_cmp_ngt_f64_e64 s[38:39], -1.0, v[144:145]
	s_nop 1
	v_cndmask_b32_e64 v147, v149, v147, s[38:39]
	v_cmp_nge_f64_e64 s[38:39], -1.0, v[144:145]
	v_mov_b32_e32 v149, 0xfff00000
	s_nop 0
	v_cndmask_b32_e64 v146, 0, v146, s[38:39]
	v_cmp_neq_f64_e64 s[38:39], -1.0, v[144:145]
	s_nop 1
	v_cndmask_b32_e64 v147, v149, v147, s[38:39]
	v_add_f64 v[144:145], v[6:7], v[146:147]
.LBB50_304:
	s_or_b64 exec, exec, s[48:49]
	v_mov_b32_e32 v146, v144
	v_mov_b32_e32 v147, v145
	v_mov_b64_e32 v[6:7], v[144:145]
.LBB50_305:
	s_or_b64 exec, exec, s[44:45]
	v_mov_b32_dpp v144, v146 row_shr:2 row_mask:0xf bank_mask:0xf
	v_mov_b32_dpp v145, v147 row_shr:2 row_mask:0xf bank_mask:0xf
	v_cmp_lt_u32_e64 s[38:39], 1, v148
	s_and_saveexec_b64 s[44:45], s[38:39]
	s_cbranch_execz .LBB50_309
; %bb.306:
	v_max_f64 v[150:151], v[144:145], v[144:145]
	v_max_f64 v[160:161], v[6:7], v[6:7]
	v_min_f64 v[146:147], v[150:151], v[160:161]
	v_cmp_u_f64_e64 s[38:39], v[144:145], v[144:145]
	v_max_f64 v[150:151], v[150:151], v[160:161]
	v_cmp_u_f64_e64 s[40:41], v[6:7], v[6:7]
	v_cndmask_b32_e64 v146, v146, v144, s[38:39]
	v_cndmask_b32_e64 v147, v147, v145, s[38:39]
	;; [unrolled: 1-line block ×8, first 2 shown]
	s_movk_i32 s40, 0x1f8
	v_cmp_neq_f64_e64 s[38:39], v[146:147], v[6:7]
	v_cmp_class_f64_e64 s[40:41], v[146:147], s40
	s_or_b64 s[38:39], s[38:39], s[40:41]
	s_and_saveexec_b64 s[48:49], s[38:39]
	s_cbranch_execz .LBB50_308
; %bb.307:
	s_mov_b32 s38, 0x652b82fe
	v_add_f64 v[144:145], v[146:147], -v[6:7]
	s_mov_b32 s39, 0x3ff71547
	v_mul_f64 v[146:147], v[144:145], s[38:39]
	v_rndne_f64_e32 v[146:147], v[146:147]
	s_mov_b32 s51, 0xbfe62e42
	s_mov_b32 s50, 0xfefa39ef
	v_fma_f64 v[150:151], s[50:51], v[146:147], v[144:145]
	s_mov_b32 s53, 0xbc7abc9e
	s_mov_b32 s52, 0x3b39803f
	;; [unrolled: 1-line block ×3, first 2 shown]
	v_fmac_f64_e32 v[150:151], s[52:53], v[146:147]
	v_mov_b32_e32 v160, 0xfca7ab0c
	v_mov_b32_e32 v161, 0x3e928af3
	s_mov_b32 s39, 0x3e5ade15
	v_fmac_f64_e32 v[160:161], s[38:39], v[150:151]
	v_mov_b32_e32 v162, 0x623fde64
	v_mov_b32_e32 v163, 0x3ec71dee
	v_fmac_f64_e32 v[162:163], v[150:151], v[160:161]
	v_mov_b32_e32 v160, 0x7c89e6b0
	v_mov_b32_e32 v161, 0x3efa0199
	;; [unrolled: 3-line block ×8, first 2 shown]
	v_fmac_f64_e32 v[160:161], v[150:151], v[162:163]
	v_fma_f64 v[160:161], v[150:151], v[160:161], 1.0
	s_mov_b32 s38, 0
	s_mov_b32 s40, 0
	v_fma_f64 v[150:151], v[150:151], v[160:161], 1.0
	v_cvt_i32_f64_e32 v146, v[146:147]
	s_mov_b32 s39, 0x40900000
	s_mov_b32 s41, 0xc090cc00
	v_ldexp_f64 v[146:147], v[150:151], v146
	v_mov_b32_e32 v149, 0x7ff00000
	v_cmp_nlt_f64_e64 s[38:39], s[38:39], v[144:145]
	v_cmp_ngt_f64_e64 s[40:41], s[40:41], v[144:145]
	s_mov_b32 s51, 0x3fe62e42
	v_cndmask_b32_e64 v147, v149, v147, s[38:39]
	s_and_b64 s[38:39], s[40:41], s[38:39]
	v_cndmask_b32_e64 v145, 0, v147, s[40:41]
	v_cndmask_b32_e64 v144, 0, v146, s[38:39]
	v_add_f64 v[146:147], v[144:145], 1.0
	v_add_f64 v[150:151], v[146:147], -1.0
	v_add_f64 v[160:161], v[150:151], -v[146:147]
	v_add_f64 v[160:161], v[160:161], 1.0
	v_add_f64 v[150:151], v[144:145], -v[150:151]
	s_mov_b32 s38, 0x55555555
	v_add_f64 v[150:151], v[150:151], v[160:161]
	v_frexp_mant_f64_e32 v[160:161], v[146:147]
	s_mov_b32 s39, 0x3fe55555
	v_frexp_exp_i32_f64_e32 v149, v[146:147]
	v_cmp_gt_f64_e64 s[38:39], s[38:39], v[160:161]
	s_mov_b32 s53, 0x3c7abc9e
	s_nop 0
	v_subbrev_co_u32_e64 v149, s[38:39], 0, v149, s[38:39]
	v_sub_u32_e32 v160, 0, v149
	v_ldexp_f64 v[146:147], v[146:147], v160
	v_ldexp_f64 v[150:151], v[150:151], v160
	v_add_f64 v[160:161], v[146:147], -1.0
	v_add_f64 v[166:167], v[146:147], 1.0
	v_add_f64 v[162:163], v[160:161], 1.0
	v_add_f64 v[176:177], v[166:167], -1.0
	v_add_f64 v[162:163], v[146:147], -v[162:163]
	v_add_f64 v[146:147], v[146:147], -v[176:177]
	v_add_f64 v[146:147], v[150:151], v[146:147]
	v_add_f64 v[162:163], v[150:151], v[162:163]
	;; [unrolled: 1-line block ×3, first 2 shown]
	v_rcp_f64_e32 v[176:177], v[150:151]
	v_add_f64 v[164:165], v[160:161], v[162:163]
	v_add_f64 v[160:161], v[164:165], -v[160:161]
	v_add_f64 v[160:161], v[162:163], -v[160:161]
	;; [unrolled: 1-line block ×4, first 2 shown]
	v_fma_f64 v[162:163], -v[150:151], v[176:177], 1.0
	v_fmac_f64_e32 v[176:177], v[162:163], v[176:177]
	v_fma_f64 v[162:163], -v[150:151], v[176:177], 1.0
	v_fmac_f64_e32 v[176:177], v[162:163], v[176:177]
	v_mul_f64 v[162:163], v[164:165], v[176:177]
	v_mul_f64 v[166:167], v[150:151], v[162:163]
	v_fma_f64 v[178:179], v[162:163], v[150:151], -v[166:167]
	v_fmac_f64_e32 v[178:179], v[162:163], v[146:147]
	v_add_f64 v[180:181], v[166:167], v[178:179]
	v_add_f64 v[182:183], v[164:165], -v[180:181]
	v_add_f64 v[164:165], v[164:165], -v[182:183]
	;; [unrolled: 1-line block ×4, first 2 shown]
	v_add_f64 v[160:161], v[160:161], v[164:165]
	v_add_f64 v[164:165], v[166:167], -v[178:179]
	v_add_f64 v[160:161], v[164:165], v[160:161]
	v_add_f64 v[164:165], v[182:183], v[160:161]
	v_add_f64 v[166:167], v[182:183], -v[164:165]
	v_add_f64 v[160:161], v[160:161], v[166:167]
	v_mul_f64 v[166:167], v[176:177], v[164:165]
	v_mul_f64 v[178:179], v[150:151], v[166:167]
	v_fma_f64 v[150:151], v[166:167], v[150:151], -v[178:179]
	v_fmac_f64_e32 v[150:151], v[166:167], v[146:147]
	v_add_f64 v[146:147], v[178:179], v[150:151]
	v_add_f64 v[180:181], v[164:165], -v[146:147]
	v_add_f64 v[164:165], v[164:165], -v[180:181]
	;; [unrolled: 1-line block ×4, first 2 shown]
	v_add_f64 v[146:147], v[160:161], v[146:147]
	v_add_f64 v[150:151], v[178:179], -v[150:151]
	v_add_f64 v[146:147], v[150:151], v[146:147]
	v_add_f64 v[150:151], v[162:163], v[166:167]
	;; [unrolled: 1-line block ×3, first 2 shown]
	v_add_f64 v[160:161], v[150:151], -v[162:163]
	v_mul_f64 v[146:147], v[176:177], v[146:147]
	v_add_f64 v[160:161], v[166:167], -v[160:161]
	v_add_f64 v[146:147], v[160:161], v[146:147]
	v_add_f64 v[160:161], v[150:151], v[146:147]
	v_add_f64 v[150:151], v[160:161], -v[150:151]
	s_mov_b32 s38, 0xbf559e2b
	v_add_f64 v[146:147], v[146:147], -v[150:151]
	v_mul_f64 v[150:151], v[160:161], v[160:161]
	v_mov_b32_e32 v162, 0x6b47b09a
	v_mov_b32_e32 v163, 0x3fc38538
	s_mov_b32 s39, 0x3fc3ab76
	v_fmac_f64_e32 v[162:163], s[38:39], v[150:151]
	v_mov_b32_e32 v164, 0xd7f4df2e
	v_mov_b32_e32 v165, 0x3fc7474d
	v_fmac_f64_e32 v[164:165], v[150:151], v[162:163]
	v_mov_b32_e32 v162, 0x16291751
	v_mov_b32_e32 v163, 0x3fcc71c0
	;; [unrolled: 3-line block ×5, first 2 shown]
	v_fmac_f64_e32 v[164:165], v[150:151], v[162:163]
	v_cvt_f64_i32_e32 v[162:163], v149
	v_mul_f64 v[166:167], v[162:163], s[50:51]
	v_fma_f64 v[176:177], v[162:163], s[50:51], -v[166:167]
	v_fmac_f64_e32 v[176:177], s[52:53], v[162:163]
	v_add_f64 v[162:163], v[166:167], v[176:177]
	v_add_f64 v[166:167], v[162:163], -v[166:167]
	v_mul_f64 v[150:151], v[160:161], v[150:151]
	v_add_f64 v[166:167], v[176:177], -v[166:167]
	v_ldexp_f64 v[176:177], v[160:161], 1
	v_mul_f64 v[150:151], v[150:151], v[164:165]
	v_add_f64 v[160:161], v[176:177], v[150:151]
	v_add_f64 v[164:165], v[160:161], -v[176:177]
	v_ldexp_f64 v[146:147], v[146:147], 1
	v_add_f64 v[150:151], v[150:151], -v[164:165]
	v_add_f64 v[146:147], v[146:147], v[150:151]
	v_add_f64 v[150:151], v[160:161], v[146:147]
	v_add_f64 v[160:161], v[150:151], -v[160:161]
	v_add_f64 v[146:147], v[146:147], -v[160:161]
	v_add_f64 v[160:161], v[162:163], v[150:151]
	v_add_f64 v[164:165], v[160:161], -v[162:163]
	v_add_f64 v[176:177], v[160:161], -v[164:165]
	;; [unrolled: 1-line block ×4, first 2 shown]
	v_add_f64 v[150:151], v[150:151], v[162:163]
	v_add_f64 v[162:163], v[166:167], v[146:147]
	v_add_f64 v[164:165], v[162:163], -v[166:167]
	v_add_f64 v[150:151], v[162:163], v[150:151]
	v_add_f64 v[176:177], v[162:163], -v[164:165]
	;; [unrolled: 2-line block ×3, first 2 shown]
	v_add_f64 v[146:147], v[146:147], -v[164:165]
	v_add_f64 v[160:161], v[162:163], -v[160:161]
	v_add_f64 v[146:147], v[146:147], v[166:167]
	v_add_f64 v[150:151], v[150:151], -v[160:161]
	s_mov_b32 s38, 0
	v_add_f64 v[146:147], v[146:147], v[150:151]
	s_mov_b32 s39, 0x7ff00000
	v_add_f64 v[146:147], v[162:163], v[146:147]
	v_cmp_eq_f64_e64 s[38:39], s[38:39], v[144:145]
	v_mov_b32_e32 v149, 0x7ff80000
	s_nop 0
	v_cndmask_b32_e64 v146, v146, v144, s[38:39]
	v_cndmask_b32_e64 v147, v147, v145, s[38:39]
	v_cmp_ngt_f64_e64 s[38:39], -1.0, v[144:145]
	s_nop 1
	v_cndmask_b32_e64 v147, v149, v147, s[38:39]
	v_cmp_nge_f64_e64 s[38:39], -1.0, v[144:145]
	v_mov_b32_e32 v149, 0xfff00000
	s_nop 0
	v_cndmask_b32_e64 v146, 0, v146, s[38:39]
	v_cmp_neq_f64_e64 s[38:39], -1.0, v[144:145]
	s_nop 1
	v_cndmask_b32_e64 v147, v149, v147, s[38:39]
	v_add_f64 v[144:145], v[6:7], v[146:147]
.LBB50_308:
	s_or_b64 exec, exec, s[48:49]
	v_mov_b64_e32 v[6:7], v[144:145]
	v_mov_b32_e32 v146, v144
	v_mov_b32_e32 v147, v145
.LBB50_309:
	s_or_b64 exec, exec, s[44:45]
	v_mov_b32_dpp v144, v146 row_shr:4 row_mask:0xf bank_mask:0xf
	v_mov_b32_dpp v145, v147 row_shr:4 row_mask:0xf bank_mask:0xf
	v_cmp_lt_u32_e64 s[38:39], 3, v148
	s_and_saveexec_b64 s[44:45], s[38:39]
	s_cbranch_execz .LBB50_313
; %bb.310:
	v_max_f64 v[150:151], v[144:145], v[144:145]
	v_max_f64 v[160:161], v[6:7], v[6:7]
	v_min_f64 v[146:147], v[150:151], v[160:161]
	v_cmp_u_f64_e64 s[38:39], v[144:145], v[144:145]
	v_max_f64 v[150:151], v[150:151], v[160:161]
	v_cmp_u_f64_e64 s[40:41], v[6:7], v[6:7]
	v_cndmask_b32_e64 v146, v146, v144, s[38:39]
	v_cndmask_b32_e64 v147, v147, v145, s[38:39]
	;; [unrolled: 1-line block ×8, first 2 shown]
	s_movk_i32 s40, 0x1f8
	v_cmp_neq_f64_e64 s[38:39], v[146:147], v[6:7]
	v_cmp_class_f64_e64 s[40:41], v[146:147], s40
	s_or_b64 s[38:39], s[38:39], s[40:41]
	s_and_saveexec_b64 s[48:49], s[38:39]
	s_cbranch_execz .LBB50_312
; %bb.311:
	s_mov_b32 s38, 0x652b82fe
	v_add_f64 v[144:145], v[146:147], -v[6:7]
	s_mov_b32 s39, 0x3ff71547
	v_mul_f64 v[146:147], v[144:145], s[38:39]
	v_rndne_f64_e32 v[146:147], v[146:147]
	s_mov_b32 s51, 0xbfe62e42
	s_mov_b32 s50, 0xfefa39ef
	v_fma_f64 v[150:151], s[50:51], v[146:147], v[144:145]
	s_mov_b32 s53, 0xbc7abc9e
	s_mov_b32 s52, 0x3b39803f
	s_mov_b32 s38, 0x6a5dcb37
	v_fmac_f64_e32 v[150:151], s[52:53], v[146:147]
	v_mov_b32_e32 v160, 0xfca7ab0c
	v_mov_b32_e32 v161, 0x3e928af3
	s_mov_b32 s39, 0x3e5ade15
	v_fmac_f64_e32 v[160:161], s[38:39], v[150:151]
	v_mov_b32_e32 v162, 0x623fde64
	v_mov_b32_e32 v163, 0x3ec71dee
	v_fmac_f64_e32 v[162:163], v[150:151], v[160:161]
	v_mov_b32_e32 v160, 0x7c89e6b0
	v_mov_b32_e32 v161, 0x3efa0199
	;; [unrolled: 3-line block ×8, first 2 shown]
	v_fmac_f64_e32 v[160:161], v[150:151], v[162:163]
	v_fma_f64 v[160:161], v[150:151], v[160:161], 1.0
	s_mov_b32 s38, 0
	s_mov_b32 s40, 0
	v_fma_f64 v[150:151], v[150:151], v[160:161], 1.0
	v_cvt_i32_f64_e32 v146, v[146:147]
	s_mov_b32 s39, 0x40900000
	s_mov_b32 s41, 0xc090cc00
	v_ldexp_f64 v[146:147], v[150:151], v146
	v_mov_b32_e32 v149, 0x7ff00000
	v_cmp_nlt_f64_e64 s[38:39], s[38:39], v[144:145]
	v_cmp_ngt_f64_e64 s[40:41], s[40:41], v[144:145]
	s_mov_b32 s51, 0x3fe62e42
	v_cndmask_b32_e64 v147, v149, v147, s[38:39]
	s_and_b64 s[38:39], s[40:41], s[38:39]
	v_cndmask_b32_e64 v145, 0, v147, s[40:41]
	v_cndmask_b32_e64 v144, 0, v146, s[38:39]
	v_add_f64 v[146:147], v[144:145], 1.0
	v_add_f64 v[150:151], v[146:147], -1.0
	v_add_f64 v[160:161], v[150:151], -v[146:147]
	v_add_f64 v[160:161], v[160:161], 1.0
	v_add_f64 v[150:151], v[144:145], -v[150:151]
	s_mov_b32 s38, 0x55555555
	v_add_f64 v[150:151], v[150:151], v[160:161]
	v_frexp_mant_f64_e32 v[160:161], v[146:147]
	s_mov_b32 s39, 0x3fe55555
	v_frexp_exp_i32_f64_e32 v149, v[146:147]
	v_cmp_gt_f64_e64 s[38:39], s[38:39], v[160:161]
	s_mov_b32 s53, 0x3c7abc9e
	s_nop 0
	v_subbrev_co_u32_e64 v149, s[38:39], 0, v149, s[38:39]
	v_sub_u32_e32 v160, 0, v149
	v_ldexp_f64 v[146:147], v[146:147], v160
	v_ldexp_f64 v[150:151], v[150:151], v160
	v_add_f64 v[160:161], v[146:147], -1.0
	v_add_f64 v[166:167], v[146:147], 1.0
	v_add_f64 v[162:163], v[160:161], 1.0
	v_add_f64 v[176:177], v[166:167], -1.0
	v_add_f64 v[162:163], v[146:147], -v[162:163]
	v_add_f64 v[146:147], v[146:147], -v[176:177]
	v_add_f64 v[146:147], v[150:151], v[146:147]
	v_add_f64 v[162:163], v[150:151], v[162:163]
	;; [unrolled: 1-line block ×3, first 2 shown]
	v_rcp_f64_e32 v[176:177], v[150:151]
	v_add_f64 v[164:165], v[160:161], v[162:163]
	v_add_f64 v[160:161], v[164:165], -v[160:161]
	v_add_f64 v[160:161], v[162:163], -v[160:161]
	;; [unrolled: 1-line block ×4, first 2 shown]
	v_fma_f64 v[162:163], -v[150:151], v[176:177], 1.0
	v_fmac_f64_e32 v[176:177], v[162:163], v[176:177]
	v_fma_f64 v[162:163], -v[150:151], v[176:177], 1.0
	v_fmac_f64_e32 v[176:177], v[162:163], v[176:177]
	v_mul_f64 v[162:163], v[164:165], v[176:177]
	v_mul_f64 v[166:167], v[150:151], v[162:163]
	v_fma_f64 v[178:179], v[162:163], v[150:151], -v[166:167]
	v_fmac_f64_e32 v[178:179], v[162:163], v[146:147]
	v_add_f64 v[180:181], v[166:167], v[178:179]
	v_add_f64 v[182:183], v[164:165], -v[180:181]
	v_add_f64 v[164:165], v[164:165], -v[182:183]
	v_add_f64 v[166:167], v[180:181], -v[166:167]
	v_add_f64 v[164:165], v[164:165], -v[180:181]
	v_add_f64 v[160:161], v[160:161], v[164:165]
	v_add_f64 v[164:165], v[166:167], -v[178:179]
	v_add_f64 v[160:161], v[164:165], v[160:161]
	v_add_f64 v[164:165], v[182:183], v[160:161]
	v_add_f64 v[166:167], v[182:183], -v[164:165]
	v_add_f64 v[160:161], v[160:161], v[166:167]
	v_mul_f64 v[166:167], v[176:177], v[164:165]
	v_mul_f64 v[178:179], v[150:151], v[166:167]
	v_fma_f64 v[150:151], v[166:167], v[150:151], -v[178:179]
	v_fmac_f64_e32 v[150:151], v[166:167], v[146:147]
	v_add_f64 v[146:147], v[178:179], v[150:151]
	v_add_f64 v[180:181], v[164:165], -v[146:147]
	v_add_f64 v[164:165], v[164:165], -v[180:181]
	;; [unrolled: 1-line block ×4, first 2 shown]
	v_add_f64 v[146:147], v[160:161], v[146:147]
	v_add_f64 v[150:151], v[178:179], -v[150:151]
	v_add_f64 v[146:147], v[150:151], v[146:147]
	v_add_f64 v[150:151], v[162:163], v[166:167]
	v_add_f64 v[146:147], v[180:181], v[146:147]
	v_add_f64 v[160:161], v[150:151], -v[162:163]
	v_mul_f64 v[146:147], v[176:177], v[146:147]
	v_add_f64 v[160:161], v[166:167], -v[160:161]
	v_add_f64 v[146:147], v[160:161], v[146:147]
	v_add_f64 v[160:161], v[150:151], v[146:147]
	v_add_f64 v[150:151], v[160:161], -v[150:151]
	s_mov_b32 s38, 0xbf559e2b
	v_add_f64 v[146:147], v[146:147], -v[150:151]
	v_mul_f64 v[150:151], v[160:161], v[160:161]
	v_mov_b32_e32 v162, 0x6b47b09a
	v_mov_b32_e32 v163, 0x3fc38538
	s_mov_b32 s39, 0x3fc3ab76
	v_fmac_f64_e32 v[162:163], s[38:39], v[150:151]
	v_mov_b32_e32 v164, 0xd7f4df2e
	v_mov_b32_e32 v165, 0x3fc7474d
	v_fmac_f64_e32 v[164:165], v[150:151], v[162:163]
	v_mov_b32_e32 v162, 0x16291751
	v_mov_b32_e32 v163, 0x3fcc71c0
	;; [unrolled: 3-line block ×5, first 2 shown]
	v_fmac_f64_e32 v[164:165], v[150:151], v[162:163]
	v_cvt_f64_i32_e32 v[162:163], v149
	v_mul_f64 v[166:167], v[162:163], s[50:51]
	v_fma_f64 v[176:177], v[162:163], s[50:51], -v[166:167]
	v_fmac_f64_e32 v[176:177], s[52:53], v[162:163]
	v_add_f64 v[162:163], v[166:167], v[176:177]
	v_add_f64 v[166:167], v[162:163], -v[166:167]
	v_mul_f64 v[150:151], v[160:161], v[150:151]
	v_add_f64 v[166:167], v[176:177], -v[166:167]
	v_ldexp_f64 v[176:177], v[160:161], 1
	v_mul_f64 v[150:151], v[150:151], v[164:165]
	v_add_f64 v[160:161], v[176:177], v[150:151]
	v_add_f64 v[164:165], v[160:161], -v[176:177]
	v_ldexp_f64 v[146:147], v[146:147], 1
	v_add_f64 v[150:151], v[150:151], -v[164:165]
	v_add_f64 v[146:147], v[146:147], v[150:151]
	v_add_f64 v[150:151], v[160:161], v[146:147]
	v_add_f64 v[160:161], v[150:151], -v[160:161]
	v_add_f64 v[146:147], v[146:147], -v[160:161]
	v_add_f64 v[160:161], v[162:163], v[150:151]
	v_add_f64 v[164:165], v[160:161], -v[162:163]
	v_add_f64 v[176:177], v[160:161], -v[164:165]
	;; [unrolled: 1-line block ×4, first 2 shown]
	v_add_f64 v[150:151], v[150:151], v[162:163]
	v_add_f64 v[162:163], v[166:167], v[146:147]
	v_add_f64 v[164:165], v[162:163], -v[166:167]
	v_add_f64 v[150:151], v[162:163], v[150:151]
	v_add_f64 v[176:177], v[162:163], -v[164:165]
	;; [unrolled: 2-line block ×3, first 2 shown]
	v_add_f64 v[146:147], v[146:147], -v[164:165]
	v_add_f64 v[160:161], v[162:163], -v[160:161]
	v_add_f64 v[146:147], v[146:147], v[166:167]
	v_add_f64 v[150:151], v[150:151], -v[160:161]
	s_mov_b32 s38, 0
	v_add_f64 v[146:147], v[146:147], v[150:151]
	s_mov_b32 s39, 0x7ff00000
	v_add_f64 v[146:147], v[162:163], v[146:147]
	v_cmp_eq_f64_e64 s[38:39], s[38:39], v[144:145]
	v_mov_b32_e32 v149, 0x7ff80000
	s_nop 0
	v_cndmask_b32_e64 v146, v146, v144, s[38:39]
	v_cndmask_b32_e64 v147, v147, v145, s[38:39]
	v_cmp_ngt_f64_e64 s[38:39], -1.0, v[144:145]
	s_nop 1
	v_cndmask_b32_e64 v147, v149, v147, s[38:39]
	v_cmp_nge_f64_e64 s[38:39], -1.0, v[144:145]
	v_mov_b32_e32 v149, 0xfff00000
	s_nop 0
	v_cndmask_b32_e64 v146, 0, v146, s[38:39]
	v_cmp_neq_f64_e64 s[38:39], -1.0, v[144:145]
	s_nop 1
	v_cndmask_b32_e64 v147, v149, v147, s[38:39]
	v_add_f64 v[144:145], v[6:7], v[146:147]
.LBB50_312:
	s_or_b64 exec, exec, s[48:49]
	v_mov_b64_e32 v[6:7], v[144:145]
	v_mov_b32_e32 v146, v144
	v_mov_b32_e32 v147, v145
.LBB50_313:
	s_or_b64 exec, exec, s[44:45]
	v_mov_b32_dpp v144, v146 row_shr:8 row_mask:0xf bank_mask:0xf
	v_mov_b32_dpp v145, v147 row_shr:8 row_mask:0xf bank_mask:0xf
	v_cmp_lt_u32_e64 s[38:39], 7, v148
	s_and_saveexec_b64 s[44:45], s[38:39]
	s_cbranch_execz .LBB50_317
; %bb.314:
	v_max_f64 v[148:149], v[144:145], v[144:145]
	v_max_f64 v[150:151], v[6:7], v[6:7]
	v_min_f64 v[146:147], v[148:149], v[150:151]
	v_cmp_u_f64_e64 s[38:39], v[144:145], v[144:145]
	v_max_f64 v[148:149], v[148:149], v[150:151]
	v_cmp_u_f64_e64 s[40:41], v[6:7], v[6:7]
	v_cndmask_b32_e64 v146, v146, v144, s[38:39]
	v_cndmask_b32_e64 v147, v147, v145, s[38:39]
	;; [unrolled: 1-line block ×8, first 2 shown]
	s_movk_i32 s40, 0x1f8
	v_cmp_neq_f64_e64 s[38:39], v[146:147], v[6:7]
	v_cmp_class_f64_e64 s[40:41], v[146:147], s40
	s_or_b64 s[38:39], s[38:39], s[40:41]
	s_and_saveexec_b64 s[48:49], s[38:39]
	s_cbranch_execz .LBB50_316
; %bb.315:
	s_mov_b32 s38, 0x652b82fe
	v_add_f64 v[144:145], v[146:147], -v[6:7]
	s_mov_b32 s39, 0x3ff71547
	v_mul_f64 v[146:147], v[144:145], s[38:39]
	v_rndne_f64_e32 v[146:147], v[146:147]
	s_mov_b32 s51, 0xbfe62e42
	s_mov_b32 s50, 0xfefa39ef
	v_fma_f64 v[148:149], s[50:51], v[146:147], v[144:145]
	s_mov_b32 s53, 0xbc7abc9e
	s_mov_b32 s52, 0x3b39803f
	;; [unrolled: 1-line block ×3, first 2 shown]
	v_fmac_f64_e32 v[148:149], s[52:53], v[146:147]
	v_mov_b32_e32 v150, 0xfca7ab0c
	v_mov_b32_e32 v151, 0x3e928af3
	s_mov_b32 s39, 0x3e5ade15
	v_fmac_f64_e32 v[150:151], s[38:39], v[148:149]
	v_mov_b32_e32 v160, 0x623fde64
	v_mov_b32_e32 v161, 0x3ec71dee
	v_fmac_f64_e32 v[160:161], v[148:149], v[150:151]
	v_mov_b32_e32 v150, 0x7c89e6b0
	v_mov_b32_e32 v151, 0x3efa0199
	;; [unrolled: 3-line block ×8, first 2 shown]
	v_fmac_f64_e32 v[150:151], v[148:149], v[160:161]
	v_fma_f64 v[150:151], v[148:149], v[150:151], 1.0
	s_mov_b32 s38, 0
	s_mov_b32 s40, 0
	v_fma_f64 v[148:149], v[148:149], v[150:151], 1.0
	v_cvt_i32_f64_e32 v146, v[146:147]
	s_mov_b32 s39, 0x40900000
	s_mov_b32 s41, 0xc090cc00
	v_ldexp_f64 v[146:147], v[148:149], v146
	v_mov_b32_e32 v148, 0x7ff00000
	v_cmp_nlt_f64_e64 s[38:39], s[38:39], v[144:145]
	v_cmp_ngt_f64_e64 s[40:41], s[40:41], v[144:145]
	s_mov_b32 s51, 0x3fe62e42
	v_cndmask_b32_e64 v147, v148, v147, s[38:39]
	s_and_b64 s[38:39], s[40:41], s[38:39]
	v_cndmask_b32_e64 v145, 0, v147, s[40:41]
	v_cndmask_b32_e64 v144, 0, v146, s[38:39]
	v_add_f64 v[146:147], v[144:145], 1.0
	v_add_f64 v[148:149], v[146:147], -1.0
	v_add_f64 v[150:151], v[148:149], -v[146:147]
	v_add_f64 v[150:151], v[150:151], 1.0
	v_add_f64 v[148:149], v[144:145], -v[148:149]
	s_mov_b32 s38, 0x55555555
	v_add_f64 v[148:149], v[148:149], v[150:151]
	v_frexp_mant_f64_e32 v[150:151], v[146:147]
	s_mov_b32 s39, 0x3fe55555
	v_frexp_exp_i32_f64_e32 v160, v[146:147]
	v_cmp_gt_f64_e64 s[38:39], s[38:39], v[150:151]
	s_mov_b32 s53, 0x3c7abc9e
	s_nop 0
	v_subbrev_co_u32_e64 v182, s[38:39], 0, v160, s[38:39]
	v_sub_u32_e32 v150, 0, v182
	v_ldexp_f64 v[146:147], v[146:147], v150
	v_ldexp_f64 v[148:149], v[148:149], v150
	v_add_f64 v[150:151], v[146:147], -1.0
	v_add_f64 v[164:165], v[146:147], 1.0
	v_add_f64 v[160:161], v[150:151], 1.0
	v_add_f64 v[166:167], v[164:165], -1.0
	v_add_f64 v[160:161], v[146:147], -v[160:161]
	v_add_f64 v[146:147], v[146:147], -v[166:167]
	v_add_f64 v[146:147], v[148:149], v[146:147]
	v_add_f64 v[160:161], v[148:149], v[160:161]
	;; [unrolled: 1-line block ×3, first 2 shown]
	v_rcp_f64_e32 v[166:167], v[148:149]
	v_add_f64 v[162:163], v[150:151], v[160:161]
	v_add_f64 v[150:151], v[162:163], -v[150:151]
	v_add_f64 v[150:151], v[160:161], -v[150:151]
	;; [unrolled: 1-line block ×4, first 2 shown]
	v_fma_f64 v[160:161], -v[148:149], v[166:167], 1.0
	v_fmac_f64_e32 v[166:167], v[160:161], v[166:167]
	v_fma_f64 v[160:161], -v[148:149], v[166:167], 1.0
	v_fmac_f64_e32 v[166:167], v[160:161], v[166:167]
	v_mul_f64 v[160:161], v[162:163], v[166:167]
	v_mul_f64 v[164:165], v[148:149], v[160:161]
	v_fma_f64 v[176:177], v[160:161], v[148:149], -v[164:165]
	v_fmac_f64_e32 v[176:177], v[160:161], v[146:147]
	v_add_f64 v[178:179], v[164:165], v[176:177]
	v_add_f64 v[180:181], v[162:163], -v[178:179]
	v_add_f64 v[162:163], v[162:163], -v[180:181]
	;; [unrolled: 1-line block ×4, first 2 shown]
	v_add_f64 v[150:151], v[150:151], v[162:163]
	v_add_f64 v[162:163], v[164:165], -v[176:177]
	v_add_f64 v[150:151], v[162:163], v[150:151]
	v_add_f64 v[162:163], v[180:181], v[150:151]
	v_add_f64 v[164:165], v[180:181], -v[162:163]
	v_add_f64 v[150:151], v[150:151], v[164:165]
	v_mul_f64 v[164:165], v[166:167], v[162:163]
	v_mul_f64 v[176:177], v[148:149], v[164:165]
	v_fma_f64 v[148:149], v[164:165], v[148:149], -v[176:177]
	v_fmac_f64_e32 v[148:149], v[164:165], v[146:147]
	v_add_f64 v[146:147], v[176:177], v[148:149]
	v_add_f64 v[178:179], v[162:163], -v[146:147]
	v_add_f64 v[162:163], v[162:163], -v[178:179]
	;; [unrolled: 1-line block ×4, first 2 shown]
	v_add_f64 v[146:147], v[150:151], v[146:147]
	v_add_f64 v[148:149], v[176:177], -v[148:149]
	v_add_f64 v[146:147], v[148:149], v[146:147]
	v_add_f64 v[148:149], v[160:161], v[164:165]
	;; [unrolled: 1-line block ×3, first 2 shown]
	v_add_f64 v[150:151], v[148:149], -v[160:161]
	v_mul_f64 v[146:147], v[166:167], v[146:147]
	v_add_f64 v[150:151], v[164:165], -v[150:151]
	v_add_f64 v[146:147], v[150:151], v[146:147]
	v_add_f64 v[150:151], v[148:149], v[146:147]
	v_add_f64 v[148:149], v[150:151], -v[148:149]
	s_mov_b32 s38, 0xbf559e2b
	v_add_f64 v[146:147], v[146:147], -v[148:149]
	v_mul_f64 v[148:149], v[150:151], v[150:151]
	v_mov_b32_e32 v160, 0x6b47b09a
	v_mov_b32_e32 v161, 0x3fc38538
	s_mov_b32 s39, 0x3fc3ab76
	v_fmac_f64_e32 v[160:161], s[38:39], v[148:149]
	v_mov_b32_e32 v162, 0xd7f4df2e
	v_mov_b32_e32 v163, 0x3fc7474d
	v_fmac_f64_e32 v[162:163], v[148:149], v[160:161]
	v_mov_b32_e32 v160, 0x16291751
	v_mov_b32_e32 v161, 0x3fcc71c0
	;; [unrolled: 3-line block ×5, first 2 shown]
	v_fmac_f64_e32 v[162:163], v[148:149], v[160:161]
	v_cvt_f64_i32_e32 v[160:161], v182
	v_mul_f64 v[164:165], v[160:161], s[50:51]
	v_fma_f64 v[166:167], v[160:161], s[50:51], -v[164:165]
	v_fmac_f64_e32 v[166:167], s[52:53], v[160:161]
	v_add_f64 v[160:161], v[164:165], v[166:167]
	v_add_f64 v[164:165], v[160:161], -v[164:165]
	v_mul_f64 v[148:149], v[150:151], v[148:149]
	v_add_f64 v[164:165], v[166:167], -v[164:165]
	v_ldexp_f64 v[166:167], v[150:151], 1
	v_mul_f64 v[148:149], v[148:149], v[162:163]
	v_add_f64 v[150:151], v[166:167], v[148:149]
	v_add_f64 v[162:163], v[150:151], -v[166:167]
	v_ldexp_f64 v[146:147], v[146:147], 1
	v_add_f64 v[148:149], v[148:149], -v[162:163]
	v_add_f64 v[146:147], v[146:147], v[148:149]
	v_add_f64 v[148:149], v[150:151], v[146:147]
	v_add_f64 v[150:151], v[148:149], -v[150:151]
	v_add_f64 v[146:147], v[146:147], -v[150:151]
	v_add_f64 v[150:151], v[160:161], v[148:149]
	v_add_f64 v[162:163], v[150:151], -v[160:161]
	v_add_f64 v[166:167], v[150:151], -v[162:163]
	;; [unrolled: 1-line block ×4, first 2 shown]
	v_add_f64 v[148:149], v[148:149], v[160:161]
	v_add_f64 v[160:161], v[164:165], v[146:147]
	v_add_f64 v[162:163], v[160:161], -v[164:165]
	v_add_f64 v[148:149], v[160:161], v[148:149]
	v_add_f64 v[166:167], v[160:161], -v[162:163]
	;; [unrolled: 2-line block ×3, first 2 shown]
	v_add_f64 v[146:147], v[146:147], -v[162:163]
	v_add_f64 v[150:151], v[160:161], -v[150:151]
	v_add_f64 v[146:147], v[146:147], v[164:165]
	v_add_f64 v[148:149], v[148:149], -v[150:151]
	s_mov_b32 s38, 0
	v_add_f64 v[146:147], v[146:147], v[148:149]
	s_mov_b32 s39, 0x7ff00000
	v_add_f64 v[146:147], v[160:161], v[146:147]
	v_cmp_eq_f64_e64 s[38:39], s[38:39], v[144:145]
	v_mov_b32_e32 v148, 0x7ff80000
	s_nop 0
	v_cndmask_b32_e64 v146, v146, v144, s[38:39]
	v_cndmask_b32_e64 v147, v147, v145, s[38:39]
	v_cmp_ngt_f64_e64 s[38:39], -1.0, v[144:145]
	s_nop 1
	v_cndmask_b32_e64 v147, v148, v147, s[38:39]
	v_cmp_nge_f64_e64 s[38:39], -1.0, v[144:145]
	v_mov_b32_e32 v148, 0xfff00000
	s_nop 0
	v_cndmask_b32_e64 v146, 0, v146, s[38:39]
	v_cmp_neq_f64_e64 s[38:39], -1.0, v[144:145]
	s_nop 1
	v_cndmask_b32_e64 v147, v148, v147, s[38:39]
	v_add_f64 v[144:145], v[6:7], v[146:147]
.LBB50_316:
	s_or_b64 exec, exec, s[48:49]
	v_mov_b64_e32 v[6:7], v[144:145]
	v_mov_b32_e32 v146, v144
	v_mov_b32_e32 v147, v145
.LBB50_317:
	s_or_b64 exec, exec, s[44:45]
	v_and_b32_e32 v148, 16, v71
	v_mov_b32_dpp v144, v146 row_bcast:15 row_mask:0xf bank_mask:0xf
	v_mov_b32_dpp v145, v147 row_bcast:15 row_mask:0xf bank_mask:0xf
	v_cmp_ne_u32_e64 s[38:39], 0, v148
	s_and_saveexec_b64 s[44:45], s[38:39]
	s_cbranch_execz .LBB50_321
; %bb.318:
	v_max_f64 v[148:149], v[144:145], v[144:145]
	v_max_f64 v[150:151], v[6:7], v[6:7]
	v_min_f64 v[146:147], v[148:149], v[150:151]
	v_cmp_u_f64_e64 s[38:39], v[144:145], v[144:145]
	v_max_f64 v[148:149], v[148:149], v[150:151]
	v_cmp_u_f64_e64 s[40:41], v[6:7], v[6:7]
	v_cndmask_b32_e64 v146, v146, v144, s[38:39]
	v_cndmask_b32_e64 v147, v147, v145, s[38:39]
	;; [unrolled: 1-line block ×8, first 2 shown]
	s_movk_i32 s40, 0x1f8
	v_cmp_neq_f64_e64 s[38:39], v[146:147], v[6:7]
	v_cmp_class_f64_e64 s[40:41], v[146:147], s40
	s_or_b64 s[38:39], s[38:39], s[40:41]
	s_and_saveexec_b64 s[48:49], s[38:39]
	s_cbranch_execz .LBB50_320
; %bb.319:
	s_mov_b32 s38, 0x652b82fe
	v_add_f64 v[144:145], v[146:147], -v[6:7]
	s_mov_b32 s39, 0x3ff71547
	v_mul_f64 v[146:147], v[144:145], s[38:39]
	v_rndne_f64_e32 v[146:147], v[146:147]
	s_mov_b32 s51, 0xbfe62e42
	s_mov_b32 s50, 0xfefa39ef
	v_fma_f64 v[148:149], s[50:51], v[146:147], v[144:145]
	s_mov_b32 s53, 0xbc7abc9e
	s_mov_b32 s52, 0x3b39803f
	;; [unrolled: 1-line block ×3, first 2 shown]
	v_fmac_f64_e32 v[148:149], s[52:53], v[146:147]
	v_mov_b32_e32 v150, 0xfca7ab0c
	v_mov_b32_e32 v151, 0x3e928af3
	s_mov_b32 s39, 0x3e5ade15
	v_fmac_f64_e32 v[150:151], s[38:39], v[148:149]
	v_mov_b32_e32 v160, 0x623fde64
	v_mov_b32_e32 v161, 0x3ec71dee
	v_fmac_f64_e32 v[160:161], v[148:149], v[150:151]
	v_mov_b32_e32 v150, 0x7c89e6b0
	v_mov_b32_e32 v151, 0x3efa0199
	;; [unrolled: 3-line block ×8, first 2 shown]
	v_fmac_f64_e32 v[150:151], v[148:149], v[160:161]
	v_fma_f64 v[150:151], v[148:149], v[150:151], 1.0
	s_mov_b32 s38, 0
	s_mov_b32 s40, 0
	v_fma_f64 v[148:149], v[148:149], v[150:151], 1.0
	v_cvt_i32_f64_e32 v146, v[146:147]
	s_mov_b32 s39, 0x40900000
	s_mov_b32 s41, 0xc090cc00
	v_ldexp_f64 v[146:147], v[148:149], v146
	v_mov_b32_e32 v148, 0x7ff00000
	v_cmp_nlt_f64_e64 s[38:39], s[38:39], v[144:145]
	v_cmp_ngt_f64_e64 s[40:41], s[40:41], v[144:145]
	s_mov_b32 s51, 0x3fe62e42
	v_cndmask_b32_e64 v147, v148, v147, s[38:39]
	s_and_b64 s[38:39], s[40:41], s[38:39]
	v_cndmask_b32_e64 v145, 0, v147, s[40:41]
	v_cndmask_b32_e64 v144, 0, v146, s[38:39]
	v_add_f64 v[146:147], v[144:145], 1.0
	v_add_f64 v[148:149], v[146:147], -1.0
	v_add_f64 v[150:151], v[148:149], -v[146:147]
	v_add_f64 v[150:151], v[150:151], 1.0
	v_add_f64 v[148:149], v[144:145], -v[148:149]
	s_mov_b32 s38, 0x55555555
	v_add_f64 v[148:149], v[148:149], v[150:151]
	v_frexp_mant_f64_e32 v[150:151], v[146:147]
	s_mov_b32 s39, 0x3fe55555
	v_frexp_exp_i32_f64_e32 v160, v[146:147]
	v_cmp_gt_f64_e64 s[38:39], s[38:39], v[150:151]
	s_mov_b32 s53, 0x3c7abc9e
	s_nop 0
	v_subbrev_co_u32_e64 v182, s[38:39], 0, v160, s[38:39]
	v_sub_u32_e32 v150, 0, v182
	v_ldexp_f64 v[146:147], v[146:147], v150
	v_ldexp_f64 v[148:149], v[148:149], v150
	v_add_f64 v[150:151], v[146:147], -1.0
	v_add_f64 v[164:165], v[146:147], 1.0
	v_add_f64 v[160:161], v[150:151], 1.0
	v_add_f64 v[166:167], v[164:165], -1.0
	v_add_f64 v[160:161], v[146:147], -v[160:161]
	v_add_f64 v[146:147], v[146:147], -v[166:167]
	v_add_f64 v[146:147], v[148:149], v[146:147]
	v_add_f64 v[160:161], v[148:149], v[160:161]
	;; [unrolled: 1-line block ×3, first 2 shown]
	v_rcp_f64_e32 v[166:167], v[148:149]
	v_add_f64 v[162:163], v[150:151], v[160:161]
	v_add_f64 v[150:151], v[162:163], -v[150:151]
	v_add_f64 v[150:151], v[160:161], -v[150:151]
	;; [unrolled: 1-line block ×4, first 2 shown]
	v_fma_f64 v[160:161], -v[148:149], v[166:167], 1.0
	v_fmac_f64_e32 v[166:167], v[160:161], v[166:167]
	v_fma_f64 v[160:161], -v[148:149], v[166:167], 1.0
	v_fmac_f64_e32 v[166:167], v[160:161], v[166:167]
	v_mul_f64 v[160:161], v[162:163], v[166:167]
	v_mul_f64 v[164:165], v[148:149], v[160:161]
	v_fma_f64 v[176:177], v[160:161], v[148:149], -v[164:165]
	v_fmac_f64_e32 v[176:177], v[160:161], v[146:147]
	v_add_f64 v[178:179], v[164:165], v[176:177]
	v_add_f64 v[180:181], v[162:163], -v[178:179]
	v_add_f64 v[162:163], v[162:163], -v[180:181]
	;; [unrolled: 1-line block ×4, first 2 shown]
	v_add_f64 v[150:151], v[150:151], v[162:163]
	v_add_f64 v[162:163], v[164:165], -v[176:177]
	v_add_f64 v[150:151], v[162:163], v[150:151]
	v_add_f64 v[162:163], v[180:181], v[150:151]
	v_add_f64 v[164:165], v[180:181], -v[162:163]
	v_add_f64 v[150:151], v[150:151], v[164:165]
	v_mul_f64 v[164:165], v[166:167], v[162:163]
	v_mul_f64 v[176:177], v[148:149], v[164:165]
	v_fma_f64 v[148:149], v[164:165], v[148:149], -v[176:177]
	v_fmac_f64_e32 v[148:149], v[164:165], v[146:147]
	v_add_f64 v[146:147], v[176:177], v[148:149]
	v_add_f64 v[178:179], v[162:163], -v[146:147]
	v_add_f64 v[162:163], v[162:163], -v[178:179]
	v_add_f64 v[176:177], v[146:147], -v[176:177]
	v_add_f64 v[146:147], v[162:163], -v[146:147]
	v_add_f64 v[146:147], v[150:151], v[146:147]
	v_add_f64 v[148:149], v[176:177], -v[148:149]
	v_add_f64 v[146:147], v[148:149], v[146:147]
	v_add_f64 v[148:149], v[160:161], v[164:165]
	;; [unrolled: 1-line block ×3, first 2 shown]
	v_add_f64 v[150:151], v[148:149], -v[160:161]
	v_mul_f64 v[146:147], v[166:167], v[146:147]
	v_add_f64 v[150:151], v[164:165], -v[150:151]
	v_add_f64 v[146:147], v[150:151], v[146:147]
	v_add_f64 v[150:151], v[148:149], v[146:147]
	v_add_f64 v[148:149], v[150:151], -v[148:149]
	s_mov_b32 s38, 0xbf559e2b
	v_add_f64 v[146:147], v[146:147], -v[148:149]
	v_mul_f64 v[148:149], v[150:151], v[150:151]
	v_mov_b32_e32 v160, 0x6b47b09a
	v_mov_b32_e32 v161, 0x3fc38538
	s_mov_b32 s39, 0x3fc3ab76
	v_fmac_f64_e32 v[160:161], s[38:39], v[148:149]
	v_mov_b32_e32 v162, 0xd7f4df2e
	v_mov_b32_e32 v163, 0x3fc7474d
	v_fmac_f64_e32 v[162:163], v[148:149], v[160:161]
	v_mov_b32_e32 v160, 0x16291751
	v_mov_b32_e32 v161, 0x3fcc71c0
	;; [unrolled: 3-line block ×5, first 2 shown]
	v_fmac_f64_e32 v[162:163], v[148:149], v[160:161]
	v_cvt_f64_i32_e32 v[160:161], v182
	v_mul_f64 v[164:165], v[160:161], s[50:51]
	v_fma_f64 v[166:167], v[160:161], s[50:51], -v[164:165]
	v_fmac_f64_e32 v[166:167], s[52:53], v[160:161]
	v_add_f64 v[160:161], v[164:165], v[166:167]
	v_add_f64 v[164:165], v[160:161], -v[164:165]
	v_mul_f64 v[148:149], v[150:151], v[148:149]
	v_add_f64 v[164:165], v[166:167], -v[164:165]
	v_ldexp_f64 v[166:167], v[150:151], 1
	v_mul_f64 v[148:149], v[148:149], v[162:163]
	v_add_f64 v[150:151], v[166:167], v[148:149]
	v_add_f64 v[162:163], v[150:151], -v[166:167]
	v_ldexp_f64 v[146:147], v[146:147], 1
	v_add_f64 v[148:149], v[148:149], -v[162:163]
	v_add_f64 v[146:147], v[146:147], v[148:149]
	v_add_f64 v[148:149], v[150:151], v[146:147]
	v_add_f64 v[150:151], v[148:149], -v[150:151]
	v_add_f64 v[146:147], v[146:147], -v[150:151]
	v_add_f64 v[150:151], v[160:161], v[148:149]
	v_add_f64 v[162:163], v[150:151], -v[160:161]
	v_add_f64 v[166:167], v[150:151], -v[162:163]
	;; [unrolled: 1-line block ×4, first 2 shown]
	v_add_f64 v[148:149], v[148:149], v[160:161]
	v_add_f64 v[160:161], v[164:165], v[146:147]
	v_add_f64 v[162:163], v[160:161], -v[164:165]
	v_add_f64 v[148:149], v[160:161], v[148:149]
	v_add_f64 v[166:167], v[160:161], -v[162:163]
	;; [unrolled: 2-line block ×3, first 2 shown]
	v_add_f64 v[146:147], v[146:147], -v[162:163]
	v_add_f64 v[150:151], v[160:161], -v[150:151]
	v_add_f64 v[146:147], v[146:147], v[164:165]
	v_add_f64 v[148:149], v[148:149], -v[150:151]
	s_mov_b32 s38, 0
	v_add_f64 v[146:147], v[146:147], v[148:149]
	s_mov_b32 s39, 0x7ff00000
	v_add_f64 v[146:147], v[160:161], v[146:147]
	v_cmp_eq_f64_e64 s[38:39], s[38:39], v[144:145]
	v_mov_b32_e32 v148, 0x7ff80000
	s_nop 0
	v_cndmask_b32_e64 v146, v146, v144, s[38:39]
	v_cndmask_b32_e64 v147, v147, v145, s[38:39]
	v_cmp_ngt_f64_e64 s[38:39], -1.0, v[144:145]
	s_nop 1
	v_cndmask_b32_e64 v147, v148, v147, s[38:39]
	v_cmp_nge_f64_e64 s[38:39], -1.0, v[144:145]
	v_mov_b32_e32 v148, 0xfff00000
	s_nop 0
	v_cndmask_b32_e64 v146, 0, v146, s[38:39]
	v_cmp_neq_f64_e64 s[38:39], -1.0, v[144:145]
	s_nop 1
	v_cndmask_b32_e64 v147, v148, v147, s[38:39]
	v_add_f64 v[144:145], v[6:7], v[146:147]
.LBB50_320:
	s_or_b64 exec, exec, s[48:49]
	v_mov_b32_e32 v146, v144
	v_mov_b32_e32 v147, v145
	v_mov_b64_e32 v[6:7], v[144:145]
.LBB50_321:
	s_or_b64 exec, exec, s[44:45]
	v_mov_b32_dpp v144, v146 row_bcast:31 row_mask:0xf bank_mask:0xf
	v_mov_b32_dpp v145, v147 row_bcast:31 row_mask:0xf bank_mask:0xf
	v_cmp_lt_u32_e64 s[38:39], 31, v71
	s_and_saveexec_b64 s[44:45], s[38:39]
	s_cbranch_execz .LBB50_325
; %bb.322:
	v_max_f64 v[148:149], v[144:145], v[144:145]
	v_max_f64 v[150:151], v[6:7], v[6:7]
	v_min_f64 v[146:147], v[148:149], v[150:151]
	v_cmp_u_f64_e64 s[38:39], v[144:145], v[144:145]
	v_max_f64 v[148:149], v[148:149], v[150:151]
	v_cmp_u_f64_e64 s[40:41], v[6:7], v[6:7]
	v_cndmask_b32_e64 v146, v146, v144, s[38:39]
	v_cndmask_b32_e64 v147, v147, v145, s[38:39]
	;; [unrolled: 1-line block ×8, first 2 shown]
	s_movk_i32 s40, 0x1f8
	v_cmp_neq_f64_e64 s[38:39], v[146:147], v[6:7]
	v_cmp_class_f64_e64 s[40:41], v[146:147], s40
	s_or_b64 s[38:39], s[38:39], s[40:41]
	s_and_saveexec_b64 s[48:49], s[38:39]
	s_cbranch_execz .LBB50_324
; %bb.323:
	s_mov_b32 s38, 0x652b82fe
	v_add_f64 v[144:145], v[146:147], -v[6:7]
	s_mov_b32 s39, 0x3ff71547
	v_mul_f64 v[146:147], v[144:145], s[38:39]
	v_rndne_f64_e32 v[146:147], v[146:147]
	s_mov_b32 s51, 0xbfe62e42
	s_mov_b32 s50, 0xfefa39ef
	v_fma_f64 v[148:149], s[50:51], v[146:147], v[144:145]
	s_mov_b32 s53, 0xbc7abc9e
	s_mov_b32 s52, 0x3b39803f
	;; [unrolled: 1-line block ×3, first 2 shown]
	v_fmac_f64_e32 v[148:149], s[52:53], v[146:147]
	v_mov_b32_e32 v150, 0xfca7ab0c
	v_mov_b32_e32 v151, 0x3e928af3
	s_mov_b32 s39, 0x3e5ade15
	v_fmac_f64_e32 v[150:151], s[38:39], v[148:149]
	v_mov_b32_e32 v160, 0x623fde64
	v_mov_b32_e32 v161, 0x3ec71dee
	v_fmac_f64_e32 v[160:161], v[148:149], v[150:151]
	v_mov_b32_e32 v150, 0x7c89e6b0
	v_mov_b32_e32 v151, 0x3efa0199
	;; [unrolled: 3-line block ×8, first 2 shown]
	v_fmac_f64_e32 v[150:151], v[148:149], v[160:161]
	v_fma_f64 v[150:151], v[148:149], v[150:151], 1.0
	s_mov_b32 s38, 0
	s_mov_b32 s40, 0
	v_fma_f64 v[148:149], v[148:149], v[150:151], 1.0
	v_cvt_i32_f64_e32 v146, v[146:147]
	s_mov_b32 s39, 0x40900000
	s_mov_b32 s41, 0xc090cc00
	v_ldexp_f64 v[146:147], v[148:149], v146
	v_mov_b32_e32 v148, 0x7ff00000
	v_cmp_nlt_f64_e64 s[38:39], s[38:39], v[144:145]
	v_cmp_ngt_f64_e64 s[40:41], s[40:41], v[144:145]
	s_mov_b32 s51, 0x3fe62e42
	v_cndmask_b32_e64 v147, v148, v147, s[38:39]
	s_and_b64 s[38:39], s[40:41], s[38:39]
	v_cndmask_b32_e64 v145, 0, v147, s[40:41]
	v_cndmask_b32_e64 v144, 0, v146, s[38:39]
	v_add_f64 v[146:147], v[144:145], 1.0
	v_add_f64 v[148:149], v[146:147], -1.0
	v_add_f64 v[150:151], v[148:149], -v[146:147]
	v_add_f64 v[150:151], v[150:151], 1.0
	v_add_f64 v[148:149], v[144:145], -v[148:149]
	s_mov_b32 s38, 0x55555555
	v_add_f64 v[148:149], v[148:149], v[150:151]
	v_frexp_mant_f64_e32 v[150:151], v[146:147]
	s_mov_b32 s39, 0x3fe55555
	v_frexp_exp_i32_f64_e32 v160, v[146:147]
	v_cmp_gt_f64_e64 s[38:39], s[38:39], v[150:151]
	s_mov_b32 s53, 0x3c7abc9e
	s_nop 0
	v_subbrev_co_u32_e64 v182, s[38:39], 0, v160, s[38:39]
	v_sub_u32_e32 v150, 0, v182
	v_ldexp_f64 v[146:147], v[146:147], v150
	v_ldexp_f64 v[148:149], v[148:149], v150
	v_add_f64 v[150:151], v[146:147], -1.0
	v_add_f64 v[164:165], v[146:147], 1.0
	v_add_f64 v[160:161], v[150:151], 1.0
	v_add_f64 v[166:167], v[164:165], -1.0
	v_add_f64 v[160:161], v[146:147], -v[160:161]
	v_add_f64 v[146:147], v[146:147], -v[166:167]
	v_add_f64 v[146:147], v[148:149], v[146:147]
	v_add_f64 v[160:161], v[148:149], v[160:161]
	;; [unrolled: 1-line block ×3, first 2 shown]
	v_rcp_f64_e32 v[166:167], v[148:149]
	v_add_f64 v[162:163], v[150:151], v[160:161]
	v_add_f64 v[150:151], v[162:163], -v[150:151]
	v_add_f64 v[150:151], v[160:161], -v[150:151]
	;; [unrolled: 1-line block ×4, first 2 shown]
	v_fma_f64 v[160:161], -v[148:149], v[166:167], 1.0
	v_fmac_f64_e32 v[166:167], v[160:161], v[166:167]
	v_fma_f64 v[160:161], -v[148:149], v[166:167], 1.0
	v_fmac_f64_e32 v[166:167], v[160:161], v[166:167]
	v_mul_f64 v[160:161], v[162:163], v[166:167]
	v_mul_f64 v[164:165], v[148:149], v[160:161]
	v_fma_f64 v[176:177], v[160:161], v[148:149], -v[164:165]
	v_fmac_f64_e32 v[176:177], v[160:161], v[146:147]
	v_add_f64 v[178:179], v[164:165], v[176:177]
	v_add_f64 v[180:181], v[162:163], -v[178:179]
	v_add_f64 v[162:163], v[162:163], -v[180:181]
	;; [unrolled: 1-line block ×4, first 2 shown]
	v_add_f64 v[150:151], v[150:151], v[162:163]
	v_add_f64 v[162:163], v[164:165], -v[176:177]
	v_add_f64 v[150:151], v[162:163], v[150:151]
	v_add_f64 v[162:163], v[180:181], v[150:151]
	v_add_f64 v[164:165], v[180:181], -v[162:163]
	v_add_f64 v[150:151], v[150:151], v[164:165]
	v_mul_f64 v[164:165], v[166:167], v[162:163]
	v_mul_f64 v[176:177], v[148:149], v[164:165]
	v_fma_f64 v[148:149], v[164:165], v[148:149], -v[176:177]
	v_fmac_f64_e32 v[148:149], v[164:165], v[146:147]
	v_add_f64 v[146:147], v[176:177], v[148:149]
	v_add_f64 v[178:179], v[162:163], -v[146:147]
	v_add_f64 v[162:163], v[162:163], -v[178:179]
	;; [unrolled: 1-line block ×4, first 2 shown]
	v_add_f64 v[146:147], v[150:151], v[146:147]
	v_add_f64 v[148:149], v[176:177], -v[148:149]
	v_add_f64 v[146:147], v[148:149], v[146:147]
	v_add_f64 v[148:149], v[160:161], v[164:165]
	;; [unrolled: 1-line block ×3, first 2 shown]
	v_add_f64 v[150:151], v[148:149], -v[160:161]
	v_mul_f64 v[146:147], v[166:167], v[146:147]
	v_add_f64 v[150:151], v[164:165], -v[150:151]
	v_add_f64 v[146:147], v[150:151], v[146:147]
	v_add_f64 v[150:151], v[148:149], v[146:147]
	v_add_f64 v[148:149], v[150:151], -v[148:149]
	s_mov_b32 s38, 0xbf559e2b
	v_add_f64 v[146:147], v[146:147], -v[148:149]
	v_mul_f64 v[148:149], v[150:151], v[150:151]
	v_mov_b32_e32 v160, 0x6b47b09a
	v_mov_b32_e32 v161, 0x3fc38538
	s_mov_b32 s39, 0x3fc3ab76
	v_fmac_f64_e32 v[160:161], s[38:39], v[148:149]
	v_mov_b32_e32 v162, 0xd7f4df2e
	v_mov_b32_e32 v163, 0x3fc7474d
	v_fmac_f64_e32 v[162:163], v[148:149], v[160:161]
	v_mov_b32_e32 v160, 0x16291751
	v_mov_b32_e32 v161, 0x3fcc71c0
	;; [unrolled: 3-line block ×5, first 2 shown]
	v_fmac_f64_e32 v[162:163], v[148:149], v[160:161]
	v_cvt_f64_i32_e32 v[160:161], v182
	v_mul_f64 v[164:165], v[160:161], s[50:51]
	v_fma_f64 v[166:167], v[160:161], s[50:51], -v[164:165]
	v_fmac_f64_e32 v[166:167], s[52:53], v[160:161]
	v_add_f64 v[160:161], v[164:165], v[166:167]
	v_add_f64 v[164:165], v[160:161], -v[164:165]
	v_mul_f64 v[148:149], v[150:151], v[148:149]
	v_add_f64 v[164:165], v[166:167], -v[164:165]
	v_ldexp_f64 v[166:167], v[150:151], 1
	v_mul_f64 v[148:149], v[148:149], v[162:163]
	v_add_f64 v[150:151], v[166:167], v[148:149]
	v_add_f64 v[162:163], v[150:151], -v[166:167]
	v_ldexp_f64 v[146:147], v[146:147], 1
	v_add_f64 v[148:149], v[148:149], -v[162:163]
	v_add_f64 v[146:147], v[146:147], v[148:149]
	v_add_f64 v[148:149], v[150:151], v[146:147]
	v_add_f64 v[150:151], v[148:149], -v[150:151]
	v_add_f64 v[146:147], v[146:147], -v[150:151]
	v_add_f64 v[150:151], v[160:161], v[148:149]
	v_add_f64 v[162:163], v[150:151], -v[160:161]
	v_add_f64 v[166:167], v[150:151], -v[162:163]
	;; [unrolled: 1-line block ×4, first 2 shown]
	v_add_f64 v[148:149], v[148:149], v[160:161]
	v_add_f64 v[160:161], v[164:165], v[146:147]
	v_add_f64 v[162:163], v[160:161], -v[164:165]
	v_add_f64 v[148:149], v[160:161], v[148:149]
	v_add_f64 v[166:167], v[160:161], -v[162:163]
	;; [unrolled: 2-line block ×3, first 2 shown]
	v_add_f64 v[146:147], v[146:147], -v[162:163]
	v_add_f64 v[150:151], v[160:161], -v[150:151]
	v_add_f64 v[146:147], v[146:147], v[164:165]
	v_add_f64 v[148:149], v[148:149], -v[150:151]
	s_mov_b32 s38, 0
	v_add_f64 v[146:147], v[146:147], v[148:149]
	s_mov_b32 s39, 0x7ff00000
	v_add_f64 v[146:147], v[160:161], v[146:147]
	v_cmp_eq_f64_e64 s[38:39], s[38:39], v[144:145]
	v_mov_b32_e32 v148, 0x7ff80000
	s_nop 0
	v_cndmask_b32_e64 v146, v146, v144, s[38:39]
	v_cndmask_b32_e64 v147, v147, v145, s[38:39]
	v_cmp_ngt_f64_e64 s[38:39], -1.0, v[144:145]
	s_nop 1
	v_cndmask_b32_e64 v147, v148, v147, s[38:39]
	v_cmp_nge_f64_e64 s[38:39], -1.0, v[144:145]
	v_mov_b32_e32 v148, 0xfff00000
	s_nop 0
	v_cndmask_b32_e64 v146, 0, v146, s[38:39]
	v_cmp_neq_f64_e64 s[38:39], -1.0, v[144:145]
	s_nop 1
	v_cndmask_b32_e64 v147, v148, v147, s[38:39]
	v_add_f64 v[144:145], v[6:7], v[146:147]
.LBB50_324:
	s_or_b64 exec, exec, s[48:49]
	v_mov_b64_e32 v[6:7], v[144:145]
.LBB50_325:
	s_or_b64 exec, exec, s[44:45]
	v_add_u32_e32 v144, -1, v71
	v_and_b32_e32 v145, 64, v71
	v_cmp_lt_i32_e64 s[38:39], v144, v145
	s_movk_i32 s50, 0x1f8
	s_nop 0
	v_cndmask_b32_e64 v71, v144, v71, s[38:39]
	v_lshlrev_b32_e32 v71, 2, v71
	ds_bpermute_b32 v6, v71, v6
	ds_bpermute_b32 v7, v71, v7
	s_waitcnt lgkmcnt(0)
	v_max_f64 v[146:147], v[6:7], v[6:7]
	v_min_f64 v[144:145], v[146:147], v[134:135]
	v_cmp_u_f64_e64 s[38:39], v[6:7], v[6:7]
	v_max_f64 v[134:135], v[146:147], v[134:135]
	s_nop 0
	v_cndmask_b32_e64 v71, v144, v6, s[38:39]
	v_cndmask_b32_e64 v144, v145, v7, s[38:39]
	;; [unrolled: 1-line block ×8, first 2 shown]
	v_cmp_neq_f64_e64 s[36:37], v[144:145], v[4:5]
	v_cmp_class_f64_e64 s[38:39], v[144:145], s50
	s_or_b64 s[36:37], s[36:37], s[38:39]
	s_and_saveexec_b64 s[40:41], s[36:37]
	s_cbranch_execz .LBB50_327
; %bb.326:
	s_mov_b32 s36, 0x652b82fe
	v_add_f64 v[6:7], v[144:145], -v[4:5]
	s_mov_b32 s37, 0x3ff71547
	v_mul_f64 v[134:135], v[6:7], s[36:37]
	v_rndne_f64_e32 v[134:135], v[134:135]
	s_mov_b32 s45, 0xbfe62e42
	s_mov_b32 s44, 0xfefa39ef
	v_fma_f64 v[144:145], s[44:45], v[134:135], v[6:7]
	s_mov_b32 s49, 0xbc7abc9e
	s_mov_b32 s48, 0x3b39803f
	;; [unrolled: 1-line block ×3, first 2 shown]
	v_fmac_f64_e32 v[144:145], s[48:49], v[134:135]
	v_mov_b32_e32 v146, 0xfca7ab0c
	v_mov_b32_e32 v147, 0x3e928af3
	s_mov_b32 s37, 0x3e5ade15
	v_fmac_f64_e32 v[146:147], s[36:37], v[144:145]
	v_mov_b32_e32 v148, 0x623fde64
	v_mov_b32_e32 v149, 0x3ec71dee
	v_fmac_f64_e32 v[148:149], v[144:145], v[146:147]
	v_mov_b32_e32 v146, 0x7c89e6b0
	v_mov_b32_e32 v147, 0x3efa0199
	;; [unrolled: 3-line block ×8, first 2 shown]
	v_fmac_f64_e32 v[146:147], v[144:145], v[148:149]
	v_fma_f64 v[146:147], v[144:145], v[146:147], 1.0
	s_mov_b32 s36, 0
	s_mov_b32 s38, 0
	v_fma_f64 v[144:145], v[144:145], v[146:147], 1.0
	v_cvt_i32_f64_e32 v71, v[134:135]
	s_mov_b32 s37, 0x40900000
	s_mov_b32 s39, 0xc090cc00
	v_ldexp_f64 v[134:135], v[144:145], v71
	v_mov_b32_e32 v71, 0x7ff00000
	v_cmp_nlt_f64_e64 s[36:37], s[36:37], v[6:7]
	v_cmp_ngt_f64_e64 s[38:39], s[38:39], v[6:7]
	s_mov_b32 s45, 0x3fe62e42
	v_cndmask_b32_e64 v71, v71, v135, s[36:37]
	s_and_b64 s[36:37], s[38:39], s[36:37]
	v_cndmask_b32_e64 v7, 0, v71, s[38:39]
	v_cndmask_b32_e64 v6, 0, v134, s[36:37]
	v_add_f64 v[134:135], v[6:7], 1.0
	v_add_f64 v[144:145], v[134:135], -1.0
	v_add_f64 v[146:147], v[144:145], -v[134:135]
	v_add_f64 v[146:147], v[146:147], 1.0
	v_add_f64 v[144:145], v[6:7], -v[144:145]
	s_mov_b32 s36, 0x55555555
	v_add_f64 v[144:145], v[144:145], v[146:147]
	v_frexp_mant_f64_e32 v[146:147], v[134:135]
	s_mov_b32 s37, 0x3fe55555
	v_frexp_exp_i32_f64_e32 v71, v[134:135]
	v_cmp_gt_f64_e64 s[36:37], s[36:37], v[146:147]
	s_mov_b32 s49, 0x3c7abc9e
	s_nop 0
	v_subbrev_co_u32_e64 v71, s[36:37], 0, v71, s[36:37]
	v_sub_u32_e32 v146, 0, v71
	v_ldexp_f64 v[134:135], v[134:135], v146
	v_ldexp_f64 v[144:145], v[144:145], v146
	v_add_f64 v[146:147], v[134:135], -1.0
	v_add_f64 v[160:161], v[134:135], 1.0
	v_add_f64 v[148:149], v[146:147], 1.0
	v_add_f64 v[162:163], v[160:161], -1.0
	v_add_f64 v[148:149], v[134:135], -v[148:149]
	v_add_f64 v[134:135], v[134:135], -v[162:163]
	v_add_f64 v[134:135], v[144:145], v[134:135]
	v_add_f64 v[148:149], v[144:145], v[148:149]
	;; [unrolled: 1-line block ×3, first 2 shown]
	v_rcp_f64_e32 v[162:163], v[144:145]
	v_add_f64 v[150:151], v[146:147], v[148:149]
	v_add_f64 v[146:147], v[150:151], -v[146:147]
	v_add_f64 v[146:147], v[148:149], -v[146:147]
	v_add_f64 v[148:149], v[144:145], -v[160:161]
	v_add_f64 v[134:135], v[134:135], -v[148:149]
	v_fma_f64 v[148:149], -v[144:145], v[162:163], 1.0
	v_fmac_f64_e32 v[162:163], v[148:149], v[162:163]
	v_fma_f64 v[148:149], -v[144:145], v[162:163], 1.0
	v_fmac_f64_e32 v[162:163], v[148:149], v[162:163]
	v_mul_f64 v[148:149], v[150:151], v[162:163]
	v_mul_f64 v[160:161], v[144:145], v[148:149]
	v_fma_f64 v[164:165], v[148:149], v[144:145], -v[160:161]
	v_fmac_f64_e32 v[164:165], v[148:149], v[134:135]
	v_add_f64 v[166:167], v[160:161], v[164:165]
	v_add_f64 v[176:177], v[150:151], -v[166:167]
	v_add_f64 v[150:151], v[150:151], -v[176:177]
	;; [unrolled: 1-line block ×4, first 2 shown]
	v_add_f64 v[146:147], v[146:147], v[150:151]
	v_add_f64 v[150:151], v[160:161], -v[164:165]
	v_add_f64 v[146:147], v[150:151], v[146:147]
	v_add_f64 v[150:151], v[176:177], v[146:147]
	v_add_f64 v[160:161], v[176:177], -v[150:151]
	v_add_f64 v[146:147], v[146:147], v[160:161]
	v_mul_f64 v[160:161], v[162:163], v[150:151]
	v_mul_f64 v[164:165], v[144:145], v[160:161]
	v_fma_f64 v[144:145], v[160:161], v[144:145], -v[164:165]
	v_fmac_f64_e32 v[144:145], v[160:161], v[134:135]
	v_add_f64 v[134:135], v[164:165], v[144:145]
	v_add_f64 v[166:167], v[150:151], -v[134:135]
	v_add_f64 v[150:151], v[150:151], -v[166:167]
	;; [unrolled: 1-line block ×4, first 2 shown]
	v_add_f64 v[134:135], v[146:147], v[134:135]
	v_add_f64 v[144:145], v[164:165], -v[144:145]
	v_add_f64 v[134:135], v[144:145], v[134:135]
	v_add_f64 v[144:145], v[148:149], v[160:161]
	;; [unrolled: 1-line block ×3, first 2 shown]
	v_add_f64 v[146:147], v[144:145], -v[148:149]
	v_mul_f64 v[134:135], v[162:163], v[134:135]
	v_add_f64 v[146:147], v[160:161], -v[146:147]
	v_add_f64 v[134:135], v[146:147], v[134:135]
	v_add_f64 v[146:147], v[144:145], v[134:135]
	v_add_f64 v[144:145], v[146:147], -v[144:145]
	s_mov_b32 s36, 0xbf559e2b
	v_add_f64 v[134:135], v[134:135], -v[144:145]
	v_mul_f64 v[144:145], v[146:147], v[146:147]
	v_mov_b32_e32 v148, 0x6b47b09a
	v_mov_b32_e32 v149, 0x3fc38538
	s_mov_b32 s37, 0x3fc3ab76
	v_fmac_f64_e32 v[148:149], s[36:37], v[144:145]
	v_mov_b32_e32 v150, 0xd7f4df2e
	v_mov_b32_e32 v151, 0x3fc7474d
	v_fmac_f64_e32 v[150:151], v[144:145], v[148:149]
	v_mov_b32_e32 v148, 0x16291751
	v_mov_b32_e32 v149, 0x3fcc71c0
	;; [unrolled: 3-line block ×5, first 2 shown]
	v_fmac_f64_e32 v[150:151], v[144:145], v[148:149]
	v_cvt_f64_i32_e32 v[148:149], v71
	v_mul_f64 v[160:161], v[148:149], s[44:45]
	v_fma_f64 v[162:163], v[148:149], s[44:45], -v[160:161]
	v_fmac_f64_e32 v[162:163], s[48:49], v[148:149]
	v_add_f64 v[148:149], v[160:161], v[162:163]
	v_add_f64 v[160:161], v[148:149], -v[160:161]
	v_mul_f64 v[144:145], v[146:147], v[144:145]
	v_add_f64 v[160:161], v[162:163], -v[160:161]
	v_ldexp_f64 v[162:163], v[146:147], 1
	v_mul_f64 v[144:145], v[144:145], v[150:151]
	v_add_f64 v[146:147], v[162:163], v[144:145]
	v_add_f64 v[150:151], v[146:147], -v[162:163]
	v_ldexp_f64 v[134:135], v[134:135], 1
	v_add_f64 v[144:145], v[144:145], -v[150:151]
	v_add_f64 v[134:135], v[134:135], v[144:145]
	v_add_f64 v[144:145], v[146:147], v[134:135]
	v_add_f64 v[146:147], v[144:145], -v[146:147]
	v_add_f64 v[134:135], v[134:135], -v[146:147]
	v_add_f64 v[146:147], v[148:149], v[144:145]
	v_add_f64 v[150:151], v[146:147], -v[148:149]
	v_add_f64 v[162:163], v[146:147], -v[150:151]
	;; [unrolled: 1-line block ×4, first 2 shown]
	v_add_f64 v[144:145], v[144:145], v[148:149]
	v_add_f64 v[148:149], v[160:161], v[134:135]
	v_add_f64 v[150:151], v[148:149], -v[160:161]
	v_add_f64 v[144:145], v[148:149], v[144:145]
	v_add_f64 v[162:163], v[148:149], -v[150:151]
	;; [unrolled: 2-line block ×3, first 2 shown]
	v_add_f64 v[134:135], v[134:135], -v[150:151]
	v_add_f64 v[146:147], v[148:149], -v[146:147]
	v_add_f64 v[134:135], v[134:135], v[160:161]
	v_add_f64 v[144:145], v[144:145], -v[146:147]
	s_mov_b32 s36, 0
	v_add_f64 v[134:135], v[134:135], v[144:145]
	s_mov_b32 s37, 0x7ff00000
	v_add_f64 v[134:135], v[148:149], v[134:135]
	v_cmp_eq_f64_e64 s[36:37], s[36:37], v[6:7]
	s_nop 1
	v_cndmask_b32_e64 v71, v134, v6, s[36:37]
	v_cndmask_b32_e64 v134, v135, v7, s[36:37]
	v_mov_b32_e32 v135, 0x7ff80000
	v_cmp_ngt_f64_e64 s[36:37], -1.0, v[6:7]
	s_nop 1
	v_cndmask_b32_e64 v135, v135, v134, s[36:37]
	v_cmp_nge_f64_e64 s[36:37], -1.0, v[6:7]
	s_nop 1
	v_cndmask_b32_e64 v134, 0, v71, s[36:37]
	v_mov_b32_e32 v71, 0xfff00000
	v_cmp_neq_f64_e64 s[36:37], -1.0, v[6:7]
	s_nop 1
	v_cndmask_b32_e64 v135, v71, v135, s[36:37]
	v_add_f64 v[6:7], v[4:5], v[134:135]
.LBB50_327:
	s_or_b64 exec, exec, s[40:41]
	v_cndmask_b32_e64 v7, v7, v133, s[34:35]
	v_cndmask_b32_e64 v6, v6, v132, s[34:35]
	; wave barrier
	ds_write_b64 v53, v[6:7]
	; wave barrier
	ds_read_b64 v[4:5], v53 offset:8
	v_max_f64 v[144:145], v[6:7], v[6:7]
	v_cmp_u_f64_e64 s[34:35], v[6:7], v[6:7]
	s_waitcnt lgkmcnt(0)
	v_max_f64 v[146:147], v[4:5], v[4:5]
	v_min_f64 v[134:135], v[144:145], v[146:147]
	v_cndmask_b32_e64 v71, v134, v6, s[34:35]
	v_cndmask_b32_e64 v134, v135, v7, s[34:35]
	v_cmp_u_f64_e64 s[36:37], v[4:5], v[4:5]
	v_max_f64 v[144:145], v[144:145], v[146:147]
	s_nop 0
	v_cndmask_b32_e64 v135, v134, v5, s[36:37]
	v_cndmask_b32_e64 v134, v71, v4, s[36:37]
	v_cndmask_b32_e64 v71, v144, v6, s[34:35]
	v_cndmask_b32_e64 v144, v145, v7, s[34:35]
	v_cndmask_b32_e64 v5, v144, v5, s[36:37]
	v_cndmask_b32_e64 v4, v71, v4, s[36:37]
	v_cmp_neq_f64_e64 s[34:35], v[134:135], v[4:5]
	v_cmp_class_f64_e64 s[36:37], v[134:135], s50
	s_or_b64 s[34:35], s[34:35], s[36:37]
	s_and_saveexec_b64 s[38:39], s[34:35]
	s_cbranch_execz .LBB50_329
; %bb.328:
	s_mov_b32 s34, 0x652b82fe
	v_add_f64 v[6:7], v[134:135], -v[4:5]
	s_mov_b32 s35, 0x3ff71547
	v_mul_f64 v[134:135], v[6:7], s[34:35]
	v_rndne_f64_e32 v[134:135], v[134:135]
	s_mov_b32 s41, 0xbfe62e42
	s_mov_b32 s40, 0xfefa39ef
	v_fma_f64 v[144:145], s[40:41], v[134:135], v[6:7]
	s_mov_b32 s45, 0xbc7abc9e
	s_mov_b32 s44, 0x3b39803f
	;; [unrolled: 1-line block ×3, first 2 shown]
	v_fmac_f64_e32 v[144:145], s[44:45], v[134:135]
	v_mov_b32_e32 v146, 0xfca7ab0c
	v_mov_b32_e32 v147, 0x3e928af3
	s_mov_b32 s35, 0x3e5ade15
	v_fmac_f64_e32 v[146:147], s[34:35], v[144:145]
	v_mov_b32_e32 v148, 0x623fde64
	v_mov_b32_e32 v149, 0x3ec71dee
	v_fmac_f64_e32 v[148:149], v[144:145], v[146:147]
	v_mov_b32_e32 v146, 0x7c89e6b0
	v_mov_b32_e32 v147, 0x3efa0199
	;; [unrolled: 3-line block ×8, first 2 shown]
	v_fmac_f64_e32 v[146:147], v[144:145], v[148:149]
	v_fma_f64 v[146:147], v[144:145], v[146:147], 1.0
	s_mov_b32 s34, 0
	s_mov_b32 s36, 0
	v_fma_f64 v[144:145], v[144:145], v[146:147], 1.0
	v_cvt_i32_f64_e32 v71, v[134:135]
	s_mov_b32 s35, 0x40900000
	s_mov_b32 s37, 0xc090cc00
	v_ldexp_f64 v[134:135], v[144:145], v71
	v_mov_b32_e32 v71, 0x7ff00000
	v_cmp_nlt_f64_e64 s[34:35], s[34:35], v[6:7]
	v_cmp_ngt_f64_e64 s[36:37], s[36:37], v[6:7]
	s_mov_b32 s41, 0x3fe62e42
	v_cndmask_b32_e64 v71, v71, v135, s[34:35]
	s_and_b64 s[34:35], s[36:37], s[34:35]
	v_cndmask_b32_e64 v7, 0, v71, s[36:37]
	v_cndmask_b32_e64 v6, 0, v134, s[34:35]
	v_add_f64 v[134:135], v[6:7], 1.0
	v_add_f64 v[144:145], v[134:135], -1.0
	v_add_f64 v[146:147], v[144:145], -v[134:135]
	v_add_f64 v[146:147], v[146:147], 1.0
	v_add_f64 v[144:145], v[6:7], -v[144:145]
	s_mov_b32 s34, 0x55555555
	v_add_f64 v[144:145], v[144:145], v[146:147]
	v_frexp_mant_f64_e32 v[146:147], v[134:135]
	s_mov_b32 s35, 0x3fe55555
	v_frexp_exp_i32_f64_e32 v71, v[134:135]
	v_cmp_gt_f64_e64 s[34:35], s[34:35], v[146:147]
	s_mov_b32 s45, 0x3c7abc9e
	s_nop 0
	v_subbrev_co_u32_e64 v71, s[34:35], 0, v71, s[34:35]
	v_sub_u32_e32 v146, 0, v71
	v_ldexp_f64 v[134:135], v[134:135], v146
	v_ldexp_f64 v[144:145], v[144:145], v146
	v_add_f64 v[146:147], v[134:135], -1.0
	v_add_f64 v[160:161], v[134:135], 1.0
	v_add_f64 v[148:149], v[146:147], 1.0
	v_add_f64 v[162:163], v[160:161], -1.0
	v_add_f64 v[148:149], v[134:135], -v[148:149]
	v_add_f64 v[134:135], v[134:135], -v[162:163]
	v_add_f64 v[134:135], v[144:145], v[134:135]
	v_add_f64 v[148:149], v[144:145], v[148:149]
	;; [unrolled: 1-line block ×3, first 2 shown]
	v_rcp_f64_e32 v[162:163], v[144:145]
	v_add_f64 v[150:151], v[146:147], v[148:149]
	v_add_f64 v[146:147], v[150:151], -v[146:147]
	v_add_f64 v[146:147], v[148:149], -v[146:147]
	;; [unrolled: 1-line block ×4, first 2 shown]
	v_fma_f64 v[148:149], -v[144:145], v[162:163], 1.0
	v_fmac_f64_e32 v[162:163], v[148:149], v[162:163]
	v_fma_f64 v[148:149], -v[144:145], v[162:163], 1.0
	v_fmac_f64_e32 v[162:163], v[148:149], v[162:163]
	v_mul_f64 v[148:149], v[150:151], v[162:163]
	v_mul_f64 v[160:161], v[144:145], v[148:149]
	v_fma_f64 v[164:165], v[148:149], v[144:145], -v[160:161]
	v_fmac_f64_e32 v[164:165], v[148:149], v[134:135]
	v_add_f64 v[166:167], v[160:161], v[164:165]
	v_add_f64 v[176:177], v[150:151], -v[166:167]
	v_add_f64 v[150:151], v[150:151], -v[176:177]
	;; [unrolled: 1-line block ×4, first 2 shown]
	v_add_f64 v[146:147], v[146:147], v[150:151]
	v_add_f64 v[150:151], v[160:161], -v[164:165]
	v_add_f64 v[146:147], v[150:151], v[146:147]
	v_add_f64 v[150:151], v[176:177], v[146:147]
	v_add_f64 v[160:161], v[176:177], -v[150:151]
	v_add_f64 v[146:147], v[146:147], v[160:161]
	v_mul_f64 v[160:161], v[162:163], v[150:151]
	v_mul_f64 v[164:165], v[144:145], v[160:161]
	v_fma_f64 v[144:145], v[160:161], v[144:145], -v[164:165]
	v_fmac_f64_e32 v[144:145], v[160:161], v[134:135]
	v_add_f64 v[134:135], v[164:165], v[144:145]
	v_add_f64 v[166:167], v[150:151], -v[134:135]
	v_add_f64 v[150:151], v[150:151], -v[166:167]
	;; [unrolled: 1-line block ×4, first 2 shown]
	v_add_f64 v[134:135], v[146:147], v[134:135]
	v_add_f64 v[144:145], v[164:165], -v[144:145]
	v_add_f64 v[134:135], v[144:145], v[134:135]
	v_add_f64 v[144:145], v[148:149], v[160:161]
	;; [unrolled: 1-line block ×3, first 2 shown]
	v_add_f64 v[146:147], v[144:145], -v[148:149]
	v_mul_f64 v[134:135], v[162:163], v[134:135]
	v_add_f64 v[146:147], v[160:161], -v[146:147]
	v_add_f64 v[134:135], v[146:147], v[134:135]
	v_add_f64 v[146:147], v[144:145], v[134:135]
	v_add_f64 v[144:145], v[146:147], -v[144:145]
	s_mov_b32 s34, 0xbf559e2b
	v_add_f64 v[134:135], v[134:135], -v[144:145]
	v_mul_f64 v[144:145], v[146:147], v[146:147]
	v_mov_b32_e32 v148, 0x6b47b09a
	v_mov_b32_e32 v149, 0x3fc38538
	s_mov_b32 s35, 0x3fc3ab76
	v_fmac_f64_e32 v[148:149], s[34:35], v[144:145]
	v_mov_b32_e32 v150, 0xd7f4df2e
	v_mov_b32_e32 v151, 0x3fc7474d
	v_fmac_f64_e32 v[150:151], v[144:145], v[148:149]
	v_mov_b32_e32 v148, 0x16291751
	v_mov_b32_e32 v149, 0x3fcc71c0
	;; [unrolled: 3-line block ×5, first 2 shown]
	v_fmac_f64_e32 v[150:151], v[144:145], v[148:149]
	v_cvt_f64_i32_e32 v[148:149], v71
	v_mul_f64 v[160:161], v[148:149], s[40:41]
	v_fma_f64 v[162:163], v[148:149], s[40:41], -v[160:161]
	v_fmac_f64_e32 v[162:163], s[44:45], v[148:149]
	v_add_f64 v[148:149], v[160:161], v[162:163]
	v_add_f64 v[160:161], v[148:149], -v[160:161]
	v_mul_f64 v[144:145], v[146:147], v[144:145]
	v_add_f64 v[160:161], v[162:163], -v[160:161]
	v_ldexp_f64 v[162:163], v[146:147], 1
	v_mul_f64 v[144:145], v[144:145], v[150:151]
	v_add_f64 v[146:147], v[162:163], v[144:145]
	v_add_f64 v[150:151], v[146:147], -v[162:163]
	v_ldexp_f64 v[134:135], v[134:135], 1
	v_add_f64 v[144:145], v[144:145], -v[150:151]
	v_add_f64 v[134:135], v[134:135], v[144:145]
	v_add_f64 v[144:145], v[146:147], v[134:135]
	v_add_f64 v[146:147], v[144:145], -v[146:147]
	v_add_f64 v[134:135], v[134:135], -v[146:147]
	v_add_f64 v[146:147], v[148:149], v[144:145]
	v_add_f64 v[150:151], v[146:147], -v[148:149]
	v_add_f64 v[162:163], v[146:147], -v[150:151]
	;; [unrolled: 1-line block ×4, first 2 shown]
	v_add_f64 v[144:145], v[144:145], v[148:149]
	v_add_f64 v[148:149], v[160:161], v[134:135]
	v_add_f64 v[150:151], v[148:149], -v[160:161]
	v_add_f64 v[144:145], v[148:149], v[144:145]
	v_add_f64 v[162:163], v[148:149], -v[150:151]
	;; [unrolled: 2-line block ×3, first 2 shown]
	v_add_f64 v[134:135], v[134:135], -v[150:151]
	v_add_f64 v[146:147], v[148:149], -v[146:147]
	v_add_f64 v[134:135], v[134:135], v[160:161]
	v_add_f64 v[144:145], v[144:145], -v[146:147]
	s_mov_b32 s34, 0
	v_add_f64 v[134:135], v[134:135], v[144:145]
	s_mov_b32 s35, 0x7ff00000
	v_add_f64 v[134:135], v[148:149], v[134:135]
	v_cmp_eq_f64_e64 s[34:35], s[34:35], v[6:7]
	s_nop 1
	v_cndmask_b32_e64 v71, v134, v6, s[34:35]
	v_cndmask_b32_e64 v134, v135, v7, s[34:35]
	v_mov_b32_e32 v135, 0x7ff80000
	v_cmp_ngt_f64_e64 s[34:35], -1.0, v[6:7]
	s_nop 1
	v_cndmask_b32_e64 v135, v135, v134, s[34:35]
	v_cmp_nge_f64_e64 s[34:35], -1.0, v[6:7]
	s_nop 1
	v_cndmask_b32_e64 v134, 0, v71, s[34:35]
	v_mov_b32_e32 v71, 0xfff00000
	v_cmp_neq_f64_e64 s[34:35], -1.0, v[6:7]
	s_nop 1
	v_cndmask_b32_e64 v135, v71, v135, s[34:35]
	v_add_f64 v[6:7], v[4:5], v[134:135]
.LBB50_329:
	s_or_b64 exec, exec, s[38:39]
	ds_read_b64 v[4:5], v53 offset:16
	v_max_f64 v[144:145], v[6:7], v[6:7]
	v_cmp_u_f64_e64 s[34:35], v[6:7], v[6:7]
	s_movk_i32 s48, 0x1f8
	ds_write_b64 v53, v[6:7] offset:8
	s_waitcnt lgkmcnt(1)
	v_max_f64 v[146:147], v[4:5], v[4:5]
	v_min_f64 v[134:135], v[144:145], v[146:147]
	v_cndmask_b32_e64 v71, v134, v6, s[34:35]
	v_cndmask_b32_e64 v134, v135, v7, s[34:35]
	v_cmp_u_f64_e64 s[36:37], v[4:5], v[4:5]
	v_max_f64 v[144:145], v[144:145], v[146:147]
	s_nop 0
	v_cndmask_b32_e64 v135, v134, v5, s[36:37]
	v_cndmask_b32_e64 v134, v71, v4, s[36:37]
	;; [unrolled: 1-line block ×6, first 2 shown]
	v_cmp_neq_f64_e64 s[34:35], v[134:135], v[4:5]
	v_cmp_class_f64_e64 s[36:37], v[134:135], s48
	s_or_b64 s[34:35], s[34:35], s[36:37]
	s_and_saveexec_b64 s[38:39], s[34:35]
	s_cbranch_execz .LBB50_331
; %bb.330:
	s_mov_b32 s34, 0x652b82fe
	v_add_f64 v[6:7], v[134:135], -v[4:5]
	s_mov_b32 s35, 0x3ff71547
	v_mul_f64 v[134:135], v[6:7], s[34:35]
	v_rndne_f64_e32 v[134:135], v[134:135]
	s_mov_b32 s41, 0xbfe62e42
	s_mov_b32 s40, 0xfefa39ef
	v_fma_f64 v[144:145], s[40:41], v[134:135], v[6:7]
	s_mov_b32 s45, 0xbc7abc9e
	s_mov_b32 s44, 0x3b39803f
	;; [unrolled: 1-line block ×3, first 2 shown]
	v_fmac_f64_e32 v[144:145], s[44:45], v[134:135]
	v_mov_b32_e32 v146, 0xfca7ab0c
	v_mov_b32_e32 v147, 0x3e928af3
	s_mov_b32 s35, 0x3e5ade15
	v_fmac_f64_e32 v[146:147], s[34:35], v[144:145]
	v_mov_b32_e32 v148, 0x623fde64
	v_mov_b32_e32 v149, 0x3ec71dee
	v_fmac_f64_e32 v[148:149], v[144:145], v[146:147]
	v_mov_b32_e32 v146, 0x7c89e6b0
	v_mov_b32_e32 v147, 0x3efa0199
	;; [unrolled: 3-line block ×8, first 2 shown]
	v_fmac_f64_e32 v[146:147], v[144:145], v[148:149]
	v_fma_f64 v[146:147], v[144:145], v[146:147], 1.0
	s_mov_b32 s34, 0
	s_mov_b32 s36, 0
	v_fma_f64 v[144:145], v[144:145], v[146:147], 1.0
	v_cvt_i32_f64_e32 v71, v[134:135]
	s_mov_b32 s35, 0x40900000
	s_mov_b32 s37, 0xc090cc00
	v_ldexp_f64 v[134:135], v[144:145], v71
	v_mov_b32_e32 v71, 0x7ff00000
	v_cmp_nlt_f64_e64 s[34:35], s[34:35], v[6:7]
	v_cmp_ngt_f64_e64 s[36:37], s[36:37], v[6:7]
	s_mov_b32 s41, 0x3fe62e42
	v_cndmask_b32_e64 v71, v71, v135, s[34:35]
	s_and_b64 s[34:35], s[36:37], s[34:35]
	v_cndmask_b32_e64 v7, 0, v71, s[36:37]
	v_cndmask_b32_e64 v6, 0, v134, s[34:35]
	v_add_f64 v[134:135], v[6:7], 1.0
	v_add_f64 v[144:145], v[134:135], -1.0
	v_add_f64 v[146:147], v[144:145], -v[134:135]
	v_add_f64 v[146:147], v[146:147], 1.0
	v_add_f64 v[144:145], v[6:7], -v[144:145]
	s_mov_b32 s34, 0x55555555
	v_add_f64 v[144:145], v[144:145], v[146:147]
	v_frexp_mant_f64_e32 v[146:147], v[134:135]
	s_mov_b32 s35, 0x3fe55555
	v_frexp_exp_i32_f64_e32 v71, v[134:135]
	v_cmp_gt_f64_e64 s[34:35], s[34:35], v[146:147]
	s_mov_b32 s45, 0x3c7abc9e
	s_nop 0
	v_subbrev_co_u32_e64 v71, s[34:35], 0, v71, s[34:35]
	v_sub_u32_e32 v146, 0, v71
	v_ldexp_f64 v[134:135], v[134:135], v146
	v_ldexp_f64 v[144:145], v[144:145], v146
	v_add_f64 v[146:147], v[134:135], -1.0
	v_add_f64 v[160:161], v[134:135], 1.0
	v_add_f64 v[148:149], v[146:147], 1.0
	v_add_f64 v[162:163], v[160:161], -1.0
	v_add_f64 v[148:149], v[134:135], -v[148:149]
	v_add_f64 v[134:135], v[134:135], -v[162:163]
	v_add_f64 v[134:135], v[144:145], v[134:135]
	v_add_f64 v[148:149], v[144:145], v[148:149]
	;; [unrolled: 1-line block ×3, first 2 shown]
	v_rcp_f64_e32 v[162:163], v[144:145]
	v_add_f64 v[150:151], v[146:147], v[148:149]
	v_add_f64 v[146:147], v[150:151], -v[146:147]
	v_add_f64 v[146:147], v[148:149], -v[146:147]
	;; [unrolled: 1-line block ×4, first 2 shown]
	v_fma_f64 v[148:149], -v[144:145], v[162:163], 1.0
	v_fmac_f64_e32 v[162:163], v[148:149], v[162:163]
	v_fma_f64 v[148:149], -v[144:145], v[162:163], 1.0
	v_fmac_f64_e32 v[162:163], v[148:149], v[162:163]
	v_mul_f64 v[148:149], v[150:151], v[162:163]
	v_mul_f64 v[160:161], v[144:145], v[148:149]
	v_fma_f64 v[164:165], v[148:149], v[144:145], -v[160:161]
	v_fmac_f64_e32 v[164:165], v[148:149], v[134:135]
	v_add_f64 v[166:167], v[160:161], v[164:165]
	v_add_f64 v[176:177], v[150:151], -v[166:167]
	v_add_f64 v[150:151], v[150:151], -v[176:177]
	;; [unrolled: 1-line block ×4, first 2 shown]
	v_add_f64 v[146:147], v[146:147], v[150:151]
	v_add_f64 v[150:151], v[160:161], -v[164:165]
	v_add_f64 v[146:147], v[150:151], v[146:147]
	v_add_f64 v[150:151], v[176:177], v[146:147]
	v_add_f64 v[160:161], v[176:177], -v[150:151]
	v_add_f64 v[146:147], v[146:147], v[160:161]
	v_mul_f64 v[160:161], v[162:163], v[150:151]
	v_mul_f64 v[164:165], v[144:145], v[160:161]
	v_fma_f64 v[144:145], v[160:161], v[144:145], -v[164:165]
	v_fmac_f64_e32 v[144:145], v[160:161], v[134:135]
	v_add_f64 v[134:135], v[164:165], v[144:145]
	v_add_f64 v[166:167], v[150:151], -v[134:135]
	v_add_f64 v[150:151], v[150:151], -v[166:167]
	v_add_f64 v[164:165], v[134:135], -v[164:165]
	v_add_f64 v[134:135], v[150:151], -v[134:135]
	v_add_f64 v[134:135], v[146:147], v[134:135]
	v_add_f64 v[144:145], v[164:165], -v[144:145]
	v_add_f64 v[134:135], v[144:145], v[134:135]
	v_add_f64 v[144:145], v[148:149], v[160:161]
	;; [unrolled: 1-line block ×3, first 2 shown]
	v_add_f64 v[146:147], v[144:145], -v[148:149]
	v_mul_f64 v[134:135], v[162:163], v[134:135]
	v_add_f64 v[146:147], v[160:161], -v[146:147]
	v_add_f64 v[134:135], v[146:147], v[134:135]
	v_add_f64 v[146:147], v[144:145], v[134:135]
	v_add_f64 v[144:145], v[146:147], -v[144:145]
	s_mov_b32 s34, 0xbf559e2b
	v_add_f64 v[134:135], v[134:135], -v[144:145]
	v_mul_f64 v[144:145], v[146:147], v[146:147]
	v_mov_b32_e32 v148, 0x6b47b09a
	v_mov_b32_e32 v149, 0x3fc38538
	s_mov_b32 s35, 0x3fc3ab76
	v_fmac_f64_e32 v[148:149], s[34:35], v[144:145]
	v_mov_b32_e32 v150, 0xd7f4df2e
	v_mov_b32_e32 v151, 0x3fc7474d
	v_fmac_f64_e32 v[150:151], v[144:145], v[148:149]
	v_mov_b32_e32 v148, 0x16291751
	v_mov_b32_e32 v149, 0x3fcc71c0
	;; [unrolled: 3-line block ×5, first 2 shown]
	v_fmac_f64_e32 v[150:151], v[144:145], v[148:149]
	v_cvt_f64_i32_e32 v[148:149], v71
	v_mul_f64 v[160:161], v[148:149], s[40:41]
	v_fma_f64 v[162:163], v[148:149], s[40:41], -v[160:161]
	v_fmac_f64_e32 v[162:163], s[44:45], v[148:149]
	v_add_f64 v[148:149], v[160:161], v[162:163]
	v_add_f64 v[160:161], v[148:149], -v[160:161]
	v_mul_f64 v[144:145], v[146:147], v[144:145]
	v_add_f64 v[160:161], v[162:163], -v[160:161]
	v_ldexp_f64 v[162:163], v[146:147], 1
	v_mul_f64 v[144:145], v[144:145], v[150:151]
	v_add_f64 v[146:147], v[162:163], v[144:145]
	v_add_f64 v[150:151], v[146:147], -v[162:163]
	v_ldexp_f64 v[134:135], v[134:135], 1
	v_add_f64 v[144:145], v[144:145], -v[150:151]
	v_add_f64 v[134:135], v[134:135], v[144:145]
	v_add_f64 v[144:145], v[146:147], v[134:135]
	v_add_f64 v[146:147], v[144:145], -v[146:147]
	v_add_f64 v[134:135], v[134:135], -v[146:147]
	v_add_f64 v[146:147], v[148:149], v[144:145]
	v_add_f64 v[150:151], v[146:147], -v[148:149]
	v_add_f64 v[162:163], v[146:147], -v[150:151]
	;; [unrolled: 1-line block ×4, first 2 shown]
	v_add_f64 v[144:145], v[144:145], v[148:149]
	v_add_f64 v[148:149], v[160:161], v[134:135]
	v_add_f64 v[150:151], v[148:149], -v[160:161]
	v_add_f64 v[144:145], v[148:149], v[144:145]
	v_add_f64 v[162:163], v[148:149], -v[150:151]
	;; [unrolled: 2-line block ×3, first 2 shown]
	v_add_f64 v[134:135], v[134:135], -v[150:151]
	v_add_f64 v[146:147], v[148:149], -v[146:147]
	v_add_f64 v[134:135], v[134:135], v[160:161]
	v_add_f64 v[144:145], v[144:145], -v[146:147]
	s_mov_b32 s34, 0
	v_add_f64 v[134:135], v[134:135], v[144:145]
	s_mov_b32 s35, 0x7ff00000
	v_add_f64 v[134:135], v[148:149], v[134:135]
	v_cmp_eq_f64_e64 s[34:35], s[34:35], v[6:7]
	s_nop 1
	v_cndmask_b32_e64 v71, v134, v6, s[34:35]
	v_cndmask_b32_e64 v134, v135, v7, s[34:35]
	v_mov_b32_e32 v135, 0x7ff80000
	v_cmp_ngt_f64_e64 s[34:35], -1.0, v[6:7]
	s_nop 1
	v_cndmask_b32_e64 v135, v135, v134, s[34:35]
	v_cmp_nge_f64_e64 s[34:35], -1.0, v[6:7]
	s_nop 1
	v_cndmask_b32_e64 v134, 0, v71, s[34:35]
	v_mov_b32_e32 v71, 0xfff00000
	v_cmp_neq_f64_e64 s[34:35], -1.0, v[6:7]
	s_nop 1
	v_cndmask_b32_e64 v135, v71, v135, s[34:35]
	v_add_f64 v[6:7], v[4:5], v[134:135]
.LBB50_331:
	s_or_b64 exec, exec, s[38:39]
	ds_read_b64 v[4:5], v53 offset:24
	v_max_f64 v[144:145], v[6:7], v[6:7]
	v_cmp_u_f64_e64 s[34:35], v[6:7], v[6:7]
	ds_write_b64 v53, v[6:7] offset:16
	s_waitcnt lgkmcnt(1)
	v_max_f64 v[146:147], v[4:5], v[4:5]
	v_min_f64 v[134:135], v[144:145], v[146:147]
	v_cndmask_b32_e64 v71, v134, v6, s[34:35]
	v_cndmask_b32_e64 v134, v135, v7, s[34:35]
	v_cmp_u_f64_e64 s[36:37], v[4:5], v[4:5]
	v_max_f64 v[144:145], v[144:145], v[146:147]
	s_nop 0
	v_cndmask_b32_e64 v135, v134, v5, s[36:37]
	v_cndmask_b32_e64 v134, v71, v4, s[36:37]
	;; [unrolled: 1-line block ×6, first 2 shown]
	v_cmp_neq_f64_e64 s[34:35], v[134:135], v[4:5]
	v_cmp_class_f64_e64 s[36:37], v[134:135], s48
	s_or_b64 s[34:35], s[34:35], s[36:37]
	s_and_saveexec_b64 s[38:39], s[34:35]
	s_cbranch_execz .LBB50_333
; %bb.332:
	s_mov_b32 s34, 0x652b82fe
	v_add_f64 v[6:7], v[134:135], -v[4:5]
	s_mov_b32 s35, 0x3ff71547
	v_mul_f64 v[134:135], v[6:7], s[34:35]
	v_rndne_f64_e32 v[134:135], v[134:135]
	s_mov_b32 s41, 0xbfe62e42
	s_mov_b32 s40, 0xfefa39ef
	v_fma_f64 v[144:145], s[40:41], v[134:135], v[6:7]
	s_mov_b32 s45, 0xbc7abc9e
	s_mov_b32 s44, 0x3b39803f
	;; [unrolled: 1-line block ×3, first 2 shown]
	v_fmac_f64_e32 v[144:145], s[44:45], v[134:135]
	v_mov_b32_e32 v146, 0xfca7ab0c
	v_mov_b32_e32 v147, 0x3e928af3
	s_mov_b32 s35, 0x3e5ade15
	v_fmac_f64_e32 v[146:147], s[34:35], v[144:145]
	v_mov_b32_e32 v148, 0x623fde64
	v_mov_b32_e32 v149, 0x3ec71dee
	v_fmac_f64_e32 v[148:149], v[144:145], v[146:147]
	v_mov_b32_e32 v146, 0x7c89e6b0
	v_mov_b32_e32 v147, 0x3efa0199
	;; [unrolled: 3-line block ×8, first 2 shown]
	v_fmac_f64_e32 v[146:147], v[144:145], v[148:149]
	v_fma_f64 v[146:147], v[144:145], v[146:147], 1.0
	s_mov_b32 s34, 0
	s_mov_b32 s36, 0
	v_fma_f64 v[144:145], v[144:145], v[146:147], 1.0
	v_cvt_i32_f64_e32 v71, v[134:135]
	s_mov_b32 s35, 0x40900000
	s_mov_b32 s37, 0xc090cc00
	v_ldexp_f64 v[134:135], v[144:145], v71
	v_mov_b32_e32 v71, 0x7ff00000
	v_cmp_nlt_f64_e64 s[34:35], s[34:35], v[6:7]
	v_cmp_ngt_f64_e64 s[36:37], s[36:37], v[6:7]
	s_mov_b32 s41, 0x3fe62e42
	v_cndmask_b32_e64 v71, v71, v135, s[34:35]
	s_and_b64 s[34:35], s[36:37], s[34:35]
	v_cndmask_b32_e64 v7, 0, v71, s[36:37]
	v_cndmask_b32_e64 v6, 0, v134, s[34:35]
	v_add_f64 v[134:135], v[6:7], 1.0
	v_add_f64 v[144:145], v[134:135], -1.0
	v_add_f64 v[146:147], v[144:145], -v[134:135]
	v_add_f64 v[146:147], v[146:147], 1.0
	v_add_f64 v[144:145], v[6:7], -v[144:145]
	s_mov_b32 s34, 0x55555555
	v_add_f64 v[144:145], v[144:145], v[146:147]
	v_frexp_mant_f64_e32 v[146:147], v[134:135]
	s_mov_b32 s35, 0x3fe55555
	v_frexp_exp_i32_f64_e32 v71, v[134:135]
	v_cmp_gt_f64_e64 s[34:35], s[34:35], v[146:147]
	s_mov_b32 s45, 0x3c7abc9e
	s_nop 0
	v_subbrev_co_u32_e64 v71, s[34:35], 0, v71, s[34:35]
	v_sub_u32_e32 v146, 0, v71
	v_ldexp_f64 v[134:135], v[134:135], v146
	v_ldexp_f64 v[144:145], v[144:145], v146
	v_add_f64 v[146:147], v[134:135], -1.0
	v_add_f64 v[160:161], v[134:135], 1.0
	v_add_f64 v[148:149], v[146:147], 1.0
	v_add_f64 v[162:163], v[160:161], -1.0
	v_add_f64 v[148:149], v[134:135], -v[148:149]
	v_add_f64 v[134:135], v[134:135], -v[162:163]
	v_add_f64 v[134:135], v[144:145], v[134:135]
	v_add_f64 v[148:149], v[144:145], v[148:149]
	v_add_f64 v[144:145], v[160:161], v[134:135]
	v_rcp_f64_e32 v[162:163], v[144:145]
	v_add_f64 v[150:151], v[146:147], v[148:149]
	v_add_f64 v[146:147], v[150:151], -v[146:147]
	v_add_f64 v[146:147], v[148:149], -v[146:147]
	;; [unrolled: 1-line block ×4, first 2 shown]
	v_fma_f64 v[148:149], -v[144:145], v[162:163], 1.0
	v_fmac_f64_e32 v[162:163], v[148:149], v[162:163]
	v_fma_f64 v[148:149], -v[144:145], v[162:163], 1.0
	v_fmac_f64_e32 v[162:163], v[148:149], v[162:163]
	v_mul_f64 v[148:149], v[150:151], v[162:163]
	v_mul_f64 v[160:161], v[144:145], v[148:149]
	v_fma_f64 v[164:165], v[148:149], v[144:145], -v[160:161]
	v_fmac_f64_e32 v[164:165], v[148:149], v[134:135]
	v_add_f64 v[166:167], v[160:161], v[164:165]
	v_add_f64 v[176:177], v[150:151], -v[166:167]
	v_add_f64 v[150:151], v[150:151], -v[176:177]
	;; [unrolled: 1-line block ×4, first 2 shown]
	v_add_f64 v[146:147], v[146:147], v[150:151]
	v_add_f64 v[150:151], v[160:161], -v[164:165]
	v_add_f64 v[146:147], v[150:151], v[146:147]
	v_add_f64 v[150:151], v[176:177], v[146:147]
	v_add_f64 v[160:161], v[176:177], -v[150:151]
	v_add_f64 v[146:147], v[146:147], v[160:161]
	v_mul_f64 v[160:161], v[162:163], v[150:151]
	v_mul_f64 v[164:165], v[144:145], v[160:161]
	v_fma_f64 v[144:145], v[160:161], v[144:145], -v[164:165]
	v_fmac_f64_e32 v[144:145], v[160:161], v[134:135]
	v_add_f64 v[134:135], v[164:165], v[144:145]
	v_add_f64 v[166:167], v[150:151], -v[134:135]
	v_add_f64 v[150:151], v[150:151], -v[166:167]
	;; [unrolled: 1-line block ×4, first 2 shown]
	v_add_f64 v[134:135], v[146:147], v[134:135]
	v_add_f64 v[144:145], v[164:165], -v[144:145]
	v_add_f64 v[134:135], v[144:145], v[134:135]
	v_add_f64 v[144:145], v[148:149], v[160:161]
	;; [unrolled: 1-line block ×3, first 2 shown]
	v_add_f64 v[146:147], v[144:145], -v[148:149]
	v_mul_f64 v[134:135], v[162:163], v[134:135]
	v_add_f64 v[146:147], v[160:161], -v[146:147]
	v_add_f64 v[134:135], v[146:147], v[134:135]
	v_add_f64 v[146:147], v[144:145], v[134:135]
	v_add_f64 v[144:145], v[146:147], -v[144:145]
	s_mov_b32 s34, 0xbf559e2b
	v_add_f64 v[134:135], v[134:135], -v[144:145]
	v_mul_f64 v[144:145], v[146:147], v[146:147]
	v_mov_b32_e32 v148, 0x6b47b09a
	v_mov_b32_e32 v149, 0x3fc38538
	s_mov_b32 s35, 0x3fc3ab76
	v_fmac_f64_e32 v[148:149], s[34:35], v[144:145]
	v_mov_b32_e32 v150, 0xd7f4df2e
	v_mov_b32_e32 v151, 0x3fc7474d
	v_fmac_f64_e32 v[150:151], v[144:145], v[148:149]
	v_mov_b32_e32 v148, 0x16291751
	v_mov_b32_e32 v149, 0x3fcc71c0
	;; [unrolled: 3-line block ×5, first 2 shown]
	v_fmac_f64_e32 v[150:151], v[144:145], v[148:149]
	v_cvt_f64_i32_e32 v[148:149], v71
	v_mul_f64 v[160:161], v[148:149], s[40:41]
	v_fma_f64 v[162:163], v[148:149], s[40:41], -v[160:161]
	v_fmac_f64_e32 v[162:163], s[44:45], v[148:149]
	v_add_f64 v[148:149], v[160:161], v[162:163]
	v_add_f64 v[160:161], v[148:149], -v[160:161]
	v_mul_f64 v[144:145], v[146:147], v[144:145]
	v_add_f64 v[160:161], v[162:163], -v[160:161]
	v_ldexp_f64 v[162:163], v[146:147], 1
	v_mul_f64 v[144:145], v[144:145], v[150:151]
	v_add_f64 v[146:147], v[162:163], v[144:145]
	v_add_f64 v[150:151], v[146:147], -v[162:163]
	v_ldexp_f64 v[134:135], v[134:135], 1
	v_add_f64 v[144:145], v[144:145], -v[150:151]
	v_add_f64 v[134:135], v[134:135], v[144:145]
	v_add_f64 v[144:145], v[146:147], v[134:135]
	v_add_f64 v[146:147], v[144:145], -v[146:147]
	v_add_f64 v[134:135], v[134:135], -v[146:147]
	v_add_f64 v[146:147], v[148:149], v[144:145]
	v_add_f64 v[150:151], v[146:147], -v[148:149]
	v_add_f64 v[162:163], v[146:147], -v[150:151]
	;; [unrolled: 1-line block ×4, first 2 shown]
	v_add_f64 v[144:145], v[144:145], v[148:149]
	v_add_f64 v[148:149], v[160:161], v[134:135]
	v_add_f64 v[150:151], v[148:149], -v[160:161]
	v_add_f64 v[144:145], v[148:149], v[144:145]
	v_add_f64 v[162:163], v[148:149], -v[150:151]
	;; [unrolled: 2-line block ×3, first 2 shown]
	v_add_f64 v[134:135], v[134:135], -v[150:151]
	v_add_f64 v[146:147], v[148:149], -v[146:147]
	v_add_f64 v[134:135], v[134:135], v[160:161]
	v_add_f64 v[144:145], v[144:145], -v[146:147]
	s_mov_b32 s34, 0
	v_add_f64 v[134:135], v[134:135], v[144:145]
	s_mov_b32 s35, 0x7ff00000
	v_add_f64 v[134:135], v[148:149], v[134:135]
	v_cmp_eq_f64_e64 s[34:35], s[34:35], v[6:7]
	s_nop 1
	v_cndmask_b32_e64 v71, v134, v6, s[34:35]
	v_cndmask_b32_e64 v134, v135, v7, s[34:35]
	v_mov_b32_e32 v135, 0x7ff80000
	v_cmp_ngt_f64_e64 s[34:35], -1.0, v[6:7]
	s_nop 1
	v_cndmask_b32_e64 v135, v135, v134, s[34:35]
	v_cmp_nge_f64_e64 s[34:35], -1.0, v[6:7]
	s_nop 1
	v_cndmask_b32_e64 v134, 0, v71, s[34:35]
	v_mov_b32_e32 v71, 0xfff00000
	v_cmp_neq_f64_e64 s[34:35], -1.0, v[6:7]
	s_nop 1
	v_cndmask_b32_e64 v135, v71, v135, s[34:35]
	v_add_f64 v[6:7], v[4:5], v[134:135]
.LBB50_333:
	s_or_b64 exec, exec, s[38:39]
	ds_write_b64 v53, v[6:7] offset:24
.LBB50_334:
	s_or_b64 exec, exec, s[42:43]
	s_waitcnt lgkmcnt(0)
	s_barrier
	s_and_saveexec_b64 s[34:35], vcc
	s_cbranch_execz .LBB50_336
; %bb.335:
	v_add_u32_e32 v4, -1, v70
	v_lshrrev_b32_e32 v5, 5, v4
	v_add_lshl_u32 v4, v5, v4, 3
	ds_read_b64 v[132:133], v4
.LBB50_336:
	s_or_b64 exec, exec, s[34:35]
	s_and_saveexec_b64 s[34:35], vcc
	s_cbranch_execz .LBB50_340
; %bb.337:
	s_waitcnt lgkmcnt(0)
	v_max_f64 v[6:7], v[132:133], v[132:133]
	v_min_f64 v[4:5], v[6:7], v[34:35]
	v_cmp_u_f64_e32 vcc, v[132:133], v[132:133]
	v_max_f64 v[6:7], v[6:7], v[34:35]
	s_nop 0
	v_cndmask_b32_e32 v4, v4, v132, vcc
	v_cndmask_b32_e32 v5, v5, v133, vcc
	v_cndmask_b32_e32 v6, v6, v132, vcc
	v_cndmask_b32_e32 v7, v7, v133, vcc
	v_cndmask_b32_e64 v5, v5, v1, s[30:31]
	v_cndmask_b32_e64 v4, v4, v0, s[30:31]
	;; [unrolled: 1-line block ×4, first 2 shown]
	s_movk_i32 s30, 0x1f8
	v_cmp_neq_f64_e32 vcc, v[4:5], v[0:1]
	v_cmp_class_f64_e64 s[30:31], v[4:5], s30
	s_or_b64 vcc, vcc, s[30:31]
	s_and_saveexec_b64 s[36:37], vcc
	s_cbranch_execz .LBB50_339
; %bb.338:
	s_mov_b32 vcc_lo, 0x652b82fe
	v_add_f64 v[4:5], v[4:5], -v[0:1]
	s_mov_b32 vcc_hi, 0x3ff71547
	v_mul_f64 v[6:7], v[4:5], vcc
	v_rndne_f64_e32 v[6:7], v[6:7]
	s_mov_b32 s39, 0xbfe62e42
	s_mov_b32 s38, 0xfefa39ef
	v_fma_f64 v[34:35], s[38:39], v[6:7], v[4:5]
	s_mov_b32 s41, 0xbc7abc9e
	s_mov_b32 s40, 0x3b39803f
	s_mov_b32 vcc_lo, 0x6a5dcb37
	v_fmac_f64_e32 v[34:35], s[40:41], v[6:7]
	v_mov_b32_e32 v36, 0xfca7ab0c
	v_mov_b32_e32 v37, 0x3e928af3
	s_mov_b32 vcc_hi, 0x3e5ade15
	v_fmac_f64_e32 v[36:37], vcc, v[34:35]
	v_mov_b32_e32 v48, 0x623fde64
	v_mov_b32_e32 v49, 0x3ec71dee
	v_fmac_f64_e32 v[48:49], v[34:35], v[36:37]
	v_mov_b32_e32 v36, 0x7c89e6b0
	v_mov_b32_e32 v37, 0x3efa0199
	v_fmac_f64_e32 v[36:37], v[34:35], v[48:49]
	;; [unrolled: 3-line block ×8, first 2 shown]
	v_fma_f64 v[36:37], v[34:35], v[36:37], 1.0
	s_mov_b32 vcc_lo, 0
	s_mov_b32 s30, 0
	v_fma_f64 v[34:35], v[34:35], v[36:37], 1.0
	v_cvt_i32_f64_e32 v6, v[6:7]
	s_mov_b32 vcc_hi, 0x40900000
	s_mov_b32 s31, 0xc090cc00
	v_ldexp_f64 v[6:7], v[34:35], v6
	v_mov_b32_e32 v34, 0x7ff00000
	v_cmp_nlt_f64_e32 vcc, vcc, v[4:5]
	v_cmp_ngt_f64_e64 s[30:31], s[30:31], v[4:5]
	s_mov_b32 s39, 0x3fe62e42
	v_cndmask_b32_e32 v7, v34, v7, vcc
	s_and_b64 vcc, s[30:31], vcc
	v_cndmask_b32_e64 v5, 0, v7, s[30:31]
	v_cndmask_b32_e32 v4, 0, v6, vcc
	v_add_f64 v[6:7], v[4:5], 1.0
	v_add_f64 v[34:35], v[6:7], -1.0
	v_add_f64 v[36:37], v[34:35], -v[6:7]
	v_add_f64 v[36:37], v[36:37], 1.0
	v_add_f64 v[34:35], v[4:5], -v[34:35]
	s_mov_b32 vcc_lo, 0x55555555
	v_add_f64 v[34:35], v[34:35], v[36:37]
	v_frexp_mant_f64_e32 v[36:37], v[6:7]
	s_mov_b32 vcc_hi, 0x3fe55555
	v_frexp_exp_i32_f64_e32 v48, v[6:7]
	v_cmp_gt_f64_e32 vcc, vcc, v[36:37]
	s_mov_b32 s41, 0x3c7abc9e
	s_nop 0
	v_subbrev_co_u32_e32 v53, vcc, 0, v48, vcc
	v_sub_u32_e32 v36, 0, v53
	v_ldexp_f64 v[6:7], v[6:7], v36
	v_ldexp_f64 v[34:35], v[34:35], v36
	v_add_f64 v[36:37], v[6:7], -1.0
	v_add_f64 v[134:135], v[6:7], 1.0
	v_add_f64 v[48:49], v[36:37], 1.0
	v_add_f64 v[144:145], v[134:135], -1.0
	v_add_f64 v[48:49], v[6:7], -v[48:49]
	v_add_f64 v[6:7], v[6:7], -v[144:145]
	v_add_f64 v[6:7], v[34:35], v[6:7]
	v_add_f64 v[48:49], v[34:35], v[48:49]
	;; [unrolled: 1-line block ×3, first 2 shown]
	v_rcp_f64_e32 v[144:145], v[34:35]
	v_add_f64 v[132:133], v[36:37], v[48:49]
	v_add_f64 v[36:37], v[132:133], -v[36:37]
	v_add_f64 v[36:37], v[48:49], -v[36:37]
	;; [unrolled: 1-line block ×4, first 2 shown]
	v_fma_f64 v[48:49], -v[34:35], v[144:145], 1.0
	v_fmac_f64_e32 v[144:145], v[48:49], v[144:145]
	v_fma_f64 v[48:49], -v[34:35], v[144:145], 1.0
	v_fmac_f64_e32 v[144:145], v[48:49], v[144:145]
	v_mul_f64 v[48:49], v[132:133], v[144:145]
	v_mul_f64 v[134:135], v[34:35], v[48:49]
	v_fma_f64 v[146:147], v[48:49], v[34:35], -v[134:135]
	v_fmac_f64_e32 v[146:147], v[48:49], v[6:7]
	v_add_f64 v[148:149], v[134:135], v[146:147]
	v_add_f64 v[150:151], v[132:133], -v[148:149]
	v_add_f64 v[132:133], v[132:133], -v[150:151]
	v_add_f64 v[134:135], v[148:149], -v[134:135]
	v_add_f64 v[132:133], v[132:133], -v[148:149]
	v_add_f64 v[36:37], v[36:37], v[132:133]
	v_add_f64 v[132:133], v[134:135], -v[146:147]
	v_add_f64 v[36:37], v[132:133], v[36:37]
	v_add_f64 v[132:133], v[150:151], v[36:37]
	v_add_f64 v[134:135], v[150:151], -v[132:133]
	v_add_f64 v[36:37], v[36:37], v[134:135]
	v_mul_f64 v[134:135], v[144:145], v[132:133]
	v_mul_f64 v[146:147], v[34:35], v[134:135]
	v_fma_f64 v[34:35], v[134:135], v[34:35], -v[146:147]
	v_fmac_f64_e32 v[34:35], v[134:135], v[6:7]
	v_add_f64 v[6:7], v[146:147], v[34:35]
	v_add_f64 v[148:149], v[132:133], -v[6:7]
	v_add_f64 v[132:133], v[132:133], -v[148:149]
	;; [unrolled: 1-line block ×4, first 2 shown]
	v_add_f64 v[6:7], v[36:37], v[6:7]
	v_add_f64 v[34:35], v[146:147], -v[34:35]
	v_add_f64 v[6:7], v[34:35], v[6:7]
	v_add_f64 v[34:35], v[48:49], v[134:135]
	;; [unrolled: 1-line block ×3, first 2 shown]
	v_add_f64 v[36:37], v[34:35], -v[48:49]
	v_mul_f64 v[6:7], v[144:145], v[6:7]
	v_add_f64 v[36:37], v[134:135], -v[36:37]
	v_add_f64 v[6:7], v[36:37], v[6:7]
	v_add_f64 v[36:37], v[34:35], v[6:7]
	v_add_f64 v[34:35], v[36:37], -v[34:35]
	s_mov_b32 vcc_lo, 0xbf559e2b
	v_add_f64 v[6:7], v[6:7], -v[34:35]
	v_mul_f64 v[34:35], v[36:37], v[36:37]
	v_mov_b32_e32 v48, 0x6b47b09a
	v_mov_b32_e32 v49, 0x3fc38538
	s_mov_b32 vcc_hi, 0x3fc3ab76
	v_fmac_f64_e32 v[48:49], vcc, v[34:35]
	v_mov_b32_e32 v132, 0xd7f4df2e
	v_mov_b32_e32 v133, 0x3fc7474d
	v_fmac_f64_e32 v[132:133], v[34:35], v[48:49]
	v_mov_b32_e32 v48, 0x16291751
	v_mov_b32_e32 v49, 0x3fcc71c0
	v_fmac_f64_e32 v[48:49], v[34:35], v[132:133]
	;; [unrolled: 3-line block ×5, first 2 shown]
	v_cvt_f64_i32_e32 v[48:49], v53
	v_mul_f64 v[134:135], v[48:49], s[38:39]
	v_fma_f64 v[144:145], v[48:49], s[38:39], -v[134:135]
	v_fmac_f64_e32 v[144:145], s[40:41], v[48:49]
	v_add_f64 v[48:49], v[134:135], v[144:145]
	v_add_f64 v[134:135], v[48:49], -v[134:135]
	v_mul_f64 v[34:35], v[36:37], v[34:35]
	v_add_f64 v[134:135], v[144:145], -v[134:135]
	v_ldexp_f64 v[144:145], v[36:37], 1
	v_mul_f64 v[34:35], v[34:35], v[132:133]
	v_add_f64 v[36:37], v[144:145], v[34:35]
	v_add_f64 v[132:133], v[36:37], -v[144:145]
	v_ldexp_f64 v[6:7], v[6:7], 1
	v_add_f64 v[34:35], v[34:35], -v[132:133]
	v_add_f64 v[6:7], v[6:7], v[34:35]
	v_add_f64 v[34:35], v[36:37], v[6:7]
	v_add_f64 v[36:37], v[34:35], -v[36:37]
	v_add_f64 v[6:7], v[6:7], -v[36:37]
	v_add_f64 v[36:37], v[48:49], v[34:35]
	v_add_f64 v[132:133], v[36:37], -v[48:49]
	v_add_f64 v[144:145], v[36:37], -v[132:133]
	;; [unrolled: 1-line block ×4, first 2 shown]
	v_add_f64 v[34:35], v[34:35], v[48:49]
	v_add_f64 v[48:49], v[134:135], v[6:7]
	v_add_f64 v[132:133], v[48:49], -v[134:135]
	v_add_f64 v[34:35], v[48:49], v[34:35]
	v_add_f64 v[144:145], v[48:49], -v[132:133]
	;; [unrolled: 2-line block ×3, first 2 shown]
	v_add_f64 v[6:7], v[6:7], -v[132:133]
	v_add_f64 v[36:37], v[48:49], -v[36:37]
	v_add_f64 v[6:7], v[6:7], v[134:135]
	v_add_f64 v[34:35], v[34:35], -v[36:37]
	s_mov_b32 vcc_lo, 0
	v_add_f64 v[6:7], v[6:7], v[34:35]
	s_mov_b32 vcc_hi, 0x7ff00000
	v_add_f64 v[6:7], v[48:49], v[6:7]
	v_cmp_eq_f64_e32 vcc, vcc, v[4:5]
	v_mov_b32_e32 v34, 0x7ff80000
	s_nop 0
	v_cndmask_b32_e32 v6, v6, v4, vcc
	v_cndmask_b32_e32 v7, v7, v5, vcc
	v_cmp_ngt_f64_e32 vcc, -1.0, v[4:5]
	s_nop 1
	v_cndmask_b32_e32 v7, v34, v7, vcc
	v_cmp_nge_f64_e32 vcc, -1.0, v[4:5]
	v_mov_b32_e32 v34, 0xfff00000
	s_nop 0
	v_cndmask_b32_e32 v6, 0, v6, vcc
	v_cmp_neq_f64_e32 vcc, -1.0, v[4:5]
	s_nop 1
	v_cndmask_b32_e32 v7, v34, v7, vcc
	v_add_f64 v[132:133], v[0:1], v[6:7]
.LBB50_339:
	s_or_b64 exec, exec, s[36:37]
	v_max_f64 v[0:1], v[132:133], v[132:133]
	v_min_f64 v[36:37], v[0:1], v[130:131]
	v_max_f64 v[48:49], v[0:1], v[130:131]
	v_mov_b64_e32 v[0:1], v[132:133]
	;;#ASMSTART
	;;#ASMEND
.LBB50_340:
	s_or_b64 exec, exec, s[34:35]
	v_cmp_u_f64_e32 vcc, v[0:1], v[0:1]
	s_movk_i32 s38, 0x1f8
	s_nop 0
	v_cndmask_b32_e32 v4, v36, v0, vcc
	v_cndmask_b32_e32 v5, v37, v1, vcc
	v_cndmask_b32_e64 v7, v5, v3, s[2:3]
	v_cndmask_b32_e64 v6, v4, v2, s[2:3]
	v_cndmask_b32_e32 v4, v48, v0, vcc
	v_cndmask_b32_e32 v5, v49, v1, vcc
	v_cndmask_b32_e64 v5, v5, v3, s[2:3]
	v_cndmask_b32_e64 v4, v4, v2, s[2:3]
	v_cmp_neq_f64_e32 vcc, v[6:7], v[4:5]
	v_cmp_class_f64_e64 s[2:3], v[6:7], s38
	s_or_b64 s[2:3], vcc, s[2:3]
	v_mov_b64_e32 v[2:3], v[0:1]
	s_and_saveexec_b64 s[30:31], s[2:3]
	s_cbranch_execz .LBB50_342
; %bb.341:
	s_mov_b32 s2, 0x652b82fe
	v_add_f64 v[2:3], v[6:7], -v[4:5]
	s_mov_b32 s3, 0x3ff71547
	v_mul_f64 v[6:7], v[2:3], s[2:3]
	v_rndne_f64_e32 v[6:7], v[6:7]
	s_mov_b32 s35, 0xbfe62e42
	s_mov_b32 s34, 0xfefa39ef
	v_fma_f64 v[34:35], s[34:35], v[6:7], v[2:3]
	s_mov_b32 s37, 0xbc7abc9e
	s_mov_b32 s36, 0x3b39803f
	;; [unrolled: 1-line block ×3, first 2 shown]
	v_fmac_f64_e32 v[34:35], s[36:37], v[6:7]
	v_mov_b32_e32 v36, 0xfca7ab0c
	v_mov_b32_e32 v37, 0x3e928af3
	s_mov_b32 s3, 0x3e5ade15
	v_fmac_f64_e32 v[36:37], s[2:3], v[34:35]
	v_mov_b32_e32 v48, 0x623fde64
	v_mov_b32_e32 v49, 0x3ec71dee
	v_fmac_f64_e32 v[48:49], v[34:35], v[36:37]
	v_mov_b32_e32 v36, 0x7c89e6b0
	v_mov_b32_e32 v37, 0x3efa0199
	;; [unrolled: 3-line block ×8, first 2 shown]
	s_mov_b32 s2, 0
	v_fmac_f64_e32 v[36:37], v[34:35], v[48:49]
	s_mov_b32 s3, 0x40900000
	v_fma_f64 v[36:37], v[34:35], v[36:37], 1.0
	v_cmp_nlt_f64_e32 vcc, s[2:3], v[2:3]
	s_mov_b32 s2, 0
	v_fma_f64 v[34:35], v[34:35], v[36:37], 1.0
	v_cvt_i32_f64_e32 v6, v[6:7]
	s_mov_b32 s3, 0xc090cc00
	v_ldexp_f64 v[6:7], v[34:35], v6
	v_mov_b32_e32 v34, 0x7ff00000
	v_cmp_ngt_f64_e64 s[2:3], s[2:3], v[2:3]
	v_cndmask_b32_e32 v7, v34, v7, vcc
	s_and_b64 vcc, s[2:3], vcc
	v_cndmask_b32_e64 v3, 0, v7, s[2:3]
	v_cndmask_b32_e32 v2, 0, v6, vcc
	v_add_f64 v[6:7], v[2:3], 1.0
	v_add_f64 v[34:35], v[6:7], -1.0
	v_add_f64 v[36:37], v[34:35], -v[6:7]
	v_add_f64 v[36:37], v[36:37], 1.0
	v_add_f64 v[34:35], v[2:3], -v[34:35]
	s_mov_b32 s2, 0x55555555
	v_add_f64 v[34:35], v[34:35], v[36:37]
	v_frexp_mant_f64_e32 v[36:37], v[6:7]
	s_mov_b32 s3, 0x3fe55555
	v_frexp_exp_i32_f64_e32 v48, v[6:7]
	v_cmp_gt_f64_e32 vcc, s[2:3], v[36:37]
	s_mov_b32 s2, 0xbf559e2b
	s_mov_b32 s3, 0x3fc3ab76
	v_subbrev_co_u32_e32 v53, vcc, 0, v48, vcc
	v_sub_u32_e32 v36, 0, v53
	v_ldexp_f64 v[6:7], v[6:7], v36
	v_ldexp_f64 v[34:35], v[34:35], v36
	v_add_f64 v[36:37], v[6:7], -1.0
	s_waitcnt lgkmcnt(0)
	v_add_f64 v[132:133], v[6:7], 1.0
	v_add_f64 v[48:49], v[36:37], 1.0
	v_add_f64 v[134:135], v[132:133], -1.0
	v_add_f64 v[48:49], v[6:7], -v[48:49]
	v_add_f64 v[6:7], v[6:7], -v[134:135]
	v_add_f64 v[6:7], v[34:35], v[6:7]
	v_add_f64 v[48:49], v[34:35], v[48:49]
	;; [unrolled: 1-line block ×3, first 2 shown]
	v_rcp_f64_e32 v[134:135], v[34:35]
	v_add_f64 v[130:131], v[36:37], v[48:49]
	v_add_f64 v[36:37], v[130:131], -v[36:37]
	v_add_f64 v[36:37], v[48:49], -v[36:37]
	;; [unrolled: 1-line block ×4, first 2 shown]
	v_fma_f64 v[48:49], -v[34:35], v[134:135], 1.0
	v_fmac_f64_e32 v[134:135], v[48:49], v[134:135]
	v_fma_f64 v[48:49], -v[34:35], v[134:135], 1.0
	v_fmac_f64_e32 v[134:135], v[48:49], v[134:135]
	v_mul_f64 v[48:49], v[130:131], v[134:135]
	v_mul_f64 v[132:133], v[34:35], v[48:49]
	v_fma_f64 v[144:145], v[48:49], v[34:35], -v[132:133]
	v_fmac_f64_e32 v[144:145], v[48:49], v[6:7]
	v_add_f64 v[146:147], v[132:133], v[144:145]
	v_add_f64 v[148:149], v[130:131], -v[146:147]
	v_add_f64 v[130:131], v[130:131], -v[148:149]
	;; [unrolled: 1-line block ×4, first 2 shown]
	v_add_f64 v[36:37], v[36:37], v[130:131]
	v_add_f64 v[130:131], v[132:133], -v[144:145]
	v_add_f64 v[36:37], v[130:131], v[36:37]
	v_add_f64 v[130:131], v[148:149], v[36:37]
	v_add_f64 v[132:133], v[148:149], -v[130:131]
	v_add_f64 v[36:37], v[36:37], v[132:133]
	v_mul_f64 v[132:133], v[134:135], v[130:131]
	v_mul_f64 v[144:145], v[34:35], v[132:133]
	v_fma_f64 v[34:35], v[132:133], v[34:35], -v[144:145]
	v_fmac_f64_e32 v[34:35], v[132:133], v[6:7]
	v_add_f64 v[6:7], v[144:145], v[34:35]
	v_add_f64 v[146:147], v[130:131], -v[6:7]
	v_add_f64 v[130:131], v[130:131], -v[146:147]
	v_add_f64 v[144:145], v[6:7], -v[144:145]
	v_add_f64 v[6:7], v[130:131], -v[6:7]
	v_add_f64 v[6:7], v[36:37], v[6:7]
	v_add_f64 v[34:35], v[144:145], -v[34:35]
	v_add_f64 v[6:7], v[34:35], v[6:7]
	v_add_f64 v[34:35], v[48:49], v[132:133]
	;; [unrolled: 1-line block ×3, first 2 shown]
	v_add_f64 v[36:37], v[34:35], -v[48:49]
	v_mul_f64 v[6:7], v[134:135], v[6:7]
	v_add_f64 v[36:37], v[132:133], -v[36:37]
	v_add_f64 v[6:7], v[36:37], v[6:7]
	v_add_f64 v[36:37], v[34:35], v[6:7]
	v_add_f64 v[34:35], v[36:37], -v[34:35]
	v_add_f64 v[6:7], v[6:7], -v[34:35]
	v_mul_f64 v[34:35], v[36:37], v[36:37]
	v_mov_b32_e32 v48, 0x6b47b09a
	v_mov_b32_e32 v49, 0x3fc38538
	v_fmac_f64_e32 v[48:49], s[2:3], v[34:35]
	v_mov_b32_e32 v130, 0xd7f4df2e
	v_mov_b32_e32 v131, 0x3fc7474d
	v_fmac_f64_e32 v[130:131], v[34:35], v[48:49]
	;; [unrolled: 3-line block ×6, first 2 shown]
	v_cvt_f64_i32_e32 v[48:49], v53
	s_mov_b32 s35, 0x3fe62e42
	v_mul_f64 v[132:133], v[48:49], s[34:35]
	v_fma_f64 v[134:135], v[48:49], s[34:35], -v[132:133]
	s_mov_b32 s37, 0x3c7abc9e
	v_fmac_f64_e32 v[134:135], s[36:37], v[48:49]
	v_add_f64 v[48:49], v[132:133], v[134:135]
	v_add_f64 v[132:133], v[48:49], -v[132:133]
	v_mul_f64 v[34:35], v[36:37], v[34:35]
	v_add_f64 v[132:133], v[134:135], -v[132:133]
	v_ldexp_f64 v[134:135], v[36:37], 1
	v_mul_f64 v[34:35], v[34:35], v[130:131]
	v_add_f64 v[36:37], v[134:135], v[34:35]
	v_add_f64 v[130:131], v[36:37], -v[134:135]
	v_ldexp_f64 v[6:7], v[6:7], 1
	v_add_f64 v[34:35], v[34:35], -v[130:131]
	v_add_f64 v[6:7], v[6:7], v[34:35]
	v_add_f64 v[34:35], v[36:37], v[6:7]
	v_add_f64 v[36:37], v[34:35], -v[36:37]
	v_add_f64 v[6:7], v[6:7], -v[36:37]
	v_add_f64 v[36:37], v[48:49], v[34:35]
	v_add_f64 v[130:131], v[36:37], -v[48:49]
	v_add_f64 v[134:135], v[36:37], -v[130:131]
	;; [unrolled: 1-line block ×4, first 2 shown]
	v_add_f64 v[34:35], v[34:35], v[48:49]
	v_add_f64 v[48:49], v[132:133], v[6:7]
	v_add_f64 v[130:131], v[48:49], -v[132:133]
	v_add_f64 v[34:35], v[48:49], v[34:35]
	v_add_f64 v[134:135], v[48:49], -v[130:131]
	;; [unrolled: 2-line block ×3, first 2 shown]
	v_add_f64 v[6:7], v[6:7], -v[130:131]
	v_add_f64 v[36:37], v[48:49], -v[36:37]
	v_add_f64 v[6:7], v[6:7], v[132:133]
	v_add_f64 v[34:35], v[34:35], -v[36:37]
	s_mov_b32 s2, 0
	v_add_f64 v[6:7], v[6:7], v[34:35]
	s_mov_b32 s3, 0x7ff00000
	v_add_f64 v[6:7], v[48:49], v[6:7]
	v_cmp_eq_f64_e32 vcc, s[2:3], v[2:3]
	v_mov_b32_e32 v34, 0x7ff80000
	s_nop 0
	v_cndmask_b32_e32 v6, v6, v2, vcc
	v_cndmask_b32_e32 v7, v7, v3, vcc
	v_cmp_ngt_f64_e32 vcc, -1.0, v[2:3]
	s_nop 1
	v_cndmask_b32_e32 v7, v34, v7, vcc
	v_cmp_nge_f64_e32 vcc, -1.0, v[2:3]
	v_mov_b32_e32 v34, 0xfff00000
	s_nop 0
	v_cndmask_b32_e32 v6, 0, v6, vcc
	v_cmp_neq_f64_e32 vcc, -1.0, v[2:3]
	s_nop 1
	v_cndmask_b32_e32 v7, v34, v7, vcc
	v_add_f64 v[2:3], v[4:5], v[6:7]
.LBB50_342:
	s_or_b64 exec, exec, s[30:31]
	v_max_f64 v[4:5], v[2:3], v[2:3]
	v_min_f64 v[6:7], v[4:5], v[8:9]
	v_cmp_u_f64_e32 vcc, v[2:3], v[2:3]
	v_max_f64 v[4:5], v[4:5], v[8:9]
	s_nop 0
	v_cndmask_b32_e32 v6, v6, v2, vcc
	v_cndmask_b32_e32 v7, v7, v3, vcc
	;; [unrolled: 1-line block ×4, first 2 shown]
	v_cndmask_b32_e64 v35, v7, v113, s[4:5]
	v_cndmask_b32_e64 v34, v6, v112, s[4:5]
	;; [unrolled: 1-line block ×4, first 2 shown]
	v_cmp_neq_f64_e32 vcc, v[34:35], v[6:7]
	v_cmp_class_f64_e64 s[2:3], v[34:35], s38
	s_or_b64 s[2:3], vcc, s[2:3]
	v_mov_b64_e32 v[4:5], v[2:3]
	s_and_saveexec_b64 s[4:5], s[2:3]
	s_cbranch_execz .LBB50_344
; %bb.343:
	s_mov_b32 s2, 0x652b82fe
	v_add_f64 v[4:5], v[34:35], -v[6:7]
	s_mov_b32 s3, 0x3ff71547
	v_mul_f64 v[8:9], v[4:5], s[2:3]
	v_rndne_f64_e32 v[8:9], v[8:9]
	s_mov_b32 s31, 0xbfe62e42
	s_mov_b32 s30, 0xfefa39ef
	v_fma_f64 v[34:35], s[30:31], v[8:9], v[4:5]
	s_mov_b32 s35, 0xbc7abc9e
	s_mov_b32 s34, 0x3b39803f
	;; [unrolled: 1-line block ×3, first 2 shown]
	v_fmac_f64_e32 v[34:35], s[34:35], v[8:9]
	v_mov_b32_e32 v36, 0xfca7ab0c
	v_mov_b32_e32 v37, 0x3e928af3
	s_mov_b32 s3, 0x3e5ade15
	v_fmac_f64_e32 v[36:37], s[2:3], v[34:35]
	v_mov_b32_e32 v48, 0x623fde64
	v_mov_b32_e32 v49, 0x3ec71dee
	v_fmac_f64_e32 v[48:49], v[34:35], v[36:37]
	v_mov_b32_e32 v36, 0x7c89e6b0
	v_mov_b32_e32 v37, 0x3efa0199
	;; [unrolled: 3-line block ×8, first 2 shown]
	s_mov_b32 s2, 0
	v_fmac_f64_e32 v[36:37], v[34:35], v[48:49]
	s_mov_b32 s3, 0x40900000
	v_fma_f64 v[36:37], v[34:35], v[36:37], 1.0
	v_cmp_nlt_f64_e32 vcc, s[2:3], v[4:5]
	s_mov_b32 s2, 0
	v_fma_f64 v[34:35], v[34:35], v[36:37], 1.0
	v_cvt_i32_f64_e32 v8, v[8:9]
	s_mov_b32 s3, 0xc090cc00
	v_ldexp_f64 v[8:9], v[34:35], v8
	v_mov_b32_e32 v34, 0x7ff00000
	v_cmp_ngt_f64_e64 s[2:3], s[2:3], v[4:5]
	v_cndmask_b32_e32 v9, v34, v9, vcc
	s_and_b64 vcc, s[2:3], vcc
	v_cndmask_b32_e64 v5, 0, v9, s[2:3]
	v_cndmask_b32_e32 v4, 0, v8, vcc
	v_add_f64 v[8:9], v[4:5], 1.0
	v_add_f64 v[34:35], v[8:9], -1.0
	v_add_f64 v[36:37], v[34:35], -v[8:9]
	v_add_f64 v[36:37], v[36:37], 1.0
	v_add_f64 v[34:35], v[4:5], -v[34:35]
	s_mov_b32 s2, 0x55555555
	v_add_f64 v[34:35], v[34:35], v[36:37]
	v_frexp_mant_f64_e32 v[36:37], v[8:9]
	s_mov_b32 s3, 0x3fe55555
	v_frexp_exp_i32_f64_e32 v48, v[8:9]
	v_cmp_gt_f64_e32 vcc, s[2:3], v[36:37]
	s_mov_b32 s2, 0xbf559e2b
	s_mov_b32 s3, 0x3fc3ab76
	v_subbrev_co_u32_e32 v53, vcc, 0, v48, vcc
	v_sub_u32_e32 v36, 0, v53
	v_ldexp_f64 v[8:9], v[8:9], v36
	v_ldexp_f64 v[34:35], v[34:35], v36
	v_add_f64 v[36:37], v[8:9], -1.0
	v_add_f64 v[130:131], v[8:9], 1.0
	v_add_f64 v[48:49], v[36:37], 1.0
	s_waitcnt lgkmcnt(0)
	v_add_f64 v[132:133], v[130:131], -1.0
	v_add_f64 v[48:49], v[8:9], -v[48:49]
	v_add_f64 v[8:9], v[8:9], -v[132:133]
	v_add_f64 v[8:9], v[34:35], v[8:9]
	v_add_f64 v[48:49], v[34:35], v[48:49]
	v_add_f64 v[34:35], v[130:131], v[8:9]
	v_rcp_f64_e32 v[132:133], v[34:35]
	v_add_f64 v[112:113], v[36:37], v[48:49]
	v_add_f64 v[36:37], v[112:113], -v[36:37]
	v_add_f64 v[36:37], v[48:49], -v[36:37]
	;; [unrolled: 1-line block ×4, first 2 shown]
	v_fma_f64 v[48:49], -v[34:35], v[132:133], 1.0
	v_fmac_f64_e32 v[132:133], v[48:49], v[132:133]
	v_fma_f64 v[48:49], -v[34:35], v[132:133], 1.0
	v_fmac_f64_e32 v[132:133], v[48:49], v[132:133]
	v_mul_f64 v[48:49], v[112:113], v[132:133]
	v_mul_f64 v[130:131], v[34:35], v[48:49]
	v_fma_f64 v[134:135], v[48:49], v[34:35], -v[130:131]
	v_fmac_f64_e32 v[134:135], v[48:49], v[8:9]
	v_add_f64 v[144:145], v[130:131], v[134:135]
	v_add_f64 v[146:147], v[112:113], -v[144:145]
	v_add_f64 v[112:113], v[112:113], -v[146:147]
	v_add_f64 v[130:131], v[144:145], -v[130:131]
	v_add_f64 v[112:113], v[112:113], -v[144:145]
	v_add_f64 v[36:37], v[36:37], v[112:113]
	v_add_f64 v[112:113], v[130:131], -v[134:135]
	v_add_f64 v[36:37], v[112:113], v[36:37]
	v_add_f64 v[112:113], v[146:147], v[36:37]
	v_add_f64 v[130:131], v[146:147], -v[112:113]
	v_add_f64 v[36:37], v[36:37], v[130:131]
	v_mul_f64 v[130:131], v[132:133], v[112:113]
	v_mul_f64 v[134:135], v[34:35], v[130:131]
	v_fma_f64 v[34:35], v[130:131], v[34:35], -v[134:135]
	v_fmac_f64_e32 v[34:35], v[130:131], v[8:9]
	v_add_f64 v[8:9], v[134:135], v[34:35]
	v_add_f64 v[144:145], v[112:113], -v[8:9]
	v_add_f64 v[112:113], v[112:113], -v[144:145]
	;; [unrolled: 1-line block ×4, first 2 shown]
	v_add_f64 v[8:9], v[36:37], v[8:9]
	v_add_f64 v[34:35], v[134:135], -v[34:35]
	v_add_f64 v[8:9], v[34:35], v[8:9]
	v_add_f64 v[34:35], v[48:49], v[130:131]
	;; [unrolled: 1-line block ×3, first 2 shown]
	v_add_f64 v[36:37], v[34:35], -v[48:49]
	v_mul_f64 v[8:9], v[132:133], v[8:9]
	v_add_f64 v[36:37], v[130:131], -v[36:37]
	v_add_f64 v[8:9], v[36:37], v[8:9]
	v_add_f64 v[36:37], v[34:35], v[8:9]
	v_add_f64 v[34:35], v[36:37], -v[34:35]
	v_add_f64 v[8:9], v[8:9], -v[34:35]
	v_mul_f64 v[34:35], v[36:37], v[36:37]
	v_mov_b32_e32 v48, 0x6b47b09a
	v_mov_b32_e32 v49, 0x3fc38538
	v_fmac_f64_e32 v[48:49], s[2:3], v[34:35]
	v_mov_b32_e32 v112, 0xd7f4df2e
	v_mov_b32_e32 v113, 0x3fc7474d
	v_fmac_f64_e32 v[112:113], v[34:35], v[48:49]
	;; [unrolled: 3-line block ×6, first 2 shown]
	v_cvt_f64_i32_e32 v[48:49], v53
	s_mov_b32 s31, 0x3fe62e42
	v_mul_f64 v[130:131], v[48:49], s[30:31]
	v_fma_f64 v[132:133], v[48:49], s[30:31], -v[130:131]
	s_mov_b32 s35, 0x3c7abc9e
	v_fmac_f64_e32 v[132:133], s[34:35], v[48:49]
	v_add_f64 v[48:49], v[130:131], v[132:133]
	v_add_f64 v[130:131], v[48:49], -v[130:131]
	v_mul_f64 v[34:35], v[36:37], v[34:35]
	v_add_f64 v[130:131], v[132:133], -v[130:131]
	v_ldexp_f64 v[132:133], v[36:37], 1
	v_mul_f64 v[34:35], v[34:35], v[112:113]
	v_add_f64 v[36:37], v[132:133], v[34:35]
	v_add_f64 v[112:113], v[36:37], -v[132:133]
	v_ldexp_f64 v[8:9], v[8:9], 1
	v_add_f64 v[34:35], v[34:35], -v[112:113]
	v_add_f64 v[8:9], v[8:9], v[34:35]
	v_add_f64 v[34:35], v[36:37], v[8:9]
	v_add_f64 v[36:37], v[34:35], -v[36:37]
	v_add_f64 v[8:9], v[8:9], -v[36:37]
	v_add_f64 v[36:37], v[48:49], v[34:35]
	v_add_f64 v[112:113], v[36:37], -v[48:49]
	v_add_f64 v[132:133], v[36:37], -v[112:113]
	;; [unrolled: 1-line block ×4, first 2 shown]
	v_add_f64 v[34:35], v[34:35], v[48:49]
	v_add_f64 v[48:49], v[130:131], v[8:9]
	v_add_f64 v[112:113], v[48:49], -v[130:131]
	v_add_f64 v[34:35], v[48:49], v[34:35]
	v_add_f64 v[132:133], v[48:49], -v[112:113]
	;; [unrolled: 2-line block ×3, first 2 shown]
	v_add_f64 v[8:9], v[8:9], -v[112:113]
	v_add_f64 v[36:37], v[48:49], -v[36:37]
	v_add_f64 v[8:9], v[8:9], v[130:131]
	v_add_f64 v[34:35], v[34:35], -v[36:37]
	s_mov_b32 s2, 0
	v_add_f64 v[8:9], v[8:9], v[34:35]
	s_mov_b32 s3, 0x7ff00000
	v_add_f64 v[8:9], v[48:49], v[8:9]
	v_cmp_eq_f64_e32 vcc, s[2:3], v[4:5]
	v_mov_b32_e32 v34, 0x7ff80000
	s_nop 0
	v_cndmask_b32_e32 v8, v8, v4, vcc
	v_cndmask_b32_e32 v9, v9, v5, vcc
	v_cmp_ngt_f64_e32 vcc, -1.0, v[4:5]
	s_nop 1
	v_cndmask_b32_e32 v9, v34, v9, vcc
	v_cmp_nge_f64_e32 vcc, -1.0, v[4:5]
	v_mov_b32_e32 v34, 0xfff00000
	s_nop 0
	v_cndmask_b32_e32 v8, 0, v8, vcc
	v_cmp_neq_f64_e32 vcc, -1.0, v[4:5]
	s_nop 1
	v_cndmask_b32_e32 v9, v34, v9, vcc
	v_add_f64 v[4:5], v[6:7], v[8:9]
.LBB50_344:
	s_or_b64 exec, exec, s[4:5]
	v_max_f64 v[6:7], v[4:5], v[4:5]
	v_min_f64 v[8:9], v[6:7], v[10:11]
	v_cmp_u_f64_e32 vcc, v[4:5], v[4:5]
	v_max_f64 v[6:7], v[6:7], v[10:11]
	s_movk_i32 s34, 0x1f8
	v_cndmask_b32_e32 v8, v8, v4, vcc
	v_cndmask_b32_e32 v9, v9, v5, vcc
	;; [unrolled: 1-line block ×4, first 2 shown]
	v_cndmask_b32_e64 v35, v9, v115, s[6:7]
	v_cndmask_b32_e64 v34, v8, v114, s[6:7]
	;; [unrolled: 1-line block ×4, first 2 shown]
	v_cmp_neq_f64_e32 vcc, v[34:35], v[8:9]
	v_cmp_class_f64_e64 s[2:3], v[34:35], s34
	s_or_b64 s[2:3], vcc, s[2:3]
	v_mov_b64_e32 v[6:7], v[4:5]
	s_and_saveexec_b64 s[4:5], s[2:3]
	s_cbranch_execz .LBB50_346
; %bb.345:
	s_mov_b32 s2, 0x652b82fe
	v_add_f64 v[6:7], v[34:35], -v[8:9]
	s_mov_b32 s3, 0x3ff71547
	v_mul_f64 v[10:11], v[6:7], s[2:3]
	v_rndne_f64_e32 v[10:11], v[10:11]
	s_mov_b32 s7, 0xbfe62e42
	s_mov_b32 s6, 0xfefa39ef
	v_fma_f64 v[34:35], s[6:7], v[10:11], v[6:7]
	s_mov_b32 s31, 0xbc7abc9e
	s_mov_b32 s30, 0x3b39803f
	;; [unrolled: 1-line block ×3, first 2 shown]
	v_fmac_f64_e32 v[34:35], s[30:31], v[10:11]
	v_mov_b32_e32 v36, 0xfca7ab0c
	v_mov_b32_e32 v37, 0x3e928af3
	s_mov_b32 s3, 0x3e5ade15
	v_fmac_f64_e32 v[36:37], s[2:3], v[34:35]
	v_mov_b32_e32 v48, 0x623fde64
	v_mov_b32_e32 v49, 0x3ec71dee
	v_fmac_f64_e32 v[48:49], v[34:35], v[36:37]
	v_mov_b32_e32 v36, 0x7c89e6b0
	v_mov_b32_e32 v37, 0x3efa0199
	;; [unrolled: 3-line block ×8, first 2 shown]
	s_mov_b32 s2, 0
	v_fmac_f64_e32 v[36:37], v[34:35], v[48:49]
	s_mov_b32 s3, 0x40900000
	v_fma_f64 v[36:37], v[34:35], v[36:37], 1.0
	v_cmp_nlt_f64_e32 vcc, s[2:3], v[6:7]
	s_mov_b32 s2, 0
	v_fma_f64 v[34:35], v[34:35], v[36:37], 1.0
	v_cvt_i32_f64_e32 v10, v[10:11]
	s_mov_b32 s3, 0xc090cc00
	v_ldexp_f64 v[10:11], v[34:35], v10
	v_mov_b32_e32 v34, 0x7ff00000
	v_cmp_ngt_f64_e64 s[2:3], s[2:3], v[6:7]
	v_cndmask_b32_e32 v11, v34, v11, vcc
	s_and_b64 vcc, s[2:3], vcc
	v_cndmask_b32_e64 v7, 0, v11, s[2:3]
	v_cndmask_b32_e32 v6, 0, v10, vcc
	v_add_f64 v[10:11], v[6:7], 1.0
	v_add_f64 v[34:35], v[10:11], -1.0
	v_add_f64 v[36:37], v[34:35], -v[10:11]
	v_add_f64 v[36:37], v[36:37], 1.0
	v_add_f64 v[34:35], v[6:7], -v[34:35]
	s_mov_b32 s2, 0x55555555
	v_add_f64 v[34:35], v[34:35], v[36:37]
	v_frexp_mant_f64_e32 v[36:37], v[10:11]
	s_mov_b32 s3, 0x3fe55555
	v_frexp_exp_i32_f64_e32 v48, v[10:11]
	v_cmp_gt_f64_e32 vcc, s[2:3], v[36:37]
	s_mov_b32 s2, 0xbf559e2b
	s_mov_b32 s3, 0x3fc3ab76
	v_subbrev_co_u32_e32 v53, vcc, 0, v48, vcc
	v_sub_u32_e32 v36, 0, v53
	v_ldexp_f64 v[10:11], v[10:11], v36
	v_ldexp_f64 v[34:35], v[34:35], v36
	v_add_f64 v[36:37], v[10:11], -1.0
	v_add_f64 v[114:115], v[10:11], 1.0
	v_add_f64 v[48:49], v[36:37], 1.0
	v_add_f64 v[130:131], v[114:115], -1.0
	v_add_f64 v[48:49], v[10:11], -v[48:49]
	v_add_f64 v[10:11], v[10:11], -v[130:131]
	v_add_f64 v[10:11], v[34:35], v[10:11]
	v_add_f64 v[48:49], v[34:35], v[48:49]
	v_add_f64 v[34:35], v[114:115], v[10:11]
	v_rcp_f64_e32 v[130:131], v[34:35]
	v_add_f64 v[112:113], v[36:37], v[48:49]
	v_add_f64 v[36:37], v[112:113], -v[36:37]
	v_add_f64 v[36:37], v[48:49], -v[36:37]
	;; [unrolled: 1-line block ×4, first 2 shown]
	v_fma_f64 v[48:49], -v[34:35], v[130:131], 1.0
	v_fmac_f64_e32 v[130:131], v[48:49], v[130:131]
	v_fma_f64 v[48:49], -v[34:35], v[130:131], 1.0
	v_fmac_f64_e32 v[130:131], v[48:49], v[130:131]
	v_mul_f64 v[48:49], v[112:113], v[130:131]
	v_mul_f64 v[114:115], v[34:35], v[48:49]
	s_waitcnt lgkmcnt(0)
	v_fma_f64 v[132:133], v[48:49], v[34:35], -v[114:115]
	v_fmac_f64_e32 v[132:133], v[48:49], v[10:11]
	v_add_f64 v[134:135], v[114:115], v[132:133]
	v_add_f64 v[144:145], v[112:113], -v[134:135]
	v_add_f64 v[112:113], v[112:113], -v[144:145]
	;; [unrolled: 1-line block ×4, first 2 shown]
	v_add_f64 v[36:37], v[36:37], v[112:113]
	v_add_f64 v[112:113], v[114:115], -v[132:133]
	v_add_f64 v[36:37], v[112:113], v[36:37]
	v_add_f64 v[112:113], v[144:145], v[36:37]
	v_add_f64 v[114:115], v[144:145], -v[112:113]
	v_add_f64 v[36:37], v[36:37], v[114:115]
	v_mul_f64 v[114:115], v[130:131], v[112:113]
	v_mul_f64 v[132:133], v[34:35], v[114:115]
	v_fma_f64 v[34:35], v[114:115], v[34:35], -v[132:133]
	v_fmac_f64_e32 v[34:35], v[114:115], v[10:11]
	v_add_f64 v[10:11], v[132:133], v[34:35]
	v_add_f64 v[134:135], v[112:113], -v[10:11]
	v_add_f64 v[112:113], v[112:113], -v[134:135]
	;; [unrolled: 1-line block ×4, first 2 shown]
	v_add_f64 v[10:11], v[36:37], v[10:11]
	v_add_f64 v[34:35], v[132:133], -v[34:35]
	v_add_f64 v[10:11], v[34:35], v[10:11]
	v_add_f64 v[34:35], v[48:49], v[114:115]
	;; [unrolled: 1-line block ×3, first 2 shown]
	v_add_f64 v[36:37], v[34:35], -v[48:49]
	v_mul_f64 v[10:11], v[130:131], v[10:11]
	v_add_f64 v[36:37], v[114:115], -v[36:37]
	v_add_f64 v[10:11], v[36:37], v[10:11]
	v_add_f64 v[36:37], v[34:35], v[10:11]
	v_add_f64 v[34:35], v[36:37], -v[34:35]
	v_add_f64 v[10:11], v[10:11], -v[34:35]
	v_mul_f64 v[34:35], v[36:37], v[36:37]
	v_mov_b32_e32 v48, 0x6b47b09a
	v_mov_b32_e32 v49, 0x3fc38538
	v_fmac_f64_e32 v[48:49], s[2:3], v[34:35]
	v_mov_b32_e32 v112, 0xd7f4df2e
	v_mov_b32_e32 v113, 0x3fc7474d
	v_fmac_f64_e32 v[112:113], v[34:35], v[48:49]
	;; [unrolled: 3-line block ×6, first 2 shown]
	v_cvt_f64_i32_e32 v[48:49], v53
	s_mov_b32 s7, 0x3fe62e42
	v_mul_f64 v[114:115], v[48:49], s[6:7]
	v_fma_f64 v[130:131], v[48:49], s[6:7], -v[114:115]
	s_mov_b32 s31, 0x3c7abc9e
	v_fmac_f64_e32 v[130:131], s[30:31], v[48:49]
	v_add_f64 v[48:49], v[114:115], v[130:131]
	v_add_f64 v[114:115], v[48:49], -v[114:115]
	v_mul_f64 v[34:35], v[36:37], v[34:35]
	v_add_f64 v[114:115], v[130:131], -v[114:115]
	v_ldexp_f64 v[130:131], v[36:37], 1
	v_mul_f64 v[34:35], v[34:35], v[112:113]
	v_add_f64 v[36:37], v[130:131], v[34:35]
	v_add_f64 v[112:113], v[36:37], -v[130:131]
	v_ldexp_f64 v[10:11], v[10:11], 1
	v_add_f64 v[34:35], v[34:35], -v[112:113]
	v_add_f64 v[10:11], v[10:11], v[34:35]
	v_add_f64 v[34:35], v[36:37], v[10:11]
	v_add_f64 v[36:37], v[34:35], -v[36:37]
	v_add_f64 v[10:11], v[10:11], -v[36:37]
	v_add_f64 v[36:37], v[48:49], v[34:35]
	v_add_f64 v[112:113], v[36:37], -v[48:49]
	v_add_f64 v[130:131], v[36:37], -v[112:113]
	;; [unrolled: 1-line block ×4, first 2 shown]
	v_add_f64 v[34:35], v[34:35], v[48:49]
	v_add_f64 v[48:49], v[114:115], v[10:11]
	v_add_f64 v[112:113], v[48:49], -v[114:115]
	v_add_f64 v[34:35], v[48:49], v[34:35]
	v_add_f64 v[130:131], v[48:49], -v[112:113]
	;; [unrolled: 2-line block ×3, first 2 shown]
	v_add_f64 v[10:11], v[10:11], -v[112:113]
	v_add_f64 v[36:37], v[48:49], -v[36:37]
	v_add_f64 v[10:11], v[10:11], v[114:115]
	v_add_f64 v[34:35], v[34:35], -v[36:37]
	s_mov_b32 s2, 0
	v_add_f64 v[10:11], v[10:11], v[34:35]
	s_mov_b32 s3, 0x7ff00000
	v_add_f64 v[10:11], v[48:49], v[10:11]
	v_cmp_eq_f64_e32 vcc, s[2:3], v[6:7]
	v_mov_b32_e32 v34, 0x7ff80000
	s_nop 0
	v_cndmask_b32_e32 v10, v10, v6, vcc
	v_cndmask_b32_e32 v11, v11, v7, vcc
	v_cmp_ngt_f64_e32 vcc, -1.0, v[6:7]
	s_nop 1
	v_cndmask_b32_e32 v11, v34, v11, vcc
	v_cmp_nge_f64_e32 vcc, -1.0, v[6:7]
	v_mov_b32_e32 v34, 0xfff00000
	s_nop 0
	v_cndmask_b32_e32 v10, 0, v10, vcc
	v_cmp_neq_f64_e32 vcc, -1.0, v[6:7]
	s_nop 1
	v_cndmask_b32_e32 v11, v34, v11, vcc
	v_add_f64 v[6:7], v[8:9], v[10:11]
.LBB50_346:
	s_or_b64 exec, exec, s[4:5]
	v_max_f64 v[8:9], v[6:7], v[6:7]
	v_min_f64 v[10:11], v[8:9], v[12:13]
	v_cmp_u_f64_e32 vcc, v[6:7], v[6:7]
	v_max_f64 v[8:9], v[8:9], v[12:13]
	s_nop 0
	v_cndmask_b32_e32 v10, v10, v6, vcc
	v_cndmask_b32_e32 v11, v11, v7, vcc
	;; [unrolled: 1-line block ×4, first 2 shown]
	v_cndmask_b32_e64 v35, v11, v101, s[8:9]
	v_cndmask_b32_e64 v34, v10, v100, s[8:9]
	;; [unrolled: 1-line block ×4, first 2 shown]
	v_cmp_neq_f64_e32 vcc, v[34:35], v[10:11]
	v_cmp_class_f64_e64 s[2:3], v[34:35], s34
	s_or_b64 s[2:3], vcc, s[2:3]
	v_mov_b64_e32 v[8:9], v[6:7]
	s_and_saveexec_b64 s[4:5], s[2:3]
	s_cbranch_execz .LBB50_348
; %bb.347:
	s_mov_b32 s2, 0x652b82fe
	v_add_f64 v[8:9], v[34:35], -v[10:11]
	s_mov_b32 s3, 0x3ff71547
	v_mul_f64 v[12:13], v[8:9], s[2:3]
	v_rndne_f64_e32 v[12:13], v[12:13]
	s_mov_b32 s7, 0xbfe62e42
	s_mov_b32 s6, 0xfefa39ef
	v_fma_f64 v[34:35], s[6:7], v[12:13], v[8:9]
	s_mov_b32 s9, 0xbc7abc9e
	s_mov_b32 s8, 0x3b39803f
	;; [unrolled: 1-line block ×3, first 2 shown]
	v_fmac_f64_e32 v[34:35], s[8:9], v[12:13]
	v_mov_b32_e32 v36, 0xfca7ab0c
	v_mov_b32_e32 v37, 0x3e928af3
	s_mov_b32 s3, 0x3e5ade15
	v_fmac_f64_e32 v[36:37], s[2:3], v[34:35]
	v_mov_b32_e32 v48, 0x623fde64
	v_mov_b32_e32 v49, 0x3ec71dee
	v_fmac_f64_e32 v[48:49], v[34:35], v[36:37]
	v_mov_b32_e32 v36, 0x7c89e6b0
	v_mov_b32_e32 v37, 0x3efa0199
	;; [unrolled: 3-line block ×8, first 2 shown]
	s_mov_b32 s2, 0
	v_fmac_f64_e32 v[36:37], v[34:35], v[48:49]
	s_mov_b32 s3, 0x40900000
	v_fma_f64 v[36:37], v[34:35], v[36:37], 1.0
	v_cmp_nlt_f64_e32 vcc, s[2:3], v[8:9]
	s_mov_b32 s2, 0
	v_fma_f64 v[34:35], v[34:35], v[36:37], 1.0
	v_cvt_i32_f64_e32 v12, v[12:13]
	s_mov_b32 s3, 0xc090cc00
	v_ldexp_f64 v[12:13], v[34:35], v12
	v_mov_b32_e32 v34, 0x7ff00000
	v_cmp_ngt_f64_e64 s[2:3], s[2:3], v[8:9]
	v_cndmask_b32_e32 v13, v34, v13, vcc
	s_and_b64 vcc, s[2:3], vcc
	v_cndmask_b32_e64 v9, 0, v13, s[2:3]
	v_cndmask_b32_e32 v8, 0, v12, vcc
	v_add_f64 v[12:13], v[8:9], 1.0
	v_add_f64 v[34:35], v[12:13], -1.0
	v_add_f64 v[36:37], v[34:35], -v[12:13]
	v_add_f64 v[36:37], v[36:37], 1.0
	v_add_f64 v[34:35], v[8:9], -v[34:35]
	s_mov_b32 s2, 0x55555555
	v_add_f64 v[34:35], v[34:35], v[36:37]
	v_frexp_mant_f64_e32 v[36:37], v[12:13]
	s_mov_b32 s3, 0x3fe55555
	v_frexp_exp_i32_f64_e32 v48, v[12:13]
	v_cmp_gt_f64_e32 vcc, s[2:3], v[36:37]
	s_mov_b32 s2, 0xbf559e2b
	s_mov_b32 s3, 0x3fc3ab76
	v_subbrev_co_u32_e32 v53, vcc, 0, v48, vcc
	v_sub_u32_e32 v36, 0, v53
	v_ldexp_f64 v[12:13], v[12:13], v36
	v_ldexp_f64 v[34:35], v[34:35], v36
	v_add_f64 v[36:37], v[12:13], -1.0
	v_add_f64 v[112:113], v[12:13], 1.0
	v_add_f64 v[48:49], v[36:37], 1.0
	v_add_f64 v[114:115], v[112:113], -1.0
	v_add_f64 v[48:49], v[12:13], -v[48:49]
	v_add_f64 v[12:13], v[12:13], -v[114:115]
	v_add_f64 v[12:13], v[34:35], v[12:13]
	v_add_f64 v[48:49], v[34:35], v[48:49]
	;; [unrolled: 1-line block ×3, first 2 shown]
	v_rcp_f64_e32 v[114:115], v[34:35]
	v_add_f64 v[100:101], v[36:37], v[48:49]
	v_add_f64 v[36:37], v[100:101], -v[36:37]
	v_add_f64 v[36:37], v[48:49], -v[36:37]
	;; [unrolled: 1-line block ×4, first 2 shown]
	v_fma_f64 v[48:49], -v[34:35], v[114:115], 1.0
	v_fmac_f64_e32 v[114:115], v[48:49], v[114:115]
	v_fma_f64 v[48:49], -v[34:35], v[114:115], 1.0
	v_fmac_f64_e32 v[114:115], v[48:49], v[114:115]
	v_mul_f64 v[48:49], v[100:101], v[114:115]
	v_mul_f64 v[112:113], v[34:35], v[48:49]
	v_fma_f64 v[130:131], v[48:49], v[34:35], -v[112:113]
	v_fmac_f64_e32 v[130:131], v[48:49], v[12:13]
	s_waitcnt lgkmcnt(0)
	v_add_f64 v[132:133], v[112:113], v[130:131]
	v_add_f64 v[134:135], v[100:101], -v[132:133]
	v_add_f64 v[100:101], v[100:101], -v[134:135]
	;; [unrolled: 1-line block ×4, first 2 shown]
	v_add_f64 v[36:37], v[36:37], v[100:101]
	v_add_f64 v[100:101], v[112:113], -v[130:131]
	v_add_f64 v[36:37], v[100:101], v[36:37]
	v_add_f64 v[100:101], v[134:135], v[36:37]
	v_add_f64 v[112:113], v[134:135], -v[100:101]
	v_add_f64 v[36:37], v[36:37], v[112:113]
	v_mul_f64 v[112:113], v[114:115], v[100:101]
	v_mul_f64 v[130:131], v[34:35], v[112:113]
	v_fma_f64 v[34:35], v[112:113], v[34:35], -v[130:131]
	v_fmac_f64_e32 v[34:35], v[112:113], v[12:13]
	v_add_f64 v[12:13], v[130:131], v[34:35]
	v_add_f64 v[132:133], v[100:101], -v[12:13]
	v_add_f64 v[100:101], v[100:101], -v[132:133]
	;; [unrolled: 1-line block ×4, first 2 shown]
	v_add_f64 v[12:13], v[36:37], v[12:13]
	v_add_f64 v[34:35], v[130:131], -v[34:35]
	v_add_f64 v[12:13], v[34:35], v[12:13]
	v_add_f64 v[34:35], v[48:49], v[112:113]
	;; [unrolled: 1-line block ×3, first 2 shown]
	v_add_f64 v[36:37], v[34:35], -v[48:49]
	v_mul_f64 v[12:13], v[114:115], v[12:13]
	v_add_f64 v[36:37], v[112:113], -v[36:37]
	v_add_f64 v[12:13], v[36:37], v[12:13]
	v_add_f64 v[36:37], v[34:35], v[12:13]
	v_add_f64 v[34:35], v[36:37], -v[34:35]
	v_add_f64 v[12:13], v[12:13], -v[34:35]
	v_mul_f64 v[34:35], v[36:37], v[36:37]
	v_mov_b32_e32 v48, 0x6b47b09a
	v_mov_b32_e32 v49, 0x3fc38538
	v_fmac_f64_e32 v[48:49], s[2:3], v[34:35]
	v_mov_b32_e32 v100, 0xd7f4df2e
	v_mov_b32_e32 v101, 0x3fc7474d
	v_fmac_f64_e32 v[100:101], v[34:35], v[48:49]
	;; [unrolled: 3-line block ×6, first 2 shown]
	v_cvt_f64_i32_e32 v[48:49], v53
	s_mov_b32 s7, 0x3fe62e42
	v_mul_f64 v[112:113], v[48:49], s[6:7]
	v_fma_f64 v[114:115], v[48:49], s[6:7], -v[112:113]
	s_mov_b32 s9, 0x3c7abc9e
	v_fmac_f64_e32 v[114:115], s[8:9], v[48:49]
	v_add_f64 v[48:49], v[112:113], v[114:115]
	v_add_f64 v[112:113], v[48:49], -v[112:113]
	v_mul_f64 v[34:35], v[36:37], v[34:35]
	v_add_f64 v[112:113], v[114:115], -v[112:113]
	v_ldexp_f64 v[114:115], v[36:37], 1
	v_mul_f64 v[34:35], v[34:35], v[100:101]
	v_add_f64 v[36:37], v[114:115], v[34:35]
	v_add_f64 v[100:101], v[36:37], -v[114:115]
	v_ldexp_f64 v[12:13], v[12:13], 1
	v_add_f64 v[34:35], v[34:35], -v[100:101]
	v_add_f64 v[12:13], v[12:13], v[34:35]
	v_add_f64 v[34:35], v[36:37], v[12:13]
	v_add_f64 v[36:37], v[34:35], -v[36:37]
	v_add_f64 v[12:13], v[12:13], -v[36:37]
	v_add_f64 v[36:37], v[48:49], v[34:35]
	v_add_f64 v[100:101], v[36:37], -v[48:49]
	v_add_f64 v[114:115], v[36:37], -v[100:101]
	;; [unrolled: 1-line block ×4, first 2 shown]
	v_add_f64 v[34:35], v[34:35], v[48:49]
	v_add_f64 v[48:49], v[112:113], v[12:13]
	v_add_f64 v[100:101], v[48:49], -v[112:113]
	v_add_f64 v[34:35], v[48:49], v[34:35]
	v_add_f64 v[114:115], v[48:49], -v[100:101]
	;; [unrolled: 2-line block ×3, first 2 shown]
	v_add_f64 v[12:13], v[12:13], -v[100:101]
	v_add_f64 v[36:37], v[48:49], -v[36:37]
	v_add_f64 v[12:13], v[12:13], v[112:113]
	v_add_f64 v[34:35], v[34:35], -v[36:37]
	s_mov_b32 s2, 0
	v_add_f64 v[12:13], v[12:13], v[34:35]
	s_mov_b32 s3, 0x7ff00000
	v_add_f64 v[12:13], v[48:49], v[12:13]
	v_cmp_eq_f64_e32 vcc, s[2:3], v[8:9]
	v_mov_b32_e32 v34, 0x7ff80000
	s_nop 0
	v_cndmask_b32_e32 v12, v12, v8, vcc
	v_cndmask_b32_e32 v13, v13, v9, vcc
	v_cmp_ngt_f64_e32 vcc, -1.0, v[8:9]
	s_nop 1
	v_cndmask_b32_e32 v13, v34, v13, vcc
	v_cmp_nge_f64_e32 vcc, -1.0, v[8:9]
	v_mov_b32_e32 v34, 0xfff00000
	s_nop 0
	v_cndmask_b32_e32 v12, 0, v12, vcc
	v_cmp_neq_f64_e32 vcc, -1.0, v[8:9]
	s_nop 1
	v_cndmask_b32_e32 v13, v34, v13, vcc
	v_add_f64 v[8:9], v[10:11], v[12:13]
.LBB50_348:
	s_or_b64 exec, exec, s[4:5]
	v_max_f64 v[10:11], v[8:9], v[8:9]
	v_min_f64 v[12:13], v[10:11], v[14:15]
	v_cmp_u_f64_e32 vcc, v[8:9], v[8:9]
	v_max_f64 v[10:11], v[10:11], v[14:15]
	s_nop 0
	v_cndmask_b32_e32 v12, v12, v8, vcc
	v_cndmask_b32_e32 v13, v13, v9, vcc
	;; [unrolled: 1-line block ×4, first 2 shown]
	v_cndmask_b32_e64 v35, v13, v103, s[10:11]
	v_cndmask_b32_e64 v34, v12, v102, s[10:11]
	;; [unrolled: 1-line block ×4, first 2 shown]
	s_movk_i32 s10, 0x1f8
	v_cmp_neq_f64_e32 vcc, v[34:35], v[12:13]
	v_cmp_class_f64_e64 s[2:3], v[34:35], s10
	s_or_b64 s[2:3], vcc, s[2:3]
	v_mov_b64_e32 v[10:11], v[8:9]
	s_and_saveexec_b64 s[4:5], s[2:3]
	s_cbranch_execz .LBB50_350
; %bb.349:
	s_mov_b32 s2, 0x652b82fe
	v_add_f64 v[10:11], v[34:35], -v[12:13]
	s_mov_b32 s3, 0x3ff71547
	v_mul_f64 v[14:15], v[10:11], s[2:3]
	v_rndne_f64_e32 v[14:15], v[14:15]
	s_mov_b32 s7, 0xbfe62e42
	s_mov_b32 s6, 0xfefa39ef
	v_fma_f64 v[34:35], s[6:7], v[14:15], v[10:11]
	s_mov_b32 s9, 0xbc7abc9e
	s_mov_b32 s8, 0x3b39803f
	;; [unrolled: 1-line block ×3, first 2 shown]
	v_fmac_f64_e32 v[34:35], s[8:9], v[14:15]
	v_mov_b32_e32 v36, 0xfca7ab0c
	v_mov_b32_e32 v37, 0x3e928af3
	s_mov_b32 s3, 0x3e5ade15
	v_fmac_f64_e32 v[36:37], s[2:3], v[34:35]
	v_mov_b32_e32 v48, 0x623fde64
	v_mov_b32_e32 v49, 0x3ec71dee
	v_fmac_f64_e32 v[48:49], v[34:35], v[36:37]
	v_mov_b32_e32 v36, 0x7c89e6b0
	v_mov_b32_e32 v37, 0x3efa0199
	;; [unrolled: 3-line block ×8, first 2 shown]
	s_mov_b32 s2, 0
	v_fmac_f64_e32 v[36:37], v[34:35], v[48:49]
	s_mov_b32 s3, 0x40900000
	v_fma_f64 v[36:37], v[34:35], v[36:37], 1.0
	v_cmp_nlt_f64_e32 vcc, s[2:3], v[10:11]
	s_mov_b32 s2, 0
	v_fma_f64 v[34:35], v[34:35], v[36:37], 1.0
	v_cvt_i32_f64_e32 v14, v[14:15]
	s_mov_b32 s3, 0xc090cc00
	v_ldexp_f64 v[14:15], v[34:35], v14
	v_mov_b32_e32 v34, 0x7ff00000
	v_cmp_ngt_f64_e64 s[2:3], s[2:3], v[10:11]
	v_cndmask_b32_e32 v15, v34, v15, vcc
	s_and_b64 vcc, s[2:3], vcc
	v_cndmask_b32_e64 v11, 0, v15, s[2:3]
	v_cndmask_b32_e32 v10, 0, v14, vcc
	v_add_f64 v[14:15], v[10:11], 1.0
	v_add_f64 v[34:35], v[14:15], -1.0
	v_add_f64 v[36:37], v[34:35], -v[14:15]
	v_add_f64 v[36:37], v[36:37], 1.0
	v_add_f64 v[34:35], v[10:11], -v[34:35]
	s_mov_b32 s2, 0x55555555
	v_add_f64 v[34:35], v[34:35], v[36:37]
	v_frexp_mant_f64_e32 v[36:37], v[14:15]
	s_mov_b32 s3, 0x3fe55555
	v_frexp_exp_i32_f64_e32 v48, v[14:15]
	v_cmp_gt_f64_e32 vcc, s[2:3], v[36:37]
	s_mov_b32 s2, 0xbf559e2b
	s_mov_b32 s3, 0x3fc3ab76
	v_subbrev_co_u32_e32 v53, vcc, 0, v48, vcc
	v_sub_u32_e32 v36, 0, v53
	v_ldexp_f64 v[14:15], v[14:15], v36
	v_ldexp_f64 v[34:35], v[34:35], v36
	v_add_f64 v[36:37], v[14:15], -1.0
	v_add_f64 v[102:103], v[14:15], 1.0
	v_add_f64 v[48:49], v[36:37], 1.0
	v_add_f64 v[112:113], v[102:103], -1.0
	v_add_f64 v[48:49], v[14:15], -v[48:49]
	v_add_f64 v[14:15], v[14:15], -v[112:113]
	v_add_f64 v[14:15], v[34:35], v[14:15]
	v_add_f64 v[48:49], v[34:35], v[48:49]
	;; [unrolled: 1-line block ×3, first 2 shown]
	v_rcp_f64_e32 v[112:113], v[34:35]
	v_add_f64 v[100:101], v[36:37], v[48:49]
	v_add_f64 v[36:37], v[100:101], -v[36:37]
	v_add_f64 v[36:37], v[48:49], -v[36:37]
	;; [unrolled: 1-line block ×4, first 2 shown]
	v_fma_f64 v[48:49], -v[34:35], v[112:113], 1.0
	v_fmac_f64_e32 v[112:113], v[48:49], v[112:113]
	v_fma_f64 v[48:49], -v[34:35], v[112:113], 1.0
	v_fmac_f64_e32 v[112:113], v[48:49], v[112:113]
	v_mul_f64 v[48:49], v[100:101], v[112:113]
	v_mul_f64 v[102:103], v[34:35], v[48:49]
	v_fma_f64 v[114:115], v[48:49], v[34:35], -v[102:103]
	v_fmac_f64_e32 v[114:115], v[48:49], v[14:15]
	v_add_f64 v[130:131], v[102:103], v[114:115]
	s_waitcnt lgkmcnt(0)
	v_add_f64 v[132:133], v[100:101], -v[130:131]
	v_add_f64 v[100:101], v[100:101], -v[132:133]
	;; [unrolled: 1-line block ×4, first 2 shown]
	v_add_f64 v[36:37], v[36:37], v[100:101]
	v_add_f64 v[100:101], v[102:103], -v[114:115]
	v_add_f64 v[36:37], v[100:101], v[36:37]
	v_add_f64 v[100:101], v[132:133], v[36:37]
	v_add_f64 v[102:103], v[132:133], -v[100:101]
	v_add_f64 v[36:37], v[36:37], v[102:103]
	v_mul_f64 v[102:103], v[112:113], v[100:101]
	v_mul_f64 v[114:115], v[34:35], v[102:103]
	v_fma_f64 v[34:35], v[102:103], v[34:35], -v[114:115]
	v_fmac_f64_e32 v[34:35], v[102:103], v[14:15]
	v_add_f64 v[14:15], v[114:115], v[34:35]
	v_add_f64 v[130:131], v[100:101], -v[14:15]
	v_add_f64 v[100:101], v[100:101], -v[130:131]
	;; [unrolled: 1-line block ×4, first 2 shown]
	v_add_f64 v[14:15], v[36:37], v[14:15]
	v_add_f64 v[34:35], v[114:115], -v[34:35]
	v_add_f64 v[14:15], v[34:35], v[14:15]
	v_add_f64 v[34:35], v[48:49], v[102:103]
	;; [unrolled: 1-line block ×3, first 2 shown]
	v_add_f64 v[36:37], v[34:35], -v[48:49]
	v_mul_f64 v[14:15], v[112:113], v[14:15]
	v_add_f64 v[36:37], v[102:103], -v[36:37]
	v_add_f64 v[14:15], v[36:37], v[14:15]
	v_add_f64 v[36:37], v[34:35], v[14:15]
	v_add_f64 v[34:35], v[36:37], -v[34:35]
	v_add_f64 v[14:15], v[14:15], -v[34:35]
	v_mul_f64 v[34:35], v[36:37], v[36:37]
	v_mov_b32_e32 v48, 0x6b47b09a
	v_mov_b32_e32 v49, 0x3fc38538
	v_fmac_f64_e32 v[48:49], s[2:3], v[34:35]
	v_mov_b32_e32 v100, 0xd7f4df2e
	v_mov_b32_e32 v101, 0x3fc7474d
	v_fmac_f64_e32 v[100:101], v[34:35], v[48:49]
	;; [unrolled: 3-line block ×6, first 2 shown]
	v_cvt_f64_i32_e32 v[48:49], v53
	s_mov_b32 s7, 0x3fe62e42
	v_mul_f64 v[102:103], v[48:49], s[6:7]
	v_fma_f64 v[112:113], v[48:49], s[6:7], -v[102:103]
	s_mov_b32 s9, 0x3c7abc9e
	v_fmac_f64_e32 v[112:113], s[8:9], v[48:49]
	v_add_f64 v[48:49], v[102:103], v[112:113]
	v_add_f64 v[102:103], v[48:49], -v[102:103]
	v_mul_f64 v[34:35], v[36:37], v[34:35]
	v_add_f64 v[102:103], v[112:113], -v[102:103]
	v_ldexp_f64 v[112:113], v[36:37], 1
	v_mul_f64 v[34:35], v[34:35], v[100:101]
	v_add_f64 v[36:37], v[112:113], v[34:35]
	v_add_f64 v[100:101], v[36:37], -v[112:113]
	v_ldexp_f64 v[14:15], v[14:15], 1
	v_add_f64 v[34:35], v[34:35], -v[100:101]
	v_add_f64 v[14:15], v[14:15], v[34:35]
	v_add_f64 v[34:35], v[36:37], v[14:15]
	v_add_f64 v[36:37], v[34:35], -v[36:37]
	v_add_f64 v[14:15], v[14:15], -v[36:37]
	v_add_f64 v[36:37], v[48:49], v[34:35]
	v_add_f64 v[100:101], v[36:37], -v[48:49]
	v_add_f64 v[112:113], v[36:37], -v[100:101]
	;; [unrolled: 1-line block ×4, first 2 shown]
	v_add_f64 v[34:35], v[34:35], v[48:49]
	v_add_f64 v[48:49], v[102:103], v[14:15]
	v_add_f64 v[100:101], v[48:49], -v[102:103]
	v_add_f64 v[34:35], v[48:49], v[34:35]
	v_add_f64 v[112:113], v[48:49], -v[100:101]
	;; [unrolled: 2-line block ×3, first 2 shown]
	v_add_f64 v[14:15], v[14:15], -v[100:101]
	v_add_f64 v[36:37], v[48:49], -v[36:37]
	v_add_f64 v[14:15], v[14:15], v[102:103]
	v_add_f64 v[34:35], v[34:35], -v[36:37]
	s_mov_b32 s2, 0
	v_add_f64 v[14:15], v[14:15], v[34:35]
	s_mov_b32 s3, 0x7ff00000
	v_add_f64 v[14:15], v[48:49], v[14:15]
	v_cmp_eq_f64_e32 vcc, s[2:3], v[10:11]
	v_mov_b32_e32 v34, 0x7ff80000
	s_nop 0
	v_cndmask_b32_e32 v14, v14, v10, vcc
	v_cndmask_b32_e32 v15, v15, v11, vcc
	v_cmp_ngt_f64_e32 vcc, -1.0, v[10:11]
	s_nop 1
	v_cndmask_b32_e32 v15, v34, v15, vcc
	v_cmp_nge_f64_e32 vcc, -1.0, v[10:11]
	v_mov_b32_e32 v34, 0xfff00000
	s_nop 0
	v_cndmask_b32_e32 v14, 0, v14, vcc
	v_cmp_neq_f64_e32 vcc, -1.0, v[10:11]
	s_nop 1
	v_cndmask_b32_e32 v15, v34, v15, vcc
	v_add_f64 v[10:11], v[12:13], v[14:15]
.LBB50_350:
	s_or_b64 exec, exec, s[4:5]
	v_max_f64 v[12:13], v[10:11], v[10:11]
	v_min_f64 v[14:15], v[12:13], v[16:17]
	v_cmp_u_f64_e32 vcc, v[10:11], v[10:11]
	v_max_f64 v[12:13], v[12:13], v[16:17]
	s_nop 0
	v_cndmask_b32_e32 v14, v14, v10, vcc
	v_cndmask_b32_e32 v15, v15, v11, vcc
	;; [unrolled: 1-line block ×4, first 2 shown]
	v_cndmask_b32_e64 v35, v15, v97, s[12:13]
	v_cndmask_b32_e64 v34, v14, v96, s[12:13]
	;; [unrolled: 1-line block ×4, first 2 shown]
	v_cmp_neq_f64_e32 vcc, v[34:35], v[14:15]
	v_cmp_class_f64_e64 s[2:3], v[34:35], s10
	s_or_b64 s[2:3], vcc, s[2:3]
	v_mov_b64_e32 v[12:13], v[10:11]
	s_and_saveexec_b64 s[4:5], s[2:3]
	s_cbranch_execz .LBB50_352
; %bb.351:
	s_mov_b32 s2, 0x652b82fe
	v_add_f64 v[12:13], v[34:35], -v[14:15]
	s_mov_b32 s3, 0x3ff71547
	v_mul_f64 v[16:17], v[12:13], s[2:3]
	v_rndne_f64_e32 v[16:17], v[16:17]
	s_mov_b32 s7, 0xbfe62e42
	s_mov_b32 s6, 0xfefa39ef
	v_fma_f64 v[34:35], s[6:7], v[16:17], v[12:13]
	s_mov_b32 s9, 0xbc7abc9e
	s_mov_b32 s8, 0x3b39803f
	;; [unrolled: 1-line block ×3, first 2 shown]
	v_fmac_f64_e32 v[34:35], s[8:9], v[16:17]
	v_mov_b32_e32 v36, 0xfca7ab0c
	v_mov_b32_e32 v37, 0x3e928af3
	s_mov_b32 s3, 0x3e5ade15
	v_fmac_f64_e32 v[36:37], s[2:3], v[34:35]
	v_mov_b32_e32 v48, 0x623fde64
	v_mov_b32_e32 v49, 0x3ec71dee
	v_fmac_f64_e32 v[48:49], v[34:35], v[36:37]
	v_mov_b32_e32 v36, 0x7c89e6b0
	v_mov_b32_e32 v37, 0x3efa0199
	;; [unrolled: 3-line block ×8, first 2 shown]
	s_mov_b32 s2, 0
	v_fmac_f64_e32 v[36:37], v[34:35], v[48:49]
	s_mov_b32 s3, 0x40900000
	v_fma_f64 v[36:37], v[34:35], v[36:37], 1.0
	v_cmp_nlt_f64_e32 vcc, s[2:3], v[12:13]
	s_mov_b32 s2, 0
	v_fma_f64 v[34:35], v[34:35], v[36:37], 1.0
	v_cvt_i32_f64_e32 v16, v[16:17]
	s_mov_b32 s3, 0xc090cc00
	v_ldexp_f64 v[16:17], v[34:35], v16
	v_mov_b32_e32 v34, 0x7ff00000
	v_cmp_ngt_f64_e64 s[2:3], s[2:3], v[12:13]
	v_cndmask_b32_e32 v17, v34, v17, vcc
	s_and_b64 vcc, s[2:3], vcc
	v_cndmask_b32_e64 v13, 0, v17, s[2:3]
	v_cndmask_b32_e32 v12, 0, v16, vcc
	v_add_f64 v[16:17], v[12:13], 1.0
	v_add_f64 v[34:35], v[16:17], -1.0
	v_add_f64 v[36:37], v[34:35], -v[16:17]
	v_add_f64 v[36:37], v[36:37], 1.0
	v_add_f64 v[34:35], v[12:13], -v[34:35]
	s_mov_b32 s2, 0x55555555
	v_add_f64 v[34:35], v[34:35], v[36:37]
	v_frexp_mant_f64_e32 v[36:37], v[16:17]
	s_mov_b32 s3, 0x3fe55555
	v_frexp_exp_i32_f64_e32 v48, v[16:17]
	v_cmp_gt_f64_e32 vcc, s[2:3], v[36:37]
	s_mov_b32 s2, 0xbf559e2b
	s_mov_b32 s3, 0x3fc3ab76
	v_subbrev_co_u32_e32 v53, vcc, 0, v48, vcc
	v_sub_u32_e32 v36, 0, v53
	v_ldexp_f64 v[16:17], v[16:17], v36
	v_ldexp_f64 v[34:35], v[34:35], v36
	v_add_f64 v[36:37], v[16:17], -1.0
	v_add_f64 v[100:101], v[16:17], 1.0
	v_add_f64 v[48:49], v[36:37], 1.0
	v_add_f64 v[102:103], v[100:101], -1.0
	v_add_f64 v[48:49], v[16:17], -v[48:49]
	v_add_f64 v[16:17], v[16:17], -v[102:103]
	v_add_f64 v[16:17], v[34:35], v[16:17]
	v_add_f64 v[48:49], v[34:35], v[48:49]
	;; [unrolled: 1-line block ×3, first 2 shown]
	v_rcp_f64_e32 v[102:103], v[34:35]
	v_add_f64 v[96:97], v[36:37], v[48:49]
	v_add_f64 v[36:37], v[96:97], -v[36:37]
	v_add_f64 v[36:37], v[48:49], -v[36:37]
	;; [unrolled: 1-line block ×4, first 2 shown]
	v_fma_f64 v[48:49], -v[34:35], v[102:103], 1.0
	v_fmac_f64_e32 v[102:103], v[48:49], v[102:103]
	v_fma_f64 v[48:49], -v[34:35], v[102:103], 1.0
	v_fmac_f64_e32 v[102:103], v[48:49], v[102:103]
	v_mul_f64 v[48:49], v[96:97], v[102:103]
	v_mul_f64 v[100:101], v[34:35], v[48:49]
	v_fma_f64 v[112:113], v[48:49], v[34:35], -v[100:101]
	v_fmac_f64_e32 v[112:113], v[48:49], v[16:17]
	v_add_f64 v[114:115], v[100:101], v[112:113]
	v_add_f64 v[130:131], v[96:97], -v[114:115]
	v_add_f64 v[96:97], v[96:97], -v[130:131]
	;; [unrolled: 1-line block ×4, first 2 shown]
	v_add_f64 v[36:37], v[36:37], v[96:97]
	v_add_f64 v[96:97], v[100:101], -v[112:113]
	v_add_f64 v[36:37], v[96:97], v[36:37]
	v_add_f64 v[96:97], v[130:131], v[36:37]
	v_add_f64 v[100:101], v[130:131], -v[96:97]
	v_add_f64 v[36:37], v[36:37], v[100:101]
	v_mul_f64 v[100:101], v[102:103], v[96:97]
	v_mul_f64 v[112:113], v[34:35], v[100:101]
	v_fma_f64 v[34:35], v[100:101], v[34:35], -v[112:113]
	v_fmac_f64_e32 v[34:35], v[100:101], v[16:17]
	v_add_f64 v[16:17], v[112:113], v[34:35]
	v_add_f64 v[114:115], v[96:97], -v[16:17]
	v_add_f64 v[96:97], v[96:97], -v[114:115]
	v_add_f64 v[112:113], v[16:17], -v[112:113]
	v_add_f64 v[16:17], v[96:97], -v[16:17]
	v_add_f64 v[16:17], v[36:37], v[16:17]
	v_add_f64 v[34:35], v[112:113], -v[34:35]
	v_add_f64 v[16:17], v[34:35], v[16:17]
	v_add_f64 v[34:35], v[48:49], v[100:101]
	;; [unrolled: 1-line block ×3, first 2 shown]
	v_add_f64 v[36:37], v[34:35], -v[48:49]
	v_mul_f64 v[16:17], v[102:103], v[16:17]
	v_add_f64 v[36:37], v[100:101], -v[36:37]
	v_add_f64 v[16:17], v[36:37], v[16:17]
	v_add_f64 v[36:37], v[34:35], v[16:17]
	v_add_f64 v[34:35], v[36:37], -v[34:35]
	v_add_f64 v[16:17], v[16:17], -v[34:35]
	v_mul_f64 v[34:35], v[36:37], v[36:37]
	v_mov_b32_e32 v48, 0x6b47b09a
	v_mov_b32_e32 v49, 0x3fc38538
	v_fmac_f64_e32 v[48:49], s[2:3], v[34:35]
	v_mov_b32_e32 v96, 0xd7f4df2e
	v_mov_b32_e32 v97, 0x3fc7474d
	v_fmac_f64_e32 v[96:97], v[34:35], v[48:49]
	;; [unrolled: 3-line block ×6, first 2 shown]
	v_cvt_f64_i32_e32 v[48:49], v53
	s_mov_b32 s7, 0x3fe62e42
	v_mul_f64 v[100:101], v[48:49], s[6:7]
	v_fma_f64 v[102:103], v[48:49], s[6:7], -v[100:101]
	s_mov_b32 s9, 0x3c7abc9e
	v_fmac_f64_e32 v[102:103], s[8:9], v[48:49]
	v_add_f64 v[48:49], v[100:101], v[102:103]
	v_add_f64 v[100:101], v[48:49], -v[100:101]
	v_mul_f64 v[34:35], v[36:37], v[34:35]
	v_add_f64 v[100:101], v[102:103], -v[100:101]
	v_ldexp_f64 v[102:103], v[36:37], 1
	v_mul_f64 v[34:35], v[34:35], v[96:97]
	v_add_f64 v[36:37], v[102:103], v[34:35]
	v_add_f64 v[96:97], v[36:37], -v[102:103]
	v_ldexp_f64 v[16:17], v[16:17], 1
	v_add_f64 v[34:35], v[34:35], -v[96:97]
	v_add_f64 v[16:17], v[16:17], v[34:35]
	v_add_f64 v[34:35], v[36:37], v[16:17]
	v_add_f64 v[36:37], v[34:35], -v[36:37]
	v_add_f64 v[16:17], v[16:17], -v[36:37]
	v_add_f64 v[36:37], v[48:49], v[34:35]
	v_add_f64 v[96:97], v[36:37], -v[48:49]
	v_add_f64 v[102:103], v[36:37], -v[96:97]
	;; [unrolled: 1-line block ×4, first 2 shown]
	v_add_f64 v[34:35], v[34:35], v[48:49]
	v_add_f64 v[48:49], v[100:101], v[16:17]
	v_add_f64 v[96:97], v[48:49], -v[100:101]
	v_add_f64 v[34:35], v[48:49], v[34:35]
	v_add_f64 v[102:103], v[48:49], -v[96:97]
	;; [unrolled: 2-line block ×3, first 2 shown]
	v_add_f64 v[16:17], v[16:17], -v[96:97]
	v_add_f64 v[36:37], v[48:49], -v[36:37]
	v_add_f64 v[16:17], v[16:17], v[100:101]
	v_add_f64 v[34:35], v[34:35], -v[36:37]
	s_mov_b32 s2, 0
	v_add_f64 v[16:17], v[16:17], v[34:35]
	s_mov_b32 s3, 0x7ff00000
	v_add_f64 v[16:17], v[48:49], v[16:17]
	v_cmp_eq_f64_e32 vcc, s[2:3], v[12:13]
	v_mov_b32_e32 v34, 0x7ff80000
	s_nop 0
	v_cndmask_b32_e32 v16, v16, v12, vcc
	v_cndmask_b32_e32 v17, v17, v13, vcc
	v_cmp_ngt_f64_e32 vcc, -1.0, v[12:13]
	s_nop 1
	v_cndmask_b32_e32 v17, v34, v17, vcc
	v_cmp_nge_f64_e32 vcc, -1.0, v[12:13]
	v_mov_b32_e32 v34, 0xfff00000
	s_nop 0
	v_cndmask_b32_e32 v16, 0, v16, vcc
	v_cmp_neq_f64_e32 vcc, -1.0, v[12:13]
	s_nop 1
	v_cndmask_b32_e32 v17, v34, v17, vcc
	v_add_f64 v[12:13], v[14:15], v[16:17]
.LBB50_352:
	s_or_b64 exec, exec, s[4:5]
	v_max_f64 v[14:15], v[12:13], v[12:13]
	v_min_f64 v[16:17], v[14:15], v[18:19]
	v_cmp_u_f64_e32 vcc, v[12:13], v[12:13]
	v_max_f64 v[14:15], v[14:15], v[18:19]
	s_nop 0
	v_cndmask_b32_e32 v16, v16, v12, vcc
	v_cndmask_b32_e32 v17, v17, v13, vcc
	;; [unrolled: 1-line block ×4, first 2 shown]
	v_cndmask_b32_e64 v35, v17, v99, s[14:15]
	v_cndmask_b32_e64 v34, v16, v98, s[14:15]
	;; [unrolled: 1-line block ×4, first 2 shown]
	v_cmp_neq_f64_e32 vcc, v[34:35], v[16:17]
	v_cmp_class_f64_e64 s[2:3], v[34:35], s10
	s_or_b64 s[2:3], vcc, s[2:3]
	v_mov_b64_e32 v[14:15], v[12:13]
	s_and_saveexec_b64 s[4:5], s[2:3]
	s_cbranch_execz .LBB50_354
; %bb.353:
	s_mov_b32 s2, 0x652b82fe
	v_add_f64 v[14:15], v[34:35], -v[16:17]
	s_mov_b32 s3, 0x3ff71547
	v_mul_f64 v[18:19], v[14:15], s[2:3]
	v_rndne_f64_e32 v[18:19], v[18:19]
	s_mov_b32 s7, 0xbfe62e42
	s_mov_b32 s6, 0xfefa39ef
	v_fma_f64 v[34:35], s[6:7], v[18:19], v[14:15]
	s_mov_b32 s9, 0xbc7abc9e
	s_mov_b32 s8, 0x3b39803f
	;; [unrolled: 1-line block ×3, first 2 shown]
	v_fmac_f64_e32 v[34:35], s[8:9], v[18:19]
	v_mov_b32_e32 v36, 0xfca7ab0c
	v_mov_b32_e32 v37, 0x3e928af3
	s_mov_b32 s3, 0x3e5ade15
	v_fmac_f64_e32 v[36:37], s[2:3], v[34:35]
	v_mov_b32_e32 v48, 0x623fde64
	v_mov_b32_e32 v49, 0x3ec71dee
	v_fmac_f64_e32 v[48:49], v[34:35], v[36:37]
	v_mov_b32_e32 v36, 0x7c89e6b0
	v_mov_b32_e32 v37, 0x3efa0199
	;; [unrolled: 3-line block ×8, first 2 shown]
	s_mov_b32 s2, 0
	v_fmac_f64_e32 v[36:37], v[34:35], v[48:49]
	s_mov_b32 s3, 0x40900000
	v_fma_f64 v[36:37], v[34:35], v[36:37], 1.0
	v_cmp_nlt_f64_e32 vcc, s[2:3], v[14:15]
	s_mov_b32 s2, 0
	v_fma_f64 v[34:35], v[34:35], v[36:37], 1.0
	v_cvt_i32_f64_e32 v18, v[18:19]
	s_mov_b32 s3, 0xc090cc00
	v_ldexp_f64 v[18:19], v[34:35], v18
	v_mov_b32_e32 v34, 0x7ff00000
	v_cmp_ngt_f64_e64 s[2:3], s[2:3], v[14:15]
	v_cndmask_b32_e32 v19, v34, v19, vcc
	s_and_b64 vcc, s[2:3], vcc
	v_cndmask_b32_e64 v15, 0, v19, s[2:3]
	v_cndmask_b32_e32 v14, 0, v18, vcc
	v_add_f64 v[18:19], v[14:15], 1.0
	v_add_f64 v[34:35], v[18:19], -1.0
	v_add_f64 v[36:37], v[34:35], -v[18:19]
	v_add_f64 v[36:37], v[36:37], 1.0
	v_add_f64 v[34:35], v[14:15], -v[34:35]
	s_mov_b32 s2, 0x55555555
	v_add_f64 v[34:35], v[34:35], v[36:37]
	v_frexp_mant_f64_e32 v[36:37], v[18:19]
	s_mov_b32 s3, 0x3fe55555
	v_frexp_exp_i32_f64_e32 v48, v[18:19]
	v_cmp_gt_f64_e32 vcc, s[2:3], v[36:37]
	s_mov_b32 s2, 0xbf559e2b
	s_mov_b32 s3, 0x3fc3ab76
	v_subbrev_co_u32_e32 v53, vcc, 0, v48, vcc
	v_sub_u32_e32 v36, 0, v53
	v_ldexp_f64 v[18:19], v[18:19], v36
	v_ldexp_f64 v[34:35], v[34:35], v36
	v_add_f64 v[36:37], v[18:19], -1.0
	v_add_f64 v[98:99], v[18:19], 1.0
	v_add_f64 v[48:49], v[36:37], 1.0
	v_add_f64 v[100:101], v[98:99], -1.0
	v_add_f64 v[48:49], v[18:19], -v[48:49]
	v_add_f64 v[18:19], v[18:19], -v[100:101]
	v_add_f64 v[18:19], v[34:35], v[18:19]
	v_add_f64 v[48:49], v[34:35], v[48:49]
	;; [unrolled: 1-line block ×3, first 2 shown]
	v_rcp_f64_e32 v[100:101], v[34:35]
	v_add_f64 v[96:97], v[36:37], v[48:49]
	v_add_f64 v[36:37], v[96:97], -v[36:37]
	v_add_f64 v[36:37], v[48:49], -v[36:37]
	;; [unrolled: 1-line block ×4, first 2 shown]
	v_fma_f64 v[48:49], -v[34:35], v[100:101], 1.0
	v_fmac_f64_e32 v[100:101], v[48:49], v[100:101]
	v_fma_f64 v[48:49], -v[34:35], v[100:101], 1.0
	v_fmac_f64_e32 v[100:101], v[48:49], v[100:101]
	v_mul_f64 v[48:49], v[96:97], v[100:101]
	v_mul_f64 v[98:99], v[34:35], v[48:49]
	v_fma_f64 v[102:103], v[48:49], v[34:35], -v[98:99]
	v_fmac_f64_e32 v[102:103], v[48:49], v[18:19]
	v_add_f64 v[112:113], v[98:99], v[102:103]
	v_add_f64 v[114:115], v[96:97], -v[112:113]
	v_add_f64 v[96:97], v[96:97], -v[114:115]
	v_add_f64 v[98:99], v[112:113], -v[98:99]
	v_add_f64 v[96:97], v[96:97], -v[112:113]
	v_add_f64 v[36:37], v[36:37], v[96:97]
	v_add_f64 v[96:97], v[98:99], -v[102:103]
	v_add_f64 v[36:37], v[96:97], v[36:37]
	v_add_f64 v[96:97], v[114:115], v[36:37]
	v_add_f64 v[98:99], v[114:115], -v[96:97]
	v_add_f64 v[36:37], v[36:37], v[98:99]
	v_mul_f64 v[98:99], v[100:101], v[96:97]
	v_mul_f64 v[102:103], v[34:35], v[98:99]
	v_fma_f64 v[34:35], v[98:99], v[34:35], -v[102:103]
	v_fmac_f64_e32 v[34:35], v[98:99], v[18:19]
	v_add_f64 v[18:19], v[102:103], v[34:35]
	v_add_f64 v[112:113], v[96:97], -v[18:19]
	v_add_f64 v[96:97], v[96:97], -v[112:113]
	;; [unrolled: 1-line block ×4, first 2 shown]
	v_add_f64 v[18:19], v[36:37], v[18:19]
	v_add_f64 v[34:35], v[102:103], -v[34:35]
	v_add_f64 v[18:19], v[34:35], v[18:19]
	v_add_f64 v[34:35], v[48:49], v[98:99]
	v_add_f64 v[18:19], v[112:113], v[18:19]
	v_add_f64 v[36:37], v[34:35], -v[48:49]
	v_mul_f64 v[18:19], v[100:101], v[18:19]
	v_add_f64 v[36:37], v[98:99], -v[36:37]
	v_add_f64 v[18:19], v[36:37], v[18:19]
	v_add_f64 v[36:37], v[34:35], v[18:19]
	v_add_f64 v[34:35], v[36:37], -v[34:35]
	v_add_f64 v[18:19], v[18:19], -v[34:35]
	v_mul_f64 v[34:35], v[36:37], v[36:37]
	v_mov_b32_e32 v48, 0x6b47b09a
	v_mov_b32_e32 v49, 0x3fc38538
	v_fmac_f64_e32 v[48:49], s[2:3], v[34:35]
	v_mov_b32_e32 v96, 0xd7f4df2e
	v_mov_b32_e32 v97, 0x3fc7474d
	v_fmac_f64_e32 v[96:97], v[34:35], v[48:49]
	;; [unrolled: 3-line block ×6, first 2 shown]
	v_cvt_f64_i32_e32 v[48:49], v53
	s_mov_b32 s7, 0x3fe62e42
	v_mul_f64 v[98:99], v[48:49], s[6:7]
	v_fma_f64 v[100:101], v[48:49], s[6:7], -v[98:99]
	s_mov_b32 s9, 0x3c7abc9e
	v_fmac_f64_e32 v[100:101], s[8:9], v[48:49]
	v_add_f64 v[48:49], v[98:99], v[100:101]
	v_add_f64 v[98:99], v[48:49], -v[98:99]
	v_mul_f64 v[34:35], v[36:37], v[34:35]
	v_add_f64 v[98:99], v[100:101], -v[98:99]
	v_ldexp_f64 v[100:101], v[36:37], 1
	v_mul_f64 v[34:35], v[34:35], v[96:97]
	v_add_f64 v[36:37], v[100:101], v[34:35]
	v_add_f64 v[96:97], v[36:37], -v[100:101]
	v_ldexp_f64 v[18:19], v[18:19], 1
	v_add_f64 v[34:35], v[34:35], -v[96:97]
	v_add_f64 v[18:19], v[18:19], v[34:35]
	v_add_f64 v[34:35], v[36:37], v[18:19]
	v_add_f64 v[36:37], v[34:35], -v[36:37]
	v_add_f64 v[18:19], v[18:19], -v[36:37]
	v_add_f64 v[36:37], v[48:49], v[34:35]
	v_add_f64 v[96:97], v[36:37], -v[48:49]
	v_add_f64 v[100:101], v[36:37], -v[96:97]
	;; [unrolled: 1-line block ×4, first 2 shown]
	v_add_f64 v[34:35], v[34:35], v[48:49]
	v_add_f64 v[48:49], v[98:99], v[18:19]
	v_add_f64 v[96:97], v[48:49], -v[98:99]
	v_add_f64 v[34:35], v[48:49], v[34:35]
	v_add_f64 v[100:101], v[48:49], -v[96:97]
	;; [unrolled: 2-line block ×3, first 2 shown]
	v_add_f64 v[18:19], v[18:19], -v[96:97]
	v_add_f64 v[36:37], v[48:49], -v[36:37]
	v_add_f64 v[18:19], v[18:19], v[98:99]
	v_add_f64 v[34:35], v[34:35], -v[36:37]
	s_mov_b32 s2, 0
	v_add_f64 v[18:19], v[18:19], v[34:35]
	s_mov_b32 s3, 0x7ff00000
	v_add_f64 v[18:19], v[48:49], v[18:19]
	v_cmp_eq_f64_e32 vcc, s[2:3], v[14:15]
	v_mov_b32_e32 v34, 0x7ff80000
	s_nop 0
	v_cndmask_b32_e32 v18, v18, v14, vcc
	v_cndmask_b32_e32 v19, v19, v15, vcc
	v_cmp_ngt_f64_e32 vcc, -1.0, v[14:15]
	s_nop 1
	v_cndmask_b32_e32 v19, v34, v19, vcc
	v_cmp_nge_f64_e32 vcc, -1.0, v[14:15]
	v_mov_b32_e32 v34, 0xfff00000
	s_nop 0
	v_cndmask_b32_e32 v18, 0, v18, vcc
	v_cmp_neq_f64_e32 vcc, -1.0, v[14:15]
	s_nop 1
	v_cndmask_b32_e32 v19, v34, v19, vcc
	v_add_f64 v[14:15], v[16:17], v[18:19]
.LBB50_354:
	s_or_b64 exec, exec, s[4:5]
	v_max_f64 v[16:17], v[14:15], v[14:15]
	v_min_f64 v[18:19], v[16:17], v[20:21]
	v_cmp_u_f64_e32 vcc, v[14:15], v[14:15]
	v_max_f64 v[16:17], v[16:17], v[20:21]
	s_nop 0
	v_cndmask_b32_e32 v18, v18, v14, vcc
	v_cndmask_b32_e32 v19, v19, v15, vcc
	;; [unrolled: 1-line block ×4, first 2 shown]
	v_cndmask_b32_e64 v35, v19, v85, s[16:17]
	v_cndmask_b32_e64 v34, v18, v84, s[16:17]
	;; [unrolled: 1-line block ×4, first 2 shown]
	v_cmp_neq_f64_e32 vcc, v[34:35], v[18:19]
	v_cmp_class_f64_e64 s[2:3], v[34:35], s10
	s_or_b64 s[2:3], vcc, s[2:3]
	v_mov_b64_e32 v[16:17], v[14:15]
	s_and_saveexec_b64 s[4:5], s[2:3]
	s_cbranch_execz .LBB50_356
; %bb.355:
	s_mov_b32 s2, 0x652b82fe
	v_add_f64 v[16:17], v[34:35], -v[18:19]
	s_mov_b32 s3, 0x3ff71547
	v_mul_f64 v[20:21], v[16:17], s[2:3]
	v_rndne_f64_e32 v[20:21], v[20:21]
	s_mov_b32 s7, 0xbfe62e42
	s_mov_b32 s6, 0xfefa39ef
	v_fma_f64 v[34:35], s[6:7], v[20:21], v[16:17]
	s_mov_b32 s9, 0xbc7abc9e
	s_mov_b32 s8, 0x3b39803f
	;; [unrolled: 1-line block ×3, first 2 shown]
	v_fmac_f64_e32 v[34:35], s[8:9], v[20:21]
	v_mov_b32_e32 v36, 0xfca7ab0c
	v_mov_b32_e32 v37, 0x3e928af3
	s_mov_b32 s3, 0x3e5ade15
	v_fmac_f64_e32 v[36:37], s[2:3], v[34:35]
	v_mov_b32_e32 v48, 0x623fde64
	v_mov_b32_e32 v49, 0x3ec71dee
	v_fmac_f64_e32 v[48:49], v[34:35], v[36:37]
	v_mov_b32_e32 v36, 0x7c89e6b0
	v_mov_b32_e32 v37, 0x3efa0199
	;; [unrolled: 3-line block ×8, first 2 shown]
	s_mov_b32 s2, 0
	v_fmac_f64_e32 v[36:37], v[34:35], v[48:49]
	s_mov_b32 s3, 0x40900000
	v_fma_f64 v[36:37], v[34:35], v[36:37], 1.0
	v_cmp_nlt_f64_e32 vcc, s[2:3], v[16:17]
	s_mov_b32 s2, 0
	v_fma_f64 v[34:35], v[34:35], v[36:37], 1.0
	v_cvt_i32_f64_e32 v20, v[20:21]
	s_mov_b32 s3, 0xc090cc00
	v_ldexp_f64 v[20:21], v[34:35], v20
	v_mov_b32_e32 v34, 0x7ff00000
	v_cmp_ngt_f64_e64 s[2:3], s[2:3], v[16:17]
	v_cndmask_b32_e32 v21, v34, v21, vcc
	s_and_b64 vcc, s[2:3], vcc
	v_cndmask_b32_e64 v17, 0, v21, s[2:3]
	v_cndmask_b32_e32 v16, 0, v20, vcc
	v_add_f64 v[20:21], v[16:17], 1.0
	v_add_f64 v[34:35], v[20:21], -1.0
	v_add_f64 v[36:37], v[34:35], -v[20:21]
	v_add_f64 v[36:37], v[36:37], 1.0
	v_add_f64 v[34:35], v[16:17], -v[34:35]
	s_mov_b32 s2, 0x55555555
	v_add_f64 v[34:35], v[34:35], v[36:37]
	v_frexp_mant_f64_e32 v[36:37], v[20:21]
	s_mov_b32 s3, 0x3fe55555
	v_frexp_exp_i32_f64_e32 v48, v[20:21]
	v_cmp_gt_f64_e32 vcc, s[2:3], v[36:37]
	s_mov_b32 s2, 0xbf559e2b
	s_mov_b32 s3, 0x3fc3ab76
	v_subbrev_co_u32_e32 v53, vcc, 0, v48, vcc
	v_sub_u32_e32 v36, 0, v53
	v_ldexp_f64 v[20:21], v[20:21], v36
	v_ldexp_f64 v[34:35], v[34:35], v36
	v_add_f64 v[36:37], v[20:21], -1.0
	v_add_f64 v[96:97], v[20:21], 1.0
	v_add_f64 v[48:49], v[36:37], 1.0
	v_add_f64 v[98:99], v[96:97], -1.0
	v_add_f64 v[48:49], v[20:21], -v[48:49]
	v_add_f64 v[20:21], v[20:21], -v[98:99]
	v_add_f64 v[20:21], v[34:35], v[20:21]
	v_add_f64 v[48:49], v[34:35], v[48:49]
	;; [unrolled: 1-line block ×3, first 2 shown]
	v_rcp_f64_e32 v[98:99], v[34:35]
	v_add_f64 v[84:85], v[36:37], v[48:49]
	v_add_f64 v[36:37], v[84:85], -v[36:37]
	v_add_f64 v[36:37], v[48:49], -v[36:37]
	;; [unrolled: 1-line block ×4, first 2 shown]
	v_fma_f64 v[48:49], -v[34:35], v[98:99], 1.0
	v_fmac_f64_e32 v[98:99], v[48:49], v[98:99]
	v_fma_f64 v[48:49], -v[34:35], v[98:99], 1.0
	v_fmac_f64_e32 v[98:99], v[48:49], v[98:99]
	v_mul_f64 v[48:49], v[84:85], v[98:99]
	v_mul_f64 v[96:97], v[34:35], v[48:49]
	v_fma_f64 v[100:101], v[48:49], v[34:35], -v[96:97]
	v_fmac_f64_e32 v[100:101], v[48:49], v[20:21]
	v_add_f64 v[102:103], v[96:97], v[100:101]
	v_add_f64 v[112:113], v[84:85], -v[102:103]
	v_add_f64 v[84:85], v[84:85], -v[112:113]
	;; [unrolled: 1-line block ×4, first 2 shown]
	v_add_f64 v[36:37], v[36:37], v[84:85]
	v_add_f64 v[84:85], v[96:97], -v[100:101]
	v_add_f64 v[36:37], v[84:85], v[36:37]
	v_add_f64 v[84:85], v[112:113], v[36:37]
	v_add_f64 v[96:97], v[112:113], -v[84:85]
	v_add_f64 v[36:37], v[36:37], v[96:97]
	v_mul_f64 v[96:97], v[98:99], v[84:85]
	v_mul_f64 v[100:101], v[34:35], v[96:97]
	v_fma_f64 v[34:35], v[96:97], v[34:35], -v[100:101]
	v_fmac_f64_e32 v[34:35], v[96:97], v[20:21]
	v_add_f64 v[20:21], v[100:101], v[34:35]
	v_add_f64 v[102:103], v[84:85], -v[20:21]
	v_add_f64 v[84:85], v[84:85], -v[102:103]
	;; [unrolled: 1-line block ×4, first 2 shown]
	v_add_f64 v[20:21], v[36:37], v[20:21]
	v_add_f64 v[34:35], v[100:101], -v[34:35]
	v_add_f64 v[20:21], v[34:35], v[20:21]
	v_add_f64 v[34:35], v[48:49], v[96:97]
	;; [unrolled: 1-line block ×3, first 2 shown]
	v_add_f64 v[36:37], v[34:35], -v[48:49]
	v_mul_f64 v[20:21], v[98:99], v[20:21]
	v_add_f64 v[36:37], v[96:97], -v[36:37]
	v_add_f64 v[20:21], v[36:37], v[20:21]
	v_add_f64 v[36:37], v[34:35], v[20:21]
	v_add_f64 v[34:35], v[36:37], -v[34:35]
	v_add_f64 v[20:21], v[20:21], -v[34:35]
	v_mul_f64 v[34:35], v[36:37], v[36:37]
	v_mov_b32_e32 v48, 0x6b47b09a
	v_mov_b32_e32 v49, 0x3fc38538
	v_fmac_f64_e32 v[48:49], s[2:3], v[34:35]
	v_mov_b32_e32 v84, 0xd7f4df2e
	v_mov_b32_e32 v85, 0x3fc7474d
	v_fmac_f64_e32 v[84:85], v[34:35], v[48:49]
	;; [unrolled: 3-line block ×6, first 2 shown]
	v_cvt_f64_i32_e32 v[48:49], v53
	s_mov_b32 s7, 0x3fe62e42
	v_mul_f64 v[96:97], v[48:49], s[6:7]
	v_fma_f64 v[98:99], v[48:49], s[6:7], -v[96:97]
	s_mov_b32 s9, 0x3c7abc9e
	v_fmac_f64_e32 v[98:99], s[8:9], v[48:49]
	v_add_f64 v[48:49], v[96:97], v[98:99]
	v_add_f64 v[96:97], v[48:49], -v[96:97]
	v_mul_f64 v[34:35], v[36:37], v[34:35]
	v_add_f64 v[96:97], v[98:99], -v[96:97]
	v_ldexp_f64 v[98:99], v[36:37], 1
	v_mul_f64 v[34:35], v[34:35], v[84:85]
	v_add_f64 v[36:37], v[98:99], v[34:35]
	v_add_f64 v[84:85], v[36:37], -v[98:99]
	v_ldexp_f64 v[20:21], v[20:21], 1
	v_add_f64 v[34:35], v[34:35], -v[84:85]
	v_add_f64 v[20:21], v[20:21], v[34:35]
	v_add_f64 v[34:35], v[36:37], v[20:21]
	v_add_f64 v[36:37], v[34:35], -v[36:37]
	v_add_f64 v[20:21], v[20:21], -v[36:37]
	v_add_f64 v[36:37], v[48:49], v[34:35]
	v_add_f64 v[84:85], v[36:37], -v[48:49]
	v_add_f64 v[98:99], v[36:37], -v[84:85]
	;; [unrolled: 1-line block ×4, first 2 shown]
	v_add_f64 v[34:35], v[34:35], v[48:49]
	v_add_f64 v[48:49], v[96:97], v[20:21]
	v_add_f64 v[84:85], v[48:49], -v[96:97]
	v_add_f64 v[34:35], v[48:49], v[34:35]
	v_add_f64 v[98:99], v[48:49], -v[84:85]
	;; [unrolled: 2-line block ×3, first 2 shown]
	v_add_f64 v[20:21], v[20:21], -v[84:85]
	v_add_f64 v[36:37], v[48:49], -v[36:37]
	v_add_f64 v[20:21], v[20:21], v[96:97]
	v_add_f64 v[34:35], v[34:35], -v[36:37]
	s_mov_b32 s2, 0
	v_add_f64 v[20:21], v[20:21], v[34:35]
	s_mov_b32 s3, 0x7ff00000
	v_add_f64 v[20:21], v[48:49], v[20:21]
	v_cmp_eq_f64_e32 vcc, s[2:3], v[16:17]
	v_mov_b32_e32 v34, 0x7ff80000
	s_nop 0
	v_cndmask_b32_e32 v20, v20, v16, vcc
	v_cndmask_b32_e32 v21, v21, v17, vcc
	v_cmp_ngt_f64_e32 vcc, -1.0, v[16:17]
	s_nop 1
	v_cndmask_b32_e32 v21, v34, v21, vcc
	v_cmp_nge_f64_e32 vcc, -1.0, v[16:17]
	v_mov_b32_e32 v34, 0xfff00000
	s_nop 0
	v_cndmask_b32_e32 v20, 0, v20, vcc
	v_cmp_neq_f64_e32 vcc, -1.0, v[16:17]
	s_nop 1
	v_cndmask_b32_e32 v21, v34, v21, vcc
	v_add_f64 v[16:17], v[18:19], v[20:21]
.LBB50_356:
	s_or_b64 exec, exec, s[4:5]
	v_max_f64 v[18:19], v[16:17], v[16:17]
	v_min_f64 v[20:21], v[18:19], v[22:23]
	v_cmp_u_f64_e32 vcc, v[16:17], v[16:17]
	v_max_f64 v[18:19], v[18:19], v[22:23]
	s_nop 0
	v_cndmask_b32_e32 v20, v20, v16, vcc
	v_cndmask_b32_e32 v21, v21, v17, vcc
	;; [unrolled: 1-line block ×4, first 2 shown]
	v_cndmask_b32_e64 v35, v21, v87, s[18:19]
	v_cndmask_b32_e64 v34, v20, v86, s[18:19]
	;; [unrolled: 1-line block ×4, first 2 shown]
	v_cmp_neq_f64_e32 vcc, v[34:35], v[20:21]
	v_cmp_class_f64_e64 s[2:3], v[34:35], s10
	s_or_b64 s[2:3], vcc, s[2:3]
	v_mov_b64_e32 v[18:19], v[16:17]
	s_and_saveexec_b64 s[4:5], s[2:3]
	s_cbranch_execz .LBB50_358
; %bb.357:
	s_mov_b32 s2, 0x652b82fe
	v_add_f64 v[18:19], v[34:35], -v[20:21]
	s_mov_b32 s3, 0x3ff71547
	v_mul_f64 v[22:23], v[18:19], s[2:3]
	v_rndne_f64_e32 v[22:23], v[22:23]
	s_mov_b32 s7, 0xbfe62e42
	s_mov_b32 s6, 0xfefa39ef
	v_fma_f64 v[34:35], s[6:7], v[22:23], v[18:19]
	s_mov_b32 s9, 0xbc7abc9e
	s_mov_b32 s8, 0x3b39803f
	;; [unrolled: 1-line block ×3, first 2 shown]
	v_fmac_f64_e32 v[34:35], s[8:9], v[22:23]
	v_mov_b32_e32 v36, 0xfca7ab0c
	v_mov_b32_e32 v37, 0x3e928af3
	s_mov_b32 s3, 0x3e5ade15
	v_fmac_f64_e32 v[36:37], s[2:3], v[34:35]
	v_mov_b32_e32 v48, 0x623fde64
	v_mov_b32_e32 v49, 0x3ec71dee
	v_fmac_f64_e32 v[48:49], v[34:35], v[36:37]
	v_mov_b32_e32 v36, 0x7c89e6b0
	v_mov_b32_e32 v37, 0x3efa0199
	;; [unrolled: 3-line block ×8, first 2 shown]
	s_mov_b32 s2, 0
	v_fmac_f64_e32 v[36:37], v[34:35], v[48:49]
	s_mov_b32 s3, 0x40900000
	v_fma_f64 v[36:37], v[34:35], v[36:37], 1.0
	v_cmp_nlt_f64_e32 vcc, s[2:3], v[18:19]
	s_mov_b32 s2, 0
	v_fma_f64 v[34:35], v[34:35], v[36:37], 1.0
	v_cvt_i32_f64_e32 v22, v[22:23]
	s_mov_b32 s3, 0xc090cc00
	v_ldexp_f64 v[22:23], v[34:35], v22
	v_mov_b32_e32 v34, 0x7ff00000
	v_cmp_ngt_f64_e64 s[2:3], s[2:3], v[18:19]
	v_cndmask_b32_e32 v23, v34, v23, vcc
	s_and_b64 vcc, s[2:3], vcc
	v_cndmask_b32_e64 v19, 0, v23, s[2:3]
	v_cndmask_b32_e32 v18, 0, v22, vcc
	v_add_f64 v[22:23], v[18:19], 1.0
	v_add_f64 v[34:35], v[22:23], -1.0
	v_add_f64 v[36:37], v[34:35], -v[22:23]
	v_add_f64 v[36:37], v[36:37], 1.0
	v_add_f64 v[34:35], v[18:19], -v[34:35]
	s_mov_b32 s2, 0x55555555
	v_add_f64 v[34:35], v[34:35], v[36:37]
	v_frexp_mant_f64_e32 v[36:37], v[22:23]
	s_mov_b32 s3, 0x3fe55555
	v_frexp_exp_i32_f64_e32 v48, v[22:23]
	v_cmp_gt_f64_e32 vcc, s[2:3], v[36:37]
	s_mov_b32 s2, 0xbf559e2b
	s_mov_b32 s3, 0x3fc3ab76
	v_subbrev_co_u32_e32 v53, vcc, 0, v48, vcc
	v_sub_u32_e32 v36, 0, v53
	v_ldexp_f64 v[22:23], v[22:23], v36
	v_ldexp_f64 v[34:35], v[34:35], v36
	v_add_f64 v[36:37], v[22:23], -1.0
	v_add_f64 v[86:87], v[22:23], 1.0
	v_add_f64 v[48:49], v[36:37], 1.0
	v_add_f64 v[96:97], v[86:87], -1.0
	v_add_f64 v[48:49], v[22:23], -v[48:49]
	v_add_f64 v[22:23], v[22:23], -v[96:97]
	v_add_f64 v[22:23], v[34:35], v[22:23]
	v_add_f64 v[48:49], v[34:35], v[48:49]
	;; [unrolled: 1-line block ×3, first 2 shown]
	v_rcp_f64_e32 v[96:97], v[34:35]
	v_add_f64 v[84:85], v[36:37], v[48:49]
	v_add_f64 v[36:37], v[84:85], -v[36:37]
	v_add_f64 v[36:37], v[48:49], -v[36:37]
	;; [unrolled: 1-line block ×4, first 2 shown]
	v_fma_f64 v[48:49], -v[34:35], v[96:97], 1.0
	v_fmac_f64_e32 v[96:97], v[48:49], v[96:97]
	v_fma_f64 v[48:49], -v[34:35], v[96:97], 1.0
	v_fmac_f64_e32 v[96:97], v[48:49], v[96:97]
	v_mul_f64 v[48:49], v[84:85], v[96:97]
	v_mul_f64 v[86:87], v[34:35], v[48:49]
	v_fma_f64 v[98:99], v[48:49], v[34:35], -v[86:87]
	v_fmac_f64_e32 v[98:99], v[48:49], v[22:23]
	v_add_f64 v[100:101], v[86:87], v[98:99]
	v_add_f64 v[102:103], v[84:85], -v[100:101]
	v_add_f64 v[84:85], v[84:85], -v[102:103]
	;; [unrolled: 1-line block ×4, first 2 shown]
	v_add_f64 v[36:37], v[36:37], v[84:85]
	v_add_f64 v[84:85], v[86:87], -v[98:99]
	v_add_f64 v[36:37], v[84:85], v[36:37]
	v_add_f64 v[84:85], v[102:103], v[36:37]
	v_add_f64 v[86:87], v[102:103], -v[84:85]
	v_add_f64 v[36:37], v[36:37], v[86:87]
	v_mul_f64 v[86:87], v[96:97], v[84:85]
	v_mul_f64 v[98:99], v[34:35], v[86:87]
	v_fma_f64 v[34:35], v[86:87], v[34:35], -v[98:99]
	v_fmac_f64_e32 v[34:35], v[86:87], v[22:23]
	v_add_f64 v[22:23], v[98:99], v[34:35]
	v_add_f64 v[100:101], v[84:85], -v[22:23]
	v_add_f64 v[84:85], v[84:85], -v[100:101]
	;; [unrolled: 1-line block ×4, first 2 shown]
	v_add_f64 v[22:23], v[36:37], v[22:23]
	v_add_f64 v[34:35], v[98:99], -v[34:35]
	v_add_f64 v[22:23], v[34:35], v[22:23]
	v_add_f64 v[34:35], v[48:49], v[86:87]
	v_add_f64 v[22:23], v[100:101], v[22:23]
	v_add_f64 v[36:37], v[34:35], -v[48:49]
	v_mul_f64 v[22:23], v[96:97], v[22:23]
	v_add_f64 v[36:37], v[86:87], -v[36:37]
	v_add_f64 v[22:23], v[36:37], v[22:23]
	v_add_f64 v[36:37], v[34:35], v[22:23]
	v_add_f64 v[34:35], v[36:37], -v[34:35]
	v_add_f64 v[22:23], v[22:23], -v[34:35]
	v_mul_f64 v[34:35], v[36:37], v[36:37]
	v_mov_b32_e32 v48, 0x6b47b09a
	v_mov_b32_e32 v49, 0x3fc38538
	v_fmac_f64_e32 v[48:49], s[2:3], v[34:35]
	v_mov_b32_e32 v84, 0xd7f4df2e
	v_mov_b32_e32 v85, 0x3fc7474d
	v_fmac_f64_e32 v[84:85], v[34:35], v[48:49]
	v_mov_b32_e32 v48, 0x16291751
	v_mov_b32_e32 v49, 0x3fcc71c0
	v_fmac_f64_e32 v[48:49], v[34:35], v[84:85]
	v_mov_b32_e32 v84, 0x9b27acf1
	v_mov_b32_e32 v85, 0x3fd24924
	v_fmac_f64_e32 v[84:85], v[34:35], v[48:49]
	v_mov_b32_e32 v48, 0x998ef7b6
	v_mov_b32_e32 v49, 0x3fd99999
	v_fmac_f64_e32 v[48:49], v[34:35], v[84:85]
	v_mov_b32_e32 v84, 0x55555780
	v_mov_b32_e32 v85, 0x3fe55555
	v_fmac_f64_e32 v[84:85], v[34:35], v[48:49]
	v_cvt_f64_i32_e32 v[48:49], v53
	s_mov_b32 s7, 0x3fe62e42
	v_mul_f64 v[86:87], v[48:49], s[6:7]
	v_fma_f64 v[96:97], v[48:49], s[6:7], -v[86:87]
	s_mov_b32 s9, 0x3c7abc9e
	v_fmac_f64_e32 v[96:97], s[8:9], v[48:49]
	v_add_f64 v[48:49], v[86:87], v[96:97]
	v_add_f64 v[86:87], v[48:49], -v[86:87]
	v_mul_f64 v[34:35], v[36:37], v[34:35]
	v_add_f64 v[86:87], v[96:97], -v[86:87]
	v_ldexp_f64 v[96:97], v[36:37], 1
	v_mul_f64 v[34:35], v[34:35], v[84:85]
	v_add_f64 v[36:37], v[96:97], v[34:35]
	v_add_f64 v[84:85], v[36:37], -v[96:97]
	v_ldexp_f64 v[22:23], v[22:23], 1
	v_add_f64 v[34:35], v[34:35], -v[84:85]
	v_add_f64 v[22:23], v[22:23], v[34:35]
	v_add_f64 v[34:35], v[36:37], v[22:23]
	v_add_f64 v[36:37], v[34:35], -v[36:37]
	v_add_f64 v[22:23], v[22:23], -v[36:37]
	v_add_f64 v[36:37], v[48:49], v[34:35]
	v_add_f64 v[84:85], v[36:37], -v[48:49]
	v_add_f64 v[96:97], v[36:37], -v[84:85]
	;; [unrolled: 1-line block ×4, first 2 shown]
	v_add_f64 v[34:35], v[34:35], v[48:49]
	v_add_f64 v[48:49], v[86:87], v[22:23]
	v_add_f64 v[84:85], v[48:49], -v[86:87]
	v_add_f64 v[34:35], v[48:49], v[34:35]
	v_add_f64 v[96:97], v[48:49], -v[84:85]
	;; [unrolled: 2-line block ×3, first 2 shown]
	v_add_f64 v[22:23], v[22:23], -v[84:85]
	v_add_f64 v[36:37], v[48:49], -v[36:37]
	v_add_f64 v[22:23], v[22:23], v[86:87]
	v_add_f64 v[34:35], v[34:35], -v[36:37]
	s_mov_b32 s2, 0
	v_add_f64 v[22:23], v[22:23], v[34:35]
	s_mov_b32 s3, 0x7ff00000
	v_add_f64 v[22:23], v[48:49], v[22:23]
	v_cmp_eq_f64_e32 vcc, s[2:3], v[18:19]
	v_mov_b32_e32 v34, 0x7ff80000
	s_nop 0
	v_cndmask_b32_e32 v22, v22, v18, vcc
	v_cndmask_b32_e32 v23, v23, v19, vcc
	v_cmp_ngt_f64_e32 vcc, -1.0, v[18:19]
	s_nop 1
	v_cndmask_b32_e32 v23, v34, v23, vcc
	v_cmp_nge_f64_e32 vcc, -1.0, v[18:19]
	v_mov_b32_e32 v34, 0xfff00000
	s_nop 0
	v_cndmask_b32_e32 v22, 0, v22, vcc
	v_cmp_neq_f64_e32 vcc, -1.0, v[18:19]
	s_nop 1
	v_cndmask_b32_e32 v23, v34, v23, vcc
	v_add_f64 v[18:19], v[20:21], v[22:23]
.LBB50_358:
	s_or_b64 exec, exec, s[4:5]
	v_max_f64 v[20:21], v[18:19], v[18:19]
	v_min_f64 v[22:23], v[20:21], v[24:25]
	v_cmp_u_f64_e32 vcc, v[18:19], v[18:19]
	v_max_f64 v[20:21], v[20:21], v[24:25]
	s_nop 0
	v_cndmask_b32_e32 v22, v22, v18, vcc
	v_cndmask_b32_e32 v23, v23, v19, vcc
	v_cndmask_b32_e32 v20, v20, v18, vcc
	v_cndmask_b32_e32 v21, v21, v19, vcc
	v_cndmask_b32_e64 v35, v23, v81, s[20:21]
	v_cndmask_b32_e64 v34, v22, v80, s[20:21]
	;; [unrolled: 1-line block ×4, first 2 shown]
	v_cmp_neq_f64_e32 vcc, v[34:35], v[22:23]
	v_cmp_class_f64_e64 s[2:3], v[34:35], s10
	s_or_b64 s[2:3], vcc, s[2:3]
	v_mov_b64_e32 v[20:21], v[18:19]
	s_and_saveexec_b64 s[4:5], s[2:3]
	s_cbranch_execz .LBB50_360
; %bb.359:
	s_mov_b32 s2, 0x652b82fe
	v_add_f64 v[20:21], v[34:35], -v[22:23]
	s_mov_b32 s3, 0x3ff71547
	v_mul_f64 v[24:25], v[20:21], s[2:3]
	v_rndne_f64_e32 v[24:25], v[24:25]
	s_mov_b32 s7, 0xbfe62e42
	s_mov_b32 s6, 0xfefa39ef
	v_fma_f64 v[34:35], s[6:7], v[24:25], v[20:21]
	s_mov_b32 s9, 0xbc7abc9e
	s_mov_b32 s8, 0x3b39803f
	;; [unrolled: 1-line block ×3, first 2 shown]
	v_fmac_f64_e32 v[34:35], s[8:9], v[24:25]
	v_mov_b32_e32 v36, 0xfca7ab0c
	v_mov_b32_e32 v37, 0x3e928af3
	s_mov_b32 s3, 0x3e5ade15
	v_fmac_f64_e32 v[36:37], s[2:3], v[34:35]
	v_mov_b32_e32 v48, 0x623fde64
	v_mov_b32_e32 v49, 0x3ec71dee
	v_fmac_f64_e32 v[48:49], v[34:35], v[36:37]
	v_mov_b32_e32 v36, 0x7c89e6b0
	v_mov_b32_e32 v37, 0x3efa0199
	v_fmac_f64_e32 v[36:37], v[34:35], v[48:49]
	v_mov_b32_e32 v48, 0x14761f6e
	v_mov_b32_e32 v49, 0x3f2a01a0
	v_fmac_f64_e32 v[48:49], v[34:35], v[36:37]
	v_mov_b32_e32 v36, 0x1852b7b0
	v_mov_b32_e32 v37, 0x3f56c16c
	v_fmac_f64_e32 v[36:37], v[34:35], v[48:49]
	v_mov_b32_e32 v48, 0x11122322
	v_mov_b32_e32 v49, 0x3f811111
	v_fmac_f64_e32 v[48:49], v[34:35], v[36:37]
	v_mov_b32_e32 v36, 0x555502a1
	v_mov_b32_e32 v37, 0x3fa55555
	v_fmac_f64_e32 v[36:37], v[34:35], v[48:49]
	v_mov_b32_e32 v48, 0x55555511
	v_mov_b32_e32 v49, 0x3fc55555
	v_fmac_f64_e32 v[48:49], v[34:35], v[36:37]
	v_mov_b32_e32 v36, 11
	v_mov_b32_e32 v37, 0x3fe00000
	s_mov_b32 s2, 0
	v_fmac_f64_e32 v[36:37], v[34:35], v[48:49]
	s_mov_b32 s3, 0x40900000
	v_fma_f64 v[36:37], v[34:35], v[36:37], 1.0
	v_cmp_nlt_f64_e32 vcc, s[2:3], v[20:21]
	s_mov_b32 s2, 0
	v_fma_f64 v[34:35], v[34:35], v[36:37], 1.0
	v_cvt_i32_f64_e32 v24, v[24:25]
	s_mov_b32 s3, 0xc090cc00
	v_ldexp_f64 v[24:25], v[34:35], v24
	v_mov_b32_e32 v34, 0x7ff00000
	v_cmp_ngt_f64_e64 s[2:3], s[2:3], v[20:21]
	v_cndmask_b32_e32 v25, v34, v25, vcc
	s_and_b64 vcc, s[2:3], vcc
	v_cndmask_b32_e64 v21, 0, v25, s[2:3]
	v_cndmask_b32_e32 v20, 0, v24, vcc
	v_add_f64 v[24:25], v[20:21], 1.0
	v_add_f64 v[34:35], v[24:25], -1.0
	v_add_f64 v[36:37], v[34:35], -v[24:25]
	v_add_f64 v[36:37], v[36:37], 1.0
	v_add_f64 v[34:35], v[20:21], -v[34:35]
	s_mov_b32 s2, 0x55555555
	v_add_f64 v[34:35], v[34:35], v[36:37]
	v_frexp_mant_f64_e32 v[36:37], v[24:25]
	s_mov_b32 s3, 0x3fe55555
	v_frexp_exp_i32_f64_e32 v48, v[24:25]
	v_cmp_gt_f64_e32 vcc, s[2:3], v[36:37]
	s_mov_b32 s2, 0xbf559e2b
	s_mov_b32 s3, 0x3fc3ab76
	v_subbrev_co_u32_e32 v53, vcc, 0, v48, vcc
	v_sub_u32_e32 v36, 0, v53
	v_ldexp_f64 v[24:25], v[24:25], v36
	v_ldexp_f64 v[34:35], v[34:35], v36
	v_add_f64 v[36:37], v[24:25], -1.0
	v_add_f64 v[84:85], v[24:25], 1.0
	v_add_f64 v[48:49], v[36:37], 1.0
	v_add_f64 v[86:87], v[84:85], -1.0
	v_add_f64 v[48:49], v[24:25], -v[48:49]
	v_add_f64 v[24:25], v[24:25], -v[86:87]
	v_add_f64 v[24:25], v[34:35], v[24:25]
	v_add_f64 v[48:49], v[34:35], v[48:49]
	v_add_f64 v[34:35], v[84:85], v[24:25]
	v_rcp_f64_e32 v[86:87], v[34:35]
	v_add_f64 v[80:81], v[36:37], v[48:49]
	v_add_f64 v[36:37], v[80:81], -v[36:37]
	v_add_f64 v[36:37], v[48:49], -v[36:37]
	;; [unrolled: 1-line block ×4, first 2 shown]
	v_fma_f64 v[48:49], -v[34:35], v[86:87], 1.0
	v_fmac_f64_e32 v[86:87], v[48:49], v[86:87]
	v_fma_f64 v[48:49], -v[34:35], v[86:87], 1.0
	v_fmac_f64_e32 v[86:87], v[48:49], v[86:87]
	v_mul_f64 v[48:49], v[80:81], v[86:87]
	v_mul_f64 v[84:85], v[34:35], v[48:49]
	v_fma_f64 v[96:97], v[48:49], v[34:35], -v[84:85]
	v_fmac_f64_e32 v[96:97], v[48:49], v[24:25]
	v_add_f64 v[98:99], v[84:85], v[96:97]
	v_add_f64 v[100:101], v[80:81], -v[98:99]
	v_add_f64 v[80:81], v[80:81], -v[100:101]
	;; [unrolled: 1-line block ×4, first 2 shown]
	v_add_f64 v[36:37], v[36:37], v[80:81]
	v_add_f64 v[80:81], v[84:85], -v[96:97]
	v_add_f64 v[36:37], v[80:81], v[36:37]
	v_add_f64 v[80:81], v[100:101], v[36:37]
	v_add_f64 v[84:85], v[100:101], -v[80:81]
	v_add_f64 v[36:37], v[36:37], v[84:85]
	v_mul_f64 v[84:85], v[86:87], v[80:81]
	v_mul_f64 v[96:97], v[34:35], v[84:85]
	v_fma_f64 v[34:35], v[84:85], v[34:35], -v[96:97]
	v_fmac_f64_e32 v[34:35], v[84:85], v[24:25]
	v_add_f64 v[24:25], v[96:97], v[34:35]
	v_add_f64 v[98:99], v[80:81], -v[24:25]
	v_add_f64 v[80:81], v[80:81], -v[98:99]
	v_add_f64 v[96:97], v[24:25], -v[96:97]
	v_add_f64 v[24:25], v[80:81], -v[24:25]
	v_add_f64 v[24:25], v[36:37], v[24:25]
	v_add_f64 v[34:35], v[96:97], -v[34:35]
	v_add_f64 v[24:25], v[34:35], v[24:25]
	v_add_f64 v[34:35], v[48:49], v[84:85]
	;; [unrolled: 1-line block ×3, first 2 shown]
	v_add_f64 v[36:37], v[34:35], -v[48:49]
	v_mul_f64 v[24:25], v[86:87], v[24:25]
	v_add_f64 v[36:37], v[84:85], -v[36:37]
	v_add_f64 v[24:25], v[36:37], v[24:25]
	v_add_f64 v[36:37], v[34:35], v[24:25]
	v_add_f64 v[34:35], v[36:37], -v[34:35]
	v_add_f64 v[24:25], v[24:25], -v[34:35]
	v_mul_f64 v[34:35], v[36:37], v[36:37]
	v_mov_b32_e32 v48, 0x6b47b09a
	v_mov_b32_e32 v49, 0x3fc38538
	v_fmac_f64_e32 v[48:49], s[2:3], v[34:35]
	v_mov_b32_e32 v80, 0xd7f4df2e
	v_mov_b32_e32 v81, 0x3fc7474d
	v_fmac_f64_e32 v[80:81], v[34:35], v[48:49]
	;; [unrolled: 3-line block ×6, first 2 shown]
	v_cvt_f64_i32_e32 v[48:49], v53
	s_mov_b32 s7, 0x3fe62e42
	v_mul_f64 v[84:85], v[48:49], s[6:7]
	v_fma_f64 v[86:87], v[48:49], s[6:7], -v[84:85]
	s_mov_b32 s9, 0x3c7abc9e
	v_fmac_f64_e32 v[86:87], s[8:9], v[48:49]
	v_add_f64 v[48:49], v[84:85], v[86:87]
	v_add_f64 v[84:85], v[48:49], -v[84:85]
	v_mul_f64 v[34:35], v[36:37], v[34:35]
	v_add_f64 v[84:85], v[86:87], -v[84:85]
	v_ldexp_f64 v[86:87], v[36:37], 1
	v_mul_f64 v[34:35], v[34:35], v[80:81]
	v_add_f64 v[36:37], v[86:87], v[34:35]
	v_add_f64 v[80:81], v[36:37], -v[86:87]
	v_ldexp_f64 v[24:25], v[24:25], 1
	v_add_f64 v[34:35], v[34:35], -v[80:81]
	v_add_f64 v[24:25], v[24:25], v[34:35]
	v_add_f64 v[34:35], v[36:37], v[24:25]
	v_add_f64 v[36:37], v[34:35], -v[36:37]
	v_add_f64 v[24:25], v[24:25], -v[36:37]
	v_add_f64 v[36:37], v[48:49], v[34:35]
	v_add_f64 v[80:81], v[36:37], -v[48:49]
	v_add_f64 v[86:87], v[36:37], -v[80:81]
	;; [unrolled: 1-line block ×4, first 2 shown]
	v_add_f64 v[34:35], v[34:35], v[48:49]
	v_add_f64 v[48:49], v[84:85], v[24:25]
	v_add_f64 v[80:81], v[48:49], -v[84:85]
	v_add_f64 v[34:35], v[48:49], v[34:35]
	v_add_f64 v[86:87], v[48:49], -v[80:81]
	;; [unrolled: 2-line block ×3, first 2 shown]
	v_add_f64 v[24:25], v[24:25], -v[80:81]
	v_add_f64 v[36:37], v[48:49], -v[36:37]
	v_add_f64 v[24:25], v[24:25], v[84:85]
	v_add_f64 v[34:35], v[34:35], -v[36:37]
	s_mov_b32 s2, 0
	v_add_f64 v[24:25], v[24:25], v[34:35]
	s_mov_b32 s3, 0x7ff00000
	v_add_f64 v[24:25], v[48:49], v[24:25]
	v_cmp_eq_f64_e32 vcc, s[2:3], v[20:21]
	v_mov_b32_e32 v34, 0x7ff80000
	s_nop 0
	v_cndmask_b32_e32 v24, v24, v20, vcc
	v_cndmask_b32_e32 v25, v25, v21, vcc
	v_cmp_ngt_f64_e32 vcc, -1.0, v[20:21]
	s_nop 1
	v_cndmask_b32_e32 v25, v34, v25, vcc
	v_cmp_nge_f64_e32 vcc, -1.0, v[20:21]
	v_mov_b32_e32 v34, 0xfff00000
	s_nop 0
	v_cndmask_b32_e32 v24, 0, v24, vcc
	v_cmp_neq_f64_e32 vcc, -1.0, v[20:21]
	s_nop 1
	v_cndmask_b32_e32 v25, v34, v25, vcc
	v_add_f64 v[20:21], v[22:23], v[24:25]
.LBB50_360:
	s_or_b64 exec, exec, s[4:5]
	v_max_f64 v[22:23], v[20:21], v[20:21]
	v_min_f64 v[24:25], v[22:23], v[26:27]
	v_cmp_u_f64_e32 vcc, v[20:21], v[20:21]
	v_max_f64 v[22:23], v[22:23], v[26:27]
	s_nop 0
	v_cndmask_b32_e32 v24, v24, v20, vcc
	v_cndmask_b32_e32 v25, v25, v21, vcc
	;; [unrolled: 1-line block ×4, first 2 shown]
	v_cndmask_b32_e64 v35, v25, v83, s[22:23]
	v_cndmask_b32_e64 v34, v24, v82, s[22:23]
	;; [unrolled: 1-line block ×4, first 2 shown]
	v_cmp_neq_f64_e32 vcc, v[34:35], v[24:25]
	v_cmp_class_f64_e64 s[2:3], v[34:35], s10
	s_or_b64 s[2:3], vcc, s[2:3]
	v_mov_b64_e32 v[22:23], v[20:21]
	s_and_saveexec_b64 s[4:5], s[2:3]
	s_cbranch_execz .LBB50_362
; %bb.361:
	s_mov_b32 s2, 0x652b82fe
	v_add_f64 v[22:23], v[34:35], -v[24:25]
	s_mov_b32 s3, 0x3ff71547
	v_mul_f64 v[26:27], v[22:23], s[2:3]
	v_rndne_f64_e32 v[26:27], v[26:27]
	s_mov_b32 s7, 0xbfe62e42
	s_mov_b32 s6, 0xfefa39ef
	v_fma_f64 v[34:35], s[6:7], v[26:27], v[22:23]
	s_mov_b32 s9, 0xbc7abc9e
	s_mov_b32 s8, 0x3b39803f
	;; [unrolled: 1-line block ×3, first 2 shown]
	v_fmac_f64_e32 v[34:35], s[8:9], v[26:27]
	v_mov_b32_e32 v36, 0xfca7ab0c
	v_mov_b32_e32 v37, 0x3e928af3
	s_mov_b32 s3, 0x3e5ade15
	v_fmac_f64_e32 v[36:37], s[2:3], v[34:35]
	v_mov_b32_e32 v48, 0x623fde64
	v_mov_b32_e32 v49, 0x3ec71dee
	v_fmac_f64_e32 v[48:49], v[34:35], v[36:37]
	v_mov_b32_e32 v36, 0x7c89e6b0
	v_mov_b32_e32 v37, 0x3efa0199
	;; [unrolled: 3-line block ×8, first 2 shown]
	s_mov_b32 s2, 0
	v_fmac_f64_e32 v[36:37], v[34:35], v[48:49]
	s_mov_b32 s3, 0x40900000
	v_fma_f64 v[36:37], v[34:35], v[36:37], 1.0
	v_cmp_nlt_f64_e32 vcc, s[2:3], v[22:23]
	s_mov_b32 s2, 0
	v_fma_f64 v[34:35], v[34:35], v[36:37], 1.0
	v_cvt_i32_f64_e32 v26, v[26:27]
	s_mov_b32 s3, 0xc090cc00
	v_ldexp_f64 v[26:27], v[34:35], v26
	v_mov_b32_e32 v34, 0x7ff00000
	v_cmp_ngt_f64_e64 s[2:3], s[2:3], v[22:23]
	v_cndmask_b32_e32 v27, v34, v27, vcc
	s_and_b64 vcc, s[2:3], vcc
	v_cndmask_b32_e64 v23, 0, v27, s[2:3]
	v_cndmask_b32_e32 v22, 0, v26, vcc
	v_add_f64 v[26:27], v[22:23], 1.0
	v_add_f64 v[34:35], v[26:27], -1.0
	v_add_f64 v[36:37], v[34:35], -v[26:27]
	v_add_f64 v[36:37], v[36:37], 1.0
	v_add_f64 v[34:35], v[22:23], -v[34:35]
	s_mov_b32 s2, 0x55555555
	v_add_f64 v[34:35], v[34:35], v[36:37]
	v_frexp_mant_f64_e32 v[36:37], v[26:27]
	s_mov_b32 s3, 0x3fe55555
	v_frexp_exp_i32_f64_e32 v48, v[26:27]
	v_cmp_gt_f64_e32 vcc, s[2:3], v[36:37]
	s_mov_b32 s2, 0xbf559e2b
	s_mov_b32 s3, 0x3fc3ab76
	v_subbrev_co_u32_e32 v53, vcc, 0, v48, vcc
	v_sub_u32_e32 v36, 0, v53
	v_ldexp_f64 v[26:27], v[26:27], v36
	v_ldexp_f64 v[34:35], v[34:35], v36
	v_add_f64 v[36:37], v[26:27], -1.0
	v_add_f64 v[82:83], v[26:27], 1.0
	v_add_f64 v[48:49], v[36:37], 1.0
	v_add_f64 v[84:85], v[82:83], -1.0
	v_add_f64 v[48:49], v[26:27], -v[48:49]
	v_add_f64 v[26:27], v[26:27], -v[84:85]
	v_add_f64 v[26:27], v[34:35], v[26:27]
	v_add_f64 v[48:49], v[34:35], v[48:49]
	;; [unrolled: 1-line block ×3, first 2 shown]
	v_rcp_f64_e32 v[84:85], v[34:35]
	v_add_f64 v[80:81], v[36:37], v[48:49]
	v_add_f64 v[36:37], v[80:81], -v[36:37]
	v_add_f64 v[36:37], v[48:49], -v[36:37]
	;; [unrolled: 1-line block ×4, first 2 shown]
	v_fma_f64 v[48:49], -v[34:35], v[84:85], 1.0
	v_fmac_f64_e32 v[84:85], v[48:49], v[84:85]
	v_fma_f64 v[48:49], -v[34:35], v[84:85], 1.0
	v_fmac_f64_e32 v[84:85], v[48:49], v[84:85]
	v_mul_f64 v[48:49], v[80:81], v[84:85]
	v_mul_f64 v[82:83], v[34:35], v[48:49]
	v_fma_f64 v[86:87], v[48:49], v[34:35], -v[82:83]
	v_fmac_f64_e32 v[86:87], v[48:49], v[26:27]
	v_add_f64 v[96:97], v[82:83], v[86:87]
	v_add_f64 v[98:99], v[80:81], -v[96:97]
	v_add_f64 v[80:81], v[80:81], -v[98:99]
	v_add_f64 v[82:83], v[96:97], -v[82:83]
	v_add_f64 v[80:81], v[80:81], -v[96:97]
	v_add_f64 v[36:37], v[36:37], v[80:81]
	v_add_f64 v[80:81], v[82:83], -v[86:87]
	v_add_f64 v[36:37], v[80:81], v[36:37]
	v_add_f64 v[80:81], v[98:99], v[36:37]
	v_add_f64 v[82:83], v[98:99], -v[80:81]
	v_add_f64 v[36:37], v[36:37], v[82:83]
	v_mul_f64 v[82:83], v[84:85], v[80:81]
	v_mul_f64 v[86:87], v[34:35], v[82:83]
	v_fma_f64 v[34:35], v[82:83], v[34:35], -v[86:87]
	v_fmac_f64_e32 v[34:35], v[82:83], v[26:27]
	v_add_f64 v[26:27], v[86:87], v[34:35]
	v_add_f64 v[96:97], v[80:81], -v[26:27]
	v_add_f64 v[80:81], v[80:81], -v[96:97]
	;; [unrolled: 1-line block ×4, first 2 shown]
	v_add_f64 v[26:27], v[36:37], v[26:27]
	v_add_f64 v[34:35], v[86:87], -v[34:35]
	v_add_f64 v[26:27], v[34:35], v[26:27]
	v_add_f64 v[34:35], v[48:49], v[82:83]
	;; [unrolled: 1-line block ×3, first 2 shown]
	v_add_f64 v[36:37], v[34:35], -v[48:49]
	v_mul_f64 v[26:27], v[84:85], v[26:27]
	v_add_f64 v[36:37], v[82:83], -v[36:37]
	v_add_f64 v[26:27], v[36:37], v[26:27]
	v_add_f64 v[36:37], v[34:35], v[26:27]
	v_add_f64 v[34:35], v[36:37], -v[34:35]
	v_add_f64 v[26:27], v[26:27], -v[34:35]
	v_mul_f64 v[34:35], v[36:37], v[36:37]
	v_mov_b32_e32 v48, 0x6b47b09a
	v_mov_b32_e32 v49, 0x3fc38538
	v_fmac_f64_e32 v[48:49], s[2:3], v[34:35]
	v_mov_b32_e32 v80, 0xd7f4df2e
	v_mov_b32_e32 v81, 0x3fc7474d
	v_fmac_f64_e32 v[80:81], v[34:35], v[48:49]
	;; [unrolled: 3-line block ×6, first 2 shown]
	v_cvt_f64_i32_e32 v[48:49], v53
	s_mov_b32 s7, 0x3fe62e42
	v_mul_f64 v[82:83], v[48:49], s[6:7]
	v_fma_f64 v[84:85], v[48:49], s[6:7], -v[82:83]
	s_mov_b32 s9, 0x3c7abc9e
	v_fmac_f64_e32 v[84:85], s[8:9], v[48:49]
	v_add_f64 v[48:49], v[82:83], v[84:85]
	v_add_f64 v[82:83], v[48:49], -v[82:83]
	v_mul_f64 v[34:35], v[36:37], v[34:35]
	v_add_f64 v[82:83], v[84:85], -v[82:83]
	v_ldexp_f64 v[84:85], v[36:37], 1
	v_mul_f64 v[34:35], v[34:35], v[80:81]
	v_add_f64 v[36:37], v[84:85], v[34:35]
	v_add_f64 v[80:81], v[36:37], -v[84:85]
	v_ldexp_f64 v[26:27], v[26:27], 1
	v_add_f64 v[34:35], v[34:35], -v[80:81]
	v_add_f64 v[26:27], v[26:27], v[34:35]
	v_add_f64 v[34:35], v[36:37], v[26:27]
	v_add_f64 v[36:37], v[34:35], -v[36:37]
	v_add_f64 v[26:27], v[26:27], -v[36:37]
	v_add_f64 v[36:37], v[48:49], v[34:35]
	v_add_f64 v[80:81], v[36:37], -v[48:49]
	v_add_f64 v[84:85], v[36:37], -v[80:81]
	;; [unrolled: 1-line block ×4, first 2 shown]
	v_add_f64 v[34:35], v[34:35], v[48:49]
	v_add_f64 v[48:49], v[82:83], v[26:27]
	v_add_f64 v[80:81], v[48:49], -v[82:83]
	v_add_f64 v[34:35], v[48:49], v[34:35]
	v_add_f64 v[84:85], v[48:49], -v[80:81]
	;; [unrolled: 2-line block ×3, first 2 shown]
	v_add_f64 v[26:27], v[26:27], -v[80:81]
	v_add_f64 v[36:37], v[48:49], -v[36:37]
	v_add_f64 v[26:27], v[26:27], v[82:83]
	v_add_f64 v[34:35], v[34:35], -v[36:37]
	s_mov_b32 s2, 0
	v_add_f64 v[26:27], v[26:27], v[34:35]
	s_mov_b32 s3, 0x7ff00000
	v_add_f64 v[26:27], v[48:49], v[26:27]
	v_cmp_eq_f64_e32 vcc, s[2:3], v[22:23]
	v_mov_b32_e32 v34, 0x7ff80000
	s_nop 0
	v_cndmask_b32_e32 v26, v26, v22, vcc
	v_cndmask_b32_e32 v27, v27, v23, vcc
	v_cmp_ngt_f64_e32 vcc, -1.0, v[22:23]
	s_nop 1
	v_cndmask_b32_e32 v27, v34, v27, vcc
	v_cmp_nge_f64_e32 vcc, -1.0, v[22:23]
	v_mov_b32_e32 v34, 0xfff00000
	s_nop 0
	v_cndmask_b32_e32 v26, 0, v26, vcc
	v_cmp_neq_f64_e32 vcc, -1.0, v[22:23]
	s_nop 1
	v_cndmask_b32_e32 v27, v34, v27, vcc
	v_add_f64 v[22:23], v[24:25], v[26:27]
.LBB50_362:
	s_or_b64 exec, exec, s[4:5]
	v_max_f64 v[24:25], v[22:23], v[22:23]
	v_min_f64 v[26:27], v[24:25], v[28:29]
	v_cmp_u_f64_e32 vcc, v[22:23], v[22:23]
	v_max_f64 v[24:25], v[24:25], v[28:29]
	s_nop 0
	v_cndmask_b32_e32 v26, v26, v22, vcc
	v_cndmask_b32_e32 v27, v27, v23, vcc
	;; [unrolled: 1-line block ×4, first 2 shown]
	v_cndmask_b32_e64 v35, v27, v67, s[24:25]
	v_cndmask_b32_e64 v34, v26, v66, s[24:25]
	;; [unrolled: 1-line block ×4, first 2 shown]
	v_cmp_neq_f64_e32 vcc, v[34:35], v[26:27]
	v_cmp_class_f64_e64 s[2:3], v[34:35], s10
	s_or_b64 s[2:3], vcc, s[2:3]
	v_mov_b64_e32 v[24:25], v[22:23]
	s_and_saveexec_b64 s[4:5], s[2:3]
	s_cbranch_execz .LBB50_364
; %bb.363:
	s_mov_b32 s2, 0x652b82fe
	v_add_f64 v[24:25], v[34:35], -v[26:27]
	s_mov_b32 s3, 0x3ff71547
	v_mul_f64 v[28:29], v[24:25], s[2:3]
	v_rndne_f64_e32 v[28:29], v[28:29]
	s_mov_b32 s7, 0xbfe62e42
	s_mov_b32 s6, 0xfefa39ef
	v_fma_f64 v[34:35], s[6:7], v[28:29], v[24:25]
	s_mov_b32 s9, 0xbc7abc9e
	s_mov_b32 s8, 0x3b39803f
	;; [unrolled: 1-line block ×3, first 2 shown]
	v_fmac_f64_e32 v[34:35], s[8:9], v[28:29]
	v_mov_b32_e32 v36, 0xfca7ab0c
	v_mov_b32_e32 v37, 0x3e928af3
	s_mov_b32 s3, 0x3e5ade15
	v_fmac_f64_e32 v[36:37], s[2:3], v[34:35]
	v_mov_b32_e32 v48, 0x623fde64
	v_mov_b32_e32 v49, 0x3ec71dee
	v_fmac_f64_e32 v[48:49], v[34:35], v[36:37]
	v_mov_b32_e32 v36, 0x7c89e6b0
	v_mov_b32_e32 v37, 0x3efa0199
	;; [unrolled: 3-line block ×8, first 2 shown]
	s_mov_b32 s2, 0
	v_fmac_f64_e32 v[36:37], v[34:35], v[48:49]
	s_mov_b32 s3, 0x40900000
	v_fma_f64 v[36:37], v[34:35], v[36:37], 1.0
	v_cmp_nlt_f64_e32 vcc, s[2:3], v[24:25]
	s_mov_b32 s2, 0
	v_fma_f64 v[34:35], v[34:35], v[36:37], 1.0
	v_cvt_i32_f64_e32 v28, v[28:29]
	s_mov_b32 s3, 0xc090cc00
	v_ldexp_f64 v[28:29], v[34:35], v28
	v_mov_b32_e32 v34, 0x7ff00000
	v_cmp_ngt_f64_e64 s[2:3], s[2:3], v[24:25]
	v_cndmask_b32_e32 v29, v34, v29, vcc
	s_and_b64 vcc, s[2:3], vcc
	v_cndmask_b32_e64 v25, 0, v29, s[2:3]
	v_cndmask_b32_e32 v24, 0, v28, vcc
	v_add_f64 v[28:29], v[24:25], 1.0
	v_add_f64 v[34:35], v[28:29], -1.0
	v_add_f64 v[36:37], v[34:35], -v[28:29]
	v_add_f64 v[36:37], v[36:37], 1.0
	v_add_f64 v[34:35], v[24:25], -v[34:35]
	s_mov_b32 s2, 0x55555555
	v_add_f64 v[34:35], v[34:35], v[36:37]
	v_frexp_mant_f64_e32 v[36:37], v[28:29]
	s_mov_b32 s3, 0x3fe55555
	v_frexp_exp_i32_f64_e32 v48, v[28:29]
	v_cmp_gt_f64_e32 vcc, s[2:3], v[36:37]
	s_mov_b32 s2, 0xbf559e2b
	s_mov_b32 s3, 0x3fc3ab76
	v_subbrev_co_u32_e32 v53, vcc, 0, v48, vcc
	v_sub_u32_e32 v36, 0, v53
	v_ldexp_f64 v[28:29], v[28:29], v36
	v_ldexp_f64 v[34:35], v[34:35], v36
	v_add_f64 v[36:37], v[28:29], -1.0
	v_add_f64 v[80:81], v[28:29], 1.0
	v_add_f64 v[48:49], v[36:37], 1.0
	v_add_f64 v[82:83], v[80:81], -1.0
	v_add_f64 v[48:49], v[28:29], -v[48:49]
	v_add_f64 v[28:29], v[28:29], -v[82:83]
	v_add_f64 v[28:29], v[34:35], v[28:29]
	v_add_f64 v[48:49], v[34:35], v[48:49]
	;; [unrolled: 1-line block ×3, first 2 shown]
	v_rcp_f64_e32 v[82:83], v[34:35]
	v_add_f64 v[66:67], v[36:37], v[48:49]
	v_add_f64 v[36:37], v[66:67], -v[36:37]
	v_add_f64 v[36:37], v[48:49], -v[36:37]
	;; [unrolled: 1-line block ×4, first 2 shown]
	v_fma_f64 v[48:49], -v[34:35], v[82:83], 1.0
	v_fmac_f64_e32 v[82:83], v[48:49], v[82:83]
	v_fma_f64 v[48:49], -v[34:35], v[82:83], 1.0
	v_fmac_f64_e32 v[82:83], v[48:49], v[82:83]
	v_mul_f64 v[48:49], v[66:67], v[82:83]
	v_mul_f64 v[80:81], v[34:35], v[48:49]
	v_fma_f64 v[84:85], v[48:49], v[34:35], -v[80:81]
	v_fmac_f64_e32 v[84:85], v[48:49], v[28:29]
	v_add_f64 v[86:87], v[80:81], v[84:85]
	v_add_f64 v[96:97], v[66:67], -v[86:87]
	v_add_f64 v[66:67], v[66:67], -v[96:97]
	;; [unrolled: 1-line block ×4, first 2 shown]
	v_add_f64 v[36:37], v[36:37], v[66:67]
	v_add_f64 v[66:67], v[80:81], -v[84:85]
	v_add_f64 v[36:37], v[66:67], v[36:37]
	v_add_f64 v[66:67], v[96:97], v[36:37]
	v_add_f64 v[80:81], v[96:97], -v[66:67]
	v_add_f64 v[36:37], v[36:37], v[80:81]
	v_mul_f64 v[80:81], v[82:83], v[66:67]
	v_mul_f64 v[84:85], v[34:35], v[80:81]
	v_fma_f64 v[34:35], v[80:81], v[34:35], -v[84:85]
	v_fmac_f64_e32 v[34:35], v[80:81], v[28:29]
	v_add_f64 v[28:29], v[84:85], v[34:35]
	v_add_f64 v[86:87], v[66:67], -v[28:29]
	v_add_f64 v[66:67], v[66:67], -v[86:87]
	;; [unrolled: 1-line block ×4, first 2 shown]
	v_add_f64 v[28:29], v[36:37], v[28:29]
	v_add_f64 v[34:35], v[84:85], -v[34:35]
	v_add_f64 v[28:29], v[34:35], v[28:29]
	v_add_f64 v[34:35], v[48:49], v[80:81]
	;; [unrolled: 1-line block ×3, first 2 shown]
	v_add_f64 v[36:37], v[34:35], -v[48:49]
	v_mul_f64 v[28:29], v[82:83], v[28:29]
	v_add_f64 v[36:37], v[80:81], -v[36:37]
	v_add_f64 v[28:29], v[36:37], v[28:29]
	v_add_f64 v[36:37], v[34:35], v[28:29]
	v_add_f64 v[34:35], v[36:37], -v[34:35]
	v_add_f64 v[28:29], v[28:29], -v[34:35]
	v_mul_f64 v[34:35], v[36:37], v[36:37]
	v_mov_b32_e32 v48, 0x6b47b09a
	v_mov_b32_e32 v49, 0x3fc38538
	v_fmac_f64_e32 v[48:49], s[2:3], v[34:35]
	v_mov_b32_e32 v66, 0xd7f4df2e
	v_mov_b32_e32 v67, 0x3fc7474d
	v_fmac_f64_e32 v[66:67], v[34:35], v[48:49]
	;; [unrolled: 3-line block ×6, first 2 shown]
	v_cvt_f64_i32_e32 v[48:49], v53
	s_mov_b32 s7, 0x3fe62e42
	v_mul_f64 v[80:81], v[48:49], s[6:7]
	v_fma_f64 v[82:83], v[48:49], s[6:7], -v[80:81]
	s_mov_b32 s9, 0x3c7abc9e
	v_fmac_f64_e32 v[82:83], s[8:9], v[48:49]
	v_add_f64 v[48:49], v[80:81], v[82:83]
	v_add_f64 v[80:81], v[48:49], -v[80:81]
	v_mul_f64 v[34:35], v[36:37], v[34:35]
	v_add_f64 v[80:81], v[82:83], -v[80:81]
	v_ldexp_f64 v[82:83], v[36:37], 1
	v_mul_f64 v[34:35], v[34:35], v[66:67]
	v_add_f64 v[36:37], v[82:83], v[34:35]
	v_add_f64 v[66:67], v[36:37], -v[82:83]
	v_ldexp_f64 v[28:29], v[28:29], 1
	v_add_f64 v[34:35], v[34:35], -v[66:67]
	v_add_f64 v[28:29], v[28:29], v[34:35]
	v_add_f64 v[34:35], v[36:37], v[28:29]
	v_add_f64 v[36:37], v[34:35], -v[36:37]
	v_add_f64 v[28:29], v[28:29], -v[36:37]
	v_add_f64 v[36:37], v[48:49], v[34:35]
	v_add_f64 v[66:67], v[36:37], -v[48:49]
	v_add_f64 v[82:83], v[36:37], -v[66:67]
	;; [unrolled: 1-line block ×4, first 2 shown]
	v_add_f64 v[34:35], v[34:35], v[48:49]
	v_add_f64 v[48:49], v[80:81], v[28:29]
	v_add_f64 v[66:67], v[48:49], -v[80:81]
	v_add_f64 v[34:35], v[48:49], v[34:35]
	v_add_f64 v[82:83], v[48:49], -v[66:67]
	;; [unrolled: 2-line block ×3, first 2 shown]
	v_add_f64 v[28:29], v[28:29], -v[66:67]
	v_add_f64 v[36:37], v[48:49], -v[36:37]
	v_add_f64 v[28:29], v[28:29], v[80:81]
	v_add_f64 v[34:35], v[34:35], -v[36:37]
	s_mov_b32 s2, 0
	v_add_f64 v[28:29], v[28:29], v[34:35]
	s_mov_b32 s3, 0x7ff00000
	v_add_f64 v[28:29], v[48:49], v[28:29]
	v_cmp_eq_f64_e32 vcc, s[2:3], v[24:25]
	v_mov_b32_e32 v34, 0x7ff80000
	s_nop 0
	v_cndmask_b32_e32 v28, v28, v24, vcc
	v_cndmask_b32_e32 v29, v29, v25, vcc
	v_cmp_ngt_f64_e32 vcc, -1.0, v[24:25]
	s_nop 1
	v_cndmask_b32_e32 v29, v34, v29, vcc
	v_cmp_nge_f64_e32 vcc, -1.0, v[24:25]
	v_mov_b32_e32 v34, 0xfff00000
	s_nop 0
	v_cndmask_b32_e32 v28, 0, v28, vcc
	v_cmp_neq_f64_e32 vcc, -1.0, v[24:25]
	s_nop 1
	v_cndmask_b32_e32 v29, v34, v29, vcc
	v_add_f64 v[24:25], v[26:27], v[28:29]
.LBB50_364:
	s_or_b64 exec, exec, s[4:5]
	v_max_f64 v[26:27], v[24:25], v[24:25]
	v_min_f64 v[28:29], v[26:27], v[30:31]
	v_cmp_u_f64_e32 vcc, v[24:25], v[24:25]
	v_max_f64 v[26:27], v[26:27], v[30:31]
	s_nop 0
	v_cndmask_b32_e32 v28, v28, v24, vcc
	v_cndmask_b32_e32 v29, v29, v25, vcc
	;; [unrolled: 1-line block ×4, first 2 shown]
	v_cndmask_b32_e64 v35, v29, v69, s[26:27]
	v_cndmask_b32_e64 v34, v28, v68, s[26:27]
	;; [unrolled: 1-line block ×4, first 2 shown]
	v_cmp_neq_f64_e32 vcc, v[34:35], v[28:29]
	v_cmp_class_f64_e64 s[2:3], v[34:35], s10
	s_or_b64 s[2:3], vcc, s[2:3]
	v_mov_b64_e32 v[26:27], v[24:25]
	s_and_saveexec_b64 s[4:5], s[2:3]
	s_cbranch_execz .LBB50_366
; %bb.365:
	s_mov_b32 s2, 0x652b82fe
	v_add_f64 v[26:27], v[34:35], -v[28:29]
	s_mov_b32 s3, 0x3ff71547
	v_mul_f64 v[30:31], v[26:27], s[2:3]
	v_rndne_f64_e32 v[30:31], v[30:31]
	s_mov_b32 s7, 0xbfe62e42
	s_mov_b32 s6, 0xfefa39ef
	v_fma_f64 v[34:35], s[6:7], v[30:31], v[26:27]
	s_mov_b32 s9, 0xbc7abc9e
	s_mov_b32 s8, 0x3b39803f
	;; [unrolled: 1-line block ×3, first 2 shown]
	v_fmac_f64_e32 v[34:35], s[8:9], v[30:31]
	v_mov_b32_e32 v36, 0xfca7ab0c
	v_mov_b32_e32 v37, 0x3e928af3
	s_mov_b32 s3, 0x3e5ade15
	v_fmac_f64_e32 v[36:37], s[2:3], v[34:35]
	v_mov_b32_e32 v48, 0x623fde64
	v_mov_b32_e32 v49, 0x3ec71dee
	v_fmac_f64_e32 v[48:49], v[34:35], v[36:37]
	v_mov_b32_e32 v36, 0x7c89e6b0
	v_mov_b32_e32 v37, 0x3efa0199
	;; [unrolled: 3-line block ×8, first 2 shown]
	s_mov_b32 s2, 0
	v_fmac_f64_e32 v[36:37], v[34:35], v[48:49]
	s_mov_b32 s3, 0x40900000
	v_fma_f64 v[36:37], v[34:35], v[36:37], 1.0
	v_cmp_nlt_f64_e32 vcc, s[2:3], v[26:27]
	s_mov_b32 s2, 0
	v_fma_f64 v[34:35], v[34:35], v[36:37], 1.0
	v_cvt_i32_f64_e32 v30, v[30:31]
	s_mov_b32 s3, 0xc090cc00
	v_ldexp_f64 v[30:31], v[34:35], v30
	v_mov_b32_e32 v34, 0x7ff00000
	v_cmp_ngt_f64_e64 s[2:3], s[2:3], v[26:27]
	v_cndmask_b32_e32 v31, v34, v31, vcc
	s_and_b64 vcc, s[2:3], vcc
	v_cndmask_b32_e64 v27, 0, v31, s[2:3]
	v_cndmask_b32_e32 v26, 0, v30, vcc
	v_add_f64 v[30:31], v[26:27], 1.0
	v_add_f64 v[34:35], v[30:31], -1.0
	v_add_f64 v[36:37], v[34:35], -v[30:31]
	v_add_f64 v[36:37], v[36:37], 1.0
	v_add_f64 v[34:35], v[26:27], -v[34:35]
	s_mov_b32 s2, 0x55555555
	v_add_f64 v[34:35], v[34:35], v[36:37]
	v_frexp_mant_f64_e32 v[36:37], v[30:31]
	s_mov_b32 s3, 0x3fe55555
	v_frexp_exp_i32_f64_e32 v48, v[30:31]
	v_cmp_gt_f64_e32 vcc, s[2:3], v[36:37]
	s_mov_b32 s2, 0xbf559e2b
	s_mov_b32 s3, 0x3fc3ab76
	v_subbrev_co_u32_e32 v53, vcc, 0, v48, vcc
	v_sub_u32_e32 v36, 0, v53
	v_ldexp_f64 v[30:31], v[30:31], v36
	v_ldexp_f64 v[34:35], v[34:35], v36
	v_add_f64 v[36:37], v[30:31], -1.0
	v_add_f64 v[68:69], v[30:31], 1.0
	v_add_f64 v[48:49], v[36:37], 1.0
	v_add_f64 v[80:81], v[68:69], -1.0
	v_add_f64 v[48:49], v[30:31], -v[48:49]
	v_add_f64 v[30:31], v[30:31], -v[80:81]
	v_add_f64 v[30:31], v[34:35], v[30:31]
	v_add_f64 v[48:49], v[34:35], v[48:49]
	;; [unrolled: 1-line block ×3, first 2 shown]
	v_rcp_f64_e32 v[80:81], v[34:35]
	v_add_f64 v[66:67], v[36:37], v[48:49]
	v_add_f64 v[36:37], v[66:67], -v[36:37]
	v_add_f64 v[36:37], v[48:49], -v[36:37]
	;; [unrolled: 1-line block ×4, first 2 shown]
	v_fma_f64 v[48:49], -v[34:35], v[80:81], 1.0
	v_fmac_f64_e32 v[80:81], v[48:49], v[80:81]
	v_fma_f64 v[48:49], -v[34:35], v[80:81], 1.0
	v_fmac_f64_e32 v[80:81], v[48:49], v[80:81]
	v_mul_f64 v[48:49], v[66:67], v[80:81]
	v_mul_f64 v[68:69], v[34:35], v[48:49]
	v_fma_f64 v[82:83], v[48:49], v[34:35], -v[68:69]
	v_fmac_f64_e32 v[82:83], v[48:49], v[30:31]
	v_add_f64 v[84:85], v[68:69], v[82:83]
	v_add_f64 v[86:87], v[66:67], -v[84:85]
	v_add_f64 v[66:67], v[66:67], -v[86:87]
	;; [unrolled: 1-line block ×4, first 2 shown]
	v_add_f64 v[36:37], v[36:37], v[66:67]
	v_add_f64 v[66:67], v[68:69], -v[82:83]
	v_add_f64 v[36:37], v[66:67], v[36:37]
	v_add_f64 v[66:67], v[86:87], v[36:37]
	v_add_f64 v[68:69], v[86:87], -v[66:67]
	v_add_f64 v[36:37], v[36:37], v[68:69]
	v_mul_f64 v[68:69], v[80:81], v[66:67]
	v_mul_f64 v[82:83], v[34:35], v[68:69]
	v_fma_f64 v[34:35], v[68:69], v[34:35], -v[82:83]
	v_fmac_f64_e32 v[34:35], v[68:69], v[30:31]
	v_add_f64 v[30:31], v[82:83], v[34:35]
	v_add_f64 v[84:85], v[66:67], -v[30:31]
	v_add_f64 v[66:67], v[66:67], -v[84:85]
	v_add_f64 v[82:83], v[30:31], -v[82:83]
	v_add_f64 v[30:31], v[66:67], -v[30:31]
	v_add_f64 v[30:31], v[36:37], v[30:31]
	v_add_f64 v[34:35], v[82:83], -v[34:35]
	v_add_f64 v[30:31], v[34:35], v[30:31]
	v_add_f64 v[34:35], v[48:49], v[68:69]
	;; [unrolled: 1-line block ×3, first 2 shown]
	v_add_f64 v[36:37], v[34:35], -v[48:49]
	v_mul_f64 v[30:31], v[80:81], v[30:31]
	v_add_f64 v[36:37], v[68:69], -v[36:37]
	v_add_f64 v[30:31], v[36:37], v[30:31]
	v_add_f64 v[36:37], v[34:35], v[30:31]
	v_add_f64 v[34:35], v[36:37], -v[34:35]
	v_add_f64 v[30:31], v[30:31], -v[34:35]
	v_mul_f64 v[34:35], v[36:37], v[36:37]
	v_mov_b32_e32 v48, 0x6b47b09a
	v_mov_b32_e32 v49, 0x3fc38538
	v_fmac_f64_e32 v[48:49], s[2:3], v[34:35]
	v_mov_b32_e32 v66, 0xd7f4df2e
	v_mov_b32_e32 v67, 0x3fc7474d
	v_fmac_f64_e32 v[66:67], v[34:35], v[48:49]
	;; [unrolled: 3-line block ×6, first 2 shown]
	v_cvt_f64_i32_e32 v[48:49], v53
	s_mov_b32 s7, 0x3fe62e42
	v_mul_f64 v[68:69], v[48:49], s[6:7]
	v_fma_f64 v[80:81], v[48:49], s[6:7], -v[68:69]
	s_mov_b32 s9, 0x3c7abc9e
	v_fmac_f64_e32 v[80:81], s[8:9], v[48:49]
	v_add_f64 v[48:49], v[68:69], v[80:81]
	v_add_f64 v[68:69], v[48:49], -v[68:69]
	v_mul_f64 v[34:35], v[36:37], v[34:35]
	v_add_f64 v[68:69], v[80:81], -v[68:69]
	v_ldexp_f64 v[80:81], v[36:37], 1
	v_mul_f64 v[34:35], v[34:35], v[66:67]
	v_add_f64 v[36:37], v[80:81], v[34:35]
	v_add_f64 v[66:67], v[36:37], -v[80:81]
	v_ldexp_f64 v[30:31], v[30:31], 1
	v_add_f64 v[34:35], v[34:35], -v[66:67]
	v_add_f64 v[30:31], v[30:31], v[34:35]
	v_add_f64 v[34:35], v[36:37], v[30:31]
	v_add_f64 v[36:37], v[34:35], -v[36:37]
	v_add_f64 v[30:31], v[30:31], -v[36:37]
	v_add_f64 v[36:37], v[48:49], v[34:35]
	v_add_f64 v[66:67], v[36:37], -v[48:49]
	v_add_f64 v[80:81], v[36:37], -v[66:67]
	;; [unrolled: 1-line block ×4, first 2 shown]
	v_add_f64 v[34:35], v[34:35], v[48:49]
	v_add_f64 v[48:49], v[68:69], v[30:31]
	v_add_f64 v[66:67], v[48:49], -v[68:69]
	v_add_f64 v[34:35], v[48:49], v[34:35]
	v_add_f64 v[80:81], v[48:49], -v[66:67]
	;; [unrolled: 2-line block ×3, first 2 shown]
	v_add_f64 v[30:31], v[30:31], -v[66:67]
	v_add_f64 v[36:37], v[48:49], -v[36:37]
	v_add_f64 v[30:31], v[30:31], v[68:69]
	v_add_f64 v[34:35], v[34:35], -v[36:37]
	s_mov_b32 s2, 0
	v_add_f64 v[30:31], v[30:31], v[34:35]
	s_mov_b32 s3, 0x7ff00000
	v_add_f64 v[30:31], v[48:49], v[30:31]
	v_cmp_eq_f64_e32 vcc, s[2:3], v[26:27]
	v_mov_b32_e32 v34, 0x7ff80000
	s_nop 0
	v_cndmask_b32_e32 v30, v30, v26, vcc
	v_cndmask_b32_e32 v31, v31, v27, vcc
	v_cmp_ngt_f64_e32 vcc, -1.0, v[26:27]
	s_nop 1
	v_cndmask_b32_e32 v31, v34, v31, vcc
	v_cmp_nge_f64_e32 vcc, -1.0, v[26:27]
	v_mov_b32_e32 v34, 0xfff00000
	s_nop 0
	v_cndmask_b32_e32 v30, 0, v30, vcc
	v_cmp_neq_f64_e32 vcc, -1.0, v[26:27]
	s_nop 1
	v_cndmask_b32_e32 v31, v34, v31, vcc
	v_add_f64 v[26:27], v[28:29], v[30:31]
.LBB50_366:
	s_or_b64 exec, exec, s[4:5]
	v_max_f64 v[28:29], v[26:27], v[26:27]
	v_min_f64 v[30:31], v[28:29], v[32:33]
	v_cmp_u_f64_e32 vcc, v[26:27], v[26:27]
	v_max_f64 v[28:29], v[28:29], v[32:33]
	s_nop 0
	v_cndmask_b32_e32 v30, v30, v26, vcc
	v_cndmask_b32_e32 v31, v31, v27, vcc
	;; [unrolled: 1-line block ×4, first 2 shown]
	v_cndmask_b32_e64 v35, v31, v129, s[28:29]
	v_cndmask_b32_e64 v34, v30, v128, s[28:29]
	;; [unrolled: 1-line block ×4, first 2 shown]
	v_cmp_neq_f64_e32 vcc, v[34:35], v[30:31]
	v_cmp_class_f64_e64 s[2:3], v[34:35], s10
	s_or_b64 s[2:3], vcc, s[2:3]
	v_mov_b64_e32 v[28:29], v[26:27]
	s_and_saveexec_b64 s[4:5], s[2:3]
	s_cbranch_execz .LBB50_368
; %bb.367:
	s_mov_b32 s2, 0x652b82fe
	v_add_f64 v[28:29], v[34:35], -v[30:31]
	s_mov_b32 s3, 0x3ff71547
	v_mul_f64 v[32:33], v[28:29], s[2:3]
	v_rndne_f64_e32 v[32:33], v[32:33]
	s_mov_b32 s7, 0xbfe62e42
	s_mov_b32 s6, 0xfefa39ef
	v_fma_f64 v[34:35], s[6:7], v[32:33], v[28:29]
	s_mov_b32 s9, 0xbc7abc9e
	s_mov_b32 s8, 0x3b39803f
	;; [unrolled: 1-line block ×3, first 2 shown]
	v_fmac_f64_e32 v[34:35], s[8:9], v[32:33]
	v_mov_b32_e32 v36, 0xfca7ab0c
	v_mov_b32_e32 v37, 0x3e928af3
	s_mov_b32 s3, 0x3e5ade15
	v_fmac_f64_e32 v[36:37], s[2:3], v[34:35]
	v_mov_b32_e32 v48, 0x623fde64
	v_mov_b32_e32 v49, 0x3ec71dee
	v_fmac_f64_e32 v[48:49], v[34:35], v[36:37]
	v_mov_b32_e32 v36, 0x7c89e6b0
	v_mov_b32_e32 v37, 0x3efa0199
	;; [unrolled: 3-line block ×8, first 2 shown]
	s_mov_b32 s2, 0
	v_fmac_f64_e32 v[36:37], v[34:35], v[48:49]
	s_mov_b32 s3, 0x40900000
	v_fma_f64 v[36:37], v[34:35], v[36:37], 1.0
	v_cmp_nlt_f64_e32 vcc, s[2:3], v[28:29]
	s_mov_b32 s2, 0
	v_fma_f64 v[34:35], v[34:35], v[36:37], 1.0
	v_cvt_i32_f64_e32 v32, v[32:33]
	s_mov_b32 s3, 0xc090cc00
	v_ldexp_f64 v[32:33], v[34:35], v32
	v_mov_b32_e32 v34, 0x7ff00000
	v_cmp_ngt_f64_e64 s[2:3], s[2:3], v[28:29]
	v_cndmask_b32_e32 v33, v34, v33, vcc
	s_and_b64 vcc, s[2:3], vcc
	v_cndmask_b32_e64 v29, 0, v33, s[2:3]
	v_cndmask_b32_e32 v28, 0, v32, vcc
	v_add_f64 v[32:33], v[28:29], 1.0
	v_add_f64 v[34:35], v[32:33], -1.0
	v_add_f64 v[36:37], v[34:35], -v[32:33]
	v_add_f64 v[36:37], v[36:37], 1.0
	v_add_f64 v[34:35], v[28:29], -v[34:35]
	s_mov_b32 s2, 0x55555555
	v_add_f64 v[34:35], v[34:35], v[36:37]
	v_frexp_mant_f64_e32 v[36:37], v[32:33]
	s_mov_b32 s3, 0x3fe55555
	v_frexp_exp_i32_f64_e32 v48, v[32:33]
	v_cmp_gt_f64_e32 vcc, s[2:3], v[36:37]
	s_mov_b32 s2, 0xbf559e2b
	s_mov_b32 s3, 0x3fc3ab76
	v_subbrev_co_u32_e32 v53, vcc, 0, v48, vcc
	v_sub_u32_e32 v36, 0, v53
	v_ldexp_f64 v[32:33], v[32:33], v36
	v_ldexp_f64 v[34:35], v[34:35], v36
	v_add_f64 v[36:37], v[32:33], -1.0
	v_add_f64 v[68:69], v[32:33], 1.0
	v_add_f64 v[48:49], v[36:37], 1.0
	v_add_f64 v[80:81], v[68:69], -1.0
	v_add_f64 v[48:49], v[32:33], -v[48:49]
	v_add_f64 v[32:33], v[32:33], -v[80:81]
	v_add_f64 v[32:33], v[34:35], v[32:33]
	v_add_f64 v[48:49], v[34:35], v[48:49]
	;; [unrolled: 1-line block ×3, first 2 shown]
	v_rcp_f64_e32 v[80:81], v[34:35]
	v_add_f64 v[66:67], v[36:37], v[48:49]
	v_add_f64 v[36:37], v[66:67], -v[36:37]
	v_add_f64 v[36:37], v[48:49], -v[36:37]
	v_add_f64 v[48:49], v[34:35], -v[68:69]
	v_add_f64 v[32:33], v[32:33], -v[48:49]
	v_fma_f64 v[48:49], -v[34:35], v[80:81], 1.0
	v_fmac_f64_e32 v[80:81], v[48:49], v[80:81]
	v_fma_f64 v[48:49], -v[34:35], v[80:81], 1.0
	v_fmac_f64_e32 v[80:81], v[48:49], v[80:81]
	v_mul_f64 v[48:49], v[66:67], v[80:81]
	v_mul_f64 v[68:69], v[34:35], v[48:49]
	v_fma_f64 v[82:83], v[48:49], v[34:35], -v[68:69]
	v_fmac_f64_e32 v[82:83], v[48:49], v[32:33]
	v_add_f64 v[84:85], v[68:69], v[82:83]
	v_add_f64 v[86:87], v[66:67], -v[84:85]
	v_add_f64 v[66:67], v[66:67], -v[86:87]
	;; [unrolled: 1-line block ×4, first 2 shown]
	v_add_f64 v[36:37], v[36:37], v[66:67]
	v_add_f64 v[66:67], v[68:69], -v[82:83]
	v_add_f64 v[36:37], v[66:67], v[36:37]
	v_add_f64 v[66:67], v[86:87], v[36:37]
	v_add_f64 v[68:69], v[86:87], -v[66:67]
	v_add_f64 v[36:37], v[36:37], v[68:69]
	v_mul_f64 v[68:69], v[80:81], v[66:67]
	v_mul_f64 v[82:83], v[34:35], v[68:69]
	v_fma_f64 v[34:35], v[68:69], v[34:35], -v[82:83]
	v_fmac_f64_e32 v[34:35], v[68:69], v[32:33]
	v_add_f64 v[32:33], v[82:83], v[34:35]
	v_add_f64 v[84:85], v[66:67], -v[32:33]
	v_add_f64 v[66:67], v[66:67], -v[84:85]
	;; [unrolled: 1-line block ×4, first 2 shown]
	v_add_f64 v[32:33], v[36:37], v[32:33]
	v_add_f64 v[34:35], v[82:83], -v[34:35]
	v_add_f64 v[32:33], v[34:35], v[32:33]
	v_add_f64 v[34:35], v[48:49], v[68:69]
	;; [unrolled: 1-line block ×3, first 2 shown]
	v_add_f64 v[36:37], v[34:35], -v[48:49]
	v_mul_f64 v[32:33], v[80:81], v[32:33]
	v_add_f64 v[36:37], v[68:69], -v[36:37]
	v_add_f64 v[32:33], v[36:37], v[32:33]
	v_add_f64 v[36:37], v[34:35], v[32:33]
	v_add_f64 v[34:35], v[36:37], -v[34:35]
	v_add_f64 v[32:33], v[32:33], -v[34:35]
	v_mul_f64 v[34:35], v[36:37], v[36:37]
	v_mov_b32_e32 v48, 0x6b47b09a
	v_mov_b32_e32 v49, 0x3fc38538
	v_fmac_f64_e32 v[48:49], s[2:3], v[34:35]
	v_mov_b32_e32 v66, 0xd7f4df2e
	v_mov_b32_e32 v67, 0x3fc7474d
	v_fmac_f64_e32 v[66:67], v[34:35], v[48:49]
	;; [unrolled: 3-line block ×6, first 2 shown]
	v_cvt_f64_i32_e32 v[48:49], v53
	s_mov_b32 s7, 0x3fe62e42
	v_mul_f64 v[68:69], v[48:49], s[6:7]
	v_fma_f64 v[80:81], v[48:49], s[6:7], -v[68:69]
	s_mov_b32 s9, 0x3c7abc9e
	v_fmac_f64_e32 v[80:81], s[8:9], v[48:49]
	v_add_f64 v[48:49], v[68:69], v[80:81]
	v_add_f64 v[68:69], v[48:49], -v[68:69]
	v_mul_f64 v[34:35], v[36:37], v[34:35]
	v_add_f64 v[68:69], v[80:81], -v[68:69]
	v_ldexp_f64 v[80:81], v[36:37], 1
	v_mul_f64 v[34:35], v[34:35], v[66:67]
	v_add_f64 v[36:37], v[80:81], v[34:35]
	v_add_f64 v[66:67], v[36:37], -v[80:81]
	v_ldexp_f64 v[32:33], v[32:33], 1
	v_add_f64 v[34:35], v[34:35], -v[66:67]
	v_add_f64 v[32:33], v[32:33], v[34:35]
	v_add_f64 v[34:35], v[36:37], v[32:33]
	v_add_f64 v[36:37], v[34:35], -v[36:37]
	v_add_f64 v[32:33], v[32:33], -v[36:37]
	v_add_f64 v[36:37], v[48:49], v[34:35]
	v_add_f64 v[66:67], v[36:37], -v[48:49]
	v_add_f64 v[80:81], v[36:37], -v[66:67]
	;; [unrolled: 1-line block ×4, first 2 shown]
	v_add_f64 v[34:35], v[34:35], v[48:49]
	v_add_f64 v[48:49], v[68:69], v[32:33]
	v_add_f64 v[66:67], v[48:49], -v[68:69]
	v_add_f64 v[34:35], v[48:49], v[34:35]
	v_add_f64 v[80:81], v[48:49], -v[66:67]
	;; [unrolled: 2-line block ×3, first 2 shown]
	v_add_f64 v[32:33], v[32:33], -v[66:67]
	v_add_f64 v[36:37], v[48:49], -v[36:37]
	v_add_f64 v[32:33], v[32:33], v[68:69]
	v_add_f64 v[34:35], v[34:35], -v[36:37]
	s_mov_b32 s2, 0
	v_add_f64 v[32:33], v[32:33], v[34:35]
	s_mov_b32 s3, 0x7ff00000
	v_add_f64 v[32:33], v[48:49], v[32:33]
	v_cmp_eq_f64_e32 vcc, s[2:3], v[28:29]
	v_mov_b32_e32 v34, 0x7ff80000
	s_nop 0
	v_cndmask_b32_e32 v32, v32, v28, vcc
	v_cndmask_b32_e32 v33, v33, v29, vcc
	v_cmp_ngt_f64_e32 vcc, -1.0, v[28:29]
	s_nop 1
	v_cndmask_b32_e32 v33, v34, v33, vcc
	v_cmp_nge_f64_e32 vcc, -1.0, v[28:29]
	v_mov_b32_e32 v34, 0xfff00000
	s_nop 0
	v_cndmask_b32_e32 v32, 0, v32, vcc
	v_cmp_neq_f64_e32 vcc, -1.0, v[28:29]
	s_nop 1
	v_cndmask_b32_e32 v33, v34, v33, vcc
	v_add_f64 v[28:29], v[30:31], v[32:33]
.LBB50_368:
	s_or_b64 exec, exec, s[4:5]
	s_movk_i32 s2, 0xff
	v_cmp_eq_u32_e32 vcc, s2, v70
	s_and_saveexec_b64 s[2:3], vcc
	s_cbranch_execz .LBB50_378
; %bb.369:
	s_mov_b64 s[4:5], 0x400
	v_lshl_add_u64 v[32:33], v[116:117], 0, s[4:5]
	s_mov_b64 s[4:5], src_shared_base
	v_cmp_ne_u32_e32 vcc, s5, v33
	s_and_saveexec_b64 s[4:5], vcc
	s_xor_b64 s[4:5], exec, s[4:5]
	s_cbranch_execz .LBB50_375
; %bb.370:
	s_mov_b64 s[6:7], src_private_base
	v_cmp_ne_u32_e32 vcc, s7, v33
	s_and_saveexec_b64 s[6:7], vcc
	s_xor_b64 s[6:7], exec, s[6:7]
	s_cbranch_execz .LBB50_372
; %bb.371:
	v_mov_b32_e32 v31, 0
	v_mov_b32_e32 v30, 2
	;;#ASMSTART
	global_store_dwordx4 v[32:33], v[28:31] off sc1	
s_waitcnt vmcnt(0)
	;;#ASMEND
                                        ; implicit-def: $vgpr32_vgpr33
.LBB50_372:
	s_andn2_saveexec_b64 s[6:7], s[6:7]
	s_cbranch_execz .LBB50_374
; %bb.373:
	v_mov_b32_e32 v31, 0
	v_mov_b32_e32 v30, 2
	;;#ASMSTART
	flat_store_dwordx4 v[32:33], v[28:31] sc1	
s_waitcnt vmcnt(0)
	;;#ASMEND
.LBB50_374:
	s_or_b64 exec, exec, s[6:7]
                                        ; implicit-def: $vgpr32_vgpr33
.LBB50_375:
	s_andn2_saveexec_b64 s[4:5], s[4:5]
	s_cbranch_execz .LBB50_377
; %bb.376:
	v_cmp_ne_u64_e32 vcc, 0, v[32:33]
	v_mov_b32_e32 v35, 0
	v_mov_b32_e32 v34, 2
	v_cndmask_b32_e32 v36, -1, v32, vcc
	v_mov_b32_e32 v32, v28
	v_mov_b32_e32 v33, v29
	;;#ASMSTART
	ds_write_b128 v36, v[32:35] 	
s_waitcnt lgkmcnt(0)
	;;#ASMEND
.LBB50_377:
	s_or_b64 exec, exec, s[4:5]
.LBB50_378:
	s_or_b64 exec, exec, s[2:3]
	v_mov_b64_e32 v[34:35], v[30:31]
	v_mov_b64_e32 v[32:33], v[28:29]
	;; [unrolled: 1-line block ×16, first 2 shown]
.LBB50_379:
	v_lshl_add_u64 v[0:1], v[54:55], 3, v[64:65]
	v_lshl_add_u64 v[34:35], s[46:47], 3, v[0:1]
	s_waitcnt lgkmcnt(0)
	s_barrier
	s_and_saveexec_b64 s[2:3], s[0:1]
	s_xor_b64 s[0:1], exec, s[2:3]
	s_cbranch_execz .LBB50_381
; %bb.380:
	v_mul_u32_u24_e32 v0, 0x78, v70
	s_movk_i32 s2, 0x78
	ds_write2_b64 v0, v[4:5], v[6:7] offset1:1
	ds_write2_b64 v0, v[8:9], v[10:11] offset0:2 offset1:3
	ds_write2_b64 v0, v[12:13], v[14:15] offset0:4 offset1:5
	;; [unrolled: 1-line block ×6, first 2 shown]
	ds_write_b64 v0, v[32:33] offset:112
	v_mul_i32_i24_e32 v0, 0xffffff90, v70
	v_mad_u32_u24 v28, v70, s2, v0
	v_mov_b32_e32 v53, 0
	s_waitcnt lgkmcnt(0)
	s_barrier
	ds_read2st64_b64 v[0:3], v28 offset1:4
	ds_read2st64_b64 v[4:7], v28 offset0:8 offset1:12
	ds_read2st64_b64 v[8:11], v28 offset0:16 offset1:20
	;; [unrolled: 1-line block ×6, first 2 shown]
	ds_read_b64 v[28:29], v28 offset:28672
	v_lshl_add_u64 v[30:31], v[34:35], 0, v[52:53]
	s_movk_i32 s2, 0x1000
	s_waitcnt lgkmcnt(7)
	flat_store_dwordx2 v[30:31], v[0:1]
	flat_store_dwordx2 v[30:31], v[2:3] offset:2048
	v_add_co_u32_e32 v0, vcc, s2, v30
	s_movk_i32 s2, 0x2000
	s_nop 0
	v_addc_co_u32_e32 v1, vcc, 0, v31, vcc
	s_waitcnt lgkmcnt(0)
	flat_store_dwordx2 v[0:1], v[4:5]
	flat_store_dwordx2 v[0:1], v[6:7] offset:2048
	v_add_co_u32_e32 v0, vcc, s2, v30
	s_movk_i32 s2, 0x3000
	s_nop 0
	v_addc_co_u32_e32 v1, vcc, 0, v31, vcc
	flat_store_dwordx2 v[0:1], v[8:9]
	flat_store_dwordx2 v[0:1], v[10:11] offset:2048
	v_add_co_u32_e32 v0, vcc, s2, v30
	s_movk_i32 s2, 0x4000
	s_nop 0
	v_addc_co_u32_e32 v1, vcc, 0, v31, vcc
	;; [unrolled: 6-line block ×3, first 2 shown]
	flat_store_dwordx2 v[0:1], v[16:17]
	flat_store_dwordx2 v[0:1], v[18:19] offset:2048
	v_add_co_u32_e32 v0, vcc, s2, v30
                                        ; implicit-def: $vgpr36_vgpr37_vgpr38_vgpr39
                                        ; implicit-def: $vgpr48_vgpr49_vgpr50_vgpr51
                                        ; implicit-def: $vgpr70
                                        ; implicit-def: $vgpr118_vgpr119
                                        ; implicit-def: $vgpr244
                                        ; implicit-def: $vgpr52
	s_nop 1
	v_addc_co_u32_e32 v1, vcc, 0, v31, vcc
	flat_store_dwordx2 v[0:1], v[20:21]
	flat_store_dwordx2 v[0:1], v[22:23] offset:2048
	v_add_co_u32_e32 v0, vcc, 0x6000, v30
	s_nop 1
	v_addc_co_u32_e32 v1, vcc, 0, v31, vcc
	flat_store_dwordx2 v[0:1], v[24:25]
	flat_store_dwordx2 v[0:1], v[26:27] offset:2048
	v_add_co_u32_e32 v0, vcc, 0x7000, v30
	s_nop 1
	v_addc_co_u32_e32 v1, vcc, 0, v31, vcc
	flat_store_dwordx2 v[0:1], v[28:29]
                                        ; implicit-def: $vgpr4_vgpr5_vgpr6_vgpr7_vgpr8_vgpr9_vgpr10_vgpr11_vgpr12_vgpr13_vgpr14_vgpr15_vgpr16_vgpr17_vgpr18_vgpr19_vgpr20_vgpr21_vgpr22_vgpr23_vgpr24_vgpr25_vgpr26_vgpr27_vgpr28_vgpr29_vgpr30_vgpr31_vgpr32_vgpr33_vgpr34_vgpr35
                                        ; implicit-def: $vgpr34_vgpr35
.LBB50_381:
	s_andn2_saveexec_b64 s[2:3], s[0:1]
	s_cbranch_execz .LBB50_468
; %bb.382:
	v_mul_u32_u24_e32 v0, 0x78, v70
	s_movk_i32 s0, 0x78
	ds_write2_b64 v0, v[4:5], v[6:7] offset1:1
	ds_write2_b64 v0, v[8:9], v[10:11] offset0:2 offset1:3
	ds_write2_b64 v0, v[12:13], v[14:15] offset0:4 offset1:5
	;; [unrolled: 1-line block ×6, first 2 shown]
	ds_write_b64 v0, v[32:33] offset:112
	v_mul_i32_i24_e32 v0, 0xffffff90, v70
	v_mad_u32_u24 v28, v70, s0, v0
	s_waitcnt lgkmcnt(0)
	s_barrier
	ds_read2st64_b64 v[4:7], v28 offset1:4
	ds_read2st64_b64 v[12:15], v28 offset0:8 offset1:12
	ds_read2st64_b64 v[8:11], v28 offset0:16 offset1:20
	;; [unrolled: 1-line block ×6, first 2 shown]
	ds_read_b64 v[28:29], v28 offset:28672
	v_mov_b32_e32 v53, 0
	v_lshl_add_u64 v[30:31], v[34:35], 0, v[52:53]
	v_cmp_lt_u32_e32 vcc, v70, v118
	s_and_saveexec_b64 s[0:1], vcc
	s_cbranch_execz .LBB50_384
; %bb.383:
	s_waitcnt lgkmcnt(0)
	flat_store_dwordx2 v[30:31], v[4:5]
.LBB50_384:
	s_or_b64 exec, exec, s[0:1]
	v_add_u32_e32 v32, 0x100, v70
	v_cmp_lt_u32_e32 vcc, v32, v118
	s_and_saveexec_b64 s[0:1], vcc
	s_cbranch_execz .LBB50_386
; %bb.385:
	s_waitcnt lgkmcnt(0)
	flat_store_dwordx2 v[30:31], v[6:7] offset:2048
.LBB50_386:
	s_or_b64 exec, exec, s[0:1]
	v_add_u32_e32 v32, 0x200, v70
	v_cmp_lt_u32_e32 vcc, v32, v118
	s_and_saveexec_b64 s[0:1], vcc
	s_cbranch_execz .LBB50_388
; %bb.387:
	v_add_co_u32_e32 v32, vcc, 0x1000, v30
	s_nop 1
	v_addc_co_u32_e32 v33, vcc, 0, v31, vcc
	s_waitcnt lgkmcnt(0)
	flat_store_dwordx2 v[32:33], v[12:13]
.LBB50_388:
	s_or_b64 exec, exec, s[0:1]
	v_add_u32_e32 v32, 0x300, v70
	v_cmp_lt_u32_e32 vcc, v32, v118
	s_and_saveexec_b64 s[0:1], vcc
	s_cbranch_execz .LBB50_390
; %bb.389:
	v_add_co_u32_e32 v32, vcc, 0x1000, v30
	s_nop 1
	v_addc_co_u32_e32 v33, vcc, 0, v31, vcc
	s_waitcnt lgkmcnt(0)
	flat_store_dwordx2 v[32:33], v[14:15] offset:2048
.LBB50_390:
	s_or_b64 exec, exec, s[0:1]
	v_or_b32_e32 v32, 0x400, v70
	v_cmp_lt_u32_e32 vcc, v32, v118
	s_and_saveexec_b64 s[0:1], vcc
	s_cbranch_execz .LBB50_392
; %bb.391:
	v_add_co_u32_e32 v32, vcc, 0x2000, v30
	s_nop 1
	v_addc_co_u32_e32 v33, vcc, 0, v31, vcc
	s_waitcnt lgkmcnt(0)
	flat_store_dwordx2 v[32:33], v[8:9]
.LBB50_392:
	s_or_b64 exec, exec, s[0:1]
	v_add_u32_e32 v32, 0x500, v70
	v_cmp_lt_u32_e32 vcc, v32, v118
	s_and_saveexec_b64 s[0:1], vcc
	s_cbranch_execz .LBB50_394
; %bb.393:
	v_add_co_u32_e32 v32, vcc, 0x2000, v30
	s_nop 1
	v_addc_co_u32_e32 v33, vcc, 0, v31, vcc
	s_waitcnt lgkmcnt(0)
	flat_store_dwordx2 v[32:33], v[10:11] offset:2048
.LBB50_394:
	s_or_b64 exec, exec, s[0:1]
	v_add_u32_e32 v32, 0x600, v70
	v_cmp_lt_u32_e32 vcc, v32, v118
	s_and_saveexec_b64 s[0:1], vcc
	s_cbranch_execz .LBB50_396
; %bb.395:
	v_add_co_u32_e32 v32, vcc, 0x3000, v30
	s_nop 1
	v_addc_co_u32_e32 v33, vcc, 0, v31, vcc
	s_waitcnt lgkmcnt(0)
	flat_store_dwordx2 v[32:33], v[24:25]
.LBB50_396:
	s_or_b64 exec, exec, s[0:1]
	v_add_u32_e32 v32, 0x700, v70
	v_cmp_lt_u32_e32 vcc, v32, v118
	s_and_saveexec_b64 s[0:1], vcc
	s_cbranch_execz .LBB50_398
; %bb.397:
	v_add_co_u32_e32 v32, vcc, 0x3000, v30
	s_nop 1
	v_addc_co_u32_e32 v33, vcc, 0, v31, vcc
	s_waitcnt lgkmcnt(0)
	flat_store_dwordx2 v[32:33], v[26:27] offset:2048
.LBB50_398:
	s_or_b64 exec, exec, s[0:1]
	v_or_b32_e32 v32, 0x800, v70
	v_cmp_lt_u32_e32 vcc, v32, v118
	s_and_saveexec_b64 s[0:1], vcc
	s_cbranch_execz .LBB50_400
; %bb.399:
	v_add_co_u32_e32 v32, vcc, 0x4000, v30
	s_nop 1
	v_addc_co_u32_e32 v33, vcc, 0, v31, vcc
	s_waitcnt lgkmcnt(0)
	flat_store_dwordx2 v[32:33], v[16:17]
.LBB50_400:
	s_or_b64 exec, exec, s[0:1]
	v_add_u32_e32 v32, 0x900, v70
	v_cmp_lt_u32_e32 vcc, v32, v118
	s_and_saveexec_b64 s[0:1], vcc
	s_cbranch_execz .LBB50_402
; %bb.401:
	v_add_co_u32_e32 v32, vcc, 0x4000, v30
	s_nop 1
	v_addc_co_u32_e32 v33, vcc, 0, v31, vcc
	s_waitcnt lgkmcnt(0)
	flat_store_dwordx2 v[32:33], v[18:19] offset:2048
.LBB50_402:
	s_or_b64 exec, exec, s[0:1]
	v_add_u32_e32 v32, 0xa00, v70
	v_cmp_lt_u32_e32 vcc, v32, v118
	s_and_saveexec_b64 s[0:1], vcc
	s_cbranch_execz .LBB50_404
; %bb.403:
	v_add_co_u32_e32 v32, vcc, 0x5000, v30
	s_nop 1
	v_addc_co_u32_e32 v33, vcc, 0, v31, vcc
	s_waitcnt lgkmcnt(0)
	flat_store_dwordx2 v[32:33], v[0:1]
.LBB50_404:
	s_or_b64 exec, exec, s[0:1]
	v_add_u32_e32 v32, 0xb00, v70
	v_cmp_lt_u32_e32 vcc, v32, v118
	s_and_saveexec_b64 s[0:1], vcc
	s_cbranch_execz .LBB50_406
; %bb.405:
	v_add_co_u32_e32 v32, vcc, 0x5000, v30
	s_nop 1
	v_addc_co_u32_e32 v33, vcc, 0, v31, vcc
	s_waitcnt lgkmcnt(0)
	flat_store_dwordx2 v[32:33], v[2:3] offset:2048
.LBB50_406:
	s_or_b64 exec, exec, s[0:1]
	v_or_b32_e32 v32, 0xc00, v70
	v_cmp_lt_u32_e32 vcc, v32, v118
	s_and_saveexec_b64 s[0:1], vcc
	s_cbranch_execz .LBB50_408
; %bb.407:
	v_add_co_u32_e32 v32, vcc, 0x6000, v30
	s_nop 1
	v_addc_co_u32_e32 v33, vcc, 0, v31, vcc
	s_waitcnt lgkmcnt(0)
	flat_store_dwordx2 v[32:33], v[20:21]
.LBB50_408:
	s_or_b64 exec, exec, s[0:1]
	v_add_u32_e32 v32, 0xd00, v70
	v_cmp_lt_u32_e32 vcc, v32, v118
	s_and_saveexec_b64 s[0:1], vcc
	s_cbranch_execz .LBB50_410
; %bb.409:
	v_add_co_u32_e32 v32, vcc, 0x6000, v30
	s_nop 1
	v_addc_co_u32_e32 v33, vcc, 0, v31, vcc
	s_waitcnt lgkmcnt(0)
	flat_store_dwordx2 v[32:33], v[22:23] offset:2048
.LBB50_410:
	s_or_b64 exec, exec, s[0:1]
	v_add_u32_e32 v32, 0xe00, v70
	v_cmp_lt_u32_e32 vcc, v32, v118
	s_and_saveexec_b64 s[0:1], vcc
	s_cbranch_execz .LBB50_412
; %bb.411:
	v_add_co_u32_e32 v30, vcc, 0x7000, v30
	s_nop 1
	v_addc_co_u32_e32 v31, vcc, 0, v31, vcc
	s_waitcnt lgkmcnt(0)
	flat_store_dwordx2 v[30:31], v[28:29]
.LBB50_412:
	s_or_b64 exec, exec, s[0:1]
	v_cmp_lt_u64_e32 vcc, 1, v[50:51]
	s_and_saveexec_b64 s[4:5], vcc
	s_cbranch_execz .LBB50_467
; %bb.413:
	s_add_u32 s0, 0, 0x11108400
	s_addc_u32 s1, 0, 49
	s_add_i32 s1, s1, 0x111110e0
	s_mul_hi_u32 s9, s0, -15
	s_sub_i32 s9, s9, s0
	s_mul_i32 s10, s1, -15
	s_mul_i32 s6, s0, -15
	s_add_i32 s9, s9, s10
	s_mul_hi_u32 s7, s1, s6
	s_mul_i32 s8, s1, s6
	s_mul_i32 s11, s0, s9
	s_mul_hi_u32 s6, s0, s6
	s_mul_hi_u32 s10, s0, s9
	s_add_u32 s6, s6, s11
	s_addc_u32 s10, 0, s10
	s_add_u32 s6, s6, s8
	s_mul_hi_u32 s11, s1, s9
	s_addc_u32 s6, s10, s7
	s_addc_u32 s7, s11, 0
	s_mul_i32 s8, s1, s9
	s_add_u32 s6, s6, s8
	v_mov_b32_e32 v32, s6
	s_addc_u32 s7, 0, s7
	v_add_co_u32_e32 v48, vcc, s0, v32
	s_cmp_lg_u64 vcc, 0
	v_lshl_add_u64 v[30:31], v[118:119], 0, -1
	s_addc_u32 s6, s1, s7
	v_mad_u64_u32 v[32:33], s[0:1], v30, s6, 0
	v_mul_hi_u32 v34, v30, v48
	v_mov_b32_e32 v35, 0
	v_lshl_add_u64 v[32:33], v[34:35], 0, v[32:33]
	v_mad_u64_u32 v[48:49], s[0:1], v31, v48, 0
	v_add_co_u32_e32 v32, vcc, v32, v48
	v_mad_u64_u32 v[36:37], s[0:1], v31, s6, 0
	s_nop 0
	v_addc_co_u32_e32 v34, vcc, v33, v49, vcc
	v_mov_b32_e32 v71, v53
	s_nop 0
	v_addc_co_u32_e32 v37, vcc, 0, v37, vcc
	v_lshl_add_u64 v[32:33], v[34:35], 0, v[36:37]
	v_mad_u64_u32 v[34:35], s[0:1], v32, 15, 0
	v_mov_b32_e32 v36, v35
	v_mad_u64_u32 v[36:37], s[0:1], v33, 15, v[36:37]
	v_sub_co_u32_e32 v48, vcc, v30, v34
	v_cmp_lt_u32_e64 s[0:1], 14, v48
	s_nop 0
	v_subb_co_u32_e32 v49, vcc, v31, v36, vcc
	v_subrev_co_u32_e32 v34, vcc, 15, v48
	v_lshl_add_u64 v[36:37], v[32:33], 0, 1
	s_nop 0
	v_subbrev_co_u32_e32 v35, vcc, 0, v49, vcc
	v_cmp_lt_u32_e32 vcc, 14, v34
	s_nop 1
	v_cndmask_b32_e64 v34, 0, -1, vcc
	v_cmp_eq_u32_e32 vcc, 0, v35
	s_nop 1
	v_cndmask_b32_e32 v50, -1, v34, vcc
	v_lshl_add_u64 v[34:35], v[32:33], 0, 2
	v_cmp_ne_u32_e32 vcc, 0, v50
	s_nop 1
	v_cndmask_b32_e32 v35, v37, v35, vcc
	v_cndmask_b32_e64 v37, 0, -1, s[0:1]
	v_cmp_eq_u32_e64 s[0:1], 0, v49
	v_cndmask_b32_e32 v34, v36, v34, vcc
	s_nop 0
	v_cndmask_b32_e64 v37, -1, v37, s[0:1]
	v_cmp_ne_u32_e64 s[0:1], 0, v37
	s_nop 1
	v_cndmask_b32_e64 v33, v33, v35, s[0:1]
	v_cndmask_b32_e64 v32, v32, v34, s[0:1]
	v_cmp_eq_u64_e32 vcc, v[32:33], v[70:71]
	s_and_b64 exec, exec, vcc
	s_cbranch_execz .LBB50_467
; %bb.414:
	v_mul_hi_u32_u24_e32 v32, 15, v70
	v_sub_co_u32_e32 v30, vcc, v30, v244
	s_nop 1
	v_subb_co_u32_e32 v31, vcc, v31, v32, vcc
	v_cmp_lt_i64_e32 vcc, 7, v[30:31]
	s_and_saveexec_b64 s[0:1], vcc
	s_xor_b64 s[0:1], exec, s[0:1]
	s_cbranch_execz .LBB50_440
; %bb.415:
	v_cmp_lt_i64_e32 vcc, 10, v[30:31]
	s_and_saveexec_b64 s[6:7], vcc
	s_xor_b64 s[6:7], exec, s[6:7]
	s_cbranch_execz .LBB50_429
; %bb.416:
	;; [unrolled: 5-line block ×4, first 2 shown]
	s_waitcnt lgkmcnt(0)
	flat_store_dwordx2 v[38:39], v[28:29]
                                        ; implicit-def: $vgpr38_vgpr39
                                        ; implicit-def: $vgpr20_vgpr21_vgpr22_vgpr23
.LBB50_419:
	s_andn2_saveexec_b64 s[10:11], s[10:11]
	s_cbranch_execz .LBB50_421
; %bb.420:
	s_waitcnt lgkmcnt(0)
	flat_store_dwordx2 v[38:39], v[22:23]
.LBB50_421:
	s_or_b64 exec, exec, s[10:11]
                                        ; implicit-def: $vgpr38_vgpr39
                                        ; implicit-def: $vgpr0_vgpr1_vgpr2_vgpr3
                                        ; implicit-def: $vgpr30_vgpr31
                                        ; implicit-def: $vgpr20_vgpr21_vgpr22_vgpr23
.LBB50_422:
	s_andn2_saveexec_b64 s[8:9], s[8:9]
	s_cbranch_execz .LBB50_428
; %bb.423:
	v_cmp_lt_i64_e32 vcc, 11, v[30:31]
	s_and_saveexec_b64 s[10:11], vcc
	s_xor_b64 s[10:11], exec, s[10:11]
	s_cbranch_execz .LBB50_425
; %bb.424:
	s_waitcnt lgkmcnt(0)
	flat_store_dwordx2 v[38:39], v[20:21]
                                        ; implicit-def: $vgpr38_vgpr39
                                        ; implicit-def: $vgpr0_vgpr1_vgpr2_vgpr3
.LBB50_425:
	s_andn2_saveexec_b64 s[10:11], s[10:11]
	s_cbranch_execz .LBB50_427
; %bb.426:
	s_waitcnt lgkmcnt(0)
	flat_store_dwordx2 v[38:39], v[2:3]
.LBB50_427:
	s_or_b64 exec, exec, s[10:11]
.LBB50_428:
	s_or_b64 exec, exec, s[8:9]
                                        ; implicit-def: $vgpr38_vgpr39
                                        ; implicit-def: $vgpr16_vgpr17_vgpr18_vgpr19
                                        ; implicit-def: $vgpr30_vgpr31
                                        ; implicit-def: $vgpr0_vgpr1_vgpr2_vgpr3
.LBB50_429:
	s_andn2_saveexec_b64 s[6:7], s[6:7]
	s_cbranch_execz .LBB50_439
; %bb.430:
	v_cmp_lt_i64_e32 vcc, 8, v[30:31]
	s_and_saveexec_b64 s[8:9], vcc
	s_xor_b64 s[8:9], exec, s[8:9]
	s_cbranch_execz .LBB50_436
; %bb.431:
	v_cmp_lt_i64_e32 vcc, 9, v[30:31]
	s_and_saveexec_b64 s[10:11], vcc
	s_xor_b64 s[10:11], exec, s[10:11]
	s_cbranch_execz .LBB50_433
; %bb.432:
	s_waitcnt lgkmcnt(0)
	flat_store_dwordx2 v[38:39], v[0:1]
                                        ; implicit-def: $vgpr38_vgpr39
                                        ; implicit-def: $vgpr16_vgpr17_vgpr18_vgpr19
.LBB50_433:
	s_andn2_saveexec_b64 s[10:11], s[10:11]
	s_cbranch_execz .LBB50_435
; %bb.434:
	s_waitcnt lgkmcnt(0)
	flat_store_dwordx2 v[38:39], v[18:19]
.LBB50_435:
	s_or_b64 exec, exec, s[10:11]
                                        ; implicit-def: $vgpr38_vgpr39
                                        ; implicit-def: $vgpr16_vgpr17_vgpr18_vgpr19
.LBB50_436:
	s_andn2_saveexec_b64 s[8:9], s[8:9]
	s_cbranch_execz .LBB50_438
; %bb.437:
	s_waitcnt lgkmcnt(0)
	flat_store_dwordx2 v[38:39], v[16:17]
.LBB50_438:
	s_or_b64 exec, exec, s[8:9]
.LBB50_439:
	s_or_b64 exec, exec, s[6:7]
                                        ; implicit-def: $vgpr30_vgpr31
                                        ; implicit-def: $vgpr38_vgpr39
                                        ; implicit-def: $vgpr4_vgpr5_vgpr6_vgpr7
                                        ; implicit-def: $vgpr8_vgpr9_vgpr10_vgpr11
                                        ; implicit-def: $vgpr12_vgpr13_vgpr14_vgpr15
                                        ; implicit-def: $vgpr24_vgpr25_vgpr26_vgpr27
.LBB50_440:
	s_andn2_saveexec_b64 s[0:1], s[0:1]
	s_cbranch_execz .LBB50_467
; %bb.441:
	v_cmp_lt_i64_e32 vcc, 3, v[30:31]
	s_and_saveexec_b64 s[0:1], vcc
	s_xor_b64 s[0:1], exec, s[0:1]
	s_cbranch_execz .LBB50_455
; %bb.442:
	v_cmp_lt_i64_e32 vcc, 5, v[30:31]
	s_and_saveexec_b64 s[6:7], vcc
	s_xor_b64 s[6:7], exec, s[6:7]
	;; [unrolled: 5-line block ×3, first 2 shown]
	s_cbranch_execz .LBB50_445
; %bb.444:
	s_waitcnt lgkmcnt(0)
	flat_store_dwordx2 v[38:39], v[26:27]
                                        ; implicit-def: $vgpr38_vgpr39
                                        ; implicit-def: $vgpr24_vgpr25_vgpr26_vgpr27
.LBB50_445:
	s_andn2_saveexec_b64 s[8:9], s[8:9]
	s_cbranch_execz .LBB50_447
; %bb.446:
	s_waitcnt lgkmcnt(0)
	flat_store_dwordx2 v[38:39], v[24:25]
.LBB50_447:
	s_or_b64 exec, exec, s[8:9]
                                        ; implicit-def: $vgpr38_vgpr39
                                        ; implicit-def: $vgpr8_vgpr9_vgpr10_vgpr11
                                        ; implicit-def: $vgpr30_vgpr31
.LBB50_448:
	s_andn2_saveexec_b64 s[6:7], s[6:7]
	s_cbranch_execz .LBB50_454
; %bb.449:
	v_cmp_lt_i64_e32 vcc, 4, v[30:31]
	s_and_saveexec_b64 s[8:9], vcc
	s_xor_b64 s[8:9], exec, s[8:9]
	s_cbranch_execz .LBB50_451
; %bb.450:
	s_waitcnt lgkmcnt(0)
	flat_store_dwordx2 v[38:39], v[10:11]
                                        ; implicit-def: $vgpr38_vgpr39
                                        ; implicit-def: $vgpr8_vgpr9_vgpr10_vgpr11
.LBB50_451:
	s_andn2_saveexec_b64 s[8:9], s[8:9]
	s_cbranch_execz .LBB50_453
; %bb.452:
	s_waitcnt lgkmcnt(0)
	flat_store_dwordx2 v[38:39], v[8:9]
.LBB50_453:
	s_or_b64 exec, exec, s[8:9]
.LBB50_454:
	s_or_b64 exec, exec, s[6:7]
                                        ; implicit-def: $vgpr30_vgpr31
                                        ; implicit-def: $vgpr38_vgpr39
                                        ; implicit-def: $vgpr4_vgpr5_vgpr6_vgpr7
                                        ; implicit-def: $vgpr12_vgpr13_vgpr14_vgpr15
.LBB50_455:
	s_andn2_saveexec_b64 s[0:1], s[0:1]
	s_cbranch_execz .LBB50_467
; %bb.456:
	v_cmp_lt_i64_e32 vcc, 1, v[30:31]
	s_and_saveexec_b64 s[0:1], vcc
	s_xor_b64 s[0:1], exec, s[0:1]
	s_cbranch_execz .LBB50_462
; %bb.457:
	v_cmp_lt_i64_e32 vcc, 2, v[30:31]
	s_and_saveexec_b64 s[6:7], vcc
	s_xor_b64 s[6:7], exec, s[6:7]
	s_cbranch_execz .LBB50_459
; %bb.458:
	s_waitcnt lgkmcnt(0)
	flat_store_dwordx2 v[38:39], v[14:15]
                                        ; implicit-def: $vgpr38_vgpr39
                                        ; implicit-def: $vgpr12_vgpr13_vgpr14_vgpr15
.LBB50_459:
	s_andn2_saveexec_b64 s[6:7], s[6:7]
	s_cbranch_execz .LBB50_461
; %bb.460:
	s_waitcnt lgkmcnt(0)
	flat_store_dwordx2 v[38:39], v[12:13]
.LBB50_461:
	s_or_b64 exec, exec, s[6:7]
                                        ; implicit-def: $vgpr38_vgpr39
                                        ; implicit-def: $vgpr4_vgpr5_vgpr6_vgpr7
                                        ; implicit-def: $vgpr30_vgpr31
.LBB50_462:
	s_andn2_saveexec_b64 s[0:1], s[0:1]
	s_cbranch_execz .LBB50_467
; %bb.463:
	v_cmp_ne_u64_e32 vcc, 1, v[30:31]
	s_and_saveexec_b64 s[0:1], vcc
	s_xor_b64 s[0:1], exec, s[0:1]
	s_cbranch_execz .LBB50_465
; %bb.464:
	s_waitcnt lgkmcnt(0)
	flat_store_dwordx2 v[38:39], v[4:5]
                                        ; implicit-def: $vgpr38_vgpr39
                                        ; implicit-def: $vgpr4_vgpr5_vgpr6_vgpr7
.LBB50_465:
	s_andn2_saveexec_b64 s[0:1], s[0:1]
	s_cbranch_execz .LBB50_467
; %bb.466:
	s_waitcnt lgkmcnt(0)
	flat_store_dwordx2 v[38:39], v[6:7]
.LBB50_467:
	s_or_b64 exec, exec, s[4:5]
.LBB50_468:
	s_or_b64 exec, exec, s[2:3]
	v_readlane_b32 s30, v74, 0
	v_readlane_b32 s31, v74, 1
	s_or_saveexec_b64 s[0:1], -1
	scratch_load_dword v74, off, s32        ; 4-byte Folded Reload
	s_mov_b64 exec, s[0:1]
	s_waitcnt vmcnt(0) lgkmcnt(0)
	s_setpc_b64 s[30:31]
.Lfunc_end50:
	.size	_ZZZN7rocprim17ROCPRIM_400000_NS6detail9scan_implILNS1_25lookback_scan_determinismE0ELb0ELb0ENS0_14default_configEPKdPddZZZN2at6native31launch_logcumsumexp_cuda_kernelERKNS8_10TensorBaseESC_lENKUlvE_clEvENKUlvE_clEvEUlddE_dEEDaPvRmT3_T4_T5_mT6_P12ihipStream_tbENKUlT_T0_E_clISt17integral_constantIbLb1EESS_IbLb0EEEEDaSO_SP_ENKUlSO_E_clINS1_13target_configIS4_NS1_20scan_config_selectorIdEENS1_11comp_targetILNS1_3genE5ELNS1_11target_archE942ELNS1_3gpuE9ELNS1_3repE0EEELNS0_4arch9wavefront6targetE1EEEEEDaSO_, .Lfunc_end50-_ZZZN7rocprim17ROCPRIM_400000_NS6detail9scan_implILNS1_25lookback_scan_determinismE0ELb0ELb0ENS0_14default_configEPKdPddZZZN2at6native31launch_logcumsumexp_cuda_kernelERKNS8_10TensorBaseESC_lENKUlvE_clEvENKUlvE_clEvEUlddE_dEEDaPvRmT3_T4_T5_mT6_P12ihipStream_tbENKUlT_T0_E_clISt17integral_constantIbLb1EESS_IbLb0EEEEDaSO_SP_ENKUlSO_E_clINS1_13target_configIS4_NS1_20scan_config_selectorIdEENS1_11comp_targetILNS1_3genE5ELNS1_11target_archE942ELNS1_3gpuE9ELNS1_3repE0EEELNS0_4arch9wavefront6targetE1EEEEEDaSO_
                                        ; -- End function
	.section	.AMDGPU.csdata,"",@progbits
; Function info:
; codeLenInByte = 163932
; NumSgprs: 88
; NumVgprs: 248
; NumAgprs: 0
; TotalNumVgprs: 248
; ScratchSize: 8
; MemoryBound: 0
	.section	.text._ZN7rocprim17ROCPRIM_400000_NS6detail17trampoline_kernelINS0_14default_configENS1_20scan_config_selectorIdEEZZNS1_9scan_implILNS1_25lookback_scan_determinismE0ELb0ELb0ES3_PKdPddZZZN2at6native31launch_logcumsumexp_cuda_kernelERKNSB_10TensorBaseESF_lENKUlvE_clEvENKUlvE_clEvEUlddE_dEEDaPvRmT3_T4_T5_mT6_P12ihipStream_tbENKUlT_T0_E_clISt17integral_constantIbLb1EESV_IbLb0EEEEDaSR_SS_EUlSR_E_NS1_11comp_targetILNS1_3genE5ELNS1_11target_archE942ELNS1_3gpuE9ELNS1_3repE0EEENS1_30default_config_static_selectorELNS0_4arch9wavefront6targetE1EEEvT1_,"axG",@progbits,_ZN7rocprim17ROCPRIM_400000_NS6detail17trampoline_kernelINS0_14default_configENS1_20scan_config_selectorIdEEZZNS1_9scan_implILNS1_25lookback_scan_determinismE0ELb0ELb0ES3_PKdPddZZZN2at6native31launch_logcumsumexp_cuda_kernelERKNSB_10TensorBaseESF_lENKUlvE_clEvENKUlvE_clEvEUlddE_dEEDaPvRmT3_T4_T5_mT6_P12ihipStream_tbENKUlT_T0_E_clISt17integral_constantIbLb1EESV_IbLb0EEEEDaSR_SS_EUlSR_E_NS1_11comp_targetILNS1_3genE5ELNS1_11target_archE942ELNS1_3gpuE9ELNS1_3repE0EEENS1_30default_config_static_selectorELNS0_4arch9wavefront6targetE1EEEvT1_,comdat
	.globl	_ZN7rocprim17ROCPRIM_400000_NS6detail17trampoline_kernelINS0_14default_configENS1_20scan_config_selectorIdEEZZNS1_9scan_implILNS1_25lookback_scan_determinismE0ELb0ELb0ES3_PKdPddZZZN2at6native31launch_logcumsumexp_cuda_kernelERKNSB_10TensorBaseESF_lENKUlvE_clEvENKUlvE_clEvEUlddE_dEEDaPvRmT3_T4_T5_mT6_P12ihipStream_tbENKUlT_T0_E_clISt17integral_constantIbLb1EESV_IbLb0EEEEDaSR_SS_EUlSR_E_NS1_11comp_targetILNS1_3genE5ELNS1_11target_archE942ELNS1_3gpuE9ELNS1_3repE0EEENS1_30default_config_static_selectorELNS0_4arch9wavefront6targetE1EEEvT1_ ; -- Begin function _ZN7rocprim17ROCPRIM_400000_NS6detail17trampoline_kernelINS0_14default_configENS1_20scan_config_selectorIdEEZZNS1_9scan_implILNS1_25lookback_scan_determinismE0ELb0ELb0ES3_PKdPddZZZN2at6native31launch_logcumsumexp_cuda_kernelERKNSB_10TensorBaseESF_lENKUlvE_clEvENKUlvE_clEvEUlddE_dEEDaPvRmT3_T4_T5_mT6_P12ihipStream_tbENKUlT_T0_E_clISt17integral_constantIbLb1EESV_IbLb0EEEEDaSR_SS_EUlSR_E_NS1_11comp_targetILNS1_3genE5ELNS1_11target_archE942ELNS1_3gpuE9ELNS1_3repE0EEENS1_30default_config_static_selectorELNS0_4arch9wavefront6targetE1EEEvT1_
	.p2align	8
	.type	_ZN7rocprim17ROCPRIM_400000_NS6detail17trampoline_kernelINS0_14default_configENS1_20scan_config_selectorIdEEZZNS1_9scan_implILNS1_25lookback_scan_determinismE0ELb0ELb0ES3_PKdPddZZZN2at6native31launch_logcumsumexp_cuda_kernelERKNSB_10TensorBaseESF_lENKUlvE_clEvENKUlvE_clEvEUlddE_dEEDaPvRmT3_T4_T5_mT6_P12ihipStream_tbENKUlT_T0_E_clISt17integral_constantIbLb1EESV_IbLb0EEEEDaSR_SS_EUlSR_E_NS1_11comp_targetILNS1_3genE5ELNS1_11target_archE942ELNS1_3gpuE9ELNS1_3repE0EEENS1_30default_config_static_selectorELNS0_4arch9wavefront6targetE1EEEvT1_,@function
_ZN7rocprim17ROCPRIM_400000_NS6detail17trampoline_kernelINS0_14default_configENS1_20scan_config_selectorIdEEZZNS1_9scan_implILNS1_25lookback_scan_determinismE0ELb0ELb0ES3_PKdPddZZZN2at6native31launch_logcumsumexp_cuda_kernelERKNSB_10TensorBaseESF_lENKUlvE_clEvENKUlvE_clEvEUlddE_dEEDaPvRmT3_T4_T5_mT6_P12ihipStream_tbENKUlT_T0_E_clISt17integral_constantIbLb1EESV_IbLb0EEEEDaSR_SS_EUlSR_E_NS1_11comp_targetILNS1_3genE5ELNS1_11target_archE942ELNS1_3gpuE9ELNS1_3repE0EEENS1_30default_config_static_selectorELNS0_4arch9wavefront6targetE1EEEvT1_: ; @_ZN7rocprim17ROCPRIM_400000_NS6detail17trampoline_kernelINS0_14default_configENS1_20scan_config_selectorIdEEZZNS1_9scan_implILNS1_25lookback_scan_determinismE0ELb0ELb0ES3_PKdPddZZZN2at6native31launch_logcumsumexp_cuda_kernelERKNSB_10TensorBaseESF_lENKUlvE_clEvENKUlvE_clEvEUlddE_dEEDaPvRmT3_T4_T5_mT6_P12ihipStream_tbENKUlT_T0_E_clISt17integral_constantIbLb1EESV_IbLb0EEEEDaSR_SS_EUlSR_E_NS1_11comp_targetILNS1_3genE5ELNS1_11target_archE942ELNS1_3gpuE9ELNS1_3repE0EEENS1_30default_config_static_selectorELNS0_4arch9wavefront6targetE1EEEvT1_
; %bb.0:
	s_load_dwordx8 s[4:11], s[0:1], 0x0
	s_load_dwordx8 s[12:19], s[0:1], 0x20
	s_mov_b64 s[20:21], src_private_base
	v_mov_b32_e32 v31, v0
	v_mov_b32_e32 v0, 0
	s_waitcnt lgkmcnt(0)
	v_mov_b64_e32 v[2:3], s[4:5]
	v_mov_b64_e32 v[4:5], s[6:7]
	scratch_store_dwordx4 off, v[2:5], off
	v_mov_b32_e32 v1, s21
	s_movk_i32 s32, 0x70
	v_mov_b64_e32 v[2:3], s[8:9]
	v_mov_b64_e32 v[4:5], s[10:11]
	s_load_dwordx8 s[4:11], s[0:1], 0x40
	scratch_store_dwordx4 off, v[2:5], off offset:16
	s_nop 1
	v_mov_b64_e32 v[2:3], s[12:13]
	v_mov_b64_e32 v[4:5], s[14:15]
	scratch_store_dwordx4 off, v[2:5], off offset:32
	s_load_dwordx2 s[12:13], s[0:1], 0x60
	s_nop 0
	v_mov_b64_e32 v[2:3], s[16:17]
	v_mov_b64_e32 v[4:5], s[18:19]
	scratch_store_dwordx4 off, v[2:5], off offset:48
	s_waitcnt lgkmcnt(0)
	s_nop 0
	v_mov_b64_e32 v[2:3], s[4:5]
	v_mov_b64_e32 v[4:5], s[6:7]
	scratch_store_dwordx4 off, v[2:5], off offset:64
	s_nop 1
	v_mov_b64_e32 v[2:3], s[8:9]
	v_mov_b64_e32 v[4:5], s[10:11]
	s_add_u32 s8, s0, 0x68
	scratch_store_dwordx4 off, v[2:5], off offset:80
	s_addc_u32 s9, s1, 0
	s_getpc_b64 s[0:1]
	s_add_u32 s0, s0, _ZZZN7rocprim17ROCPRIM_400000_NS6detail9scan_implILNS1_25lookback_scan_determinismE0ELb0ELb0ENS0_14default_configEPKdPddZZZN2at6native31launch_logcumsumexp_cuda_kernelERKNS8_10TensorBaseESC_lENKUlvE_clEvENKUlvE_clEvEUlddE_dEEDaPvRmT3_T4_T5_mT6_P12ihipStream_tbENKUlT_T0_E_clISt17integral_constantIbLb1EESS_IbLb0EEEEDaSO_SP_ENKUlSO_E_clINS1_13target_configIS4_NS1_20scan_config_selectorIdEENS1_11comp_targetILNS1_3genE5ELNS1_11target_archE942ELNS1_3gpuE9ELNS1_3repE0EEELNS0_4arch9wavefront6targetE1EEEEEDaSO_@rel32@lo+4
	s_addc_u32 s1, s1, _ZZZN7rocprim17ROCPRIM_400000_NS6detail9scan_implILNS1_25lookback_scan_determinismE0ELb0ELb0ENS0_14default_configEPKdPddZZZN2at6native31launch_logcumsumexp_cuda_kernelERKNS8_10TensorBaseESC_lENKUlvE_clEvENKUlvE_clEvEUlddE_dEEDaPvRmT3_T4_T5_mT6_P12ihipStream_tbENKUlT_T0_E_clISt17integral_constantIbLb1EESS_IbLb0EEEEDaSO_SP_ENKUlSO_E_clINS1_13target_configIS4_NS1_20scan_config_selectorIdEENS1_11comp_targetILNS1_3genE5ELNS1_11target_archE942ELNS1_3gpuE9ELNS1_3repE0EEELNS0_4arch9wavefront6targetE1EEEEEDaSO_@rel32@hi+12
	v_mov_b64_e32 v[2:3], s[12:13]
	s_mov_b32 s12, s2
	scratch_store_dwordx2 off, v[2:3], off offset:96
	s_swappc_b64 s[30:31], s[0:1]
	s_endpgm
	.section	.rodata,"a",@progbits
	.p2align	6, 0x0
	.amdhsa_kernel _ZN7rocprim17ROCPRIM_400000_NS6detail17trampoline_kernelINS0_14default_configENS1_20scan_config_selectorIdEEZZNS1_9scan_implILNS1_25lookback_scan_determinismE0ELb0ELb0ES3_PKdPddZZZN2at6native31launch_logcumsumexp_cuda_kernelERKNSB_10TensorBaseESF_lENKUlvE_clEvENKUlvE_clEvEUlddE_dEEDaPvRmT3_T4_T5_mT6_P12ihipStream_tbENKUlT_T0_E_clISt17integral_constantIbLb1EESV_IbLb0EEEEDaSR_SS_EUlSR_E_NS1_11comp_targetILNS1_3genE5ELNS1_11target_archE942ELNS1_3gpuE9ELNS1_3repE0EEENS1_30default_config_static_selectorELNS0_4arch9wavefront6targetE1EEEvT1_
		.amdhsa_group_segment_fixed_size 30720
		.amdhsa_private_segment_fixed_size 120
		.amdhsa_kernarg_size 360
		.amdhsa_user_sgpr_count 2
		.amdhsa_user_sgpr_dispatch_ptr 0
		.amdhsa_user_sgpr_queue_ptr 0
		.amdhsa_user_sgpr_kernarg_segment_ptr 1
		.amdhsa_user_sgpr_dispatch_id 0
		.amdhsa_user_sgpr_kernarg_preload_length 0
		.amdhsa_user_sgpr_kernarg_preload_offset 0
		.amdhsa_user_sgpr_private_segment_size 0
		.amdhsa_uses_dynamic_stack 0
		.amdhsa_enable_private_segment 1
		.amdhsa_system_sgpr_workgroup_id_x 1
		.amdhsa_system_sgpr_workgroup_id_y 0
		.amdhsa_system_sgpr_workgroup_id_z 0
		.amdhsa_system_sgpr_workgroup_info 0
		.amdhsa_system_vgpr_workitem_id 0
		.amdhsa_next_free_vgpr 248
		.amdhsa_next_free_sgpr 82
		.amdhsa_accum_offset 248
		.amdhsa_reserve_vcc 1
		.amdhsa_float_round_mode_32 0
		.amdhsa_float_round_mode_16_64 0
		.amdhsa_float_denorm_mode_32 3
		.amdhsa_float_denorm_mode_16_64 3
		.amdhsa_dx10_clamp 1
		.amdhsa_ieee_mode 1
		.amdhsa_fp16_overflow 0
		.amdhsa_tg_split 0
		.amdhsa_exception_fp_ieee_invalid_op 0
		.amdhsa_exception_fp_denorm_src 0
		.amdhsa_exception_fp_ieee_div_zero 0
		.amdhsa_exception_fp_ieee_overflow 0
		.amdhsa_exception_fp_ieee_underflow 0
		.amdhsa_exception_fp_ieee_inexact 0
		.amdhsa_exception_int_div_zero 0
	.end_amdhsa_kernel
	.section	.text._ZN7rocprim17ROCPRIM_400000_NS6detail17trampoline_kernelINS0_14default_configENS1_20scan_config_selectorIdEEZZNS1_9scan_implILNS1_25lookback_scan_determinismE0ELb0ELb0ES3_PKdPddZZZN2at6native31launch_logcumsumexp_cuda_kernelERKNSB_10TensorBaseESF_lENKUlvE_clEvENKUlvE_clEvEUlddE_dEEDaPvRmT3_T4_T5_mT6_P12ihipStream_tbENKUlT_T0_E_clISt17integral_constantIbLb1EESV_IbLb0EEEEDaSR_SS_EUlSR_E_NS1_11comp_targetILNS1_3genE5ELNS1_11target_archE942ELNS1_3gpuE9ELNS1_3repE0EEENS1_30default_config_static_selectorELNS0_4arch9wavefront6targetE1EEEvT1_,"axG",@progbits,_ZN7rocprim17ROCPRIM_400000_NS6detail17trampoline_kernelINS0_14default_configENS1_20scan_config_selectorIdEEZZNS1_9scan_implILNS1_25lookback_scan_determinismE0ELb0ELb0ES3_PKdPddZZZN2at6native31launch_logcumsumexp_cuda_kernelERKNSB_10TensorBaseESF_lENKUlvE_clEvENKUlvE_clEvEUlddE_dEEDaPvRmT3_T4_T5_mT6_P12ihipStream_tbENKUlT_T0_E_clISt17integral_constantIbLb1EESV_IbLb0EEEEDaSR_SS_EUlSR_E_NS1_11comp_targetILNS1_3genE5ELNS1_11target_archE942ELNS1_3gpuE9ELNS1_3repE0EEENS1_30default_config_static_selectorELNS0_4arch9wavefront6targetE1EEEvT1_,comdat
.Lfunc_end51:
	.size	_ZN7rocprim17ROCPRIM_400000_NS6detail17trampoline_kernelINS0_14default_configENS1_20scan_config_selectorIdEEZZNS1_9scan_implILNS1_25lookback_scan_determinismE0ELb0ELb0ES3_PKdPddZZZN2at6native31launch_logcumsumexp_cuda_kernelERKNSB_10TensorBaseESF_lENKUlvE_clEvENKUlvE_clEvEUlddE_dEEDaPvRmT3_T4_T5_mT6_P12ihipStream_tbENKUlT_T0_E_clISt17integral_constantIbLb1EESV_IbLb0EEEEDaSR_SS_EUlSR_E_NS1_11comp_targetILNS1_3genE5ELNS1_11target_archE942ELNS1_3gpuE9ELNS1_3repE0EEENS1_30default_config_static_selectorELNS0_4arch9wavefront6targetE1EEEvT1_, .Lfunc_end51-_ZN7rocprim17ROCPRIM_400000_NS6detail17trampoline_kernelINS0_14default_configENS1_20scan_config_selectorIdEEZZNS1_9scan_implILNS1_25lookback_scan_determinismE0ELb0ELb0ES3_PKdPddZZZN2at6native31launch_logcumsumexp_cuda_kernelERKNSB_10TensorBaseESF_lENKUlvE_clEvENKUlvE_clEvEUlddE_dEEDaPvRmT3_T4_T5_mT6_P12ihipStream_tbENKUlT_T0_E_clISt17integral_constantIbLb1EESV_IbLb0EEEEDaSR_SS_EUlSR_E_NS1_11comp_targetILNS1_3genE5ELNS1_11target_archE942ELNS1_3gpuE9ELNS1_3repE0EEENS1_30default_config_static_selectorELNS0_4arch9wavefront6targetE1EEEvT1_
                                        ; -- End function
	.section	.AMDGPU.csdata,"",@progbits
; Kernel info:
; codeLenInByte = 228
; NumSgprs: 88
; NumVgprs: 248
; NumAgprs: 0
; TotalNumVgprs: 248
; ScratchSize: 120
; MemoryBound: 0
; FloatMode: 240
; IeeeMode: 1
; LDSByteSize: 30720 bytes/workgroup (compile time only)
; SGPRBlocks: 10
; VGPRBlocks: 30
; NumSGPRsForWavesPerEU: 88
; NumVGPRsForWavesPerEU: 248
; AccumOffset: 248
; Occupancy: 2
; WaveLimiterHint : 1
; COMPUTE_PGM_RSRC2:SCRATCH_EN: 1
; COMPUTE_PGM_RSRC2:USER_SGPR: 2
; COMPUTE_PGM_RSRC2:TRAP_HANDLER: 0
; COMPUTE_PGM_RSRC2:TGID_X_EN: 1
; COMPUTE_PGM_RSRC2:TGID_Y_EN: 0
; COMPUTE_PGM_RSRC2:TGID_Z_EN: 0
; COMPUTE_PGM_RSRC2:TIDIG_COMP_CNT: 0
; COMPUTE_PGM_RSRC3_GFX90A:ACCUM_OFFSET: 61
; COMPUTE_PGM_RSRC3_GFX90A:TG_SPLIT: 0
	.section	.text._ZN7rocprim17ROCPRIM_400000_NS6detail17trampoline_kernelINS0_14default_configENS1_20scan_config_selectorIdEEZZNS1_9scan_implILNS1_25lookback_scan_determinismE0ELb0ELb0ES3_PKdPddZZZN2at6native31launch_logcumsumexp_cuda_kernelERKNSB_10TensorBaseESF_lENKUlvE_clEvENKUlvE_clEvEUlddE_dEEDaPvRmT3_T4_T5_mT6_P12ihipStream_tbENKUlT_T0_E_clISt17integral_constantIbLb1EESV_IbLb0EEEEDaSR_SS_EUlSR_E_NS1_11comp_targetILNS1_3genE4ELNS1_11target_archE910ELNS1_3gpuE8ELNS1_3repE0EEENS1_30default_config_static_selectorELNS0_4arch9wavefront6targetE1EEEvT1_,"axG",@progbits,_ZN7rocprim17ROCPRIM_400000_NS6detail17trampoline_kernelINS0_14default_configENS1_20scan_config_selectorIdEEZZNS1_9scan_implILNS1_25lookback_scan_determinismE0ELb0ELb0ES3_PKdPddZZZN2at6native31launch_logcumsumexp_cuda_kernelERKNSB_10TensorBaseESF_lENKUlvE_clEvENKUlvE_clEvEUlddE_dEEDaPvRmT3_T4_T5_mT6_P12ihipStream_tbENKUlT_T0_E_clISt17integral_constantIbLb1EESV_IbLb0EEEEDaSR_SS_EUlSR_E_NS1_11comp_targetILNS1_3genE4ELNS1_11target_archE910ELNS1_3gpuE8ELNS1_3repE0EEENS1_30default_config_static_selectorELNS0_4arch9wavefront6targetE1EEEvT1_,comdat
	.globl	_ZN7rocprim17ROCPRIM_400000_NS6detail17trampoline_kernelINS0_14default_configENS1_20scan_config_selectorIdEEZZNS1_9scan_implILNS1_25lookback_scan_determinismE0ELb0ELb0ES3_PKdPddZZZN2at6native31launch_logcumsumexp_cuda_kernelERKNSB_10TensorBaseESF_lENKUlvE_clEvENKUlvE_clEvEUlddE_dEEDaPvRmT3_T4_T5_mT6_P12ihipStream_tbENKUlT_T0_E_clISt17integral_constantIbLb1EESV_IbLb0EEEEDaSR_SS_EUlSR_E_NS1_11comp_targetILNS1_3genE4ELNS1_11target_archE910ELNS1_3gpuE8ELNS1_3repE0EEENS1_30default_config_static_selectorELNS0_4arch9wavefront6targetE1EEEvT1_ ; -- Begin function _ZN7rocprim17ROCPRIM_400000_NS6detail17trampoline_kernelINS0_14default_configENS1_20scan_config_selectorIdEEZZNS1_9scan_implILNS1_25lookback_scan_determinismE0ELb0ELb0ES3_PKdPddZZZN2at6native31launch_logcumsumexp_cuda_kernelERKNSB_10TensorBaseESF_lENKUlvE_clEvENKUlvE_clEvEUlddE_dEEDaPvRmT3_T4_T5_mT6_P12ihipStream_tbENKUlT_T0_E_clISt17integral_constantIbLb1EESV_IbLb0EEEEDaSR_SS_EUlSR_E_NS1_11comp_targetILNS1_3genE4ELNS1_11target_archE910ELNS1_3gpuE8ELNS1_3repE0EEENS1_30default_config_static_selectorELNS0_4arch9wavefront6targetE1EEEvT1_
	.p2align	8
	.type	_ZN7rocprim17ROCPRIM_400000_NS6detail17trampoline_kernelINS0_14default_configENS1_20scan_config_selectorIdEEZZNS1_9scan_implILNS1_25lookback_scan_determinismE0ELb0ELb0ES3_PKdPddZZZN2at6native31launch_logcumsumexp_cuda_kernelERKNSB_10TensorBaseESF_lENKUlvE_clEvENKUlvE_clEvEUlddE_dEEDaPvRmT3_T4_T5_mT6_P12ihipStream_tbENKUlT_T0_E_clISt17integral_constantIbLb1EESV_IbLb0EEEEDaSR_SS_EUlSR_E_NS1_11comp_targetILNS1_3genE4ELNS1_11target_archE910ELNS1_3gpuE8ELNS1_3repE0EEENS1_30default_config_static_selectorELNS0_4arch9wavefront6targetE1EEEvT1_,@function
_ZN7rocprim17ROCPRIM_400000_NS6detail17trampoline_kernelINS0_14default_configENS1_20scan_config_selectorIdEEZZNS1_9scan_implILNS1_25lookback_scan_determinismE0ELb0ELb0ES3_PKdPddZZZN2at6native31launch_logcumsumexp_cuda_kernelERKNSB_10TensorBaseESF_lENKUlvE_clEvENKUlvE_clEvEUlddE_dEEDaPvRmT3_T4_T5_mT6_P12ihipStream_tbENKUlT_T0_E_clISt17integral_constantIbLb1EESV_IbLb0EEEEDaSR_SS_EUlSR_E_NS1_11comp_targetILNS1_3genE4ELNS1_11target_archE910ELNS1_3gpuE8ELNS1_3repE0EEENS1_30default_config_static_selectorELNS0_4arch9wavefront6targetE1EEEvT1_: ; @_ZN7rocprim17ROCPRIM_400000_NS6detail17trampoline_kernelINS0_14default_configENS1_20scan_config_selectorIdEEZZNS1_9scan_implILNS1_25lookback_scan_determinismE0ELb0ELb0ES3_PKdPddZZZN2at6native31launch_logcumsumexp_cuda_kernelERKNSB_10TensorBaseESF_lENKUlvE_clEvENKUlvE_clEvEUlddE_dEEDaPvRmT3_T4_T5_mT6_P12ihipStream_tbENKUlT_T0_E_clISt17integral_constantIbLb1EESV_IbLb0EEEEDaSR_SS_EUlSR_E_NS1_11comp_targetILNS1_3genE4ELNS1_11target_archE910ELNS1_3gpuE8ELNS1_3repE0EEENS1_30default_config_static_selectorELNS0_4arch9wavefront6targetE1EEEvT1_
; %bb.0:
	.section	.rodata,"a",@progbits
	.p2align	6, 0x0
	.amdhsa_kernel _ZN7rocprim17ROCPRIM_400000_NS6detail17trampoline_kernelINS0_14default_configENS1_20scan_config_selectorIdEEZZNS1_9scan_implILNS1_25lookback_scan_determinismE0ELb0ELb0ES3_PKdPddZZZN2at6native31launch_logcumsumexp_cuda_kernelERKNSB_10TensorBaseESF_lENKUlvE_clEvENKUlvE_clEvEUlddE_dEEDaPvRmT3_T4_T5_mT6_P12ihipStream_tbENKUlT_T0_E_clISt17integral_constantIbLb1EESV_IbLb0EEEEDaSR_SS_EUlSR_E_NS1_11comp_targetILNS1_3genE4ELNS1_11target_archE910ELNS1_3gpuE8ELNS1_3repE0EEENS1_30default_config_static_selectorELNS0_4arch9wavefront6targetE1EEEvT1_
		.amdhsa_group_segment_fixed_size 0
		.amdhsa_private_segment_fixed_size 0
		.amdhsa_kernarg_size 104
		.amdhsa_user_sgpr_count 2
		.amdhsa_user_sgpr_dispatch_ptr 0
		.amdhsa_user_sgpr_queue_ptr 0
		.amdhsa_user_sgpr_kernarg_segment_ptr 1
		.amdhsa_user_sgpr_dispatch_id 0
		.amdhsa_user_sgpr_kernarg_preload_length 0
		.amdhsa_user_sgpr_kernarg_preload_offset 0
		.amdhsa_user_sgpr_private_segment_size 0
		.amdhsa_uses_dynamic_stack 0
		.amdhsa_enable_private_segment 0
		.amdhsa_system_sgpr_workgroup_id_x 1
		.amdhsa_system_sgpr_workgroup_id_y 0
		.amdhsa_system_sgpr_workgroup_id_z 0
		.amdhsa_system_sgpr_workgroup_info 0
		.amdhsa_system_vgpr_workitem_id 0
		.amdhsa_next_free_vgpr 1
		.amdhsa_next_free_sgpr 0
		.amdhsa_accum_offset 4
		.amdhsa_reserve_vcc 0
		.amdhsa_float_round_mode_32 0
		.amdhsa_float_round_mode_16_64 0
		.amdhsa_float_denorm_mode_32 3
		.amdhsa_float_denorm_mode_16_64 3
		.amdhsa_dx10_clamp 1
		.amdhsa_ieee_mode 1
		.amdhsa_fp16_overflow 0
		.amdhsa_tg_split 0
		.amdhsa_exception_fp_ieee_invalid_op 0
		.amdhsa_exception_fp_denorm_src 0
		.amdhsa_exception_fp_ieee_div_zero 0
		.amdhsa_exception_fp_ieee_overflow 0
		.amdhsa_exception_fp_ieee_underflow 0
		.amdhsa_exception_fp_ieee_inexact 0
		.amdhsa_exception_int_div_zero 0
	.end_amdhsa_kernel
	.section	.text._ZN7rocprim17ROCPRIM_400000_NS6detail17trampoline_kernelINS0_14default_configENS1_20scan_config_selectorIdEEZZNS1_9scan_implILNS1_25lookback_scan_determinismE0ELb0ELb0ES3_PKdPddZZZN2at6native31launch_logcumsumexp_cuda_kernelERKNSB_10TensorBaseESF_lENKUlvE_clEvENKUlvE_clEvEUlddE_dEEDaPvRmT3_T4_T5_mT6_P12ihipStream_tbENKUlT_T0_E_clISt17integral_constantIbLb1EESV_IbLb0EEEEDaSR_SS_EUlSR_E_NS1_11comp_targetILNS1_3genE4ELNS1_11target_archE910ELNS1_3gpuE8ELNS1_3repE0EEENS1_30default_config_static_selectorELNS0_4arch9wavefront6targetE1EEEvT1_,"axG",@progbits,_ZN7rocprim17ROCPRIM_400000_NS6detail17trampoline_kernelINS0_14default_configENS1_20scan_config_selectorIdEEZZNS1_9scan_implILNS1_25lookback_scan_determinismE0ELb0ELb0ES3_PKdPddZZZN2at6native31launch_logcumsumexp_cuda_kernelERKNSB_10TensorBaseESF_lENKUlvE_clEvENKUlvE_clEvEUlddE_dEEDaPvRmT3_T4_T5_mT6_P12ihipStream_tbENKUlT_T0_E_clISt17integral_constantIbLb1EESV_IbLb0EEEEDaSR_SS_EUlSR_E_NS1_11comp_targetILNS1_3genE4ELNS1_11target_archE910ELNS1_3gpuE8ELNS1_3repE0EEENS1_30default_config_static_selectorELNS0_4arch9wavefront6targetE1EEEvT1_,comdat
.Lfunc_end52:
	.size	_ZN7rocprim17ROCPRIM_400000_NS6detail17trampoline_kernelINS0_14default_configENS1_20scan_config_selectorIdEEZZNS1_9scan_implILNS1_25lookback_scan_determinismE0ELb0ELb0ES3_PKdPddZZZN2at6native31launch_logcumsumexp_cuda_kernelERKNSB_10TensorBaseESF_lENKUlvE_clEvENKUlvE_clEvEUlddE_dEEDaPvRmT3_T4_T5_mT6_P12ihipStream_tbENKUlT_T0_E_clISt17integral_constantIbLb1EESV_IbLb0EEEEDaSR_SS_EUlSR_E_NS1_11comp_targetILNS1_3genE4ELNS1_11target_archE910ELNS1_3gpuE8ELNS1_3repE0EEENS1_30default_config_static_selectorELNS0_4arch9wavefront6targetE1EEEvT1_, .Lfunc_end52-_ZN7rocprim17ROCPRIM_400000_NS6detail17trampoline_kernelINS0_14default_configENS1_20scan_config_selectorIdEEZZNS1_9scan_implILNS1_25lookback_scan_determinismE0ELb0ELb0ES3_PKdPddZZZN2at6native31launch_logcumsumexp_cuda_kernelERKNSB_10TensorBaseESF_lENKUlvE_clEvENKUlvE_clEvEUlddE_dEEDaPvRmT3_T4_T5_mT6_P12ihipStream_tbENKUlT_T0_E_clISt17integral_constantIbLb1EESV_IbLb0EEEEDaSR_SS_EUlSR_E_NS1_11comp_targetILNS1_3genE4ELNS1_11target_archE910ELNS1_3gpuE8ELNS1_3repE0EEENS1_30default_config_static_selectorELNS0_4arch9wavefront6targetE1EEEvT1_
                                        ; -- End function
	.section	.AMDGPU.csdata,"",@progbits
; Kernel info:
; codeLenInByte = 0
; NumSgprs: 6
; NumVgprs: 0
; NumAgprs: 0
; TotalNumVgprs: 0
; ScratchSize: 0
; MemoryBound: 0
; FloatMode: 240
; IeeeMode: 1
; LDSByteSize: 0 bytes/workgroup (compile time only)
; SGPRBlocks: 0
; VGPRBlocks: 0
; NumSGPRsForWavesPerEU: 6
; NumVGPRsForWavesPerEU: 1
; AccumOffset: 4
; Occupancy: 8
; WaveLimiterHint : 0
; COMPUTE_PGM_RSRC2:SCRATCH_EN: 0
; COMPUTE_PGM_RSRC2:USER_SGPR: 2
; COMPUTE_PGM_RSRC2:TRAP_HANDLER: 0
; COMPUTE_PGM_RSRC2:TGID_X_EN: 1
; COMPUTE_PGM_RSRC2:TGID_Y_EN: 0
; COMPUTE_PGM_RSRC2:TGID_Z_EN: 0
; COMPUTE_PGM_RSRC2:TIDIG_COMP_CNT: 0
; COMPUTE_PGM_RSRC3_GFX90A:ACCUM_OFFSET: 0
; COMPUTE_PGM_RSRC3_GFX90A:TG_SPLIT: 0
	.section	.text._ZN7rocprim17ROCPRIM_400000_NS6detail17trampoline_kernelINS0_14default_configENS1_20scan_config_selectorIdEEZZNS1_9scan_implILNS1_25lookback_scan_determinismE0ELb0ELb0ES3_PKdPddZZZN2at6native31launch_logcumsumexp_cuda_kernelERKNSB_10TensorBaseESF_lENKUlvE_clEvENKUlvE_clEvEUlddE_dEEDaPvRmT3_T4_T5_mT6_P12ihipStream_tbENKUlT_T0_E_clISt17integral_constantIbLb1EESV_IbLb0EEEEDaSR_SS_EUlSR_E_NS1_11comp_targetILNS1_3genE3ELNS1_11target_archE908ELNS1_3gpuE7ELNS1_3repE0EEENS1_30default_config_static_selectorELNS0_4arch9wavefront6targetE1EEEvT1_,"axG",@progbits,_ZN7rocprim17ROCPRIM_400000_NS6detail17trampoline_kernelINS0_14default_configENS1_20scan_config_selectorIdEEZZNS1_9scan_implILNS1_25lookback_scan_determinismE0ELb0ELb0ES3_PKdPddZZZN2at6native31launch_logcumsumexp_cuda_kernelERKNSB_10TensorBaseESF_lENKUlvE_clEvENKUlvE_clEvEUlddE_dEEDaPvRmT3_T4_T5_mT6_P12ihipStream_tbENKUlT_T0_E_clISt17integral_constantIbLb1EESV_IbLb0EEEEDaSR_SS_EUlSR_E_NS1_11comp_targetILNS1_3genE3ELNS1_11target_archE908ELNS1_3gpuE7ELNS1_3repE0EEENS1_30default_config_static_selectorELNS0_4arch9wavefront6targetE1EEEvT1_,comdat
	.globl	_ZN7rocprim17ROCPRIM_400000_NS6detail17trampoline_kernelINS0_14default_configENS1_20scan_config_selectorIdEEZZNS1_9scan_implILNS1_25lookback_scan_determinismE0ELb0ELb0ES3_PKdPddZZZN2at6native31launch_logcumsumexp_cuda_kernelERKNSB_10TensorBaseESF_lENKUlvE_clEvENKUlvE_clEvEUlddE_dEEDaPvRmT3_T4_T5_mT6_P12ihipStream_tbENKUlT_T0_E_clISt17integral_constantIbLb1EESV_IbLb0EEEEDaSR_SS_EUlSR_E_NS1_11comp_targetILNS1_3genE3ELNS1_11target_archE908ELNS1_3gpuE7ELNS1_3repE0EEENS1_30default_config_static_selectorELNS0_4arch9wavefront6targetE1EEEvT1_ ; -- Begin function _ZN7rocprim17ROCPRIM_400000_NS6detail17trampoline_kernelINS0_14default_configENS1_20scan_config_selectorIdEEZZNS1_9scan_implILNS1_25lookback_scan_determinismE0ELb0ELb0ES3_PKdPddZZZN2at6native31launch_logcumsumexp_cuda_kernelERKNSB_10TensorBaseESF_lENKUlvE_clEvENKUlvE_clEvEUlddE_dEEDaPvRmT3_T4_T5_mT6_P12ihipStream_tbENKUlT_T0_E_clISt17integral_constantIbLb1EESV_IbLb0EEEEDaSR_SS_EUlSR_E_NS1_11comp_targetILNS1_3genE3ELNS1_11target_archE908ELNS1_3gpuE7ELNS1_3repE0EEENS1_30default_config_static_selectorELNS0_4arch9wavefront6targetE1EEEvT1_
	.p2align	8
	.type	_ZN7rocprim17ROCPRIM_400000_NS6detail17trampoline_kernelINS0_14default_configENS1_20scan_config_selectorIdEEZZNS1_9scan_implILNS1_25lookback_scan_determinismE0ELb0ELb0ES3_PKdPddZZZN2at6native31launch_logcumsumexp_cuda_kernelERKNSB_10TensorBaseESF_lENKUlvE_clEvENKUlvE_clEvEUlddE_dEEDaPvRmT3_T4_T5_mT6_P12ihipStream_tbENKUlT_T0_E_clISt17integral_constantIbLb1EESV_IbLb0EEEEDaSR_SS_EUlSR_E_NS1_11comp_targetILNS1_3genE3ELNS1_11target_archE908ELNS1_3gpuE7ELNS1_3repE0EEENS1_30default_config_static_selectorELNS0_4arch9wavefront6targetE1EEEvT1_,@function
_ZN7rocprim17ROCPRIM_400000_NS6detail17trampoline_kernelINS0_14default_configENS1_20scan_config_selectorIdEEZZNS1_9scan_implILNS1_25lookback_scan_determinismE0ELb0ELb0ES3_PKdPddZZZN2at6native31launch_logcumsumexp_cuda_kernelERKNSB_10TensorBaseESF_lENKUlvE_clEvENKUlvE_clEvEUlddE_dEEDaPvRmT3_T4_T5_mT6_P12ihipStream_tbENKUlT_T0_E_clISt17integral_constantIbLb1EESV_IbLb0EEEEDaSR_SS_EUlSR_E_NS1_11comp_targetILNS1_3genE3ELNS1_11target_archE908ELNS1_3gpuE7ELNS1_3repE0EEENS1_30default_config_static_selectorELNS0_4arch9wavefront6targetE1EEEvT1_: ; @_ZN7rocprim17ROCPRIM_400000_NS6detail17trampoline_kernelINS0_14default_configENS1_20scan_config_selectorIdEEZZNS1_9scan_implILNS1_25lookback_scan_determinismE0ELb0ELb0ES3_PKdPddZZZN2at6native31launch_logcumsumexp_cuda_kernelERKNSB_10TensorBaseESF_lENKUlvE_clEvENKUlvE_clEvEUlddE_dEEDaPvRmT3_T4_T5_mT6_P12ihipStream_tbENKUlT_T0_E_clISt17integral_constantIbLb1EESV_IbLb0EEEEDaSR_SS_EUlSR_E_NS1_11comp_targetILNS1_3genE3ELNS1_11target_archE908ELNS1_3gpuE7ELNS1_3repE0EEENS1_30default_config_static_selectorELNS0_4arch9wavefront6targetE1EEEvT1_
; %bb.0:
	.section	.rodata,"a",@progbits
	.p2align	6, 0x0
	.amdhsa_kernel _ZN7rocprim17ROCPRIM_400000_NS6detail17trampoline_kernelINS0_14default_configENS1_20scan_config_selectorIdEEZZNS1_9scan_implILNS1_25lookback_scan_determinismE0ELb0ELb0ES3_PKdPddZZZN2at6native31launch_logcumsumexp_cuda_kernelERKNSB_10TensorBaseESF_lENKUlvE_clEvENKUlvE_clEvEUlddE_dEEDaPvRmT3_T4_T5_mT6_P12ihipStream_tbENKUlT_T0_E_clISt17integral_constantIbLb1EESV_IbLb0EEEEDaSR_SS_EUlSR_E_NS1_11comp_targetILNS1_3genE3ELNS1_11target_archE908ELNS1_3gpuE7ELNS1_3repE0EEENS1_30default_config_static_selectorELNS0_4arch9wavefront6targetE1EEEvT1_
		.amdhsa_group_segment_fixed_size 0
		.amdhsa_private_segment_fixed_size 0
		.amdhsa_kernarg_size 104
		.amdhsa_user_sgpr_count 2
		.amdhsa_user_sgpr_dispatch_ptr 0
		.amdhsa_user_sgpr_queue_ptr 0
		.amdhsa_user_sgpr_kernarg_segment_ptr 1
		.amdhsa_user_sgpr_dispatch_id 0
		.amdhsa_user_sgpr_kernarg_preload_length 0
		.amdhsa_user_sgpr_kernarg_preload_offset 0
		.amdhsa_user_sgpr_private_segment_size 0
		.amdhsa_uses_dynamic_stack 0
		.amdhsa_enable_private_segment 0
		.amdhsa_system_sgpr_workgroup_id_x 1
		.amdhsa_system_sgpr_workgroup_id_y 0
		.amdhsa_system_sgpr_workgroup_id_z 0
		.amdhsa_system_sgpr_workgroup_info 0
		.amdhsa_system_vgpr_workitem_id 0
		.amdhsa_next_free_vgpr 1
		.amdhsa_next_free_sgpr 0
		.amdhsa_accum_offset 4
		.amdhsa_reserve_vcc 0
		.amdhsa_float_round_mode_32 0
		.amdhsa_float_round_mode_16_64 0
		.amdhsa_float_denorm_mode_32 3
		.amdhsa_float_denorm_mode_16_64 3
		.amdhsa_dx10_clamp 1
		.amdhsa_ieee_mode 1
		.amdhsa_fp16_overflow 0
		.amdhsa_tg_split 0
		.amdhsa_exception_fp_ieee_invalid_op 0
		.amdhsa_exception_fp_denorm_src 0
		.amdhsa_exception_fp_ieee_div_zero 0
		.amdhsa_exception_fp_ieee_overflow 0
		.amdhsa_exception_fp_ieee_underflow 0
		.amdhsa_exception_fp_ieee_inexact 0
		.amdhsa_exception_int_div_zero 0
	.end_amdhsa_kernel
	.section	.text._ZN7rocprim17ROCPRIM_400000_NS6detail17trampoline_kernelINS0_14default_configENS1_20scan_config_selectorIdEEZZNS1_9scan_implILNS1_25lookback_scan_determinismE0ELb0ELb0ES3_PKdPddZZZN2at6native31launch_logcumsumexp_cuda_kernelERKNSB_10TensorBaseESF_lENKUlvE_clEvENKUlvE_clEvEUlddE_dEEDaPvRmT3_T4_T5_mT6_P12ihipStream_tbENKUlT_T0_E_clISt17integral_constantIbLb1EESV_IbLb0EEEEDaSR_SS_EUlSR_E_NS1_11comp_targetILNS1_3genE3ELNS1_11target_archE908ELNS1_3gpuE7ELNS1_3repE0EEENS1_30default_config_static_selectorELNS0_4arch9wavefront6targetE1EEEvT1_,"axG",@progbits,_ZN7rocprim17ROCPRIM_400000_NS6detail17trampoline_kernelINS0_14default_configENS1_20scan_config_selectorIdEEZZNS1_9scan_implILNS1_25lookback_scan_determinismE0ELb0ELb0ES3_PKdPddZZZN2at6native31launch_logcumsumexp_cuda_kernelERKNSB_10TensorBaseESF_lENKUlvE_clEvENKUlvE_clEvEUlddE_dEEDaPvRmT3_T4_T5_mT6_P12ihipStream_tbENKUlT_T0_E_clISt17integral_constantIbLb1EESV_IbLb0EEEEDaSR_SS_EUlSR_E_NS1_11comp_targetILNS1_3genE3ELNS1_11target_archE908ELNS1_3gpuE7ELNS1_3repE0EEENS1_30default_config_static_selectorELNS0_4arch9wavefront6targetE1EEEvT1_,comdat
.Lfunc_end53:
	.size	_ZN7rocprim17ROCPRIM_400000_NS6detail17trampoline_kernelINS0_14default_configENS1_20scan_config_selectorIdEEZZNS1_9scan_implILNS1_25lookback_scan_determinismE0ELb0ELb0ES3_PKdPddZZZN2at6native31launch_logcumsumexp_cuda_kernelERKNSB_10TensorBaseESF_lENKUlvE_clEvENKUlvE_clEvEUlddE_dEEDaPvRmT3_T4_T5_mT6_P12ihipStream_tbENKUlT_T0_E_clISt17integral_constantIbLb1EESV_IbLb0EEEEDaSR_SS_EUlSR_E_NS1_11comp_targetILNS1_3genE3ELNS1_11target_archE908ELNS1_3gpuE7ELNS1_3repE0EEENS1_30default_config_static_selectorELNS0_4arch9wavefront6targetE1EEEvT1_, .Lfunc_end53-_ZN7rocprim17ROCPRIM_400000_NS6detail17trampoline_kernelINS0_14default_configENS1_20scan_config_selectorIdEEZZNS1_9scan_implILNS1_25lookback_scan_determinismE0ELb0ELb0ES3_PKdPddZZZN2at6native31launch_logcumsumexp_cuda_kernelERKNSB_10TensorBaseESF_lENKUlvE_clEvENKUlvE_clEvEUlddE_dEEDaPvRmT3_T4_T5_mT6_P12ihipStream_tbENKUlT_T0_E_clISt17integral_constantIbLb1EESV_IbLb0EEEEDaSR_SS_EUlSR_E_NS1_11comp_targetILNS1_3genE3ELNS1_11target_archE908ELNS1_3gpuE7ELNS1_3repE0EEENS1_30default_config_static_selectorELNS0_4arch9wavefront6targetE1EEEvT1_
                                        ; -- End function
	.section	.AMDGPU.csdata,"",@progbits
; Kernel info:
; codeLenInByte = 0
; NumSgprs: 6
; NumVgprs: 0
; NumAgprs: 0
; TotalNumVgprs: 0
; ScratchSize: 0
; MemoryBound: 0
; FloatMode: 240
; IeeeMode: 1
; LDSByteSize: 0 bytes/workgroup (compile time only)
; SGPRBlocks: 0
; VGPRBlocks: 0
; NumSGPRsForWavesPerEU: 6
; NumVGPRsForWavesPerEU: 1
; AccumOffset: 4
; Occupancy: 8
; WaveLimiterHint : 0
; COMPUTE_PGM_RSRC2:SCRATCH_EN: 0
; COMPUTE_PGM_RSRC2:USER_SGPR: 2
; COMPUTE_PGM_RSRC2:TRAP_HANDLER: 0
; COMPUTE_PGM_RSRC2:TGID_X_EN: 1
; COMPUTE_PGM_RSRC2:TGID_Y_EN: 0
; COMPUTE_PGM_RSRC2:TGID_Z_EN: 0
; COMPUTE_PGM_RSRC2:TIDIG_COMP_CNT: 0
; COMPUTE_PGM_RSRC3_GFX90A:ACCUM_OFFSET: 0
; COMPUTE_PGM_RSRC3_GFX90A:TG_SPLIT: 0
	.section	.text._ZN7rocprim17ROCPRIM_400000_NS6detail17trampoline_kernelINS0_14default_configENS1_20scan_config_selectorIdEEZZNS1_9scan_implILNS1_25lookback_scan_determinismE0ELb0ELb0ES3_PKdPddZZZN2at6native31launch_logcumsumexp_cuda_kernelERKNSB_10TensorBaseESF_lENKUlvE_clEvENKUlvE_clEvEUlddE_dEEDaPvRmT3_T4_T5_mT6_P12ihipStream_tbENKUlT_T0_E_clISt17integral_constantIbLb1EESV_IbLb0EEEEDaSR_SS_EUlSR_E_NS1_11comp_targetILNS1_3genE2ELNS1_11target_archE906ELNS1_3gpuE6ELNS1_3repE0EEENS1_30default_config_static_selectorELNS0_4arch9wavefront6targetE1EEEvT1_,"axG",@progbits,_ZN7rocprim17ROCPRIM_400000_NS6detail17trampoline_kernelINS0_14default_configENS1_20scan_config_selectorIdEEZZNS1_9scan_implILNS1_25lookback_scan_determinismE0ELb0ELb0ES3_PKdPddZZZN2at6native31launch_logcumsumexp_cuda_kernelERKNSB_10TensorBaseESF_lENKUlvE_clEvENKUlvE_clEvEUlddE_dEEDaPvRmT3_T4_T5_mT6_P12ihipStream_tbENKUlT_T0_E_clISt17integral_constantIbLb1EESV_IbLb0EEEEDaSR_SS_EUlSR_E_NS1_11comp_targetILNS1_3genE2ELNS1_11target_archE906ELNS1_3gpuE6ELNS1_3repE0EEENS1_30default_config_static_selectorELNS0_4arch9wavefront6targetE1EEEvT1_,comdat
	.globl	_ZN7rocprim17ROCPRIM_400000_NS6detail17trampoline_kernelINS0_14default_configENS1_20scan_config_selectorIdEEZZNS1_9scan_implILNS1_25lookback_scan_determinismE0ELb0ELb0ES3_PKdPddZZZN2at6native31launch_logcumsumexp_cuda_kernelERKNSB_10TensorBaseESF_lENKUlvE_clEvENKUlvE_clEvEUlddE_dEEDaPvRmT3_T4_T5_mT6_P12ihipStream_tbENKUlT_T0_E_clISt17integral_constantIbLb1EESV_IbLb0EEEEDaSR_SS_EUlSR_E_NS1_11comp_targetILNS1_3genE2ELNS1_11target_archE906ELNS1_3gpuE6ELNS1_3repE0EEENS1_30default_config_static_selectorELNS0_4arch9wavefront6targetE1EEEvT1_ ; -- Begin function _ZN7rocprim17ROCPRIM_400000_NS6detail17trampoline_kernelINS0_14default_configENS1_20scan_config_selectorIdEEZZNS1_9scan_implILNS1_25lookback_scan_determinismE0ELb0ELb0ES3_PKdPddZZZN2at6native31launch_logcumsumexp_cuda_kernelERKNSB_10TensorBaseESF_lENKUlvE_clEvENKUlvE_clEvEUlddE_dEEDaPvRmT3_T4_T5_mT6_P12ihipStream_tbENKUlT_T0_E_clISt17integral_constantIbLb1EESV_IbLb0EEEEDaSR_SS_EUlSR_E_NS1_11comp_targetILNS1_3genE2ELNS1_11target_archE906ELNS1_3gpuE6ELNS1_3repE0EEENS1_30default_config_static_selectorELNS0_4arch9wavefront6targetE1EEEvT1_
	.p2align	8
	.type	_ZN7rocprim17ROCPRIM_400000_NS6detail17trampoline_kernelINS0_14default_configENS1_20scan_config_selectorIdEEZZNS1_9scan_implILNS1_25lookback_scan_determinismE0ELb0ELb0ES3_PKdPddZZZN2at6native31launch_logcumsumexp_cuda_kernelERKNSB_10TensorBaseESF_lENKUlvE_clEvENKUlvE_clEvEUlddE_dEEDaPvRmT3_T4_T5_mT6_P12ihipStream_tbENKUlT_T0_E_clISt17integral_constantIbLb1EESV_IbLb0EEEEDaSR_SS_EUlSR_E_NS1_11comp_targetILNS1_3genE2ELNS1_11target_archE906ELNS1_3gpuE6ELNS1_3repE0EEENS1_30default_config_static_selectorELNS0_4arch9wavefront6targetE1EEEvT1_,@function
_ZN7rocprim17ROCPRIM_400000_NS6detail17trampoline_kernelINS0_14default_configENS1_20scan_config_selectorIdEEZZNS1_9scan_implILNS1_25lookback_scan_determinismE0ELb0ELb0ES3_PKdPddZZZN2at6native31launch_logcumsumexp_cuda_kernelERKNSB_10TensorBaseESF_lENKUlvE_clEvENKUlvE_clEvEUlddE_dEEDaPvRmT3_T4_T5_mT6_P12ihipStream_tbENKUlT_T0_E_clISt17integral_constantIbLb1EESV_IbLb0EEEEDaSR_SS_EUlSR_E_NS1_11comp_targetILNS1_3genE2ELNS1_11target_archE906ELNS1_3gpuE6ELNS1_3repE0EEENS1_30default_config_static_selectorELNS0_4arch9wavefront6targetE1EEEvT1_: ; @_ZN7rocprim17ROCPRIM_400000_NS6detail17trampoline_kernelINS0_14default_configENS1_20scan_config_selectorIdEEZZNS1_9scan_implILNS1_25lookback_scan_determinismE0ELb0ELb0ES3_PKdPddZZZN2at6native31launch_logcumsumexp_cuda_kernelERKNSB_10TensorBaseESF_lENKUlvE_clEvENKUlvE_clEvEUlddE_dEEDaPvRmT3_T4_T5_mT6_P12ihipStream_tbENKUlT_T0_E_clISt17integral_constantIbLb1EESV_IbLb0EEEEDaSR_SS_EUlSR_E_NS1_11comp_targetILNS1_3genE2ELNS1_11target_archE906ELNS1_3gpuE6ELNS1_3repE0EEENS1_30default_config_static_selectorELNS0_4arch9wavefront6targetE1EEEvT1_
; %bb.0:
	.section	.rodata,"a",@progbits
	.p2align	6, 0x0
	.amdhsa_kernel _ZN7rocprim17ROCPRIM_400000_NS6detail17trampoline_kernelINS0_14default_configENS1_20scan_config_selectorIdEEZZNS1_9scan_implILNS1_25lookback_scan_determinismE0ELb0ELb0ES3_PKdPddZZZN2at6native31launch_logcumsumexp_cuda_kernelERKNSB_10TensorBaseESF_lENKUlvE_clEvENKUlvE_clEvEUlddE_dEEDaPvRmT3_T4_T5_mT6_P12ihipStream_tbENKUlT_T0_E_clISt17integral_constantIbLb1EESV_IbLb0EEEEDaSR_SS_EUlSR_E_NS1_11comp_targetILNS1_3genE2ELNS1_11target_archE906ELNS1_3gpuE6ELNS1_3repE0EEENS1_30default_config_static_selectorELNS0_4arch9wavefront6targetE1EEEvT1_
		.amdhsa_group_segment_fixed_size 0
		.amdhsa_private_segment_fixed_size 0
		.amdhsa_kernarg_size 104
		.amdhsa_user_sgpr_count 2
		.amdhsa_user_sgpr_dispatch_ptr 0
		.amdhsa_user_sgpr_queue_ptr 0
		.amdhsa_user_sgpr_kernarg_segment_ptr 1
		.amdhsa_user_sgpr_dispatch_id 0
		.amdhsa_user_sgpr_kernarg_preload_length 0
		.amdhsa_user_sgpr_kernarg_preload_offset 0
		.amdhsa_user_sgpr_private_segment_size 0
		.amdhsa_uses_dynamic_stack 0
		.amdhsa_enable_private_segment 0
		.amdhsa_system_sgpr_workgroup_id_x 1
		.amdhsa_system_sgpr_workgroup_id_y 0
		.amdhsa_system_sgpr_workgroup_id_z 0
		.amdhsa_system_sgpr_workgroup_info 0
		.amdhsa_system_vgpr_workitem_id 0
		.amdhsa_next_free_vgpr 1
		.amdhsa_next_free_sgpr 0
		.amdhsa_accum_offset 4
		.amdhsa_reserve_vcc 0
		.amdhsa_float_round_mode_32 0
		.amdhsa_float_round_mode_16_64 0
		.amdhsa_float_denorm_mode_32 3
		.amdhsa_float_denorm_mode_16_64 3
		.amdhsa_dx10_clamp 1
		.amdhsa_ieee_mode 1
		.amdhsa_fp16_overflow 0
		.amdhsa_tg_split 0
		.amdhsa_exception_fp_ieee_invalid_op 0
		.amdhsa_exception_fp_denorm_src 0
		.amdhsa_exception_fp_ieee_div_zero 0
		.amdhsa_exception_fp_ieee_overflow 0
		.amdhsa_exception_fp_ieee_underflow 0
		.amdhsa_exception_fp_ieee_inexact 0
		.amdhsa_exception_int_div_zero 0
	.end_amdhsa_kernel
	.section	.text._ZN7rocprim17ROCPRIM_400000_NS6detail17trampoline_kernelINS0_14default_configENS1_20scan_config_selectorIdEEZZNS1_9scan_implILNS1_25lookback_scan_determinismE0ELb0ELb0ES3_PKdPddZZZN2at6native31launch_logcumsumexp_cuda_kernelERKNSB_10TensorBaseESF_lENKUlvE_clEvENKUlvE_clEvEUlddE_dEEDaPvRmT3_T4_T5_mT6_P12ihipStream_tbENKUlT_T0_E_clISt17integral_constantIbLb1EESV_IbLb0EEEEDaSR_SS_EUlSR_E_NS1_11comp_targetILNS1_3genE2ELNS1_11target_archE906ELNS1_3gpuE6ELNS1_3repE0EEENS1_30default_config_static_selectorELNS0_4arch9wavefront6targetE1EEEvT1_,"axG",@progbits,_ZN7rocprim17ROCPRIM_400000_NS6detail17trampoline_kernelINS0_14default_configENS1_20scan_config_selectorIdEEZZNS1_9scan_implILNS1_25lookback_scan_determinismE0ELb0ELb0ES3_PKdPddZZZN2at6native31launch_logcumsumexp_cuda_kernelERKNSB_10TensorBaseESF_lENKUlvE_clEvENKUlvE_clEvEUlddE_dEEDaPvRmT3_T4_T5_mT6_P12ihipStream_tbENKUlT_T0_E_clISt17integral_constantIbLb1EESV_IbLb0EEEEDaSR_SS_EUlSR_E_NS1_11comp_targetILNS1_3genE2ELNS1_11target_archE906ELNS1_3gpuE6ELNS1_3repE0EEENS1_30default_config_static_selectorELNS0_4arch9wavefront6targetE1EEEvT1_,comdat
.Lfunc_end54:
	.size	_ZN7rocprim17ROCPRIM_400000_NS6detail17trampoline_kernelINS0_14default_configENS1_20scan_config_selectorIdEEZZNS1_9scan_implILNS1_25lookback_scan_determinismE0ELb0ELb0ES3_PKdPddZZZN2at6native31launch_logcumsumexp_cuda_kernelERKNSB_10TensorBaseESF_lENKUlvE_clEvENKUlvE_clEvEUlddE_dEEDaPvRmT3_T4_T5_mT6_P12ihipStream_tbENKUlT_T0_E_clISt17integral_constantIbLb1EESV_IbLb0EEEEDaSR_SS_EUlSR_E_NS1_11comp_targetILNS1_3genE2ELNS1_11target_archE906ELNS1_3gpuE6ELNS1_3repE0EEENS1_30default_config_static_selectorELNS0_4arch9wavefront6targetE1EEEvT1_, .Lfunc_end54-_ZN7rocprim17ROCPRIM_400000_NS6detail17trampoline_kernelINS0_14default_configENS1_20scan_config_selectorIdEEZZNS1_9scan_implILNS1_25lookback_scan_determinismE0ELb0ELb0ES3_PKdPddZZZN2at6native31launch_logcumsumexp_cuda_kernelERKNSB_10TensorBaseESF_lENKUlvE_clEvENKUlvE_clEvEUlddE_dEEDaPvRmT3_T4_T5_mT6_P12ihipStream_tbENKUlT_T0_E_clISt17integral_constantIbLb1EESV_IbLb0EEEEDaSR_SS_EUlSR_E_NS1_11comp_targetILNS1_3genE2ELNS1_11target_archE906ELNS1_3gpuE6ELNS1_3repE0EEENS1_30default_config_static_selectorELNS0_4arch9wavefront6targetE1EEEvT1_
                                        ; -- End function
	.section	.AMDGPU.csdata,"",@progbits
; Kernel info:
; codeLenInByte = 0
; NumSgprs: 6
; NumVgprs: 0
; NumAgprs: 0
; TotalNumVgprs: 0
; ScratchSize: 0
; MemoryBound: 0
; FloatMode: 240
; IeeeMode: 1
; LDSByteSize: 0 bytes/workgroup (compile time only)
; SGPRBlocks: 0
; VGPRBlocks: 0
; NumSGPRsForWavesPerEU: 6
; NumVGPRsForWavesPerEU: 1
; AccumOffset: 4
; Occupancy: 8
; WaveLimiterHint : 0
; COMPUTE_PGM_RSRC2:SCRATCH_EN: 0
; COMPUTE_PGM_RSRC2:USER_SGPR: 2
; COMPUTE_PGM_RSRC2:TRAP_HANDLER: 0
; COMPUTE_PGM_RSRC2:TGID_X_EN: 1
; COMPUTE_PGM_RSRC2:TGID_Y_EN: 0
; COMPUTE_PGM_RSRC2:TGID_Z_EN: 0
; COMPUTE_PGM_RSRC2:TIDIG_COMP_CNT: 0
; COMPUTE_PGM_RSRC3_GFX90A:ACCUM_OFFSET: 0
; COMPUTE_PGM_RSRC3_GFX90A:TG_SPLIT: 0
	.section	.text._ZN7rocprim17ROCPRIM_400000_NS6detail17trampoline_kernelINS0_14default_configENS1_20scan_config_selectorIdEEZZNS1_9scan_implILNS1_25lookback_scan_determinismE0ELb0ELb0ES3_PKdPddZZZN2at6native31launch_logcumsumexp_cuda_kernelERKNSB_10TensorBaseESF_lENKUlvE_clEvENKUlvE_clEvEUlddE_dEEDaPvRmT3_T4_T5_mT6_P12ihipStream_tbENKUlT_T0_E_clISt17integral_constantIbLb1EESV_IbLb0EEEEDaSR_SS_EUlSR_E_NS1_11comp_targetILNS1_3genE10ELNS1_11target_archE1201ELNS1_3gpuE5ELNS1_3repE0EEENS1_30default_config_static_selectorELNS0_4arch9wavefront6targetE1EEEvT1_,"axG",@progbits,_ZN7rocprim17ROCPRIM_400000_NS6detail17trampoline_kernelINS0_14default_configENS1_20scan_config_selectorIdEEZZNS1_9scan_implILNS1_25lookback_scan_determinismE0ELb0ELb0ES3_PKdPddZZZN2at6native31launch_logcumsumexp_cuda_kernelERKNSB_10TensorBaseESF_lENKUlvE_clEvENKUlvE_clEvEUlddE_dEEDaPvRmT3_T4_T5_mT6_P12ihipStream_tbENKUlT_T0_E_clISt17integral_constantIbLb1EESV_IbLb0EEEEDaSR_SS_EUlSR_E_NS1_11comp_targetILNS1_3genE10ELNS1_11target_archE1201ELNS1_3gpuE5ELNS1_3repE0EEENS1_30default_config_static_selectorELNS0_4arch9wavefront6targetE1EEEvT1_,comdat
	.globl	_ZN7rocprim17ROCPRIM_400000_NS6detail17trampoline_kernelINS0_14default_configENS1_20scan_config_selectorIdEEZZNS1_9scan_implILNS1_25lookback_scan_determinismE0ELb0ELb0ES3_PKdPddZZZN2at6native31launch_logcumsumexp_cuda_kernelERKNSB_10TensorBaseESF_lENKUlvE_clEvENKUlvE_clEvEUlddE_dEEDaPvRmT3_T4_T5_mT6_P12ihipStream_tbENKUlT_T0_E_clISt17integral_constantIbLb1EESV_IbLb0EEEEDaSR_SS_EUlSR_E_NS1_11comp_targetILNS1_3genE10ELNS1_11target_archE1201ELNS1_3gpuE5ELNS1_3repE0EEENS1_30default_config_static_selectorELNS0_4arch9wavefront6targetE1EEEvT1_ ; -- Begin function _ZN7rocprim17ROCPRIM_400000_NS6detail17trampoline_kernelINS0_14default_configENS1_20scan_config_selectorIdEEZZNS1_9scan_implILNS1_25lookback_scan_determinismE0ELb0ELb0ES3_PKdPddZZZN2at6native31launch_logcumsumexp_cuda_kernelERKNSB_10TensorBaseESF_lENKUlvE_clEvENKUlvE_clEvEUlddE_dEEDaPvRmT3_T4_T5_mT6_P12ihipStream_tbENKUlT_T0_E_clISt17integral_constantIbLb1EESV_IbLb0EEEEDaSR_SS_EUlSR_E_NS1_11comp_targetILNS1_3genE10ELNS1_11target_archE1201ELNS1_3gpuE5ELNS1_3repE0EEENS1_30default_config_static_selectorELNS0_4arch9wavefront6targetE1EEEvT1_
	.p2align	8
	.type	_ZN7rocprim17ROCPRIM_400000_NS6detail17trampoline_kernelINS0_14default_configENS1_20scan_config_selectorIdEEZZNS1_9scan_implILNS1_25lookback_scan_determinismE0ELb0ELb0ES3_PKdPddZZZN2at6native31launch_logcumsumexp_cuda_kernelERKNSB_10TensorBaseESF_lENKUlvE_clEvENKUlvE_clEvEUlddE_dEEDaPvRmT3_T4_T5_mT6_P12ihipStream_tbENKUlT_T0_E_clISt17integral_constantIbLb1EESV_IbLb0EEEEDaSR_SS_EUlSR_E_NS1_11comp_targetILNS1_3genE10ELNS1_11target_archE1201ELNS1_3gpuE5ELNS1_3repE0EEENS1_30default_config_static_selectorELNS0_4arch9wavefront6targetE1EEEvT1_,@function
_ZN7rocprim17ROCPRIM_400000_NS6detail17trampoline_kernelINS0_14default_configENS1_20scan_config_selectorIdEEZZNS1_9scan_implILNS1_25lookback_scan_determinismE0ELb0ELb0ES3_PKdPddZZZN2at6native31launch_logcumsumexp_cuda_kernelERKNSB_10TensorBaseESF_lENKUlvE_clEvENKUlvE_clEvEUlddE_dEEDaPvRmT3_T4_T5_mT6_P12ihipStream_tbENKUlT_T0_E_clISt17integral_constantIbLb1EESV_IbLb0EEEEDaSR_SS_EUlSR_E_NS1_11comp_targetILNS1_3genE10ELNS1_11target_archE1201ELNS1_3gpuE5ELNS1_3repE0EEENS1_30default_config_static_selectorELNS0_4arch9wavefront6targetE1EEEvT1_: ; @_ZN7rocprim17ROCPRIM_400000_NS6detail17trampoline_kernelINS0_14default_configENS1_20scan_config_selectorIdEEZZNS1_9scan_implILNS1_25lookback_scan_determinismE0ELb0ELb0ES3_PKdPddZZZN2at6native31launch_logcumsumexp_cuda_kernelERKNSB_10TensorBaseESF_lENKUlvE_clEvENKUlvE_clEvEUlddE_dEEDaPvRmT3_T4_T5_mT6_P12ihipStream_tbENKUlT_T0_E_clISt17integral_constantIbLb1EESV_IbLb0EEEEDaSR_SS_EUlSR_E_NS1_11comp_targetILNS1_3genE10ELNS1_11target_archE1201ELNS1_3gpuE5ELNS1_3repE0EEENS1_30default_config_static_selectorELNS0_4arch9wavefront6targetE1EEEvT1_
; %bb.0:
	.section	.rodata,"a",@progbits
	.p2align	6, 0x0
	.amdhsa_kernel _ZN7rocprim17ROCPRIM_400000_NS6detail17trampoline_kernelINS0_14default_configENS1_20scan_config_selectorIdEEZZNS1_9scan_implILNS1_25lookback_scan_determinismE0ELb0ELb0ES3_PKdPddZZZN2at6native31launch_logcumsumexp_cuda_kernelERKNSB_10TensorBaseESF_lENKUlvE_clEvENKUlvE_clEvEUlddE_dEEDaPvRmT3_T4_T5_mT6_P12ihipStream_tbENKUlT_T0_E_clISt17integral_constantIbLb1EESV_IbLb0EEEEDaSR_SS_EUlSR_E_NS1_11comp_targetILNS1_3genE10ELNS1_11target_archE1201ELNS1_3gpuE5ELNS1_3repE0EEENS1_30default_config_static_selectorELNS0_4arch9wavefront6targetE1EEEvT1_
		.amdhsa_group_segment_fixed_size 0
		.amdhsa_private_segment_fixed_size 0
		.amdhsa_kernarg_size 104
		.amdhsa_user_sgpr_count 2
		.amdhsa_user_sgpr_dispatch_ptr 0
		.amdhsa_user_sgpr_queue_ptr 0
		.amdhsa_user_sgpr_kernarg_segment_ptr 1
		.amdhsa_user_sgpr_dispatch_id 0
		.amdhsa_user_sgpr_kernarg_preload_length 0
		.amdhsa_user_sgpr_kernarg_preload_offset 0
		.amdhsa_user_sgpr_private_segment_size 0
		.amdhsa_uses_dynamic_stack 0
		.amdhsa_enable_private_segment 0
		.amdhsa_system_sgpr_workgroup_id_x 1
		.amdhsa_system_sgpr_workgroup_id_y 0
		.amdhsa_system_sgpr_workgroup_id_z 0
		.amdhsa_system_sgpr_workgroup_info 0
		.amdhsa_system_vgpr_workitem_id 0
		.amdhsa_next_free_vgpr 1
		.amdhsa_next_free_sgpr 0
		.amdhsa_accum_offset 4
		.amdhsa_reserve_vcc 0
		.amdhsa_float_round_mode_32 0
		.amdhsa_float_round_mode_16_64 0
		.amdhsa_float_denorm_mode_32 3
		.amdhsa_float_denorm_mode_16_64 3
		.amdhsa_dx10_clamp 1
		.amdhsa_ieee_mode 1
		.amdhsa_fp16_overflow 0
		.amdhsa_tg_split 0
		.amdhsa_exception_fp_ieee_invalid_op 0
		.amdhsa_exception_fp_denorm_src 0
		.amdhsa_exception_fp_ieee_div_zero 0
		.amdhsa_exception_fp_ieee_overflow 0
		.amdhsa_exception_fp_ieee_underflow 0
		.amdhsa_exception_fp_ieee_inexact 0
		.amdhsa_exception_int_div_zero 0
	.end_amdhsa_kernel
	.section	.text._ZN7rocprim17ROCPRIM_400000_NS6detail17trampoline_kernelINS0_14default_configENS1_20scan_config_selectorIdEEZZNS1_9scan_implILNS1_25lookback_scan_determinismE0ELb0ELb0ES3_PKdPddZZZN2at6native31launch_logcumsumexp_cuda_kernelERKNSB_10TensorBaseESF_lENKUlvE_clEvENKUlvE_clEvEUlddE_dEEDaPvRmT3_T4_T5_mT6_P12ihipStream_tbENKUlT_T0_E_clISt17integral_constantIbLb1EESV_IbLb0EEEEDaSR_SS_EUlSR_E_NS1_11comp_targetILNS1_3genE10ELNS1_11target_archE1201ELNS1_3gpuE5ELNS1_3repE0EEENS1_30default_config_static_selectorELNS0_4arch9wavefront6targetE1EEEvT1_,"axG",@progbits,_ZN7rocprim17ROCPRIM_400000_NS6detail17trampoline_kernelINS0_14default_configENS1_20scan_config_selectorIdEEZZNS1_9scan_implILNS1_25lookback_scan_determinismE0ELb0ELb0ES3_PKdPddZZZN2at6native31launch_logcumsumexp_cuda_kernelERKNSB_10TensorBaseESF_lENKUlvE_clEvENKUlvE_clEvEUlddE_dEEDaPvRmT3_T4_T5_mT6_P12ihipStream_tbENKUlT_T0_E_clISt17integral_constantIbLb1EESV_IbLb0EEEEDaSR_SS_EUlSR_E_NS1_11comp_targetILNS1_3genE10ELNS1_11target_archE1201ELNS1_3gpuE5ELNS1_3repE0EEENS1_30default_config_static_selectorELNS0_4arch9wavefront6targetE1EEEvT1_,comdat
.Lfunc_end55:
	.size	_ZN7rocprim17ROCPRIM_400000_NS6detail17trampoline_kernelINS0_14default_configENS1_20scan_config_selectorIdEEZZNS1_9scan_implILNS1_25lookback_scan_determinismE0ELb0ELb0ES3_PKdPddZZZN2at6native31launch_logcumsumexp_cuda_kernelERKNSB_10TensorBaseESF_lENKUlvE_clEvENKUlvE_clEvEUlddE_dEEDaPvRmT3_T4_T5_mT6_P12ihipStream_tbENKUlT_T0_E_clISt17integral_constantIbLb1EESV_IbLb0EEEEDaSR_SS_EUlSR_E_NS1_11comp_targetILNS1_3genE10ELNS1_11target_archE1201ELNS1_3gpuE5ELNS1_3repE0EEENS1_30default_config_static_selectorELNS0_4arch9wavefront6targetE1EEEvT1_, .Lfunc_end55-_ZN7rocprim17ROCPRIM_400000_NS6detail17trampoline_kernelINS0_14default_configENS1_20scan_config_selectorIdEEZZNS1_9scan_implILNS1_25lookback_scan_determinismE0ELb0ELb0ES3_PKdPddZZZN2at6native31launch_logcumsumexp_cuda_kernelERKNSB_10TensorBaseESF_lENKUlvE_clEvENKUlvE_clEvEUlddE_dEEDaPvRmT3_T4_T5_mT6_P12ihipStream_tbENKUlT_T0_E_clISt17integral_constantIbLb1EESV_IbLb0EEEEDaSR_SS_EUlSR_E_NS1_11comp_targetILNS1_3genE10ELNS1_11target_archE1201ELNS1_3gpuE5ELNS1_3repE0EEENS1_30default_config_static_selectorELNS0_4arch9wavefront6targetE1EEEvT1_
                                        ; -- End function
	.section	.AMDGPU.csdata,"",@progbits
; Kernel info:
; codeLenInByte = 0
; NumSgprs: 6
; NumVgprs: 0
; NumAgprs: 0
; TotalNumVgprs: 0
; ScratchSize: 0
; MemoryBound: 0
; FloatMode: 240
; IeeeMode: 1
; LDSByteSize: 0 bytes/workgroup (compile time only)
; SGPRBlocks: 0
; VGPRBlocks: 0
; NumSGPRsForWavesPerEU: 6
; NumVGPRsForWavesPerEU: 1
; AccumOffset: 4
; Occupancy: 8
; WaveLimiterHint : 0
; COMPUTE_PGM_RSRC2:SCRATCH_EN: 0
; COMPUTE_PGM_RSRC2:USER_SGPR: 2
; COMPUTE_PGM_RSRC2:TRAP_HANDLER: 0
; COMPUTE_PGM_RSRC2:TGID_X_EN: 1
; COMPUTE_PGM_RSRC2:TGID_Y_EN: 0
; COMPUTE_PGM_RSRC2:TGID_Z_EN: 0
; COMPUTE_PGM_RSRC2:TIDIG_COMP_CNT: 0
; COMPUTE_PGM_RSRC3_GFX90A:ACCUM_OFFSET: 0
; COMPUTE_PGM_RSRC3_GFX90A:TG_SPLIT: 0
	.section	.text._ZN7rocprim17ROCPRIM_400000_NS6detail17trampoline_kernelINS0_14default_configENS1_20scan_config_selectorIdEEZZNS1_9scan_implILNS1_25lookback_scan_determinismE0ELb0ELb0ES3_PKdPddZZZN2at6native31launch_logcumsumexp_cuda_kernelERKNSB_10TensorBaseESF_lENKUlvE_clEvENKUlvE_clEvEUlddE_dEEDaPvRmT3_T4_T5_mT6_P12ihipStream_tbENKUlT_T0_E_clISt17integral_constantIbLb1EESV_IbLb0EEEEDaSR_SS_EUlSR_E_NS1_11comp_targetILNS1_3genE10ELNS1_11target_archE1200ELNS1_3gpuE4ELNS1_3repE0EEENS1_30default_config_static_selectorELNS0_4arch9wavefront6targetE1EEEvT1_,"axG",@progbits,_ZN7rocprim17ROCPRIM_400000_NS6detail17trampoline_kernelINS0_14default_configENS1_20scan_config_selectorIdEEZZNS1_9scan_implILNS1_25lookback_scan_determinismE0ELb0ELb0ES3_PKdPddZZZN2at6native31launch_logcumsumexp_cuda_kernelERKNSB_10TensorBaseESF_lENKUlvE_clEvENKUlvE_clEvEUlddE_dEEDaPvRmT3_T4_T5_mT6_P12ihipStream_tbENKUlT_T0_E_clISt17integral_constantIbLb1EESV_IbLb0EEEEDaSR_SS_EUlSR_E_NS1_11comp_targetILNS1_3genE10ELNS1_11target_archE1200ELNS1_3gpuE4ELNS1_3repE0EEENS1_30default_config_static_selectorELNS0_4arch9wavefront6targetE1EEEvT1_,comdat
	.globl	_ZN7rocprim17ROCPRIM_400000_NS6detail17trampoline_kernelINS0_14default_configENS1_20scan_config_selectorIdEEZZNS1_9scan_implILNS1_25lookback_scan_determinismE0ELb0ELb0ES3_PKdPddZZZN2at6native31launch_logcumsumexp_cuda_kernelERKNSB_10TensorBaseESF_lENKUlvE_clEvENKUlvE_clEvEUlddE_dEEDaPvRmT3_T4_T5_mT6_P12ihipStream_tbENKUlT_T0_E_clISt17integral_constantIbLb1EESV_IbLb0EEEEDaSR_SS_EUlSR_E_NS1_11comp_targetILNS1_3genE10ELNS1_11target_archE1200ELNS1_3gpuE4ELNS1_3repE0EEENS1_30default_config_static_selectorELNS0_4arch9wavefront6targetE1EEEvT1_ ; -- Begin function _ZN7rocprim17ROCPRIM_400000_NS6detail17trampoline_kernelINS0_14default_configENS1_20scan_config_selectorIdEEZZNS1_9scan_implILNS1_25lookback_scan_determinismE0ELb0ELb0ES3_PKdPddZZZN2at6native31launch_logcumsumexp_cuda_kernelERKNSB_10TensorBaseESF_lENKUlvE_clEvENKUlvE_clEvEUlddE_dEEDaPvRmT3_T4_T5_mT6_P12ihipStream_tbENKUlT_T0_E_clISt17integral_constantIbLb1EESV_IbLb0EEEEDaSR_SS_EUlSR_E_NS1_11comp_targetILNS1_3genE10ELNS1_11target_archE1200ELNS1_3gpuE4ELNS1_3repE0EEENS1_30default_config_static_selectorELNS0_4arch9wavefront6targetE1EEEvT1_
	.p2align	8
	.type	_ZN7rocprim17ROCPRIM_400000_NS6detail17trampoline_kernelINS0_14default_configENS1_20scan_config_selectorIdEEZZNS1_9scan_implILNS1_25lookback_scan_determinismE0ELb0ELb0ES3_PKdPddZZZN2at6native31launch_logcumsumexp_cuda_kernelERKNSB_10TensorBaseESF_lENKUlvE_clEvENKUlvE_clEvEUlddE_dEEDaPvRmT3_T4_T5_mT6_P12ihipStream_tbENKUlT_T0_E_clISt17integral_constantIbLb1EESV_IbLb0EEEEDaSR_SS_EUlSR_E_NS1_11comp_targetILNS1_3genE10ELNS1_11target_archE1200ELNS1_3gpuE4ELNS1_3repE0EEENS1_30default_config_static_selectorELNS0_4arch9wavefront6targetE1EEEvT1_,@function
_ZN7rocprim17ROCPRIM_400000_NS6detail17trampoline_kernelINS0_14default_configENS1_20scan_config_selectorIdEEZZNS1_9scan_implILNS1_25lookback_scan_determinismE0ELb0ELb0ES3_PKdPddZZZN2at6native31launch_logcumsumexp_cuda_kernelERKNSB_10TensorBaseESF_lENKUlvE_clEvENKUlvE_clEvEUlddE_dEEDaPvRmT3_T4_T5_mT6_P12ihipStream_tbENKUlT_T0_E_clISt17integral_constantIbLb1EESV_IbLb0EEEEDaSR_SS_EUlSR_E_NS1_11comp_targetILNS1_3genE10ELNS1_11target_archE1200ELNS1_3gpuE4ELNS1_3repE0EEENS1_30default_config_static_selectorELNS0_4arch9wavefront6targetE1EEEvT1_: ; @_ZN7rocprim17ROCPRIM_400000_NS6detail17trampoline_kernelINS0_14default_configENS1_20scan_config_selectorIdEEZZNS1_9scan_implILNS1_25lookback_scan_determinismE0ELb0ELb0ES3_PKdPddZZZN2at6native31launch_logcumsumexp_cuda_kernelERKNSB_10TensorBaseESF_lENKUlvE_clEvENKUlvE_clEvEUlddE_dEEDaPvRmT3_T4_T5_mT6_P12ihipStream_tbENKUlT_T0_E_clISt17integral_constantIbLb1EESV_IbLb0EEEEDaSR_SS_EUlSR_E_NS1_11comp_targetILNS1_3genE10ELNS1_11target_archE1200ELNS1_3gpuE4ELNS1_3repE0EEENS1_30default_config_static_selectorELNS0_4arch9wavefront6targetE1EEEvT1_
; %bb.0:
	.section	.rodata,"a",@progbits
	.p2align	6, 0x0
	.amdhsa_kernel _ZN7rocprim17ROCPRIM_400000_NS6detail17trampoline_kernelINS0_14default_configENS1_20scan_config_selectorIdEEZZNS1_9scan_implILNS1_25lookback_scan_determinismE0ELb0ELb0ES3_PKdPddZZZN2at6native31launch_logcumsumexp_cuda_kernelERKNSB_10TensorBaseESF_lENKUlvE_clEvENKUlvE_clEvEUlddE_dEEDaPvRmT3_T4_T5_mT6_P12ihipStream_tbENKUlT_T0_E_clISt17integral_constantIbLb1EESV_IbLb0EEEEDaSR_SS_EUlSR_E_NS1_11comp_targetILNS1_3genE10ELNS1_11target_archE1200ELNS1_3gpuE4ELNS1_3repE0EEENS1_30default_config_static_selectorELNS0_4arch9wavefront6targetE1EEEvT1_
		.amdhsa_group_segment_fixed_size 0
		.amdhsa_private_segment_fixed_size 0
		.amdhsa_kernarg_size 104
		.amdhsa_user_sgpr_count 2
		.amdhsa_user_sgpr_dispatch_ptr 0
		.amdhsa_user_sgpr_queue_ptr 0
		.amdhsa_user_sgpr_kernarg_segment_ptr 1
		.amdhsa_user_sgpr_dispatch_id 0
		.amdhsa_user_sgpr_kernarg_preload_length 0
		.amdhsa_user_sgpr_kernarg_preload_offset 0
		.amdhsa_user_sgpr_private_segment_size 0
		.amdhsa_uses_dynamic_stack 0
		.amdhsa_enable_private_segment 0
		.amdhsa_system_sgpr_workgroup_id_x 1
		.amdhsa_system_sgpr_workgroup_id_y 0
		.amdhsa_system_sgpr_workgroup_id_z 0
		.amdhsa_system_sgpr_workgroup_info 0
		.amdhsa_system_vgpr_workitem_id 0
		.amdhsa_next_free_vgpr 1
		.amdhsa_next_free_sgpr 0
		.amdhsa_accum_offset 4
		.amdhsa_reserve_vcc 0
		.amdhsa_float_round_mode_32 0
		.amdhsa_float_round_mode_16_64 0
		.amdhsa_float_denorm_mode_32 3
		.amdhsa_float_denorm_mode_16_64 3
		.amdhsa_dx10_clamp 1
		.amdhsa_ieee_mode 1
		.amdhsa_fp16_overflow 0
		.amdhsa_tg_split 0
		.amdhsa_exception_fp_ieee_invalid_op 0
		.amdhsa_exception_fp_denorm_src 0
		.amdhsa_exception_fp_ieee_div_zero 0
		.amdhsa_exception_fp_ieee_overflow 0
		.amdhsa_exception_fp_ieee_underflow 0
		.amdhsa_exception_fp_ieee_inexact 0
		.amdhsa_exception_int_div_zero 0
	.end_amdhsa_kernel
	.section	.text._ZN7rocprim17ROCPRIM_400000_NS6detail17trampoline_kernelINS0_14default_configENS1_20scan_config_selectorIdEEZZNS1_9scan_implILNS1_25lookback_scan_determinismE0ELb0ELb0ES3_PKdPddZZZN2at6native31launch_logcumsumexp_cuda_kernelERKNSB_10TensorBaseESF_lENKUlvE_clEvENKUlvE_clEvEUlddE_dEEDaPvRmT3_T4_T5_mT6_P12ihipStream_tbENKUlT_T0_E_clISt17integral_constantIbLb1EESV_IbLb0EEEEDaSR_SS_EUlSR_E_NS1_11comp_targetILNS1_3genE10ELNS1_11target_archE1200ELNS1_3gpuE4ELNS1_3repE0EEENS1_30default_config_static_selectorELNS0_4arch9wavefront6targetE1EEEvT1_,"axG",@progbits,_ZN7rocprim17ROCPRIM_400000_NS6detail17trampoline_kernelINS0_14default_configENS1_20scan_config_selectorIdEEZZNS1_9scan_implILNS1_25lookback_scan_determinismE0ELb0ELb0ES3_PKdPddZZZN2at6native31launch_logcumsumexp_cuda_kernelERKNSB_10TensorBaseESF_lENKUlvE_clEvENKUlvE_clEvEUlddE_dEEDaPvRmT3_T4_T5_mT6_P12ihipStream_tbENKUlT_T0_E_clISt17integral_constantIbLb1EESV_IbLb0EEEEDaSR_SS_EUlSR_E_NS1_11comp_targetILNS1_3genE10ELNS1_11target_archE1200ELNS1_3gpuE4ELNS1_3repE0EEENS1_30default_config_static_selectorELNS0_4arch9wavefront6targetE1EEEvT1_,comdat
.Lfunc_end56:
	.size	_ZN7rocprim17ROCPRIM_400000_NS6detail17trampoline_kernelINS0_14default_configENS1_20scan_config_selectorIdEEZZNS1_9scan_implILNS1_25lookback_scan_determinismE0ELb0ELb0ES3_PKdPddZZZN2at6native31launch_logcumsumexp_cuda_kernelERKNSB_10TensorBaseESF_lENKUlvE_clEvENKUlvE_clEvEUlddE_dEEDaPvRmT3_T4_T5_mT6_P12ihipStream_tbENKUlT_T0_E_clISt17integral_constantIbLb1EESV_IbLb0EEEEDaSR_SS_EUlSR_E_NS1_11comp_targetILNS1_3genE10ELNS1_11target_archE1200ELNS1_3gpuE4ELNS1_3repE0EEENS1_30default_config_static_selectorELNS0_4arch9wavefront6targetE1EEEvT1_, .Lfunc_end56-_ZN7rocprim17ROCPRIM_400000_NS6detail17trampoline_kernelINS0_14default_configENS1_20scan_config_selectorIdEEZZNS1_9scan_implILNS1_25lookback_scan_determinismE0ELb0ELb0ES3_PKdPddZZZN2at6native31launch_logcumsumexp_cuda_kernelERKNSB_10TensorBaseESF_lENKUlvE_clEvENKUlvE_clEvEUlddE_dEEDaPvRmT3_T4_T5_mT6_P12ihipStream_tbENKUlT_T0_E_clISt17integral_constantIbLb1EESV_IbLb0EEEEDaSR_SS_EUlSR_E_NS1_11comp_targetILNS1_3genE10ELNS1_11target_archE1200ELNS1_3gpuE4ELNS1_3repE0EEENS1_30default_config_static_selectorELNS0_4arch9wavefront6targetE1EEEvT1_
                                        ; -- End function
	.section	.AMDGPU.csdata,"",@progbits
; Kernel info:
; codeLenInByte = 0
; NumSgprs: 6
; NumVgprs: 0
; NumAgprs: 0
; TotalNumVgprs: 0
; ScratchSize: 0
; MemoryBound: 0
; FloatMode: 240
; IeeeMode: 1
; LDSByteSize: 0 bytes/workgroup (compile time only)
; SGPRBlocks: 0
; VGPRBlocks: 0
; NumSGPRsForWavesPerEU: 6
; NumVGPRsForWavesPerEU: 1
; AccumOffset: 4
; Occupancy: 8
; WaveLimiterHint : 0
; COMPUTE_PGM_RSRC2:SCRATCH_EN: 0
; COMPUTE_PGM_RSRC2:USER_SGPR: 2
; COMPUTE_PGM_RSRC2:TRAP_HANDLER: 0
; COMPUTE_PGM_RSRC2:TGID_X_EN: 1
; COMPUTE_PGM_RSRC2:TGID_Y_EN: 0
; COMPUTE_PGM_RSRC2:TGID_Z_EN: 0
; COMPUTE_PGM_RSRC2:TIDIG_COMP_CNT: 0
; COMPUTE_PGM_RSRC3_GFX90A:ACCUM_OFFSET: 0
; COMPUTE_PGM_RSRC3_GFX90A:TG_SPLIT: 0
	.section	.text._ZN7rocprim17ROCPRIM_400000_NS6detail17trampoline_kernelINS0_14default_configENS1_20scan_config_selectorIdEEZZNS1_9scan_implILNS1_25lookback_scan_determinismE0ELb0ELb0ES3_PKdPddZZZN2at6native31launch_logcumsumexp_cuda_kernelERKNSB_10TensorBaseESF_lENKUlvE_clEvENKUlvE_clEvEUlddE_dEEDaPvRmT3_T4_T5_mT6_P12ihipStream_tbENKUlT_T0_E_clISt17integral_constantIbLb1EESV_IbLb0EEEEDaSR_SS_EUlSR_E_NS1_11comp_targetILNS1_3genE9ELNS1_11target_archE1100ELNS1_3gpuE3ELNS1_3repE0EEENS1_30default_config_static_selectorELNS0_4arch9wavefront6targetE1EEEvT1_,"axG",@progbits,_ZN7rocprim17ROCPRIM_400000_NS6detail17trampoline_kernelINS0_14default_configENS1_20scan_config_selectorIdEEZZNS1_9scan_implILNS1_25lookback_scan_determinismE0ELb0ELb0ES3_PKdPddZZZN2at6native31launch_logcumsumexp_cuda_kernelERKNSB_10TensorBaseESF_lENKUlvE_clEvENKUlvE_clEvEUlddE_dEEDaPvRmT3_T4_T5_mT6_P12ihipStream_tbENKUlT_T0_E_clISt17integral_constantIbLb1EESV_IbLb0EEEEDaSR_SS_EUlSR_E_NS1_11comp_targetILNS1_3genE9ELNS1_11target_archE1100ELNS1_3gpuE3ELNS1_3repE0EEENS1_30default_config_static_selectorELNS0_4arch9wavefront6targetE1EEEvT1_,comdat
	.globl	_ZN7rocprim17ROCPRIM_400000_NS6detail17trampoline_kernelINS0_14default_configENS1_20scan_config_selectorIdEEZZNS1_9scan_implILNS1_25lookback_scan_determinismE0ELb0ELb0ES3_PKdPddZZZN2at6native31launch_logcumsumexp_cuda_kernelERKNSB_10TensorBaseESF_lENKUlvE_clEvENKUlvE_clEvEUlddE_dEEDaPvRmT3_T4_T5_mT6_P12ihipStream_tbENKUlT_T0_E_clISt17integral_constantIbLb1EESV_IbLb0EEEEDaSR_SS_EUlSR_E_NS1_11comp_targetILNS1_3genE9ELNS1_11target_archE1100ELNS1_3gpuE3ELNS1_3repE0EEENS1_30default_config_static_selectorELNS0_4arch9wavefront6targetE1EEEvT1_ ; -- Begin function _ZN7rocprim17ROCPRIM_400000_NS6detail17trampoline_kernelINS0_14default_configENS1_20scan_config_selectorIdEEZZNS1_9scan_implILNS1_25lookback_scan_determinismE0ELb0ELb0ES3_PKdPddZZZN2at6native31launch_logcumsumexp_cuda_kernelERKNSB_10TensorBaseESF_lENKUlvE_clEvENKUlvE_clEvEUlddE_dEEDaPvRmT3_T4_T5_mT6_P12ihipStream_tbENKUlT_T0_E_clISt17integral_constantIbLb1EESV_IbLb0EEEEDaSR_SS_EUlSR_E_NS1_11comp_targetILNS1_3genE9ELNS1_11target_archE1100ELNS1_3gpuE3ELNS1_3repE0EEENS1_30default_config_static_selectorELNS0_4arch9wavefront6targetE1EEEvT1_
	.p2align	8
	.type	_ZN7rocprim17ROCPRIM_400000_NS6detail17trampoline_kernelINS0_14default_configENS1_20scan_config_selectorIdEEZZNS1_9scan_implILNS1_25lookback_scan_determinismE0ELb0ELb0ES3_PKdPddZZZN2at6native31launch_logcumsumexp_cuda_kernelERKNSB_10TensorBaseESF_lENKUlvE_clEvENKUlvE_clEvEUlddE_dEEDaPvRmT3_T4_T5_mT6_P12ihipStream_tbENKUlT_T0_E_clISt17integral_constantIbLb1EESV_IbLb0EEEEDaSR_SS_EUlSR_E_NS1_11comp_targetILNS1_3genE9ELNS1_11target_archE1100ELNS1_3gpuE3ELNS1_3repE0EEENS1_30default_config_static_selectorELNS0_4arch9wavefront6targetE1EEEvT1_,@function
_ZN7rocprim17ROCPRIM_400000_NS6detail17trampoline_kernelINS0_14default_configENS1_20scan_config_selectorIdEEZZNS1_9scan_implILNS1_25lookback_scan_determinismE0ELb0ELb0ES3_PKdPddZZZN2at6native31launch_logcumsumexp_cuda_kernelERKNSB_10TensorBaseESF_lENKUlvE_clEvENKUlvE_clEvEUlddE_dEEDaPvRmT3_T4_T5_mT6_P12ihipStream_tbENKUlT_T0_E_clISt17integral_constantIbLb1EESV_IbLb0EEEEDaSR_SS_EUlSR_E_NS1_11comp_targetILNS1_3genE9ELNS1_11target_archE1100ELNS1_3gpuE3ELNS1_3repE0EEENS1_30default_config_static_selectorELNS0_4arch9wavefront6targetE1EEEvT1_: ; @_ZN7rocprim17ROCPRIM_400000_NS6detail17trampoline_kernelINS0_14default_configENS1_20scan_config_selectorIdEEZZNS1_9scan_implILNS1_25lookback_scan_determinismE0ELb0ELb0ES3_PKdPddZZZN2at6native31launch_logcumsumexp_cuda_kernelERKNSB_10TensorBaseESF_lENKUlvE_clEvENKUlvE_clEvEUlddE_dEEDaPvRmT3_T4_T5_mT6_P12ihipStream_tbENKUlT_T0_E_clISt17integral_constantIbLb1EESV_IbLb0EEEEDaSR_SS_EUlSR_E_NS1_11comp_targetILNS1_3genE9ELNS1_11target_archE1100ELNS1_3gpuE3ELNS1_3repE0EEENS1_30default_config_static_selectorELNS0_4arch9wavefront6targetE1EEEvT1_
; %bb.0:
	.section	.rodata,"a",@progbits
	.p2align	6, 0x0
	.amdhsa_kernel _ZN7rocprim17ROCPRIM_400000_NS6detail17trampoline_kernelINS0_14default_configENS1_20scan_config_selectorIdEEZZNS1_9scan_implILNS1_25lookback_scan_determinismE0ELb0ELb0ES3_PKdPddZZZN2at6native31launch_logcumsumexp_cuda_kernelERKNSB_10TensorBaseESF_lENKUlvE_clEvENKUlvE_clEvEUlddE_dEEDaPvRmT3_T4_T5_mT6_P12ihipStream_tbENKUlT_T0_E_clISt17integral_constantIbLb1EESV_IbLb0EEEEDaSR_SS_EUlSR_E_NS1_11comp_targetILNS1_3genE9ELNS1_11target_archE1100ELNS1_3gpuE3ELNS1_3repE0EEENS1_30default_config_static_selectorELNS0_4arch9wavefront6targetE1EEEvT1_
		.amdhsa_group_segment_fixed_size 0
		.amdhsa_private_segment_fixed_size 0
		.amdhsa_kernarg_size 104
		.amdhsa_user_sgpr_count 2
		.amdhsa_user_sgpr_dispatch_ptr 0
		.amdhsa_user_sgpr_queue_ptr 0
		.amdhsa_user_sgpr_kernarg_segment_ptr 1
		.amdhsa_user_sgpr_dispatch_id 0
		.amdhsa_user_sgpr_kernarg_preload_length 0
		.amdhsa_user_sgpr_kernarg_preload_offset 0
		.amdhsa_user_sgpr_private_segment_size 0
		.amdhsa_uses_dynamic_stack 0
		.amdhsa_enable_private_segment 0
		.amdhsa_system_sgpr_workgroup_id_x 1
		.amdhsa_system_sgpr_workgroup_id_y 0
		.amdhsa_system_sgpr_workgroup_id_z 0
		.amdhsa_system_sgpr_workgroup_info 0
		.amdhsa_system_vgpr_workitem_id 0
		.amdhsa_next_free_vgpr 1
		.amdhsa_next_free_sgpr 0
		.amdhsa_accum_offset 4
		.amdhsa_reserve_vcc 0
		.amdhsa_float_round_mode_32 0
		.amdhsa_float_round_mode_16_64 0
		.amdhsa_float_denorm_mode_32 3
		.amdhsa_float_denorm_mode_16_64 3
		.amdhsa_dx10_clamp 1
		.amdhsa_ieee_mode 1
		.amdhsa_fp16_overflow 0
		.amdhsa_tg_split 0
		.amdhsa_exception_fp_ieee_invalid_op 0
		.amdhsa_exception_fp_denorm_src 0
		.amdhsa_exception_fp_ieee_div_zero 0
		.amdhsa_exception_fp_ieee_overflow 0
		.amdhsa_exception_fp_ieee_underflow 0
		.amdhsa_exception_fp_ieee_inexact 0
		.amdhsa_exception_int_div_zero 0
	.end_amdhsa_kernel
	.section	.text._ZN7rocprim17ROCPRIM_400000_NS6detail17trampoline_kernelINS0_14default_configENS1_20scan_config_selectorIdEEZZNS1_9scan_implILNS1_25lookback_scan_determinismE0ELb0ELb0ES3_PKdPddZZZN2at6native31launch_logcumsumexp_cuda_kernelERKNSB_10TensorBaseESF_lENKUlvE_clEvENKUlvE_clEvEUlddE_dEEDaPvRmT3_T4_T5_mT6_P12ihipStream_tbENKUlT_T0_E_clISt17integral_constantIbLb1EESV_IbLb0EEEEDaSR_SS_EUlSR_E_NS1_11comp_targetILNS1_3genE9ELNS1_11target_archE1100ELNS1_3gpuE3ELNS1_3repE0EEENS1_30default_config_static_selectorELNS0_4arch9wavefront6targetE1EEEvT1_,"axG",@progbits,_ZN7rocprim17ROCPRIM_400000_NS6detail17trampoline_kernelINS0_14default_configENS1_20scan_config_selectorIdEEZZNS1_9scan_implILNS1_25lookback_scan_determinismE0ELb0ELb0ES3_PKdPddZZZN2at6native31launch_logcumsumexp_cuda_kernelERKNSB_10TensorBaseESF_lENKUlvE_clEvENKUlvE_clEvEUlddE_dEEDaPvRmT3_T4_T5_mT6_P12ihipStream_tbENKUlT_T0_E_clISt17integral_constantIbLb1EESV_IbLb0EEEEDaSR_SS_EUlSR_E_NS1_11comp_targetILNS1_3genE9ELNS1_11target_archE1100ELNS1_3gpuE3ELNS1_3repE0EEENS1_30default_config_static_selectorELNS0_4arch9wavefront6targetE1EEEvT1_,comdat
.Lfunc_end57:
	.size	_ZN7rocprim17ROCPRIM_400000_NS6detail17trampoline_kernelINS0_14default_configENS1_20scan_config_selectorIdEEZZNS1_9scan_implILNS1_25lookback_scan_determinismE0ELb0ELb0ES3_PKdPddZZZN2at6native31launch_logcumsumexp_cuda_kernelERKNSB_10TensorBaseESF_lENKUlvE_clEvENKUlvE_clEvEUlddE_dEEDaPvRmT3_T4_T5_mT6_P12ihipStream_tbENKUlT_T0_E_clISt17integral_constantIbLb1EESV_IbLb0EEEEDaSR_SS_EUlSR_E_NS1_11comp_targetILNS1_3genE9ELNS1_11target_archE1100ELNS1_3gpuE3ELNS1_3repE0EEENS1_30default_config_static_selectorELNS0_4arch9wavefront6targetE1EEEvT1_, .Lfunc_end57-_ZN7rocprim17ROCPRIM_400000_NS6detail17trampoline_kernelINS0_14default_configENS1_20scan_config_selectorIdEEZZNS1_9scan_implILNS1_25lookback_scan_determinismE0ELb0ELb0ES3_PKdPddZZZN2at6native31launch_logcumsumexp_cuda_kernelERKNSB_10TensorBaseESF_lENKUlvE_clEvENKUlvE_clEvEUlddE_dEEDaPvRmT3_T4_T5_mT6_P12ihipStream_tbENKUlT_T0_E_clISt17integral_constantIbLb1EESV_IbLb0EEEEDaSR_SS_EUlSR_E_NS1_11comp_targetILNS1_3genE9ELNS1_11target_archE1100ELNS1_3gpuE3ELNS1_3repE0EEENS1_30default_config_static_selectorELNS0_4arch9wavefront6targetE1EEEvT1_
                                        ; -- End function
	.section	.AMDGPU.csdata,"",@progbits
; Kernel info:
; codeLenInByte = 0
; NumSgprs: 6
; NumVgprs: 0
; NumAgprs: 0
; TotalNumVgprs: 0
; ScratchSize: 0
; MemoryBound: 0
; FloatMode: 240
; IeeeMode: 1
; LDSByteSize: 0 bytes/workgroup (compile time only)
; SGPRBlocks: 0
; VGPRBlocks: 0
; NumSGPRsForWavesPerEU: 6
; NumVGPRsForWavesPerEU: 1
; AccumOffset: 4
; Occupancy: 8
; WaveLimiterHint : 0
; COMPUTE_PGM_RSRC2:SCRATCH_EN: 0
; COMPUTE_PGM_RSRC2:USER_SGPR: 2
; COMPUTE_PGM_RSRC2:TRAP_HANDLER: 0
; COMPUTE_PGM_RSRC2:TGID_X_EN: 1
; COMPUTE_PGM_RSRC2:TGID_Y_EN: 0
; COMPUTE_PGM_RSRC2:TGID_Z_EN: 0
; COMPUTE_PGM_RSRC2:TIDIG_COMP_CNT: 0
; COMPUTE_PGM_RSRC3_GFX90A:ACCUM_OFFSET: 0
; COMPUTE_PGM_RSRC3_GFX90A:TG_SPLIT: 0
	.section	.text._ZN7rocprim17ROCPRIM_400000_NS6detail17trampoline_kernelINS0_14default_configENS1_20scan_config_selectorIdEEZZNS1_9scan_implILNS1_25lookback_scan_determinismE0ELb0ELb0ES3_PKdPddZZZN2at6native31launch_logcumsumexp_cuda_kernelERKNSB_10TensorBaseESF_lENKUlvE_clEvENKUlvE_clEvEUlddE_dEEDaPvRmT3_T4_T5_mT6_P12ihipStream_tbENKUlT_T0_E_clISt17integral_constantIbLb1EESV_IbLb0EEEEDaSR_SS_EUlSR_E_NS1_11comp_targetILNS1_3genE8ELNS1_11target_archE1030ELNS1_3gpuE2ELNS1_3repE0EEENS1_30default_config_static_selectorELNS0_4arch9wavefront6targetE1EEEvT1_,"axG",@progbits,_ZN7rocprim17ROCPRIM_400000_NS6detail17trampoline_kernelINS0_14default_configENS1_20scan_config_selectorIdEEZZNS1_9scan_implILNS1_25lookback_scan_determinismE0ELb0ELb0ES3_PKdPddZZZN2at6native31launch_logcumsumexp_cuda_kernelERKNSB_10TensorBaseESF_lENKUlvE_clEvENKUlvE_clEvEUlddE_dEEDaPvRmT3_T4_T5_mT6_P12ihipStream_tbENKUlT_T0_E_clISt17integral_constantIbLb1EESV_IbLb0EEEEDaSR_SS_EUlSR_E_NS1_11comp_targetILNS1_3genE8ELNS1_11target_archE1030ELNS1_3gpuE2ELNS1_3repE0EEENS1_30default_config_static_selectorELNS0_4arch9wavefront6targetE1EEEvT1_,comdat
	.globl	_ZN7rocprim17ROCPRIM_400000_NS6detail17trampoline_kernelINS0_14default_configENS1_20scan_config_selectorIdEEZZNS1_9scan_implILNS1_25lookback_scan_determinismE0ELb0ELb0ES3_PKdPddZZZN2at6native31launch_logcumsumexp_cuda_kernelERKNSB_10TensorBaseESF_lENKUlvE_clEvENKUlvE_clEvEUlddE_dEEDaPvRmT3_T4_T5_mT6_P12ihipStream_tbENKUlT_T0_E_clISt17integral_constantIbLb1EESV_IbLb0EEEEDaSR_SS_EUlSR_E_NS1_11comp_targetILNS1_3genE8ELNS1_11target_archE1030ELNS1_3gpuE2ELNS1_3repE0EEENS1_30default_config_static_selectorELNS0_4arch9wavefront6targetE1EEEvT1_ ; -- Begin function _ZN7rocprim17ROCPRIM_400000_NS6detail17trampoline_kernelINS0_14default_configENS1_20scan_config_selectorIdEEZZNS1_9scan_implILNS1_25lookback_scan_determinismE0ELb0ELb0ES3_PKdPddZZZN2at6native31launch_logcumsumexp_cuda_kernelERKNSB_10TensorBaseESF_lENKUlvE_clEvENKUlvE_clEvEUlddE_dEEDaPvRmT3_T4_T5_mT6_P12ihipStream_tbENKUlT_T0_E_clISt17integral_constantIbLb1EESV_IbLb0EEEEDaSR_SS_EUlSR_E_NS1_11comp_targetILNS1_3genE8ELNS1_11target_archE1030ELNS1_3gpuE2ELNS1_3repE0EEENS1_30default_config_static_selectorELNS0_4arch9wavefront6targetE1EEEvT1_
	.p2align	8
	.type	_ZN7rocprim17ROCPRIM_400000_NS6detail17trampoline_kernelINS0_14default_configENS1_20scan_config_selectorIdEEZZNS1_9scan_implILNS1_25lookback_scan_determinismE0ELb0ELb0ES3_PKdPddZZZN2at6native31launch_logcumsumexp_cuda_kernelERKNSB_10TensorBaseESF_lENKUlvE_clEvENKUlvE_clEvEUlddE_dEEDaPvRmT3_T4_T5_mT6_P12ihipStream_tbENKUlT_T0_E_clISt17integral_constantIbLb1EESV_IbLb0EEEEDaSR_SS_EUlSR_E_NS1_11comp_targetILNS1_3genE8ELNS1_11target_archE1030ELNS1_3gpuE2ELNS1_3repE0EEENS1_30default_config_static_selectorELNS0_4arch9wavefront6targetE1EEEvT1_,@function
_ZN7rocprim17ROCPRIM_400000_NS6detail17trampoline_kernelINS0_14default_configENS1_20scan_config_selectorIdEEZZNS1_9scan_implILNS1_25lookback_scan_determinismE0ELb0ELb0ES3_PKdPddZZZN2at6native31launch_logcumsumexp_cuda_kernelERKNSB_10TensorBaseESF_lENKUlvE_clEvENKUlvE_clEvEUlddE_dEEDaPvRmT3_T4_T5_mT6_P12ihipStream_tbENKUlT_T0_E_clISt17integral_constantIbLb1EESV_IbLb0EEEEDaSR_SS_EUlSR_E_NS1_11comp_targetILNS1_3genE8ELNS1_11target_archE1030ELNS1_3gpuE2ELNS1_3repE0EEENS1_30default_config_static_selectorELNS0_4arch9wavefront6targetE1EEEvT1_: ; @_ZN7rocprim17ROCPRIM_400000_NS6detail17trampoline_kernelINS0_14default_configENS1_20scan_config_selectorIdEEZZNS1_9scan_implILNS1_25lookback_scan_determinismE0ELb0ELb0ES3_PKdPddZZZN2at6native31launch_logcumsumexp_cuda_kernelERKNSB_10TensorBaseESF_lENKUlvE_clEvENKUlvE_clEvEUlddE_dEEDaPvRmT3_T4_T5_mT6_P12ihipStream_tbENKUlT_T0_E_clISt17integral_constantIbLb1EESV_IbLb0EEEEDaSR_SS_EUlSR_E_NS1_11comp_targetILNS1_3genE8ELNS1_11target_archE1030ELNS1_3gpuE2ELNS1_3repE0EEENS1_30default_config_static_selectorELNS0_4arch9wavefront6targetE1EEEvT1_
; %bb.0:
	.section	.rodata,"a",@progbits
	.p2align	6, 0x0
	.amdhsa_kernel _ZN7rocprim17ROCPRIM_400000_NS6detail17trampoline_kernelINS0_14default_configENS1_20scan_config_selectorIdEEZZNS1_9scan_implILNS1_25lookback_scan_determinismE0ELb0ELb0ES3_PKdPddZZZN2at6native31launch_logcumsumexp_cuda_kernelERKNSB_10TensorBaseESF_lENKUlvE_clEvENKUlvE_clEvEUlddE_dEEDaPvRmT3_T4_T5_mT6_P12ihipStream_tbENKUlT_T0_E_clISt17integral_constantIbLb1EESV_IbLb0EEEEDaSR_SS_EUlSR_E_NS1_11comp_targetILNS1_3genE8ELNS1_11target_archE1030ELNS1_3gpuE2ELNS1_3repE0EEENS1_30default_config_static_selectorELNS0_4arch9wavefront6targetE1EEEvT1_
		.amdhsa_group_segment_fixed_size 0
		.amdhsa_private_segment_fixed_size 0
		.amdhsa_kernarg_size 104
		.amdhsa_user_sgpr_count 2
		.amdhsa_user_sgpr_dispatch_ptr 0
		.amdhsa_user_sgpr_queue_ptr 0
		.amdhsa_user_sgpr_kernarg_segment_ptr 1
		.amdhsa_user_sgpr_dispatch_id 0
		.amdhsa_user_sgpr_kernarg_preload_length 0
		.amdhsa_user_sgpr_kernarg_preload_offset 0
		.amdhsa_user_sgpr_private_segment_size 0
		.amdhsa_uses_dynamic_stack 0
		.amdhsa_enable_private_segment 0
		.amdhsa_system_sgpr_workgroup_id_x 1
		.amdhsa_system_sgpr_workgroup_id_y 0
		.amdhsa_system_sgpr_workgroup_id_z 0
		.amdhsa_system_sgpr_workgroup_info 0
		.amdhsa_system_vgpr_workitem_id 0
		.amdhsa_next_free_vgpr 1
		.amdhsa_next_free_sgpr 0
		.amdhsa_accum_offset 4
		.amdhsa_reserve_vcc 0
		.amdhsa_float_round_mode_32 0
		.amdhsa_float_round_mode_16_64 0
		.amdhsa_float_denorm_mode_32 3
		.amdhsa_float_denorm_mode_16_64 3
		.amdhsa_dx10_clamp 1
		.amdhsa_ieee_mode 1
		.amdhsa_fp16_overflow 0
		.amdhsa_tg_split 0
		.amdhsa_exception_fp_ieee_invalid_op 0
		.amdhsa_exception_fp_denorm_src 0
		.amdhsa_exception_fp_ieee_div_zero 0
		.amdhsa_exception_fp_ieee_overflow 0
		.amdhsa_exception_fp_ieee_underflow 0
		.amdhsa_exception_fp_ieee_inexact 0
		.amdhsa_exception_int_div_zero 0
	.end_amdhsa_kernel
	.section	.text._ZN7rocprim17ROCPRIM_400000_NS6detail17trampoline_kernelINS0_14default_configENS1_20scan_config_selectorIdEEZZNS1_9scan_implILNS1_25lookback_scan_determinismE0ELb0ELb0ES3_PKdPddZZZN2at6native31launch_logcumsumexp_cuda_kernelERKNSB_10TensorBaseESF_lENKUlvE_clEvENKUlvE_clEvEUlddE_dEEDaPvRmT3_T4_T5_mT6_P12ihipStream_tbENKUlT_T0_E_clISt17integral_constantIbLb1EESV_IbLb0EEEEDaSR_SS_EUlSR_E_NS1_11comp_targetILNS1_3genE8ELNS1_11target_archE1030ELNS1_3gpuE2ELNS1_3repE0EEENS1_30default_config_static_selectorELNS0_4arch9wavefront6targetE1EEEvT1_,"axG",@progbits,_ZN7rocprim17ROCPRIM_400000_NS6detail17trampoline_kernelINS0_14default_configENS1_20scan_config_selectorIdEEZZNS1_9scan_implILNS1_25lookback_scan_determinismE0ELb0ELb0ES3_PKdPddZZZN2at6native31launch_logcumsumexp_cuda_kernelERKNSB_10TensorBaseESF_lENKUlvE_clEvENKUlvE_clEvEUlddE_dEEDaPvRmT3_T4_T5_mT6_P12ihipStream_tbENKUlT_T0_E_clISt17integral_constantIbLb1EESV_IbLb0EEEEDaSR_SS_EUlSR_E_NS1_11comp_targetILNS1_3genE8ELNS1_11target_archE1030ELNS1_3gpuE2ELNS1_3repE0EEENS1_30default_config_static_selectorELNS0_4arch9wavefront6targetE1EEEvT1_,comdat
.Lfunc_end58:
	.size	_ZN7rocprim17ROCPRIM_400000_NS6detail17trampoline_kernelINS0_14default_configENS1_20scan_config_selectorIdEEZZNS1_9scan_implILNS1_25lookback_scan_determinismE0ELb0ELb0ES3_PKdPddZZZN2at6native31launch_logcumsumexp_cuda_kernelERKNSB_10TensorBaseESF_lENKUlvE_clEvENKUlvE_clEvEUlddE_dEEDaPvRmT3_T4_T5_mT6_P12ihipStream_tbENKUlT_T0_E_clISt17integral_constantIbLb1EESV_IbLb0EEEEDaSR_SS_EUlSR_E_NS1_11comp_targetILNS1_3genE8ELNS1_11target_archE1030ELNS1_3gpuE2ELNS1_3repE0EEENS1_30default_config_static_selectorELNS0_4arch9wavefront6targetE1EEEvT1_, .Lfunc_end58-_ZN7rocprim17ROCPRIM_400000_NS6detail17trampoline_kernelINS0_14default_configENS1_20scan_config_selectorIdEEZZNS1_9scan_implILNS1_25lookback_scan_determinismE0ELb0ELb0ES3_PKdPddZZZN2at6native31launch_logcumsumexp_cuda_kernelERKNSB_10TensorBaseESF_lENKUlvE_clEvENKUlvE_clEvEUlddE_dEEDaPvRmT3_T4_T5_mT6_P12ihipStream_tbENKUlT_T0_E_clISt17integral_constantIbLb1EESV_IbLb0EEEEDaSR_SS_EUlSR_E_NS1_11comp_targetILNS1_3genE8ELNS1_11target_archE1030ELNS1_3gpuE2ELNS1_3repE0EEENS1_30default_config_static_selectorELNS0_4arch9wavefront6targetE1EEEvT1_
                                        ; -- End function
	.section	.AMDGPU.csdata,"",@progbits
; Kernel info:
; codeLenInByte = 0
; NumSgprs: 6
; NumVgprs: 0
; NumAgprs: 0
; TotalNumVgprs: 0
; ScratchSize: 0
; MemoryBound: 0
; FloatMode: 240
; IeeeMode: 1
; LDSByteSize: 0 bytes/workgroup (compile time only)
; SGPRBlocks: 0
; VGPRBlocks: 0
; NumSGPRsForWavesPerEU: 6
; NumVGPRsForWavesPerEU: 1
; AccumOffset: 4
; Occupancy: 8
; WaveLimiterHint : 0
; COMPUTE_PGM_RSRC2:SCRATCH_EN: 0
; COMPUTE_PGM_RSRC2:USER_SGPR: 2
; COMPUTE_PGM_RSRC2:TRAP_HANDLER: 0
; COMPUTE_PGM_RSRC2:TGID_X_EN: 1
; COMPUTE_PGM_RSRC2:TGID_Y_EN: 0
; COMPUTE_PGM_RSRC2:TGID_Z_EN: 0
; COMPUTE_PGM_RSRC2:TIDIG_COMP_CNT: 0
; COMPUTE_PGM_RSRC3_GFX90A:ACCUM_OFFSET: 0
; COMPUTE_PGM_RSRC3_GFX90A:TG_SPLIT: 0
	.section	.text._ZN7rocprim17ROCPRIM_400000_NS6detail17trampoline_kernelINS0_14default_configENS1_20scan_config_selectorIdEEZZNS1_9scan_implILNS1_25lookback_scan_determinismE0ELb0ELb0ES3_PKdPddZZZN2at6native31launch_logcumsumexp_cuda_kernelERKNSB_10TensorBaseESF_lENKUlvE_clEvENKUlvE_clEvEUlddE_dEEDaPvRmT3_T4_T5_mT6_P12ihipStream_tbENKUlT_T0_E_clISt17integral_constantIbLb1EESV_IbLb0EEEEDaSR_SS_EUlSR_E0_NS1_11comp_targetILNS1_3genE0ELNS1_11target_archE4294967295ELNS1_3gpuE0ELNS1_3repE0EEENS1_30default_config_static_selectorELNS0_4arch9wavefront6targetE1EEEvT1_,"axG",@progbits,_ZN7rocprim17ROCPRIM_400000_NS6detail17trampoline_kernelINS0_14default_configENS1_20scan_config_selectorIdEEZZNS1_9scan_implILNS1_25lookback_scan_determinismE0ELb0ELb0ES3_PKdPddZZZN2at6native31launch_logcumsumexp_cuda_kernelERKNSB_10TensorBaseESF_lENKUlvE_clEvENKUlvE_clEvEUlddE_dEEDaPvRmT3_T4_T5_mT6_P12ihipStream_tbENKUlT_T0_E_clISt17integral_constantIbLb1EESV_IbLb0EEEEDaSR_SS_EUlSR_E0_NS1_11comp_targetILNS1_3genE0ELNS1_11target_archE4294967295ELNS1_3gpuE0ELNS1_3repE0EEENS1_30default_config_static_selectorELNS0_4arch9wavefront6targetE1EEEvT1_,comdat
	.globl	_ZN7rocprim17ROCPRIM_400000_NS6detail17trampoline_kernelINS0_14default_configENS1_20scan_config_selectorIdEEZZNS1_9scan_implILNS1_25lookback_scan_determinismE0ELb0ELb0ES3_PKdPddZZZN2at6native31launch_logcumsumexp_cuda_kernelERKNSB_10TensorBaseESF_lENKUlvE_clEvENKUlvE_clEvEUlddE_dEEDaPvRmT3_T4_T5_mT6_P12ihipStream_tbENKUlT_T0_E_clISt17integral_constantIbLb1EESV_IbLb0EEEEDaSR_SS_EUlSR_E0_NS1_11comp_targetILNS1_3genE0ELNS1_11target_archE4294967295ELNS1_3gpuE0ELNS1_3repE0EEENS1_30default_config_static_selectorELNS0_4arch9wavefront6targetE1EEEvT1_ ; -- Begin function _ZN7rocprim17ROCPRIM_400000_NS6detail17trampoline_kernelINS0_14default_configENS1_20scan_config_selectorIdEEZZNS1_9scan_implILNS1_25lookback_scan_determinismE0ELb0ELb0ES3_PKdPddZZZN2at6native31launch_logcumsumexp_cuda_kernelERKNSB_10TensorBaseESF_lENKUlvE_clEvENKUlvE_clEvEUlddE_dEEDaPvRmT3_T4_T5_mT6_P12ihipStream_tbENKUlT_T0_E_clISt17integral_constantIbLb1EESV_IbLb0EEEEDaSR_SS_EUlSR_E0_NS1_11comp_targetILNS1_3genE0ELNS1_11target_archE4294967295ELNS1_3gpuE0ELNS1_3repE0EEENS1_30default_config_static_selectorELNS0_4arch9wavefront6targetE1EEEvT1_
	.p2align	8
	.type	_ZN7rocprim17ROCPRIM_400000_NS6detail17trampoline_kernelINS0_14default_configENS1_20scan_config_selectorIdEEZZNS1_9scan_implILNS1_25lookback_scan_determinismE0ELb0ELb0ES3_PKdPddZZZN2at6native31launch_logcumsumexp_cuda_kernelERKNSB_10TensorBaseESF_lENKUlvE_clEvENKUlvE_clEvEUlddE_dEEDaPvRmT3_T4_T5_mT6_P12ihipStream_tbENKUlT_T0_E_clISt17integral_constantIbLb1EESV_IbLb0EEEEDaSR_SS_EUlSR_E0_NS1_11comp_targetILNS1_3genE0ELNS1_11target_archE4294967295ELNS1_3gpuE0ELNS1_3repE0EEENS1_30default_config_static_selectorELNS0_4arch9wavefront6targetE1EEEvT1_,@function
_ZN7rocprim17ROCPRIM_400000_NS6detail17trampoline_kernelINS0_14default_configENS1_20scan_config_selectorIdEEZZNS1_9scan_implILNS1_25lookback_scan_determinismE0ELb0ELb0ES3_PKdPddZZZN2at6native31launch_logcumsumexp_cuda_kernelERKNSB_10TensorBaseESF_lENKUlvE_clEvENKUlvE_clEvEUlddE_dEEDaPvRmT3_T4_T5_mT6_P12ihipStream_tbENKUlT_T0_E_clISt17integral_constantIbLb1EESV_IbLb0EEEEDaSR_SS_EUlSR_E0_NS1_11comp_targetILNS1_3genE0ELNS1_11target_archE4294967295ELNS1_3gpuE0ELNS1_3repE0EEENS1_30default_config_static_selectorELNS0_4arch9wavefront6targetE1EEEvT1_: ; @_ZN7rocprim17ROCPRIM_400000_NS6detail17trampoline_kernelINS0_14default_configENS1_20scan_config_selectorIdEEZZNS1_9scan_implILNS1_25lookback_scan_determinismE0ELb0ELb0ES3_PKdPddZZZN2at6native31launch_logcumsumexp_cuda_kernelERKNSB_10TensorBaseESF_lENKUlvE_clEvENKUlvE_clEvEUlddE_dEEDaPvRmT3_T4_T5_mT6_P12ihipStream_tbENKUlT_T0_E_clISt17integral_constantIbLb1EESV_IbLb0EEEEDaSR_SS_EUlSR_E0_NS1_11comp_targetILNS1_3genE0ELNS1_11target_archE4294967295ELNS1_3gpuE0ELNS1_3repE0EEENS1_30default_config_static_selectorELNS0_4arch9wavefront6targetE1EEEvT1_
; %bb.0:
	.section	.rodata,"a",@progbits
	.p2align	6, 0x0
	.amdhsa_kernel _ZN7rocprim17ROCPRIM_400000_NS6detail17trampoline_kernelINS0_14default_configENS1_20scan_config_selectorIdEEZZNS1_9scan_implILNS1_25lookback_scan_determinismE0ELb0ELb0ES3_PKdPddZZZN2at6native31launch_logcumsumexp_cuda_kernelERKNSB_10TensorBaseESF_lENKUlvE_clEvENKUlvE_clEvEUlddE_dEEDaPvRmT3_T4_T5_mT6_P12ihipStream_tbENKUlT_T0_E_clISt17integral_constantIbLb1EESV_IbLb0EEEEDaSR_SS_EUlSR_E0_NS1_11comp_targetILNS1_3genE0ELNS1_11target_archE4294967295ELNS1_3gpuE0ELNS1_3repE0EEENS1_30default_config_static_selectorELNS0_4arch9wavefront6targetE1EEEvT1_
		.amdhsa_group_segment_fixed_size 0
		.amdhsa_private_segment_fixed_size 0
		.amdhsa_kernarg_size 40
		.amdhsa_user_sgpr_count 2
		.amdhsa_user_sgpr_dispatch_ptr 0
		.amdhsa_user_sgpr_queue_ptr 0
		.amdhsa_user_sgpr_kernarg_segment_ptr 1
		.amdhsa_user_sgpr_dispatch_id 0
		.amdhsa_user_sgpr_kernarg_preload_length 0
		.amdhsa_user_sgpr_kernarg_preload_offset 0
		.amdhsa_user_sgpr_private_segment_size 0
		.amdhsa_uses_dynamic_stack 0
		.amdhsa_enable_private_segment 0
		.amdhsa_system_sgpr_workgroup_id_x 1
		.amdhsa_system_sgpr_workgroup_id_y 0
		.amdhsa_system_sgpr_workgroup_id_z 0
		.amdhsa_system_sgpr_workgroup_info 0
		.amdhsa_system_vgpr_workitem_id 0
		.amdhsa_next_free_vgpr 1
		.amdhsa_next_free_sgpr 0
		.amdhsa_accum_offset 4
		.amdhsa_reserve_vcc 0
		.amdhsa_float_round_mode_32 0
		.amdhsa_float_round_mode_16_64 0
		.amdhsa_float_denorm_mode_32 3
		.amdhsa_float_denorm_mode_16_64 3
		.amdhsa_dx10_clamp 1
		.amdhsa_ieee_mode 1
		.amdhsa_fp16_overflow 0
		.amdhsa_tg_split 0
		.amdhsa_exception_fp_ieee_invalid_op 0
		.amdhsa_exception_fp_denorm_src 0
		.amdhsa_exception_fp_ieee_div_zero 0
		.amdhsa_exception_fp_ieee_overflow 0
		.amdhsa_exception_fp_ieee_underflow 0
		.amdhsa_exception_fp_ieee_inexact 0
		.amdhsa_exception_int_div_zero 0
	.end_amdhsa_kernel
	.section	.text._ZN7rocprim17ROCPRIM_400000_NS6detail17trampoline_kernelINS0_14default_configENS1_20scan_config_selectorIdEEZZNS1_9scan_implILNS1_25lookback_scan_determinismE0ELb0ELb0ES3_PKdPddZZZN2at6native31launch_logcumsumexp_cuda_kernelERKNSB_10TensorBaseESF_lENKUlvE_clEvENKUlvE_clEvEUlddE_dEEDaPvRmT3_T4_T5_mT6_P12ihipStream_tbENKUlT_T0_E_clISt17integral_constantIbLb1EESV_IbLb0EEEEDaSR_SS_EUlSR_E0_NS1_11comp_targetILNS1_3genE0ELNS1_11target_archE4294967295ELNS1_3gpuE0ELNS1_3repE0EEENS1_30default_config_static_selectorELNS0_4arch9wavefront6targetE1EEEvT1_,"axG",@progbits,_ZN7rocprim17ROCPRIM_400000_NS6detail17trampoline_kernelINS0_14default_configENS1_20scan_config_selectorIdEEZZNS1_9scan_implILNS1_25lookback_scan_determinismE0ELb0ELb0ES3_PKdPddZZZN2at6native31launch_logcumsumexp_cuda_kernelERKNSB_10TensorBaseESF_lENKUlvE_clEvENKUlvE_clEvEUlddE_dEEDaPvRmT3_T4_T5_mT6_P12ihipStream_tbENKUlT_T0_E_clISt17integral_constantIbLb1EESV_IbLb0EEEEDaSR_SS_EUlSR_E0_NS1_11comp_targetILNS1_3genE0ELNS1_11target_archE4294967295ELNS1_3gpuE0ELNS1_3repE0EEENS1_30default_config_static_selectorELNS0_4arch9wavefront6targetE1EEEvT1_,comdat
.Lfunc_end59:
	.size	_ZN7rocprim17ROCPRIM_400000_NS6detail17trampoline_kernelINS0_14default_configENS1_20scan_config_selectorIdEEZZNS1_9scan_implILNS1_25lookback_scan_determinismE0ELb0ELb0ES3_PKdPddZZZN2at6native31launch_logcumsumexp_cuda_kernelERKNSB_10TensorBaseESF_lENKUlvE_clEvENKUlvE_clEvEUlddE_dEEDaPvRmT3_T4_T5_mT6_P12ihipStream_tbENKUlT_T0_E_clISt17integral_constantIbLb1EESV_IbLb0EEEEDaSR_SS_EUlSR_E0_NS1_11comp_targetILNS1_3genE0ELNS1_11target_archE4294967295ELNS1_3gpuE0ELNS1_3repE0EEENS1_30default_config_static_selectorELNS0_4arch9wavefront6targetE1EEEvT1_, .Lfunc_end59-_ZN7rocprim17ROCPRIM_400000_NS6detail17trampoline_kernelINS0_14default_configENS1_20scan_config_selectorIdEEZZNS1_9scan_implILNS1_25lookback_scan_determinismE0ELb0ELb0ES3_PKdPddZZZN2at6native31launch_logcumsumexp_cuda_kernelERKNSB_10TensorBaseESF_lENKUlvE_clEvENKUlvE_clEvEUlddE_dEEDaPvRmT3_T4_T5_mT6_P12ihipStream_tbENKUlT_T0_E_clISt17integral_constantIbLb1EESV_IbLb0EEEEDaSR_SS_EUlSR_E0_NS1_11comp_targetILNS1_3genE0ELNS1_11target_archE4294967295ELNS1_3gpuE0ELNS1_3repE0EEENS1_30default_config_static_selectorELNS0_4arch9wavefront6targetE1EEEvT1_
                                        ; -- End function
	.section	.AMDGPU.csdata,"",@progbits
; Kernel info:
; codeLenInByte = 0
; NumSgprs: 6
; NumVgprs: 0
; NumAgprs: 0
; TotalNumVgprs: 0
; ScratchSize: 0
; MemoryBound: 0
; FloatMode: 240
; IeeeMode: 1
; LDSByteSize: 0 bytes/workgroup (compile time only)
; SGPRBlocks: 0
; VGPRBlocks: 0
; NumSGPRsForWavesPerEU: 6
; NumVGPRsForWavesPerEU: 1
; AccumOffset: 4
; Occupancy: 8
; WaveLimiterHint : 0
; COMPUTE_PGM_RSRC2:SCRATCH_EN: 0
; COMPUTE_PGM_RSRC2:USER_SGPR: 2
; COMPUTE_PGM_RSRC2:TRAP_HANDLER: 0
; COMPUTE_PGM_RSRC2:TGID_X_EN: 1
; COMPUTE_PGM_RSRC2:TGID_Y_EN: 0
; COMPUTE_PGM_RSRC2:TGID_Z_EN: 0
; COMPUTE_PGM_RSRC2:TIDIG_COMP_CNT: 0
; COMPUTE_PGM_RSRC3_GFX90A:ACCUM_OFFSET: 0
; COMPUTE_PGM_RSRC3_GFX90A:TG_SPLIT: 0
	.section	.text._ZN7rocprim17ROCPRIM_400000_NS6detail17trampoline_kernelINS0_14default_configENS1_20scan_config_selectorIdEEZZNS1_9scan_implILNS1_25lookback_scan_determinismE0ELb0ELb0ES3_PKdPddZZZN2at6native31launch_logcumsumexp_cuda_kernelERKNSB_10TensorBaseESF_lENKUlvE_clEvENKUlvE_clEvEUlddE_dEEDaPvRmT3_T4_T5_mT6_P12ihipStream_tbENKUlT_T0_E_clISt17integral_constantIbLb1EESV_IbLb0EEEEDaSR_SS_EUlSR_E0_NS1_11comp_targetILNS1_3genE5ELNS1_11target_archE942ELNS1_3gpuE9ELNS1_3repE0EEENS1_30default_config_static_selectorELNS0_4arch9wavefront6targetE1EEEvT1_,"axG",@progbits,_ZN7rocprim17ROCPRIM_400000_NS6detail17trampoline_kernelINS0_14default_configENS1_20scan_config_selectorIdEEZZNS1_9scan_implILNS1_25lookback_scan_determinismE0ELb0ELb0ES3_PKdPddZZZN2at6native31launch_logcumsumexp_cuda_kernelERKNSB_10TensorBaseESF_lENKUlvE_clEvENKUlvE_clEvEUlddE_dEEDaPvRmT3_T4_T5_mT6_P12ihipStream_tbENKUlT_T0_E_clISt17integral_constantIbLb1EESV_IbLb0EEEEDaSR_SS_EUlSR_E0_NS1_11comp_targetILNS1_3genE5ELNS1_11target_archE942ELNS1_3gpuE9ELNS1_3repE0EEENS1_30default_config_static_selectorELNS0_4arch9wavefront6targetE1EEEvT1_,comdat
	.globl	_ZN7rocprim17ROCPRIM_400000_NS6detail17trampoline_kernelINS0_14default_configENS1_20scan_config_selectorIdEEZZNS1_9scan_implILNS1_25lookback_scan_determinismE0ELb0ELb0ES3_PKdPddZZZN2at6native31launch_logcumsumexp_cuda_kernelERKNSB_10TensorBaseESF_lENKUlvE_clEvENKUlvE_clEvEUlddE_dEEDaPvRmT3_T4_T5_mT6_P12ihipStream_tbENKUlT_T0_E_clISt17integral_constantIbLb1EESV_IbLb0EEEEDaSR_SS_EUlSR_E0_NS1_11comp_targetILNS1_3genE5ELNS1_11target_archE942ELNS1_3gpuE9ELNS1_3repE0EEENS1_30default_config_static_selectorELNS0_4arch9wavefront6targetE1EEEvT1_ ; -- Begin function _ZN7rocprim17ROCPRIM_400000_NS6detail17trampoline_kernelINS0_14default_configENS1_20scan_config_selectorIdEEZZNS1_9scan_implILNS1_25lookback_scan_determinismE0ELb0ELb0ES3_PKdPddZZZN2at6native31launch_logcumsumexp_cuda_kernelERKNSB_10TensorBaseESF_lENKUlvE_clEvENKUlvE_clEvEUlddE_dEEDaPvRmT3_T4_T5_mT6_P12ihipStream_tbENKUlT_T0_E_clISt17integral_constantIbLb1EESV_IbLb0EEEEDaSR_SS_EUlSR_E0_NS1_11comp_targetILNS1_3genE5ELNS1_11target_archE942ELNS1_3gpuE9ELNS1_3repE0EEENS1_30default_config_static_selectorELNS0_4arch9wavefront6targetE1EEEvT1_
	.p2align	8
	.type	_ZN7rocprim17ROCPRIM_400000_NS6detail17trampoline_kernelINS0_14default_configENS1_20scan_config_selectorIdEEZZNS1_9scan_implILNS1_25lookback_scan_determinismE0ELb0ELb0ES3_PKdPddZZZN2at6native31launch_logcumsumexp_cuda_kernelERKNSB_10TensorBaseESF_lENKUlvE_clEvENKUlvE_clEvEUlddE_dEEDaPvRmT3_T4_T5_mT6_P12ihipStream_tbENKUlT_T0_E_clISt17integral_constantIbLb1EESV_IbLb0EEEEDaSR_SS_EUlSR_E0_NS1_11comp_targetILNS1_3genE5ELNS1_11target_archE942ELNS1_3gpuE9ELNS1_3repE0EEENS1_30default_config_static_selectorELNS0_4arch9wavefront6targetE1EEEvT1_,@function
_ZN7rocprim17ROCPRIM_400000_NS6detail17trampoline_kernelINS0_14default_configENS1_20scan_config_selectorIdEEZZNS1_9scan_implILNS1_25lookback_scan_determinismE0ELb0ELb0ES3_PKdPddZZZN2at6native31launch_logcumsumexp_cuda_kernelERKNSB_10TensorBaseESF_lENKUlvE_clEvENKUlvE_clEvEUlddE_dEEDaPvRmT3_T4_T5_mT6_P12ihipStream_tbENKUlT_T0_E_clISt17integral_constantIbLb1EESV_IbLb0EEEEDaSR_SS_EUlSR_E0_NS1_11comp_targetILNS1_3genE5ELNS1_11target_archE942ELNS1_3gpuE9ELNS1_3repE0EEENS1_30default_config_static_selectorELNS0_4arch9wavefront6targetE1EEEvT1_: ; @_ZN7rocprim17ROCPRIM_400000_NS6detail17trampoline_kernelINS0_14default_configENS1_20scan_config_selectorIdEEZZNS1_9scan_implILNS1_25lookback_scan_determinismE0ELb0ELb0ES3_PKdPddZZZN2at6native31launch_logcumsumexp_cuda_kernelERKNSB_10TensorBaseESF_lENKUlvE_clEvENKUlvE_clEvEUlddE_dEEDaPvRmT3_T4_T5_mT6_P12ihipStream_tbENKUlT_T0_E_clISt17integral_constantIbLb1EESV_IbLb0EEEEDaSR_SS_EUlSR_E0_NS1_11comp_targetILNS1_3genE5ELNS1_11target_archE942ELNS1_3gpuE9ELNS1_3repE0EEENS1_30default_config_static_selectorELNS0_4arch9wavefront6targetE1EEEvT1_
; %bb.0:
	s_load_dwordx4 s[28:31], s[0:1], 0x0
	v_lshlrev_b32_e32 v34, 3, v0
	s_waitcnt lgkmcnt(0)
	s_load_dwordx2 s[34:35], s[28:29], 0x0
	v_cmp_gt_u32_e32 vcc, s30, v0
	s_waitcnt lgkmcnt(0)
	v_mov_b64_e32 v[2:3], s[34:35]
	s_and_saveexec_b64 s[2:3], vcc
	s_cbranch_execz .LBB60_2
; %bb.1:
	global_load_dwordx2 v[2:3], v34, s[28:29]
.LBB60_2:
	s_or_b64 exec, exec, s[2:3]
	v_or_b32_e32 v1, 0x100, v0
	v_cmp_gt_u32_e64 s[58:59], s30, v1
	v_mov_b64_e32 v[4:5], s[34:35]
	s_and_saveexec_b64 s[2:3], s[58:59]
	s_cbranch_execz .LBB60_4
; %bb.3:
	global_load_dwordx2 v[4:5], v34, s[28:29] offset:2048
.LBB60_4:
	s_or_b64 exec, exec, s[2:3]
	v_or_b32_e32 v1, 0x200, v0
	v_cmp_gt_u32_e64 s[2:3], s30, v1
	v_mov_b64_e32 v[6:7], s[34:35]
	s_and_saveexec_b64 s[4:5], s[2:3]
	s_cbranch_execz .LBB60_6
; %bb.5:
	v_lshlrev_b32_e32 v1, 3, v1
	global_load_dwordx2 v[6:7], v1, s[28:29]
.LBB60_6:
	s_or_b64 exec, exec, s[4:5]
	v_or_b32_e32 v1, 0x300, v0
	v_cmp_gt_u32_e64 s[4:5], s30, v1
	v_mov_b64_e32 v[8:9], s[34:35]
	s_and_saveexec_b64 s[6:7], s[4:5]
	s_cbranch_execz .LBB60_8
; %bb.7:
	v_lshlrev_b32_e32 v1, 3, v1
	global_load_dwordx2 v[8:9], v1, s[28:29]
.LBB60_8:
	;; [unrolled: 10-line block ×13, first 2 shown]
	s_or_b64 exec, exec, s[30:31]
	s_movk_i32 s28, 0x70
	v_mad_u32_u24 v1, v0, s28, v34
	s_waitcnt vmcnt(0)
	ds_write2st64_b64 v34, v[2:3], v[4:5] offset1:4
	ds_write2st64_b64 v34, v[6:7], v[8:9] offset0:8 offset1:12
	ds_write2st64_b64 v34, v[10:11], v[12:13] offset0:16 offset1:20
	;; [unrolled: 1-line block ×6, first 2 shown]
	ds_write_b64 v34, v[30:31] offset:28672
	s_waitcnt lgkmcnt(0)
	s_barrier
	ds_read2_b64 v[2:5], v1 offset1:1
	ds_read2_b64 v[26:29], v1 offset0:2 offset1:3
	ds_read2_b64 v[22:25], v1 offset0:4 offset1:5
	;; [unrolled: 1-line block ×6, first 2 shown]
	ds_read_b64 v[36:37], v1 offset:112
	s_waitcnt lgkmcnt(7)
	v_max_f64 v[42:43], v[4:5], v[4:5]
	v_max_f64 v[68:69], v[2:3], v[2:3]
	v_min_f64 v[66:67], v[68:69], v[42:43]
	v_cmp_u_f64_e64 s[60:61], v[2:3], v[2:3]
	v_cmp_u_f64_e64 s[28:29], v[4:5], v[4:5]
	v_max_f64 v[70:71], v[68:69], v[42:43]
	v_cndmask_b32_e64 v1, v66, v2, s[60:61]
	v_cndmask_b32_e64 v30, v67, v3, s[60:61]
	;; [unrolled: 1-line block ×8, first 2 shown]
	s_movk_i32 s33, 0x1f8
	v_cmp_neq_f64_e64 s[30:31], v[32:33], v[30:31]
	v_cmp_class_f64_e64 s[34:35], v[32:33], s33
	s_or_b64 s[30:31], s[30:31], s[34:35]
	v_mov_b64_e32 v[72:73], v[2:3]
	s_waitcnt lgkmcnt(0)
	s_barrier
	s_and_saveexec_b64 s[36:37], s[30:31]
	s_cbranch_execz .LBB60_32
; %bb.31:
	s_mov_b32 s30, 0x652b82fe
	v_add_f64 v[32:33], v[32:33], -v[30:31]
	s_mov_b32 s31, 0x3ff71547
	v_mul_f64 v[38:39], v[32:33], s[30:31]
	v_rndne_f64_e32 v[38:39], v[38:39]
	s_mov_b32 s39, 0xbfe62e42
	s_mov_b32 s38, 0xfefa39ef
	v_fma_f64 v[40:41], s[38:39], v[38:39], v[32:33]
	s_mov_b32 s41, 0xbc7abc9e
	s_mov_b32 s40, 0x3b39803f
	;; [unrolled: 1-line block ×3, first 2 shown]
	v_fmac_f64_e32 v[40:41], s[40:41], v[38:39]
	v_mov_b32_e32 v44, 0xfca7ab0c
	v_mov_b32_e32 v45, 0x3e928af3
	s_mov_b32 s31, 0x3e5ade15
	v_fmac_f64_e32 v[44:45], s[30:31], v[40:41]
	v_mov_b32_e32 v46, 0x623fde64
	v_mov_b32_e32 v47, 0x3ec71dee
	v_fmac_f64_e32 v[46:47], v[40:41], v[44:45]
	v_mov_b32_e32 v44, 0x7c89e6b0
	v_mov_b32_e32 v45, 0x3efa0199
	;; [unrolled: 3-line block ×8, first 2 shown]
	v_fmac_f64_e32 v[44:45], v[40:41], v[46:47]
	v_fma_f64 v[44:45], v[40:41], v[44:45], 1.0
	s_mov_b32 s30, 0
	s_mov_b32 s34, 0
	v_fma_f64 v[40:41], v[40:41], v[44:45], 1.0
	v_cvt_i32_f64_e32 v1, v[38:39]
	s_mov_b32 s31, 0x40900000
	s_mov_b32 s35, 0xc090cc00
	v_ldexp_f64 v[38:39], v[40:41], v1
	v_mov_b32_e32 v1, 0x7ff00000
	v_cmp_nlt_f64_e64 s[30:31], s[30:31], v[32:33]
	v_cmp_ngt_f64_e64 s[34:35], s[34:35], v[32:33]
	s_mov_b32 s39, 0x3fe62e42
	v_cndmask_b32_e64 v1, v1, v39, s[30:31]
	s_and_b64 s[30:31], s[34:35], s[30:31]
	v_cndmask_b32_e64 v33, 0, v1, s[34:35]
	v_cndmask_b32_e64 v32, 0, v38, s[30:31]
	v_add_f64 v[38:39], v[32:33], 1.0
	v_add_f64 v[40:41], v[38:39], -1.0
	v_add_f64 v[44:45], v[40:41], -v[38:39]
	v_add_f64 v[44:45], v[44:45], 1.0
	v_add_f64 v[40:41], v[32:33], -v[40:41]
	s_mov_b32 s30, 0x55555555
	v_add_f64 v[40:41], v[40:41], v[44:45]
	v_frexp_mant_f64_e32 v[44:45], v[38:39]
	s_mov_b32 s31, 0x3fe55555
	v_frexp_exp_i32_f64_e32 v1, v[38:39]
	v_cmp_gt_f64_e64 s[30:31], s[30:31], v[44:45]
	s_mov_b32 s41, 0x3c7abc9e
	s_nop 0
	v_subbrev_co_u32_e64 v1, s[30:31], 0, v1, s[30:31]
	v_sub_u32_e32 v35, 0, v1
	v_ldexp_f64 v[38:39], v[38:39], v35
	v_add_f64 v[44:45], v[38:39], -1.0
	v_add_f64 v[50:51], v[38:39], 1.0
	v_add_f64 v[46:47], v[44:45], 1.0
	v_add_f64 v[52:53], v[50:51], -1.0
	v_ldexp_f64 v[40:41], v[40:41], v35
	v_add_f64 v[46:47], v[38:39], -v[46:47]
	v_add_f64 v[38:39], v[38:39], -v[52:53]
	v_add_f64 v[38:39], v[40:41], v[38:39]
	v_add_f64 v[46:47], v[40:41], v[46:47]
	;; [unrolled: 1-line block ×3, first 2 shown]
	v_rcp_f64_e32 v[52:53], v[40:41]
	v_add_f64 v[48:49], v[44:45], v[46:47]
	v_add_f64 v[44:45], v[48:49], -v[44:45]
	v_add_f64 v[44:45], v[46:47], -v[44:45]
	;; [unrolled: 1-line block ×4, first 2 shown]
	v_fma_f64 v[46:47], -v[40:41], v[52:53], 1.0
	v_fmac_f64_e32 v[52:53], v[46:47], v[52:53]
	v_fma_f64 v[46:47], -v[40:41], v[52:53], 1.0
	v_fmac_f64_e32 v[52:53], v[46:47], v[52:53]
	v_mul_f64 v[46:47], v[48:49], v[52:53]
	v_mul_f64 v[50:51], v[40:41], v[46:47]
	v_fma_f64 v[54:55], v[46:47], v[40:41], -v[50:51]
	v_fmac_f64_e32 v[54:55], v[46:47], v[38:39]
	v_add_f64 v[56:57], v[50:51], v[54:55]
	v_add_f64 v[58:59], v[48:49], -v[56:57]
	v_add_f64 v[48:49], v[48:49], -v[58:59]
	;; [unrolled: 1-line block ×4, first 2 shown]
	v_add_f64 v[44:45], v[44:45], v[48:49]
	v_add_f64 v[48:49], v[50:51], -v[54:55]
	v_add_f64 v[44:45], v[48:49], v[44:45]
	v_add_f64 v[48:49], v[58:59], v[44:45]
	v_add_f64 v[50:51], v[58:59], -v[48:49]
	v_add_f64 v[44:45], v[44:45], v[50:51]
	v_mul_f64 v[50:51], v[52:53], v[48:49]
	v_mul_f64 v[54:55], v[40:41], v[50:51]
	v_fma_f64 v[40:41], v[50:51], v[40:41], -v[54:55]
	v_fmac_f64_e32 v[40:41], v[50:51], v[38:39]
	v_add_f64 v[38:39], v[54:55], v[40:41]
	v_add_f64 v[56:57], v[48:49], -v[38:39]
	v_add_f64 v[48:49], v[48:49], -v[56:57]
	;; [unrolled: 1-line block ×4, first 2 shown]
	v_add_f64 v[38:39], v[44:45], v[38:39]
	v_add_f64 v[40:41], v[54:55], -v[40:41]
	v_add_f64 v[38:39], v[40:41], v[38:39]
	v_add_f64 v[40:41], v[46:47], v[50:51]
	;; [unrolled: 1-line block ×3, first 2 shown]
	v_add_f64 v[44:45], v[40:41], -v[46:47]
	v_mul_f64 v[38:39], v[52:53], v[38:39]
	v_add_f64 v[44:45], v[50:51], -v[44:45]
	v_add_f64 v[38:39], v[44:45], v[38:39]
	v_add_f64 v[44:45], v[40:41], v[38:39]
	v_add_f64 v[40:41], v[44:45], -v[40:41]
	s_mov_b32 s30, 0xbf559e2b
	v_add_f64 v[38:39], v[38:39], -v[40:41]
	v_mul_f64 v[40:41], v[44:45], v[44:45]
	v_mov_b32_e32 v46, 0x6b47b09a
	v_mov_b32_e32 v47, 0x3fc38538
	s_mov_b32 s31, 0x3fc3ab76
	v_fmac_f64_e32 v[46:47], s[30:31], v[40:41]
	v_mov_b32_e32 v48, 0xd7f4df2e
	v_mov_b32_e32 v49, 0x3fc7474d
	v_fmac_f64_e32 v[48:49], v[40:41], v[46:47]
	v_mov_b32_e32 v46, 0x16291751
	v_mov_b32_e32 v47, 0x3fcc71c0
	;; [unrolled: 3-line block ×5, first 2 shown]
	v_fmac_f64_e32 v[48:49], v[40:41], v[46:47]
	v_cvt_f64_i32_e32 v[46:47], v1
	v_mul_f64 v[50:51], v[46:47], s[38:39]
	v_fma_f64 v[52:53], v[46:47], s[38:39], -v[50:51]
	v_fmac_f64_e32 v[52:53], s[40:41], v[46:47]
	v_add_f64 v[46:47], v[50:51], v[52:53]
	v_add_f64 v[50:51], v[46:47], -v[50:51]
	v_mul_f64 v[40:41], v[44:45], v[40:41]
	v_add_f64 v[50:51], v[52:53], -v[50:51]
	v_ldexp_f64 v[52:53], v[44:45], 1
	v_mul_f64 v[40:41], v[40:41], v[48:49]
	v_add_f64 v[44:45], v[52:53], v[40:41]
	v_add_f64 v[48:49], v[44:45], -v[52:53]
	v_ldexp_f64 v[38:39], v[38:39], 1
	v_add_f64 v[40:41], v[40:41], -v[48:49]
	v_add_f64 v[38:39], v[38:39], v[40:41]
	v_add_f64 v[40:41], v[44:45], v[38:39]
	v_add_f64 v[44:45], v[40:41], -v[44:45]
	v_add_f64 v[38:39], v[38:39], -v[44:45]
	v_add_f64 v[44:45], v[46:47], v[40:41]
	v_add_f64 v[48:49], v[44:45], -v[46:47]
	v_add_f64 v[52:53], v[44:45], -v[48:49]
	;; [unrolled: 1-line block ×4, first 2 shown]
	v_add_f64 v[40:41], v[40:41], v[46:47]
	v_add_f64 v[46:47], v[50:51], v[38:39]
	v_add_f64 v[48:49], v[46:47], -v[50:51]
	v_add_f64 v[40:41], v[46:47], v[40:41]
	v_add_f64 v[52:53], v[46:47], -v[48:49]
	;; [unrolled: 2-line block ×3, first 2 shown]
	v_add_f64 v[38:39], v[38:39], -v[48:49]
	v_add_f64 v[44:45], v[46:47], -v[44:45]
	v_add_f64 v[38:39], v[38:39], v[50:51]
	v_add_f64 v[40:41], v[40:41], -v[44:45]
	s_mov_b32 s30, 0
	v_add_f64 v[38:39], v[38:39], v[40:41]
	s_mov_b32 s31, 0x7ff00000
	v_add_f64 v[38:39], v[46:47], v[38:39]
	v_cmp_eq_f64_e64 s[30:31], s[30:31], v[32:33]
	s_nop 1
	v_cndmask_b32_e64 v1, v38, v32, s[30:31]
	v_cndmask_b32_e64 v35, v39, v33, s[30:31]
	v_mov_b32_e32 v38, 0x7ff80000
	v_cmp_ngt_f64_e64 s[30:31], -1.0, v[32:33]
	s_nop 1
	v_cndmask_b32_e64 v35, v38, v35, s[30:31]
	v_cmp_nge_f64_e64 s[30:31], -1.0, v[32:33]
	s_nop 1
	v_cndmask_b32_e64 v38, 0, v1, s[30:31]
	v_mov_b32_e32 v1, 0xfff00000
	v_cmp_neq_f64_e64 s[30:31], -1.0, v[32:33]
	s_nop 1
	v_cndmask_b32_e64 v39, v1, v35, s[30:31]
	v_add_f64 v[72:73], v[30:31], v[38:39]
.LBB60_32:
	s_or_b64 exec, exec, s[36:37]
	v_max_f64 v[38:39], v[26:27], v[26:27]
	v_max_f64 v[30:31], v[72:73], v[72:73]
	v_min_f64 v[32:33], v[30:31], v[38:39]
	v_cmp_u_f64_e64 s[34:35], v[72:73], v[72:73]
	v_cmp_u_f64_e64 s[30:31], v[26:27], v[26:27]
	v_max_f64 v[30:31], v[30:31], v[38:39]
	v_cndmask_b32_e64 v1, v32, v72, s[34:35]
	v_cndmask_b32_e64 v32, v33, v73, s[34:35]
	;; [unrolled: 1-line block ×8, first 2 shown]
	v_cmp_neq_f64_e64 s[34:35], v[32:33], v[30:31]
	v_cmp_class_f64_e64 s[36:37], v[32:33], s33
	s_or_b64 s[34:35], s[34:35], s[36:37]
	s_and_saveexec_b64 s[38:39], s[34:35]
	s_cbranch_execz .LBB60_34
; %bb.33:
	s_mov_b32 s34, 0x652b82fe
	v_add_f64 v[32:33], v[32:33], -v[30:31]
	s_mov_b32 s35, 0x3ff71547
	v_mul_f64 v[40:41], v[32:33], s[34:35]
	v_rndne_f64_e32 v[40:41], v[40:41]
	s_mov_b32 s41, 0xbfe62e42
	s_mov_b32 s40, 0xfefa39ef
	v_fma_f64 v[44:45], s[40:41], v[40:41], v[32:33]
	s_mov_b32 s43, 0xbc7abc9e
	s_mov_b32 s42, 0x3b39803f
	;; [unrolled: 1-line block ×3, first 2 shown]
	v_fmac_f64_e32 v[44:45], s[42:43], v[40:41]
	v_mov_b32_e32 v46, 0xfca7ab0c
	v_mov_b32_e32 v47, 0x3e928af3
	s_mov_b32 s35, 0x3e5ade15
	v_fmac_f64_e32 v[46:47], s[34:35], v[44:45]
	v_mov_b32_e32 v48, 0x623fde64
	v_mov_b32_e32 v49, 0x3ec71dee
	v_fmac_f64_e32 v[48:49], v[44:45], v[46:47]
	v_mov_b32_e32 v46, 0x7c89e6b0
	v_mov_b32_e32 v47, 0x3efa0199
	;; [unrolled: 3-line block ×8, first 2 shown]
	v_fmac_f64_e32 v[46:47], v[44:45], v[48:49]
	v_fma_f64 v[46:47], v[44:45], v[46:47], 1.0
	s_mov_b32 s34, 0
	s_mov_b32 s36, 0
	v_fma_f64 v[44:45], v[44:45], v[46:47], 1.0
	v_cvt_i32_f64_e32 v1, v[40:41]
	s_mov_b32 s35, 0x40900000
	s_mov_b32 s37, 0xc090cc00
	v_ldexp_f64 v[40:41], v[44:45], v1
	v_mov_b32_e32 v1, 0x7ff00000
	v_cmp_nlt_f64_e64 s[34:35], s[34:35], v[32:33]
	v_cmp_ngt_f64_e64 s[36:37], s[36:37], v[32:33]
	s_mov_b32 s41, 0x3fe62e42
	v_cndmask_b32_e64 v1, v1, v41, s[34:35]
	s_and_b64 s[34:35], s[36:37], s[34:35]
	v_cndmask_b32_e64 v33, 0, v1, s[36:37]
	v_cndmask_b32_e64 v32, 0, v40, s[34:35]
	v_add_f64 v[40:41], v[32:33], 1.0
	v_add_f64 v[44:45], v[40:41], -1.0
	v_add_f64 v[46:47], v[44:45], -v[40:41]
	v_add_f64 v[46:47], v[46:47], 1.0
	v_add_f64 v[44:45], v[32:33], -v[44:45]
	s_mov_b32 s34, 0x55555555
	v_add_f64 v[44:45], v[44:45], v[46:47]
	v_frexp_mant_f64_e32 v[46:47], v[40:41]
	s_mov_b32 s35, 0x3fe55555
	v_frexp_exp_i32_f64_e32 v1, v[40:41]
	v_cmp_gt_f64_e64 s[34:35], s[34:35], v[46:47]
	s_mov_b32 s43, 0x3c7abc9e
	s_nop 0
	v_subbrev_co_u32_e64 v1, s[34:35], 0, v1, s[34:35]
	v_sub_u32_e32 v35, 0, v1
	v_ldexp_f64 v[40:41], v[40:41], v35
	v_add_f64 v[46:47], v[40:41], -1.0
	v_add_f64 v[52:53], v[40:41], 1.0
	v_add_f64 v[48:49], v[46:47], 1.0
	v_add_f64 v[54:55], v[52:53], -1.0
	v_ldexp_f64 v[44:45], v[44:45], v35
	v_add_f64 v[48:49], v[40:41], -v[48:49]
	v_add_f64 v[40:41], v[40:41], -v[54:55]
	v_add_f64 v[40:41], v[44:45], v[40:41]
	v_add_f64 v[48:49], v[44:45], v[48:49]
	;; [unrolled: 1-line block ×3, first 2 shown]
	v_rcp_f64_e32 v[54:55], v[44:45]
	v_add_f64 v[50:51], v[46:47], v[48:49]
	v_add_f64 v[46:47], v[50:51], -v[46:47]
	v_add_f64 v[46:47], v[48:49], -v[46:47]
	v_add_f64 v[48:49], v[44:45], -v[52:53]
	v_add_f64 v[40:41], v[40:41], -v[48:49]
	v_fma_f64 v[48:49], -v[44:45], v[54:55], 1.0
	v_fmac_f64_e32 v[54:55], v[48:49], v[54:55]
	v_fma_f64 v[48:49], -v[44:45], v[54:55], 1.0
	v_fmac_f64_e32 v[54:55], v[48:49], v[54:55]
	v_mul_f64 v[48:49], v[50:51], v[54:55]
	v_mul_f64 v[52:53], v[44:45], v[48:49]
	v_fma_f64 v[56:57], v[48:49], v[44:45], -v[52:53]
	v_fmac_f64_e32 v[56:57], v[48:49], v[40:41]
	v_add_f64 v[58:59], v[52:53], v[56:57]
	v_add_f64 v[60:61], v[50:51], -v[58:59]
	v_add_f64 v[50:51], v[50:51], -v[60:61]
	;; [unrolled: 1-line block ×4, first 2 shown]
	v_add_f64 v[46:47], v[46:47], v[50:51]
	v_add_f64 v[50:51], v[52:53], -v[56:57]
	v_add_f64 v[46:47], v[50:51], v[46:47]
	v_add_f64 v[50:51], v[60:61], v[46:47]
	v_add_f64 v[52:53], v[60:61], -v[50:51]
	v_add_f64 v[46:47], v[46:47], v[52:53]
	v_mul_f64 v[52:53], v[54:55], v[50:51]
	v_mul_f64 v[56:57], v[44:45], v[52:53]
	v_fma_f64 v[44:45], v[52:53], v[44:45], -v[56:57]
	v_fmac_f64_e32 v[44:45], v[52:53], v[40:41]
	v_add_f64 v[40:41], v[56:57], v[44:45]
	v_add_f64 v[58:59], v[50:51], -v[40:41]
	v_add_f64 v[50:51], v[50:51], -v[58:59]
	;; [unrolled: 1-line block ×4, first 2 shown]
	v_add_f64 v[40:41], v[46:47], v[40:41]
	v_add_f64 v[44:45], v[56:57], -v[44:45]
	v_add_f64 v[40:41], v[44:45], v[40:41]
	v_add_f64 v[44:45], v[48:49], v[52:53]
	;; [unrolled: 1-line block ×3, first 2 shown]
	v_add_f64 v[46:47], v[44:45], -v[48:49]
	v_mul_f64 v[40:41], v[54:55], v[40:41]
	v_add_f64 v[46:47], v[52:53], -v[46:47]
	v_add_f64 v[40:41], v[46:47], v[40:41]
	v_add_f64 v[46:47], v[44:45], v[40:41]
	v_add_f64 v[44:45], v[46:47], -v[44:45]
	s_mov_b32 s34, 0xbf559e2b
	v_add_f64 v[40:41], v[40:41], -v[44:45]
	v_mul_f64 v[44:45], v[46:47], v[46:47]
	v_mov_b32_e32 v48, 0x6b47b09a
	v_mov_b32_e32 v49, 0x3fc38538
	s_mov_b32 s35, 0x3fc3ab76
	v_fmac_f64_e32 v[48:49], s[34:35], v[44:45]
	v_mov_b32_e32 v50, 0xd7f4df2e
	v_mov_b32_e32 v51, 0x3fc7474d
	v_fmac_f64_e32 v[50:51], v[44:45], v[48:49]
	v_mov_b32_e32 v48, 0x16291751
	v_mov_b32_e32 v49, 0x3fcc71c0
	;; [unrolled: 3-line block ×5, first 2 shown]
	v_fmac_f64_e32 v[50:51], v[44:45], v[48:49]
	v_cvt_f64_i32_e32 v[48:49], v1
	v_mul_f64 v[52:53], v[48:49], s[40:41]
	v_fma_f64 v[54:55], v[48:49], s[40:41], -v[52:53]
	v_fmac_f64_e32 v[54:55], s[42:43], v[48:49]
	v_add_f64 v[48:49], v[52:53], v[54:55]
	v_add_f64 v[52:53], v[48:49], -v[52:53]
	v_mul_f64 v[44:45], v[46:47], v[44:45]
	v_add_f64 v[52:53], v[54:55], -v[52:53]
	v_ldexp_f64 v[54:55], v[46:47], 1
	v_mul_f64 v[44:45], v[44:45], v[50:51]
	v_add_f64 v[46:47], v[54:55], v[44:45]
	v_add_f64 v[50:51], v[46:47], -v[54:55]
	v_ldexp_f64 v[40:41], v[40:41], 1
	v_add_f64 v[44:45], v[44:45], -v[50:51]
	v_add_f64 v[40:41], v[40:41], v[44:45]
	v_add_f64 v[44:45], v[46:47], v[40:41]
	v_add_f64 v[46:47], v[44:45], -v[46:47]
	v_add_f64 v[40:41], v[40:41], -v[46:47]
	v_add_f64 v[46:47], v[48:49], v[44:45]
	v_add_f64 v[50:51], v[46:47], -v[48:49]
	v_add_f64 v[54:55], v[46:47], -v[50:51]
	;; [unrolled: 1-line block ×4, first 2 shown]
	v_add_f64 v[44:45], v[44:45], v[48:49]
	v_add_f64 v[48:49], v[52:53], v[40:41]
	v_add_f64 v[50:51], v[48:49], -v[52:53]
	v_add_f64 v[44:45], v[48:49], v[44:45]
	v_add_f64 v[54:55], v[48:49], -v[50:51]
	;; [unrolled: 2-line block ×3, first 2 shown]
	v_add_f64 v[40:41], v[40:41], -v[50:51]
	v_add_f64 v[46:47], v[48:49], -v[46:47]
	v_add_f64 v[40:41], v[40:41], v[52:53]
	v_add_f64 v[44:45], v[44:45], -v[46:47]
	s_mov_b32 s34, 0
	v_add_f64 v[40:41], v[40:41], v[44:45]
	s_mov_b32 s35, 0x7ff00000
	v_add_f64 v[40:41], v[48:49], v[40:41]
	v_cmp_eq_f64_e64 s[34:35], s[34:35], v[32:33]
	s_nop 1
	v_cndmask_b32_e64 v1, v40, v32, s[34:35]
	v_cndmask_b32_e64 v35, v41, v33, s[34:35]
	v_mov_b32_e32 v40, 0x7ff80000
	v_cmp_ngt_f64_e64 s[34:35], -1.0, v[32:33]
	s_nop 1
	v_cndmask_b32_e64 v35, v40, v35, s[34:35]
	v_cmp_nge_f64_e64 s[34:35], -1.0, v[32:33]
	s_nop 1
	v_cndmask_b32_e64 v40, 0, v1, s[34:35]
	v_mov_b32_e32 v1, 0xfff00000
	v_cmp_neq_f64_e64 s[34:35], -1.0, v[32:33]
	s_nop 1
	v_cndmask_b32_e64 v41, v1, v35, s[34:35]
	v_add_f64 v[72:73], v[30:31], v[40:41]
.LBB60_34:
	s_or_b64 exec, exec, s[38:39]
	v_max_f64 v[40:41], v[28:29], v[28:29]
	v_max_f64 v[30:31], v[72:73], v[72:73]
	v_min_f64 v[32:33], v[30:31], v[40:41]
	v_cmp_u_f64_e64 s[36:37], v[72:73], v[72:73]
	v_cmp_u_f64_e64 s[34:35], v[28:29], v[28:29]
	v_max_f64 v[30:31], v[30:31], v[40:41]
	v_cndmask_b32_e64 v1, v32, v72, s[36:37]
	v_cndmask_b32_e64 v32, v33, v73, s[36:37]
	;; [unrolled: 1-line block ×8, first 2 shown]
	v_cmp_neq_f64_e64 s[36:37], v[32:33], v[30:31]
	v_cmp_class_f64_e64 s[38:39], v[32:33], s33
	s_or_b64 s[36:37], s[36:37], s[38:39]
	s_and_saveexec_b64 s[40:41], s[36:37]
	s_cbranch_execz .LBB60_36
; %bb.35:
	s_mov_b32 s36, 0x652b82fe
	v_add_f64 v[32:33], v[32:33], -v[30:31]
	s_mov_b32 s37, 0x3ff71547
	v_mul_f64 v[44:45], v[32:33], s[36:37]
	v_rndne_f64_e32 v[44:45], v[44:45]
	s_mov_b32 s43, 0xbfe62e42
	s_mov_b32 s42, 0xfefa39ef
	v_fma_f64 v[46:47], s[42:43], v[44:45], v[32:33]
	s_mov_b32 s45, 0xbc7abc9e
	s_mov_b32 s44, 0x3b39803f
	;; [unrolled: 1-line block ×3, first 2 shown]
	v_fmac_f64_e32 v[46:47], s[44:45], v[44:45]
	v_mov_b32_e32 v48, 0xfca7ab0c
	v_mov_b32_e32 v49, 0x3e928af3
	s_mov_b32 s37, 0x3e5ade15
	v_fmac_f64_e32 v[48:49], s[36:37], v[46:47]
	v_mov_b32_e32 v50, 0x623fde64
	v_mov_b32_e32 v51, 0x3ec71dee
	v_fmac_f64_e32 v[50:51], v[46:47], v[48:49]
	v_mov_b32_e32 v48, 0x7c89e6b0
	v_mov_b32_e32 v49, 0x3efa0199
	v_fmac_f64_e32 v[48:49], v[46:47], v[50:51]
	v_mov_b32_e32 v50, 0x14761f6e
	v_mov_b32_e32 v51, 0x3f2a01a0
	v_fmac_f64_e32 v[50:51], v[46:47], v[48:49]
	v_mov_b32_e32 v48, 0x1852b7b0
	v_mov_b32_e32 v49, 0x3f56c16c
	v_fmac_f64_e32 v[48:49], v[46:47], v[50:51]
	v_mov_b32_e32 v50, 0x11122322
	v_mov_b32_e32 v51, 0x3f811111
	v_fmac_f64_e32 v[50:51], v[46:47], v[48:49]
	v_mov_b32_e32 v48, 0x555502a1
	v_mov_b32_e32 v49, 0x3fa55555
	v_fmac_f64_e32 v[48:49], v[46:47], v[50:51]
	v_mov_b32_e32 v50, 0x55555511
	v_mov_b32_e32 v51, 0x3fc55555
	v_fmac_f64_e32 v[50:51], v[46:47], v[48:49]
	v_mov_b32_e32 v48, 11
	v_mov_b32_e32 v49, 0x3fe00000
	v_fmac_f64_e32 v[48:49], v[46:47], v[50:51]
	v_fma_f64 v[48:49], v[46:47], v[48:49], 1.0
	s_mov_b32 s36, 0
	s_mov_b32 s38, 0
	v_fma_f64 v[46:47], v[46:47], v[48:49], 1.0
	v_cvt_i32_f64_e32 v1, v[44:45]
	s_mov_b32 s37, 0x40900000
	s_mov_b32 s39, 0xc090cc00
	v_ldexp_f64 v[44:45], v[46:47], v1
	v_mov_b32_e32 v1, 0x7ff00000
	v_cmp_nlt_f64_e64 s[36:37], s[36:37], v[32:33]
	v_cmp_ngt_f64_e64 s[38:39], s[38:39], v[32:33]
	s_mov_b32 s43, 0x3fe62e42
	v_cndmask_b32_e64 v1, v1, v45, s[36:37]
	s_and_b64 s[36:37], s[38:39], s[36:37]
	v_cndmask_b32_e64 v33, 0, v1, s[38:39]
	v_cndmask_b32_e64 v32, 0, v44, s[36:37]
	v_add_f64 v[44:45], v[32:33], 1.0
	v_add_f64 v[46:47], v[44:45], -1.0
	v_add_f64 v[48:49], v[46:47], -v[44:45]
	v_add_f64 v[48:49], v[48:49], 1.0
	v_add_f64 v[46:47], v[32:33], -v[46:47]
	s_mov_b32 s36, 0x55555555
	v_add_f64 v[46:47], v[46:47], v[48:49]
	v_frexp_mant_f64_e32 v[48:49], v[44:45]
	s_mov_b32 s37, 0x3fe55555
	v_frexp_exp_i32_f64_e32 v1, v[44:45]
	v_cmp_gt_f64_e64 s[36:37], s[36:37], v[48:49]
	s_mov_b32 s45, 0x3c7abc9e
	s_nop 0
	v_subbrev_co_u32_e64 v1, s[36:37], 0, v1, s[36:37]
	v_sub_u32_e32 v35, 0, v1
	v_ldexp_f64 v[44:45], v[44:45], v35
	v_add_f64 v[48:49], v[44:45], -1.0
	v_add_f64 v[54:55], v[44:45], 1.0
	v_add_f64 v[50:51], v[48:49], 1.0
	v_add_f64 v[56:57], v[54:55], -1.0
	v_ldexp_f64 v[46:47], v[46:47], v35
	v_add_f64 v[50:51], v[44:45], -v[50:51]
	v_add_f64 v[44:45], v[44:45], -v[56:57]
	v_add_f64 v[44:45], v[46:47], v[44:45]
	v_add_f64 v[50:51], v[46:47], v[50:51]
	;; [unrolled: 1-line block ×3, first 2 shown]
	v_rcp_f64_e32 v[56:57], v[46:47]
	v_add_f64 v[52:53], v[48:49], v[50:51]
	v_add_f64 v[48:49], v[52:53], -v[48:49]
	v_add_f64 v[48:49], v[50:51], -v[48:49]
	;; [unrolled: 1-line block ×4, first 2 shown]
	v_fma_f64 v[50:51], -v[46:47], v[56:57], 1.0
	v_fmac_f64_e32 v[56:57], v[50:51], v[56:57]
	v_fma_f64 v[50:51], -v[46:47], v[56:57], 1.0
	v_fmac_f64_e32 v[56:57], v[50:51], v[56:57]
	v_mul_f64 v[50:51], v[52:53], v[56:57]
	v_mul_f64 v[54:55], v[46:47], v[50:51]
	v_fma_f64 v[58:59], v[50:51], v[46:47], -v[54:55]
	v_fmac_f64_e32 v[58:59], v[50:51], v[44:45]
	v_add_f64 v[60:61], v[54:55], v[58:59]
	v_add_f64 v[62:63], v[52:53], -v[60:61]
	v_add_f64 v[52:53], v[52:53], -v[62:63]
	;; [unrolled: 1-line block ×4, first 2 shown]
	v_add_f64 v[48:49], v[48:49], v[52:53]
	v_add_f64 v[52:53], v[54:55], -v[58:59]
	v_add_f64 v[48:49], v[52:53], v[48:49]
	v_add_f64 v[52:53], v[62:63], v[48:49]
	v_add_f64 v[54:55], v[62:63], -v[52:53]
	v_add_f64 v[48:49], v[48:49], v[54:55]
	v_mul_f64 v[54:55], v[56:57], v[52:53]
	v_mul_f64 v[58:59], v[46:47], v[54:55]
	v_fma_f64 v[46:47], v[54:55], v[46:47], -v[58:59]
	v_fmac_f64_e32 v[46:47], v[54:55], v[44:45]
	v_add_f64 v[44:45], v[58:59], v[46:47]
	v_add_f64 v[60:61], v[52:53], -v[44:45]
	v_add_f64 v[52:53], v[52:53], -v[60:61]
	;; [unrolled: 1-line block ×4, first 2 shown]
	v_add_f64 v[44:45], v[48:49], v[44:45]
	v_add_f64 v[46:47], v[58:59], -v[46:47]
	v_add_f64 v[44:45], v[46:47], v[44:45]
	v_add_f64 v[46:47], v[50:51], v[54:55]
	v_add_f64 v[44:45], v[60:61], v[44:45]
	v_add_f64 v[48:49], v[46:47], -v[50:51]
	v_mul_f64 v[44:45], v[56:57], v[44:45]
	v_add_f64 v[48:49], v[54:55], -v[48:49]
	v_add_f64 v[44:45], v[48:49], v[44:45]
	v_add_f64 v[48:49], v[46:47], v[44:45]
	v_add_f64 v[46:47], v[48:49], -v[46:47]
	s_mov_b32 s36, 0xbf559e2b
	v_add_f64 v[44:45], v[44:45], -v[46:47]
	v_mul_f64 v[46:47], v[48:49], v[48:49]
	v_mov_b32_e32 v50, 0x6b47b09a
	v_mov_b32_e32 v51, 0x3fc38538
	s_mov_b32 s37, 0x3fc3ab76
	v_fmac_f64_e32 v[50:51], s[36:37], v[46:47]
	v_mov_b32_e32 v52, 0xd7f4df2e
	v_mov_b32_e32 v53, 0x3fc7474d
	v_fmac_f64_e32 v[52:53], v[46:47], v[50:51]
	v_mov_b32_e32 v50, 0x16291751
	v_mov_b32_e32 v51, 0x3fcc71c0
	;; [unrolled: 3-line block ×5, first 2 shown]
	v_fmac_f64_e32 v[52:53], v[46:47], v[50:51]
	v_cvt_f64_i32_e32 v[50:51], v1
	v_mul_f64 v[54:55], v[50:51], s[42:43]
	v_fma_f64 v[56:57], v[50:51], s[42:43], -v[54:55]
	v_fmac_f64_e32 v[56:57], s[44:45], v[50:51]
	v_add_f64 v[50:51], v[54:55], v[56:57]
	v_add_f64 v[54:55], v[50:51], -v[54:55]
	v_mul_f64 v[46:47], v[48:49], v[46:47]
	v_add_f64 v[54:55], v[56:57], -v[54:55]
	v_ldexp_f64 v[56:57], v[48:49], 1
	v_mul_f64 v[46:47], v[46:47], v[52:53]
	v_add_f64 v[48:49], v[56:57], v[46:47]
	v_add_f64 v[52:53], v[48:49], -v[56:57]
	v_ldexp_f64 v[44:45], v[44:45], 1
	v_add_f64 v[46:47], v[46:47], -v[52:53]
	v_add_f64 v[44:45], v[44:45], v[46:47]
	v_add_f64 v[46:47], v[48:49], v[44:45]
	v_add_f64 v[48:49], v[46:47], -v[48:49]
	v_add_f64 v[44:45], v[44:45], -v[48:49]
	v_add_f64 v[48:49], v[50:51], v[46:47]
	v_add_f64 v[52:53], v[48:49], -v[50:51]
	v_add_f64 v[56:57], v[48:49], -v[52:53]
	;; [unrolled: 1-line block ×4, first 2 shown]
	v_add_f64 v[46:47], v[46:47], v[50:51]
	v_add_f64 v[50:51], v[54:55], v[44:45]
	v_add_f64 v[52:53], v[50:51], -v[54:55]
	v_add_f64 v[46:47], v[50:51], v[46:47]
	v_add_f64 v[56:57], v[50:51], -v[52:53]
	v_add_f64 v[50:51], v[48:49], v[46:47]
	v_add_f64 v[54:55], v[54:55], -v[56:57]
	v_add_f64 v[44:45], v[44:45], -v[52:53]
	v_add_f64 v[48:49], v[50:51], -v[48:49]
	v_add_f64 v[44:45], v[44:45], v[54:55]
	v_add_f64 v[46:47], v[46:47], -v[48:49]
	s_mov_b32 s36, 0
	v_add_f64 v[44:45], v[44:45], v[46:47]
	s_mov_b32 s37, 0x7ff00000
	v_add_f64 v[44:45], v[50:51], v[44:45]
	v_cmp_eq_f64_e64 s[36:37], s[36:37], v[32:33]
	s_nop 1
	v_cndmask_b32_e64 v1, v44, v32, s[36:37]
	v_cndmask_b32_e64 v35, v45, v33, s[36:37]
	v_mov_b32_e32 v44, 0x7ff80000
	v_cmp_ngt_f64_e64 s[36:37], -1.0, v[32:33]
	s_nop 1
	v_cndmask_b32_e64 v35, v44, v35, s[36:37]
	v_cmp_nge_f64_e64 s[36:37], -1.0, v[32:33]
	s_nop 1
	v_cndmask_b32_e64 v44, 0, v1, s[36:37]
	v_mov_b32_e32 v1, 0xfff00000
	v_cmp_neq_f64_e64 s[36:37], -1.0, v[32:33]
	s_nop 1
	v_cndmask_b32_e64 v45, v1, v35, s[36:37]
	v_add_f64 v[72:73], v[30:31], v[44:45]
.LBB60_36:
	s_or_b64 exec, exec, s[40:41]
	v_max_f64 v[44:45], v[22:23], v[22:23]
	v_max_f64 v[30:31], v[72:73], v[72:73]
	v_min_f64 v[32:33], v[30:31], v[44:45]
	v_cmp_u_f64_e64 s[38:39], v[72:73], v[72:73]
	v_cmp_u_f64_e64 s[36:37], v[22:23], v[22:23]
	v_max_f64 v[30:31], v[30:31], v[44:45]
	v_cndmask_b32_e64 v1, v32, v72, s[38:39]
	v_cndmask_b32_e64 v32, v33, v73, s[38:39]
	;; [unrolled: 1-line block ×8, first 2 shown]
	v_cmp_neq_f64_e64 s[38:39], v[32:33], v[30:31]
	v_cmp_class_f64_e64 s[40:41], v[32:33], s33
	s_or_b64 s[38:39], s[38:39], s[40:41]
	s_and_saveexec_b64 s[42:43], s[38:39]
	s_cbranch_execz .LBB60_38
; %bb.37:
	s_mov_b32 s38, 0x652b82fe
	v_add_f64 v[32:33], v[32:33], -v[30:31]
	s_mov_b32 s39, 0x3ff71547
	v_mul_f64 v[46:47], v[32:33], s[38:39]
	v_rndne_f64_e32 v[46:47], v[46:47]
	s_mov_b32 s45, 0xbfe62e42
	s_mov_b32 s44, 0xfefa39ef
	v_fma_f64 v[48:49], s[44:45], v[46:47], v[32:33]
	s_mov_b32 s47, 0xbc7abc9e
	s_mov_b32 s46, 0x3b39803f
	;; [unrolled: 1-line block ×3, first 2 shown]
	v_fmac_f64_e32 v[48:49], s[46:47], v[46:47]
	v_mov_b32_e32 v50, 0xfca7ab0c
	v_mov_b32_e32 v51, 0x3e928af3
	s_mov_b32 s39, 0x3e5ade15
	v_fmac_f64_e32 v[50:51], s[38:39], v[48:49]
	v_mov_b32_e32 v52, 0x623fde64
	v_mov_b32_e32 v53, 0x3ec71dee
	v_fmac_f64_e32 v[52:53], v[48:49], v[50:51]
	v_mov_b32_e32 v50, 0x7c89e6b0
	v_mov_b32_e32 v51, 0x3efa0199
	;; [unrolled: 3-line block ×8, first 2 shown]
	v_fmac_f64_e32 v[50:51], v[48:49], v[52:53]
	v_fma_f64 v[50:51], v[48:49], v[50:51], 1.0
	s_mov_b32 s38, 0
	s_mov_b32 s40, 0
	v_fma_f64 v[48:49], v[48:49], v[50:51], 1.0
	v_cvt_i32_f64_e32 v1, v[46:47]
	s_mov_b32 s39, 0x40900000
	s_mov_b32 s41, 0xc090cc00
	v_ldexp_f64 v[46:47], v[48:49], v1
	v_mov_b32_e32 v1, 0x7ff00000
	v_cmp_nlt_f64_e64 s[38:39], s[38:39], v[32:33]
	v_cmp_ngt_f64_e64 s[40:41], s[40:41], v[32:33]
	s_mov_b32 s45, 0x3fe62e42
	v_cndmask_b32_e64 v1, v1, v47, s[38:39]
	s_and_b64 s[38:39], s[40:41], s[38:39]
	v_cndmask_b32_e64 v33, 0, v1, s[40:41]
	v_cndmask_b32_e64 v32, 0, v46, s[38:39]
	v_add_f64 v[46:47], v[32:33], 1.0
	v_add_f64 v[48:49], v[46:47], -1.0
	v_add_f64 v[50:51], v[48:49], -v[46:47]
	v_add_f64 v[50:51], v[50:51], 1.0
	v_add_f64 v[48:49], v[32:33], -v[48:49]
	s_mov_b32 s38, 0x55555555
	v_add_f64 v[48:49], v[48:49], v[50:51]
	v_frexp_mant_f64_e32 v[50:51], v[46:47]
	s_mov_b32 s39, 0x3fe55555
	v_frexp_exp_i32_f64_e32 v1, v[46:47]
	v_cmp_gt_f64_e64 s[38:39], s[38:39], v[50:51]
	s_mov_b32 s47, 0x3c7abc9e
	s_nop 0
	v_subbrev_co_u32_e64 v1, s[38:39], 0, v1, s[38:39]
	v_sub_u32_e32 v35, 0, v1
	v_ldexp_f64 v[46:47], v[46:47], v35
	v_add_f64 v[50:51], v[46:47], -1.0
	v_add_f64 v[56:57], v[46:47], 1.0
	v_add_f64 v[52:53], v[50:51], 1.0
	v_add_f64 v[58:59], v[56:57], -1.0
	v_ldexp_f64 v[48:49], v[48:49], v35
	v_add_f64 v[52:53], v[46:47], -v[52:53]
	v_add_f64 v[46:47], v[46:47], -v[58:59]
	v_add_f64 v[46:47], v[48:49], v[46:47]
	v_add_f64 v[52:53], v[48:49], v[52:53]
	v_add_f64 v[48:49], v[56:57], v[46:47]
	v_rcp_f64_e32 v[58:59], v[48:49]
	v_add_f64 v[54:55], v[50:51], v[52:53]
	v_add_f64 v[50:51], v[54:55], -v[50:51]
	v_add_f64 v[50:51], v[52:53], -v[50:51]
	v_add_f64 v[52:53], v[48:49], -v[56:57]
	v_add_f64 v[46:47], v[46:47], -v[52:53]
	v_fma_f64 v[52:53], -v[48:49], v[58:59], 1.0
	v_fmac_f64_e32 v[58:59], v[52:53], v[58:59]
	v_fma_f64 v[52:53], -v[48:49], v[58:59], 1.0
	v_fmac_f64_e32 v[58:59], v[52:53], v[58:59]
	v_mul_f64 v[52:53], v[54:55], v[58:59]
	v_mul_f64 v[56:57], v[48:49], v[52:53]
	v_fma_f64 v[60:61], v[52:53], v[48:49], -v[56:57]
	v_fmac_f64_e32 v[60:61], v[52:53], v[46:47]
	v_add_f64 v[62:63], v[56:57], v[60:61]
	v_add_f64 v[64:65], v[54:55], -v[62:63]
	v_add_f64 v[54:55], v[54:55], -v[64:65]
	;; [unrolled: 1-line block ×4, first 2 shown]
	v_add_f64 v[50:51], v[50:51], v[54:55]
	v_add_f64 v[54:55], v[56:57], -v[60:61]
	v_add_f64 v[50:51], v[54:55], v[50:51]
	v_add_f64 v[54:55], v[64:65], v[50:51]
	v_add_f64 v[56:57], v[64:65], -v[54:55]
	v_add_f64 v[50:51], v[50:51], v[56:57]
	v_mul_f64 v[56:57], v[58:59], v[54:55]
	v_mul_f64 v[60:61], v[48:49], v[56:57]
	v_fma_f64 v[48:49], v[56:57], v[48:49], -v[60:61]
	v_fmac_f64_e32 v[48:49], v[56:57], v[46:47]
	v_add_f64 v[46:47], v[60:61], v[48:49]
	v_add_f64 v[62:63], v[54:55], -v[46:47]
	v_add_f64 v[54:55], v[54:55], -v[62:63]
	;; [unrolled: 1-line block ×4, first 2 shown]
	v_add_f64 v[46:47], v[50:51], v[46:47]
	v_add_f64 v[48:49], v[60:61], -v[48:49]
	v_add_f64 v[46:47], v[48:49], v[46:47]
	v_add_f64 v[48:49], v[52:53], v[56:57]
	;; [unrolled: 1-line block ×3, first 2 shown]
	v_add_f64 v[50:51], v[48:49], -v[52:53]
	v_mul_f64 v[46:47], v[58:59], v[46:47]
	v_add_f64 v[50:51], v[56:57], -v[50:51]
	v_add_f64 v[46:47], v[50:51], v[46:47]
	v_add_f64 v[50:51], v[48:49], v[46:47]
	v_add_f64 v[48:49], v[50:51], -v[48:49]
	s_mov_b32 s38, 0xbf559e2b
	v_add_f64 v[46:47], v[46:47], -v[48:49]
	v_mul_f64 v[48:49], v[50:51], v[50:51]
	v_mov_b32_e32 v52, 0x6b47b09a
	v_mov_b32_e32 v53, 0x3fc38538
	s_mov_b32 s39, 0x3fc3ab76
	v_fmac_f64_e32 v[52:53], s[38:39], v[48:49]
	v_mov_b32_e32 v54, 0xd7f4df2e
	v_mov_b32_e32 v55, 0x3fc7474d
	v_fmac_f64_e32 v[54:55], v[48:49], v[52:53]
	v_mov_b32_e32 v52, 0x16291751
	v_mov_b32_e32 v53, 0x3fcc71c0
	;; [unrolled: 3-line block ×5, first 2 shown]
	v_fmac_f64_e32 v[54:55], v[48:49], v[52:53]
	v_cvt_f64_i32_e32 v[52:53], v1
	v_mul_f64 v[56:57], v[52:53], s[44:45]
	v_fma_f64 v[58:59], v[52:53], s[44:45], -v[56:57]
	v_fmac_f64_e32 v[58:59], s[46:47], v[52:53]
	v_add_f64 v[52:53], v[56:57], v[58:59]
	v_add_f64 v[56:57], v[52:53], -v[56:57]
	v_mul_f64 v[48:49], v[50:51], v[48:49]
	v_add_f64 v[56:57], v[58:59], -v[56:57]
	v_ldexp_f64 v[58:59], v[50:51], 1
	v_mul_f64 v[48:49], v[48:49], v[54:55]
	v_add_f64 v[50:51], v[58:59], v[48:49]
	v_add_f64 v[54:55], v[50:51], -v[58:59]
	v_ldexp_f64 v[46:47], v[46:47], 1
	v_add_f64 v[48:49], v[48:49], -v[54:55]
	v_add_f64 v[46:47], v[46:47], v[48:49]
	v_add_f64 v[48:49], v[50:51], v[46:47]
	v_add_f64 v[50:51], v[48:49], -v[50:51]
	v_add_f64 v[46:47], v[46:47], -v[50:51]
	v_add_f64 v[50:51], v[52:53], v[48:49]
	v_add_f64 v[54:55], v[50:51], -v[52:53]
	v_add_f64 v[58:59], v[50:51], -v[54:55]
	;; [unrolled: 1-line block ×4, first 2 shown]
	v_add_f64 v[48:49], v[48:49], v[52:53]
	v_add_f64 v[52:53], v[56:57], v[46:47]
	v_add_f64 v[54:55], v[52:53], -v[56:57]
	v_add_f64 v[48:49], v[52:53], v[48:49]
	v_add_f64 v[58:59], v[52:53], -v[54:55]
	;; [unrolled: 2-line block ×3, first 2 shown]
	v_add_f64 v[46:47], v[46:47], -v[54:55]
	v_add_f64 v[50:51], v[52:53], -v[50:51]
	v_add_f64 v[46:47], v[46:47], v[56:57]
	v_add_f64 v[48:49], v[48:49], -v[50:51]
	s_mov_b32 s38, 0
	v_add_f64 v[46:47], v[46:47], v[48:49]
	s_mov_b32 s39, 0x7ff00000
	v_add_f64 v[46:47], v[52:53], v[46:47]
	v_cmp_eq_f64_e64 s[38:39], s[38:39], v[32:33]
	s_nop 1
	v_cndmask_b32_e64 v1, v46, v32, s[38:39]
	v_cndmask_b32_e64 v35, v47, v33, s[38:39]
	v_mov_b32_e32 v46, 0x7ff80000
	v_cmp_ngt_f64_e64 s[38:39], -1.0, v[32:33]
	s_nop 1
	v_cndmask_b32_e64 v35, v46, v35, s[38:39]
	v_cmp_nge_f64_e64 s[38:39], -1.0, v[32:33]
	s_nop 1
	v_cndmask_b32_e64 v46, 0, v1, s[38:39]
	v_mov_b32_e32 v1, 0xfff00000
	v_cmp_neq_f64_e64 s[38:39], -1.0, v[32:33]
	s_nop 1
	v_cndmask_b32_e64 v47, v1, v35, s[38:39]
	v_add_f64 v[72:73], v[30:31], v[46:47]
.LBB60_38:
	s_or_b64 exec, exec, s[42:43]
	v_max_f64 v[46:47], v[24:25], v[24:25]
	v_max_f64 v[30:31], v[72:73], v[72:73]
	v_min_f64 v[32:33], v[30:31], v[46:47]
	v_cmp_u_f64_e64 s[40:41], v[72:73], v[72:73]
	v_cmp_u_f64_e64 s[38:39], v[24:25], v[24:25]
	v_max_f64 v[30:31], v[30:31], v[46:47]
	v_cndmask_b32_e64 v1, v32, v72, s[40:41]
	v_cndmask_b32_e64 v32, v33, v73, s[40:41]
	;; [unrolled: 1-line block ×8, first 2 shown]
	v_cmp_neq_f64_e64 s[40:41], v[32:33], v[30:31]
	v_cmp_class_f64_e64 s[42:43], v[32:33], s33
	s_or_b64 s[40:41], s[40:41], s[42:43]
	s_and_saveexec_b64 s[44:45], s[40:41]
	s_cbranch_execz .LBB60_40
; %bb.39:
	s_mov_b32 s40, 0x652b82fe
	v_add_f64 v[32:33], v[32:33], -v[30:31]
	s_mov_b32 s41, 0x3ff71547
	v_mul_f64 v[48:49], v[32:33], s[40:41]
	v_rndne_f64_e32 v[48:49], v[48:49]
	s_mov_b32 s47, 0xbfe62e42
	s_mov_b32 s46, 0xfefa39ef
	v_fma_f64 v[50:51], s[46:47], v[48:49], v[32:33]
	s_mov_b32 s49, 0xbc7abc9e
	s_mov_b32 s48, 0x3b39803f
	;; [unrolled: 1-line block ×3, first 2 shown]
	v_fmac_f64_e32 v[50:51], s[48:49], v[48:49]
	v_mov_b32_e32 v52, 0xfca7ab0c
	v_mov_b32_e32 v53, 0x3e928af3
	s_mov_b32 s41, 0x3e5ade15
	v_fmac_f64_e32 v[52:53], s[40:41], v[50:51]
	v_mov_b32_e32 v54, 0x623fde64
	v_mov_b32_e32 v55, 0x3ec71dee
	v_fmac_f64_e32 v[54:55], v[50:51], v[52:53]
	v_mov_b32_e32 v52, 0x7c89e6b0
	v_mov_b32_e32 v53, 0x3efa0199
	;; [unrolled: 3-line block ×8, first 2 shown]
	v_fmac_f64_e32 v[52:53], v[50:51], v[54:55]
	v_fma_f64 v[52:53], v[50:51], v[52:53], 1.0
	s_mov_b32 s40, 0
	s_mov_b32 s42, 0
	v_fma_f64 v[50:51], v[50:51], v[52:53], 1.0
	v_cvt_i32_f64_e32 v1, v[48:49]
	s_mov_b32 s41, 0x40900000
	s_mov_b32 s43, 0xc090cc00
	v_ldexp_f64 v[48:49], v[50:51], v1
	v_mov_b32_e32 v1, 0x7ff00000
	v_cmp_nlt_f64_e64 s[40:41], s[40:41], v[32:33]
	v_cmp_ngt_f64_e64 s[42:43], s[42:43], v[32:33]
	s_mov_b32 s47, 0x3fe62e42
	v_cndmask_b32_e64 v1, v1, v49, s[40:41]
	s_and_b64 s[40:41], s[42:43], s[40:41]
	v_cndmask_b32_e64 v33, 0, v1, s[42:43]
	v_cndmask_b32_e64 v32, 0, v48, s[40:41]
	v_add_f64 v[48:49], v[32:33], 1.0
	v_add_f64 v[50:51], v[48:49], -1.0
	v_add_f64 v[52:53], v[50:51], -v[48:49]
	v_add_f64 v[52:53], v[52:53], 1.0
	v_add_f64 v[50:51], v[32:33], -v[50:51]
	s_mov_b32 s40, 0x55555555
	v_add_f64 v[50:51], v[50:51], v[52:53]
	v_frexp_mant_f64_e32 v[52:53], v[48:49]
	s_mov_b32 s41, 0x3fe55555
	v_frexp_exp_i32_f64_e32 v1, v[48:49]
	v_cmp_gt_f64_e64 s[40:41], s[40:41], v[52:53]
	s_mov_b32 s49, 0x3c7abc9e
	s_nop 0
	v_subbrev_co_u32_e64 v1, s[40:41], 0, v1, s[40:41]
	v_sub_u32_e32 v35, 0, v1
	v_ldexp_f64 v[48:49], v[48:49], v35
	v_add_f64 v[52:53], v[48:49], -1.0
	v_add_f64 v[58:59], v[48:49], 1.0
	v_add_f64 v[54:55], v[52:53], 1.0
	v_add_f64 v[60:61], v[58:59], -1.0
	v_ldexp_f64 v[50:51], v[50:51], v35
	v_add_f64 v[54:55], v[48:49], -v[54:55]
	v_add_f64 v[48:49], v[48:49], -v[60:61]
	v_add_f64 v[48:49], v[50:51], v[48:49]
	v_add_f64 v[54:55], v[50:51], v[54:55]
	;; [unrolled: 1-line block ×3, first 2 shown]
	v_rcp_f64_e32 v[60:61], v[50:51]
	v_add_f64 v[56:57], v[52:53], v[54:55]
	v_add_f64 v[52:53], v[56:57], -v[52:53]
	v_add_f64 v[52:53], v[54:55], -v[52:53]
	v_add_f64 v[54:55], v[50:51], -v[58:59]
	v_add_f64 v[48:49], v[48:49], -v[54:55]
	v_fma_f64 v[54:55], -v[50:51], v[60:61], 1.0
	v_fmac_f64_e32 v[60:61], v[54:55], v[60:61]
	v_fma_f64 v[54:55], -v[50:51], v[60:61], 1.0
	v_fmac_f64_e32 v[60:61], v[54:55], v[60:61]
	v_mul_f64 v[54:55], v[56:57], v[60:61]
	v_mul_f64 v[58:59], v[50:51], v[54:55]
	v_fma_f64 v[62:63], v[54:55], v[50:51], -v[58:59]
	v_fmac_f64_e32 v[62:63], v[54:55], v[48:49]
	v_add_f64 v[64:65], v[58:59], v[62:63]
	v_add_f64 v[72:73], v[56:57], -v[64:65]
	v_add_f64 v[56:57], v[56:57], -v[72:73]
	;; [unrolled: 1-line block ×4, first 2 shown]
	v_add_f64 v[52:53], v[52:53], v[56:57]
	v_add_f64 v[56:57], v[58:59], -v[62:63]
	v_add_f64 v[52:53], v[56:57], v[52:53]
	v_add_f64 v[56:57], v[72:73], v[52:53]
	v_add_f64 v[58:59], v[72:73], -v[56:57]
	v_add_f64 v[52:53], v[52:53], v[58:59]
	v_mul_f64 v[58:59], v[60:61], v[56:57]
	v_mul_f64 v[62:63], v[50:51], v[58:59]
	v_fma_f64 v[50:51], v[58:59], v[50:51], -v[62:63]
	v_fmac_f64_e32 v[50:51], v[58:59], v[48:49]
	v_add_f64 v[48:49], v[62:63], v[50:51]
	v_add_f64 v[64:65], v[56:57], -v[48:49]
	v_add_f64 v[56:57], v[56:57], -v[64:65]
	v_add_f64 v[62:63], v[48:49], -v[62:63]
	v_add_f64 v[48:49], v[56:57], -v[48:49]
	v_add_f64 v[48:49], v[52:53], v[48:49]
	v_add_f64 v[50:51], v[62:63], -v[50:51]
	v_add_f64 v[48:49], v[50:51], v[48:49]
	v_add_f64 v[50:51], v[54:55], v[58:59]
	;; [unrolled: 1-line block ×3, first 2 shown]
	v_add_f64 v[52:53], v[50:51], -v[54:55]
	v_mul_f64 v[48:49], v[60:61], v[48:49]
	v_add_f64 v[52:53], v[58:59], -v[52:53]
	v_add_f64 v[48:49], v[52:53], v[48:49]
	v_add_f64 v[52:53], v[50:51], v[48:49]
	v_add_f64 v[50:51], v[52:53], -v[50:51]
	s_mov_b32 s40, 0xbf559e2b
	v_add_f64 v[48:49], v[48:49], -v[50:51]
	v_mul_f64 v[50:51], v[52:53], v[52:53]
	v_mov_b32_e32 v54, 0x6b47b09a
	v_mov_b32_e32 v55, 0x3fc38538
	s_mov_b32 s41, 0x3fc3ab76
	v_fmac_f64_e32 v[54:55], s[40:41], v[50:51]
	v_mov_b32_e32 v56, 0xd7f4df2e
	v_mov_b32_e32 v57, 0x3fc7474d
	v_fmac_f64_e32 v[56:57], v[50:51], v[54:55]
	v_mov_b32_e32 v54, 0x16291751
	v_mov_b32_e32 v55, 0x3fcc71c0
	;; [unrolled: 3-line block ×5, first 2 shown]
	v_fmac_f64_e32 v[56:57], v[50:51], v[54:55]
	v_cvt_f64_i32_e32 v[54:55], v1
	v_mul_f64 v[58:59], v[54:55], s[46:47]
	v_fma_f64 v[60:61], v[54:55], s[46:47], -v[58:59]
	v_fmac_f64_e32 v[60:61], s[48:49], v[54:55]
	v_add_f64 v[54:55], v[58:59], v[60:61]
	v_add_f64 v[58:59], v[54:55], -v[58:59]
	v_mul_f64 v[50:51], v[52:53], v[50:51]
	v_add_f64 v[58:59], v[60:61], -v[58:59]
	v_ldexp_f64 v[60:61], v[52:53], 1
	v_mul_f64 v[50:51], v[50:51], v[56:57]
	v_add_f64 v[52:53], v[60:61], v[50:51]
	v_add_f64 v[56:57], v[52:53], -v[60:61]
	v_ldexp_f64 v[48:49], v[48:49], 1
	v_add_f64 v[50:51], v[50:51], -v[56:57]
	v_add_f64 v[48:49], v[48:49], v[50:51]
	v_add_f64 v[50:51], v[52:53], v[48:49]
	v_add_f64 v[52:53], v[50:51], -v[52:53]
	v_add_f64 v[48:49], v[48:49], -v[52:53]
	v_add_f64 v[52:53], v[54:55], v[50:51]
	v_add_f64 v[56:57], v[52:53], -v[54:55]
	v_add_f64 v[60:61], v[52:53], -v[56:57]
	;; [unrolled: 1-line block ×4, first 2 shown]
	v_add_f64 v[50:51], v[50:51], v[54:55]
	v_add_f64 v[54:55], v[58:59], v[48:49]
	v_add_f64 v[56:57], v[54:55], -v[58:59]
	v_add_f64 v[50:51], v[54:55], v[50:51]
	v_add_f64 v[60:61], v[54:55], -v[56:57]
	;; [unrolled: 2-line block ×3, first 2 shown]
	v_add_f64 v[48:49], v[48:49], -v[56:57]
	v_add_f64 v[52:53], v[54:55], -v[52:53]
	v_add_f64 v[48:49], v[48:49], v[58:59]
	v_add_f64 v[50:51], v[50:51], -v[52:53]
	s_mov_b32 s40, 0
	v_add_f64 v[48:49], v[48:49], v[50:51]
	s_mov_b32 s41, 0x7ff00000
	v_add_f64 v[48:49], v[54:55], v[48:49]
	v_cmp_eq_f64_e64 s[40:41], s[40:41], v[32:33]
	s_nop 1
	v_cndmask_b32_e64 v1, v48, v32, s[40:41]
	v_cndmask_b32_e64 v35, v49, v33, s[40:41]
	v_mov_b32_e32 v48, 0x7ff80000
	v_cmp_ngt_f64_e64 s[40:41], -1.0, v[32:33]
	s_nop 1
	v_cndmask_b32_e64 v35, v48, v35, s[40:41]
	v_cmp_nge_f64_e64 s[40:41], -1.0, v[32:33]
	s_nop 1
	v_cndmask_b32_e64 v48, 0, v1, s[40:41]
	v_mov_b32_e32 v1, 0xfff00000
	v_cmp_neq_f64_e64 s[40:41], -1.0, v[32:33]
	s_nop 1
	v_cndmask_b32_e64 v49, v1, v35, s[40:41]
	v_add_f64 v[72:73], v[30:31], v[48:49]
.LBB60_40:
	s_or_b64 exec, exec, s[44:45]
	v_max_f64 v[48:49], v[18:19], v[18:19]
	v_max_f64 v[30:31], v[72:73], v[72:73]
	v_min_f64 v[32:33], v[30:31], v[48:49]
	v_cmp_u_f64_e64 s[42:43], v[72:73], v[72:73]
	v_cmp_u_f64_e64 s[40:41], v[18:19], v[18:19]
	v_max_f64 v[30:31], v[30:31], v[48:49]
	v_cndmask_b32_e64 v1, v32, v72, s[42:43]
	v_cndmask_b32_e64 v32, v33, v73, s[42:43]
	;; [unrolled: 1-line block ×8, first 2 shown]
	v_cmp_neq_f64_e64 s[42:43], v[32:33], v[30:31]
	v_cmp_class_f64_e64 s[44:45], v[32:33], s33
	s_or_b64 s[42:43], s[42:43], s[44:45]
	s_and_saveexec_b64 s[46:47], s[42:43]
	s_cbranch_execz .LBB60_42
; %bb.41:
	s_mov_b32 s42, 0x652b82fe
	v_add_f64 v[32:33], v[32:33], -v[30:31]
	s_mov_b32 s43, 0x3ff71547
	v_mul_f64 v[50:51], v[32:33], s[42:43]
	v_rndne_f64_e32 v[50:51], v[50:51]
	s_mov_b32 s49, 0xbfe62e42
	s_mov_b32 s48, 0xfefa39ef
	v_fma_f64 v[52:53], s[48:49], v[50:51], v[32:33]
	s_mov_b32 s51, 0xbc7abc9e
	s_mov_b32 s50, 0x3b39803f
	;; [unrolled: 1-line block ×3, first 2 shown]
	v_fmac_f64_e32 v[52:53], s[50:51], v[50:51]
	v_mov_b32_e32 v54, 0xfca7ab0c
	v_mov_b32_e32 v55, 0x3e928af3
	s_mov_b32 s43, 0x3e5ade15
	v_fmac_f64_e32 v[54:55], s[42:43], v[52:53]
	v_mov_b32_e32 v56, 0x623fde64
	v_mov_b32_e32 v57, 0x3ec71dee
	v_fmac_f64_e32 v[56:57], v[52:53], v[54:55]
	v_mov_b32_e32 v54, 0x7c89e6b0
	v_mov_b32_e32 v55, 0x3efa0199
	;; [unrolled: 3-line block ×8, first 2 shown]
	v_fmac_f64_e32 v[54:55], v[52:53], v[56:57]
	v_fma_f64 v[54:55], v[52:53], v[54:55], 1.0
	s_mov_b32 s42, 0
	s_mov_b32 s44, 0
	v_fma_f64 v[52:53], v[52:53], v[54:55], 1.0
	v_cvt_i32_f64_e32 v1, v[50:51]
	s_mov_b32 s43, 0x40900000
	s_mov_b32 s45, 0xc090cc00
	v_ldexp_f64 v[50:51], v[52:53], v1
	v_mov_b32_e32 v1, 0x7ff00000
	v_cmp_nlt_f64_e64 s[42:43], s[42:43], v[32:33]
	v_cmp_ngt_f64_e64 s[44:45], s[44:45], v[32:33]
	s_mov_b32 s49, 0x3fe62e42
	v_cndmask_b32_e64 v1, v1, v51, s[42:43]
	s_and_b64 s[42:43], s[44:45], s[42:43]
	v_cndmask_b32_e64 v33, 0, v1, s[44:45]
	v_cndmask_b32_e64 v32, 0, v50, s[42:43]
	v_add_f64 v[50:51], v[32:33], 1.0
	v_add_f64 v[52:53], v[50:51], -1.0
	v_add_f64 v[54:55], v[52:53], -v[50:51]
	v_add_f64 v[54:55], v[54:55], 1.0
	v_add_f64 v[52:53], v[32:33], -v[52:53]
	s_mov_b32 s42, 0x55555555
	v_add_f64 v[52:53], v[52:53], v[54:55]
	v_frexp_mant_f64_e32 v[54:55], v[50:51]
	s_mov_b32 s43, 0x3fe55555
	v_frexp_exp_i32_f64_e32 v1, v[50:51]
	v_cmp_gt_f64_e64 s[42:43], s[42:43], v[54:55]
	s_mov_b32 s51, 0x3c7abc9e
	s_nop 0
	v_subbrev_co_u32_e64 v1, s[42:43], 0, v1, s[42:43]
	v_sub_u32_e32 v35, 0, v1
	v_ldexp_f64 v[50:51], v[50:51], v35
	v_add_f64 v[54:55], v[50:51], -1.0
	v_add_f64 v[60:61], v[50:51], 1.0
	v_add_f64 v[56:57], v[54:55], 1.0
	v_add_f64 v[62:63], v[60:61], -1.0
	v_ldexp_f64 v[52:53], v[52:53], v35
	v_add_f64 v[56:57], v[50:51], -v[56:57]
	v_add_f64 v[50:51], v[50:51], -v[62:63]
	v_add_f64 v[50:51], v[52:53], v[50:51]
	v_add_f64 v[56:57], v[52:53], v[56:57]
	;; [unrolled: 1-line block ×3, first 2 shown]
	v_rcp_f64_e32 v[62:63], v[52:53]
	v_add_f64 v[58:59], v[54:55], v[56:57]
	v_add_f64 v[54:55], v[58:59], -v[54:55]
	v_add_f64 v[54:55], v[56:57], -v[54:55]
	;; [unrolled: 1-line block ×4, first 2 shown]
	v_fma_f64 v[56:57], -v[52:53], v[62:63], 1.0
	v_fmac_f64_e32 v[62:63], v[56:57], v[62:63]
	v_fma_f64 v[56:57], -v[52:53], v[62:63], 1.0
	v_fmac_f64_e32 v[62:63], v[56:57], v[62:63]
	v_mul_f64 v[56:57], v[58:59], v[62:63]
	v_mul_f64 v[60:61], v[52:53], v[56:57]
	v_fma_f64 v[64:65], v[56:57], v[52:53], -v[60:61]
	v_fmac_f64_e32 v[64:65], v[56:57], v[50:51]
	v_add_f64 v[72:73], v[60:61], v[64:65]
	v_add_f64 v[74:75], v[58:59], -v[72:73]
	v_add_f64 v[58:59], v[58:59], -v[74:75]
	;; [unrolled: 1-line block ×4, first 2 shown]
	v_add_f64 v[54:55], v[54:55], v[58:59]
	v_add_f64 v[58:59], v[60:61], -v[64:65]
	v_add_f64 v[54:55], v[58:59], v[54:55]
	v_add_f64 v[58:59], v[74:75], v[54:55]
	v_add_f64 v[60:61], v[74:75], -v[58:59]
	v_add_f64 v[54:55], v[54:55], v[60:61]
	v_mul_f64 v[60:61], v[62:63], v[58:59]
	v_mul_f64 v[64:65], v[52:53], v[60:61]
	v_fma_f64 v[52:53], v[60:61], v[52:53], -v[64:65]
	v_fmac_f64_e32 v[52:53], v[60:61], v[50:51]
	v_add_f64 v[50:51], v[64:65], v[52:53]
	v_add_f64 v[72:73], v[58:59], -v[50:51]
	v_add_f64 v[58:59], v[58:59], -v[72:73]
	;; [unrolled: 1-line block ×4, first 2 shown]
	v_add_f64 v[50:51], v[54:55], v[50:51]
	v_add_f64 v[52:53], v[64:65], -v[52:53]
	v_add_f64 v[50:51], v[52:53], v[50:51]
	v_add_f64 v[52:53], v[56:57], v[60:61]
	;; [unrolled: 1-line block ×3, first 2 shown]
	v_add_f64 v[54:55], v[52:53], -v[56:57]
	v_mul_f64 v[50:51], v[62:63], v[50:51]
	v_add_f64 v[54:55], v[60:61], -v[54:55]
	v_add_f64 v[50:51], v[54:55], v[50:51]
	v_add_f64 v[54:55], v[52:53], v[50:51]
	v_add_f64 v[52:53], v[54:55], -v[52:53]
	s_mov_b32 s42, 0xbf559e2b
	v_add_f64 v[50:51], v[50:51], -v[52:53]
	v_mul_f64 v[52:53], v[54:55], v[54:55]
	v_mov_b32_e32 v56, 0x6b47b09a
	v_mov_b32_e32 v57, 0x3fc38538
	s_mov_b32 s43, 0x3fc3ab76
	v_fmac_f64_e32 v[56:57], s[42:43], v[52:53]
	v_mov_b32_e32 v58, 0xd7f4df2e
	v_mov_b32_e32 v59, 0x3fc7474d
	v_fmac_f64_e32 v[58:59], v[52:53], v[56:57]
	v_mov_b32_e32 v56, 0x16291751
	v_mov_b32_e32 v57, 0x3fcc71c0
	;; [unrolled: 3-line block ×5, first 2 shown]
	v_fmac_f64_e32 v[58:59], v[52:53], v[56:57]
	v_cvt_f64_i32_e32 v[56:57], v1
	v_mul_f64 v[60:61], v[56:57], s[48:49]
	v_fma_f64 v[62:63], v[56:57], s[48:49], -v[60:61]
	v_fmac_f64_e32 v[62:63], s[50:51], v[56:57]
	v_add_f64 v[56:57], v[60:61], v[62:63]
	v_add_f64 v[60:61], v[56:57], -v[60:61]
	v_mul_f64 v[52:53], v[54:55], v[52:53]
	v_add_f64 v[60:61], v[62:63], -v[60:61]
	v_ldexp_f64 v[62:63], v[54:55], 1
	v_mul_f64 v[52:53], v[52:53], v[58:59]
	v_add_f64 v[54:55], v[62:63], v[52:53]
	v_add_f64 v[58:59], v[54:55], -v[62:63]
	v_ldexp_f64 v[50:51], v[50:51], 1
	v_add_f64 v[52:53], v[52:53], -v[58:59]
	v_add_f64 v[50:51], v[50:51], v[52:53]
	v_add_f64 v[52:53], v[54:55], v[50:51]
	v_add_f64 v[54:55], v[52:53], -v[54:55]
	v_add_f64 v[50:51], v[50:51], -v[54:55]
	v_add_f64 v[54:55], v[56:57], v[52:53]
	v_add_f64 v[58:59], v[54:55], -v[56:57]
	v_add_f64 v[62:63], v[54:55], -v[58:59]
	;; [unrolled: 1-line block ×4, first 2 shown]
	v_add_f64 v[52:53], v[52:53], v[56:57]
	v_add_f64 v[56:57], v[60:61], v[50:51]
	v_add_f64 v[58:59], v[56:57], -v[60:61]
	v_add_f64 v[52:53], v[56:57], v[52:53]
	v_add_f64 v[62:63], v[56:57], -v[58:59]
	;; [unrolled: 2-line block ×3, first 2 shown]
	v_add_f64 v[50:51], v[50:51], -v[58:59]
	v_add_f64 v[54:55], v[56:57], -v[54:55]
	v_add_f64 v[50:51], v[50:51], v[60:61]
	v_add_f64 v[52:53], v[52:53], -v[54:55]
	s_mov_b32 s42, 0
	v_add_f64 v[50:51], v[50:51], v[52:53]
	s_mov_b32 s43, 0x7ff00000
	v_add_f64 v[50:51], v[56:57], v[50:51]
	v_cmp_eq_f64_e64 s[42:43], s[42:43], v[32:33]
	s_nop 1
	v_cndmask_b32_e64 v1, v50, v32, s[42:43]
	v_cndmask_b32_e64 v35, v51, v33, s[42:43]
	v_mov_b32_e32 v50, 0x7ff80000
	v_cmp_ngt_f64_e64 s[42:43], -1.0, v[32:33]
	s_nop 1
	v_cndmask_b32_e64 v35, v50, v35, s[42:43]
	v_cmp_nge_f64_e64 s[42:43], -1.0, v[32:33]
	s_nop 1
	v_cndmask_b32_e64 v50, 0, v1, s[42:43]
	v_mov_b32_e32 v1, 0xfff00000
	v_cmp_neq_f64_e64 s[42:43], -1.0, v[32:33]
	s_nop 1
	v_cndmask_b32_e64 v51, v1, v35, s[42:43]
	v_add_f64 v[72:73], v[30:31], v[50:51]
.LBB60_42:
	s_or_b64 exec, exec, s[46:47]
	v_max_f64 v[50:51], v[20:21], v[20:21]
	v_max_f64 v[30:31], v[72:73], v[72:73]
	v_min_f64 v[32:33], v[30:31], v[50:51]
	v_cmp_u_f64_e64 s[44:45], v[72:73], v[72:73]
	v_cmp_u_f64_e64 s[42:43], v[20:21], v[20:21]
	v_max_f64 v[30:31], v[30:31], v[50:51]
	v_cndmask_b32_e64 v1, v32, v72, s[44:45]
	v_cndmask_b32_e64 v32, v33, v73, s[44:45]
	v_cndmask_b32_e64 v33, v32, v21, s[42:43]
	v_cndmask_b32_e64 v32, v1, v20, s[42:43]
	v_cndmask_b32_e64 v1, v30, v72, s[44:45]
	v_cndmask_b32_e64 v30, v31, v73, s[44:45]
	v_cndmask_b32_e64 v31, v30, v21, s[42:43]
	v_cndmask_b32_e64 v30, v1, v20, s[42:43]
	v_cmp_neq_f64_e64 s[44:45], v[32:33], v[30:31]
	v_cmp_class_f64_e64 s[46:47], v[32:33], s33
	s_or_b64 s[44:45], s[44:45], s[46:47]
	s_and_saveexec_b64 s[48:49], s[44:45]
	s_cbranch_execz .LBB60_44
; %bb.43:
	s_mov_b32 s44, 0x652b82fe
	v_add_f64 v[32:33], v[32:33], -v[30:31]
	s_mov_b32 s45, 0x3ff71547
	v_mul_f64 v[52:53], v[32:33], s[44:45]
	v_rndne_f64_e32 v[52:53], v[52:53]
	s_mov_b32 s51, 0xbfe62e42
	s_mov_b32 s50, 0xfefa39ef
	v_fma_f64 v[54:55], s[50:51], v[52:53], v[32:33]
	s_mov_b32 s53, 0xbc7abc9e
	s_mov_b32 s52, 0x3b39803f
	;; [unrolled: 1-line block ×3, first 2 shown]
	v_fmac_f64_e32 v[54:55], s[52:53], v[52:53]
	v_mov_b32_e32 v56, 0xfca7ab0c
	v_mov_b32_e32 v57, 0x3e928af3
	s_mov_b32 s45, 0x3e5ade15
	v_fmac_f64_e32 v[56:57], s[44:45], v[54:55]
	v_mov_b32_e32 v58, 0x623fde64
	v_mov_b32_e32 v59, 0x3ec71dee
	v_fmac_f64_e32 v[58:59], v[54:55], v[56:57]
	v_mov_b32_e32 v56, 0x7c89e6b0
	v_mov_b32_e32 v57, 0x3efa0199
	;; [unrolled: 3-line block ×8, first 2 shown]
	v_fmac_f64_e32 v[56:57], v[54:55], v[58:59]
	v_fma_f64 v[56:57], v[54:55], v[56:57], 1.0
	s_mov_b32 s44, 0
	s_mov_b32 s46, 0
	v_fma_f64 v[54:55], v[54:55], v[56:57], 1.0
	v_cvt_i32_f64_e32 v1, v[52:53]
	s_mov_b32 s45, 0x40900000
	s_mov_b32 s47, 0xc090cc00
	v_ldexp_f64 v[52:53], v[54:55], v1
	v_mov_b32_e32 v1, 0x7ff00000
	v_cmp_nlt_f64_e64 s[44:45], s[44:45], v[32:33]
	v_cmp_ngt_f64_e64 s[46:47], s[46:47], v[32:33]
	s_mov_b32 s51, 0x3fe62e42
	v_cndmask_b32_e64 v1, v1, v53, s[44:45]
	s_and_b64 s[44:45], s[46:47], s[44:45]
	v_cndmask_b32_e64 v33, 0, v1, s[46:47]
	v_cndmask_b32_e64 v32, 0, v52, s[44:45]
	v_add_f64 v[52:53], v[32:33], 1.0
	v_add_f64 v[54:55], v[52:53], -1.0
	v_add_f64 v[56:57], v[54:55], -v[52:53]
	v_add_f64 v[56:57], v[56:57], 1.0
	v_add_f64 v[54:55], v[32:33], -v[54:55]
	s_mov_b32 s44, 0x55555555
	v_add_f64 v[54:55], v[54:55], v[56:57]
	v_frexp_mant_f64_e32 v[56:57], v[52:53]
	s_mov_b32 s45, 0x3fe55555
	v_frexp_exp_i32_f64_e32 v1, v[52:53]
	v_cmp_gt_f64_e64 s[44:45], s[44:45], v[56:57]
	s_mov_b32 s53, 0x3c7abc9e
	s_nop 0
	v_subbrev_co_u32_e64 v1, s[44:45], 0, v1, s[44:45]
	v_sub_u32_e32 v35, 0, v1
	v_ldexp_f64 v[52:53], v[52:53], v35
	v_add_f64 v[56:57], v[52:53], -1.0
	v_add_f64 v[62:63], v[52:53], 1.0
	v_add_f64 v[58:59], v[56:57], 1.0
	v_add_f64 v[64:65], v[62:63], -1.0
	v_ldexp_f64 v[54:55], v[54:55], v35
	v_add_f64 v[58:59], v[52:53], -v[58:59]
	v_add_f64 v[52:53], v[52:53], -v[64:65]
	v_add_f64 v[52:53], v[54:55], v[52:53]
	v_add_f64 v[58:59], v[54:55], v[58:59]
	;; [unrolled: 1-line block ×3, first 2 shown]
	v_rcp_f64_e32 v[64:65], v[54:55]
	v_add_f64 v[60:61], v[56:57], v[58:59]
	v_add_f64 v[56:57], v[60:61], -v[56:57]
	v_add_f64 v[56:57], v[58:59], -v[56:57]
	;; [unrolled: 1-line block ×4, first 2 shown]
	v_fma_f64 v[58:59], -v[54:55], v[64:65], 1.0
	v_fmac_f64_e32 v[64:65], v[58:59], v[64:65]
	v_fma_f64 v[58:59], -v[54:55], v[64:65], 1.0
	v_fmac_f64_e32 v[64:65], v[58:59], v[64:65]
	v_mul_f64 v[58:59], v[60:61], v[64:65]
	v_mul_f64 v[62:63], v[54:55], v[58:59]
	v_fma_f64 v[72:73], v[58:59], v[54:55], -v[62:63]
	v_fmac_f64_e32 v[72:73], v[58:59], v[52:53]
	v_add_f64 v[74:75], v[62:63], v[72:73]
	v_add_f64 v[76:77], v[60:61], -v[74:75]
	v_add_f64 v[60:61], v[60:61], -v[76:77]
	;; [unrolled: 1-line block ×4, first 2 shown]
	v_add_f64 v[56:57], v[56:57], v[60:61]
	v_add_f64 v[60:61], v[62:63], -v[72:73]
	v_add_f64 v[56:57], v[60:61], v[56:57]
	v_add_f64 v[60:61], v[76:77], v[56:57]
	v_add_f64 v[62:63], v[76:77], -v[60:61]
	v_add_f64 v[56:57], v[56:57], v[62:63]
	v_mul_f64 v[62:63], v[64:65], v[60:61]
	v_mul_f64 v[72:73], v[54:55], v[62:63]
	v_fma_f64 v[54:55], v[62:63], v[54:55], -v[72:73]
	v_fmac_f64_e32 v[54:55], v[62:63], v[52:53]
	v_add_f64 v[52:53], v[72:73], v[54:55]
	v_add_f64 v[74:75], v[60:61], -v[52:53]
	v_add_f64 v[60:61], v[60:61], -v[74:75]
	;; [unrolled: 1-line block ×4, first 2 shown]
	v_add_f64 v[52:53], v[56:57], v[52:53]
	v_add_f64 v[54:55], v[72:73], -v[54:55]
	v_add_f64 v[52:53], v[54:55], v[52:53]
	v_add_f64 v[54:55], v[58:59], v[62:63]
	;; [unrolled: 1-line block ×3, first 2 shown]
	v_add_f64 v[56:57], v[54:55], -v[58:59]
	v_mul_f64 v[52:53], v[64:65], v[52:53]
	v_add_f64 v[56:57], v[62:63], -v[56:57]
	v_add_f64 v[52:53], v[56:57], v[52:53]
	v_add_f64 v[56:57], v[54:55], v[52:53]
	v_add_f64 v[54:55], v[56:57], -v[54:55]
	s_mov_b32 s44, 0xbf559e2b
	v_add_f64 v[52:53], v[52:53], -v[54:55]
	v_mul_f64 v[54:55], v[56:57], v[56:57]
	v_mov_b32_e32 v58, 0x6b47b09a
	v_mov_b32_e32 v59, 0x3fc38538
	s_mov_b32 s45, 0x3fc3ab76
	v_fmac_f64_e32 v[58:59], s[44:45], v[54:55]
	v_mov_b32_e32 v60, 0xd7f4df2e
	v_mov_b32_e32 v61, 0x3fc7474d
	v_fmac_f64_e32 v[60:61], v[54:55], v[58:59]
	v_mov_b32_e32 v58, 0x16291751
	v_mov_b32_e32 v59, 0x3fcc71c0
	;; [unrolled: 3-line block ×5, first 2 shown]
	v_fmac_f64_e32 v[60:61], v[54:55], v[58:59]
	v_cvt_f64_i32_e32 v[58:59], v1
	v_mul_f64 v[62:63], v[58:59], s[50:51]
	v_fma_f64 v[64:65], v[58:59], s[50:51], -v[62:63]
	v_fmac_f64_e32 v[64:65], s[52:53], v[58:59]
	v_add_f64 v[58:59], v[62:63], v[64:65]
	v_add_f64 v[62:63], v[58:59], -v[62:63]
	v_mul_f64 v[54:55], v[56:57], v[54:55]
	v_add_f64 v[62:63], v[64:65], -v[62:63]
	v_ldexp_f64 v[64:65], v[56:57], 1
	v_mul_f64 v[54:55], v[54:55], v[60:61]
	v_add_f64 v[56:57], v[64:65], v[54:55]
	v_add_f64 v[60:61], v[56:57], -v[64:65]
	v_ldexp_f64 v[52:53], v[52:53], 1
	v_add_f64 v[54:55], v[54:55], -v[60:61]
	v_add_f64 v[52:53], v[52:53], v[54:55]
	v_add_f64 v[54:55], v[56:57], v[52:53]
	v_add_f64 v[56:57], v[54:55], -v[56:57]
	v_add_f64 v[52:53], v[52:53], -v[56:57]
	v_add_f64 v[56:57], v[58:59], v[54:55]
	v_add_f64 v[60:61], v[56:57], -v[58:59]
	v_add_f64 v[64:65], v[56:57], -v[60:61]
	;; [unrolled: 1-line block ×4, first 2 shown]
	v_add_f64 v[54:55], v[54:55], v[58:59]
	v_add_f64 v[58:59], v[62:63], v[52:53]
	v_add_f64 v[60:61], v[58:59], -v[62:63]
	v_add_f64 v[54:55], v[58:59], v[54:55]
	v_add_f64 v[64:65], v[58:59], -v[60:61]
	;; [unrolled: 2-line block ×3, first 2 shown]
	v_add_f64 v[52:53], v[52:53], -v[60:61]
	v_add_f64 v[56:57], v[58:59], -v[56:57]
	v_add_f64 v[52:53], v[52:53], v[62:63]
	v_add_f64 v[54:55], v[54:55], -v[56:57]
	s_mov_b32 s44, 0
	v_add_f64 v[52:53], v[52:53], v[54:55]
	s_mov_b32 s45, 0x7ff00000
	v_add_f64 v[52:53], v[58:59], v[52:53]
	v_cmp_eq_f64_e64 s[44:45], s[44:45], v[32:33]
	s_nop 1
	v_cndmask_b32_e64 v1, v52, v32, s[44:45]
	v_cndmask_b32_e64 v35, v53, v33, s[44:45]
	v_mov_b32_e32 v52, 0x7ff80000
	v_cmp_ngt_f64_e64 s[44:45], -1.0, v[32:33]
	s_nop 1
	v_cndmask_b32_e64 v35, v52, v35, s[44:45]
	v_cmp_nge_f64_e64 s[44:45], -1.0, v[32:33]
	s_nop 1
	v_cndmask_b32_e64 v52, 0, v1, s[44:45]
	v_mov_b32_e32 v1, 0xfff00000
	v_cmp_neq_f64_e64 s[44:45], -1.0, v[32:33]
	s_nop 1
	v_cndmask_b32_e64 v53, v1, v35, s[44:45]
	v_add_f64 v[72:73], v[30:31], v[52:53]
.LBB60_44:
	s_or_b64 exec, exec, s[48:49]
	v_max_f64 v[52:53], v[14:15], v[14:15]
	v_max_f64 v[30:31], v[72:73], v[72:73]
	v_min_f64 v[32:33], v[30:31], v[52:53]
	v_cmp_u_f64_e64 s[46:47], v[72:73], v[72:73]
	v_cmp_u_f64_e64 s[44:45], v[14:15], v[14:15]
	v_max_f64 v[30:31], v[30:31], v[52:53]
	v_cndmask_b32_e64 v1, v32, v72, s[46:47]
	v_cndmask_b32_e64 v32, v33, v73, s[46:47]
	;; [unrolled: 1-line block ×8, first 2 shown]
	v_cmp_neq_f64_e64 s[46:47], v[32:33], v[30:31]
	v_cmp_class_f64_e64 s[48:49], v[32:33], s33
	s_or_b64 s[46:47], s[46:47], s[48:49]
	s_and_saveexec_b64 s[50:51], s[46:47]
	s_cbranch_execz .LBB60_46
; %bb.45:
	s_mov_b32 s46, 0x652b82fe
	v_add_f64 v[32:33], v[32:33], -v[30:31]
	s_mov_b32 s47, 0x3ff71547
	v_mul_f64 v[54:55], v[32:33], s[46:47]
	v_rndne_f64_e32 v[54:55], v[54:55]
	s_mov_b32 s53, 0xbfe62e42
	s_mov_b32 s52, 0xfefa39ef
	v_fma_f64 v[56:57], s[52:53], v[54:55], v[32:33]
	s_mov_b32 s55, 0xbc7abc9e
	s_mov_b32 s54, 0x3b39803f
	;; [unrolled: 1-line block ×3, first 2 shown]
	v_fmac_f64_e32 v[56:57], s[54:55], v[54:55]
	v_mov_b32_e32 v58, 0xfca7ab0c
	v_mov_b32_e32 v59, 0x3e928af3
	s_mov_b32 s47, 0x3e5ade15
	v_fmac_f64_e32 v[58:59], s[46:47], v[56:57]
	v_mov_b32_e32 v60, 0x623fde64
	v_mov_b32_e32 v61, 0x3ec71dee
	v_fmac_f64_e32 v[60:61], v[56:57], v[58:59]
	v_mov_b32_e32 v58, 0x7c89e6b0
	v_mov_b32_e32 v59, 0x3efa0199
	;; [unrolled: 3-line block ×8, first 2 shown]
	v_fmac_f64_e32 v[58:59], v[56:57], v[60:61]
	v_fma_f64 v[58:59], v[56:57], v[58:59], 1.0
	s_mov_b32 s46, 0
	s_mov_b32 s48, 0
	v_fma_f64 v[56:57], v[56:57], v[58:59], 1.0
	v_cvt_i32_f64_e32 v1, v[54:55]
	s_mov_b32 s47, 0x40900000
	s_mov_b32 s49, 0xc090cc00
	v_ldexp_f64 v[54:55], v[56:57], v1
	v_mov_b32_e32 v1, 0x7ff00000
	v_cmp_nlt_f64_e64 s[46:47], s[46:47], v[32:33]
	v_cmp_ngt_f64_e64 s[48:49], s[48:49], v[32:33]
	s_mov_b32 s53, 0x3fe62e42
	v_cndmask_b32_e64 v1, v1, v55, s[46:47]
	s_and_b64 s[46:47], s[48:49], s[46:47]
	v_cndmask_b32_e64 v33, 0, v1, s[48:49]
	v_cndmask_b32_e64 v32, 0, v54, s[46:47]
	v_add_f64 v[54:55], v[32:33], 1.0
	v_add_f64 v[56:57], v[54:55], -1.0
	v_add_f64 v[58:59], v[56:57], -v[54:55]
	v_add_f64 v[58:59], v[58:59], 1.0
	v_add_f64 v[56:57], v[32:33], -v[56:57]
	s_mov_b32 s46, 0x55555555
	v_add_f64 v[56:57], v[56:57], v[58:59]
	v_frexp_mant_f64_e32 v[58:59], v[54:55]
	s_mov_b32 s47, 0x3fe55555
	v_frexp_exp_i32_f64_e32 v1, v[54:55]
	v_cmp_gt_f64_e64 s[46:47], s[46:47], v[58:59]
	s_mov_b32 s55, 0x3c7abc9e
	s_nop 0
	v_subbrev_co_u32_e64 v1, s[46:47], 0, v1, s[46:47]
	v_sub_u32_e32 v35, 0, v1
	v_ldexp_f64 v[54:55], v[54:55], v35
	v_add_f64 v[58:59], v[54:55], -1.0
	v_add_f64 v[64:65], v[54:55], 1.0
	v_add_f64 v[60:61], v[58:59], 1.0
	v_add_f64 v[72:73], v[64:65], -1.0
	v_ldexp_f64 v[56:57], v[56:57], v35
	v_add_f64 v[60:61], v[54:55], -v[60:61]
	v_add_f64 v[54:55], v[54:55], -v[72:73]
	v_add_f64 v[54:55], v[56:57], v[54:55]
	v_add_f64 v[60:61], v[56:57], v[60:61]
	v_add_f64 v[56:57], v[64:65], v[54:55]
	v_rcp_f64_e32 v[72:73], v[56:57]
	v_add_f64 v[62:63], v[58:59], v[60:61]
	v_add_f64 v[58:59], v[62:63], -v[58:59]
	v_add_f64 v[58:59], v[60:61], -v[58:59]
	;; [unrolled: 1-line block ×4, first 2 shown]
	v_fma_f64 v[60:61], -v[56:57], v[72:73], 1.0
	v_fmac_f64_e32 v[72:73], v[60:61], v[72:73]
	v_fma_f64 v[60:61], -v[56:57], v[72:73], 1.0
	v_fmac_f64_e32 v[72:73], v[60:61], v[72:73]
	v_mul_f64 v[60:61], v[62:63], v[72:73]
	v_mul_f64 v[64:65], v[56:57], v[60:61]
	v_fma_f64 v[74:75], v[60:61], v[56:57], -v[64:65]
	v_fmac_f64_e32 v[74:75], v[60:61], v[54:55]
	v_add_f64 v[76:77], v[64:65], v[74:75]
	v_add_f64 v[78:79], v[62:63], -v[76:77]
	v_add_f64 v[62:63], v[62:63], -v[78:79]
	;; [unrolled: 1-line block ×4, first 2 shown]
	v_add_f64 v[58:59], v[58:59], v[62:63]
	v_add_f64 v[62:63], v[64:65], -v[74:75]
	v_add_f64 v[58:59], v[62:63], v[58:59]
	v_add_f64 v[62:63], v[78:79], v[58:59]
	v_add_f64 v[64:65], v[78:79], -v[62:63]
	v_add_f64 v[58:59], v[58:59], v[64:65]
	v_mul_f64 v[64:65], v[72:73], v[62:63]
	v_mul_f64 v[74:75], v[56:57], v[64:65]
	v_fma_f64 v[56:57], v[64:65], v[56:57], -v[74:75]
	v_fmac_f64_e32 v[56:57], v[64:65], v[54:55]
	v_add_f64 v[54:55], v[74:75], v[56:57]
	v_add_f64 v[76:77], v[62:63], -v[54:55]
	v_add_f64 v[62:63], v[62:63], -v[76:77]
	;; [unrolled: 1-line block ×4, first 2 shown]
	v_add_f64 v[54:55], v[58:59], v[54:55]
	v_add_f64 v[56:57], v[74:75], -v[56:57]
	v_add_f64 v[54:55], v[56:57], v[54:55]
	v_add_f64 v[56:57], v[60:61], v[64:65]
	;; [unrolled: 1-line block ×3, first 2 shown]
	v_add_f64 v[58:59], v[56:57], -v[60:61]
	v_mul_f64 v[54:55], v[72:73], v[54:55]
	v_add_f64 v[58:59], v[64:65], -v[58:59]
	v_add_f64 v[54:55], v[58:59], v[54:55]
	v_add_f64 v[58:59], v[56:57], v[54:55]
	v_add_f64 v[56:57], v[58:59], -v[56:57]
	s_mov_b32 s46, 0xbf559e2b
	v_add_f64 v[54:55], v[54:55], -v[56:57]
	v_mul_f64 v[56:57], v[58:59], v[58:59]
	v_mov_b32_e32 v60, 0x6b47b09a
	v_mov_b32_e32 v61, 0x3fc38538
	s_mov_b32 s47, 0x3fc3ab76
	v_fmac_f64_e32 v[60:61], s[46:47], v[56:57]
	v_mov_b32_e32 v62, 0xd7f4df2e
	v_mov_b32_e32 v63, 0x3fc7474d
	v_fmac_f64_e32 v[62:63], v[56:57], v[60:61]
	v_mov_b32_e32 v60, 0x16291751
	v_mov_b32_e32 v61, 0x3fcc71c0
	;; [unrolled: 3-line block ×5, first 2 shown]
	v_fmac_f64_e32 v[62:63], v[56:57], v[60:61]
	v_cvt_f64_i32_e32 v[60:61], v1
	v_mul_f64 v[64:65], v[60:61], s[52:53]
	v_fma_f64 v[72:73], v[60:61], s[52:53], -v[64:65]
	v_fmac_f64_e32 v[72:73], s[54:55], v[60:61]
	v_add_f64 v[60:61], v[64:65], v[72:73]
	v_add_f64 v[64:65], v[60:61], -v[64:65]
	v_mul_f64 v[56:57], v[58:59], v[56:57]
	v_add_f64 v[64:65], v[72:73], -v[64:65]
	v_ldexp_f64 v[72:73], v[58:59], 1
	v_mul_f64 v[56:57], v[56:57], v[62:63]
	v_add_f64 v[58:59], v[72:73], v[56:57]
	v_add_f64 v[62:63], v[58:59], -v[72:73]
	v_ldexp_f64 v[54:55], v[54:55], 1
	v_add_f64 v[56:57], v[56:57], -v[62:63]
	v_add_f64 v[54:55], v[54:55], v[56:57]
	v_add_f64 v[56:57], v[58:59], v[54:55]
	v_add_f64 v[58:59], v[56:57], -v[58:59]
	v_add_f64 v[54:55], v[54:55], -v[58:59]
	v_add_f64 v[58:59], v[60:61], v[56:57]
	v_add_f64 v[62:63], v[58:59], -v[60:61]
	v_add_f64 v[72:73], v[58:59], -v[62:63]
	;; [unrolled: 1-line block ×4, first 2 shown]
	v_add_f64 v[56:57], v[56:57], v[60:61]
	v_add_f64 v[60:61], v[64:65], v[54:55]
	v_add_f64 v[62:63], v[60:61], -v[64:65]
	v_add_f64 v[56:57], v[60:61], v[56:57]
	v_add_f64 v[72:73], v[60:61], -v[62:63]
	;; [unrolled: 2-line block ×3, first 2 shown]
	v_add_f64 v[54:55], v[54:55], -v[62:63]
	v_add_f64 v[58:59], v[60:61], -v[58:59]
	v_add_f64 v[54:55], v[54:55], v[64:65]
	v_add_f64 v[56:57], v[56:57], -v[58:59]
	s_mov_b32 s46, 0
	v_add_f64 v[54:55], v[54:55], v[56:57]
	s_mov_b32 s47, 0x7ff00000
	v_add_f64 v[54:55], v[60:61], v[54:55]
	v_cmp_eq_f64_e64 s[46:47], s[46:47], v[32:33]
	s_nop 1
	v_cndmask_b32_e64 v1, v54, v32, s[46:47]
	v_cndmask_b32_e64 v35, v55, v33, s[46:47]
	v_mov_b32_e32 v54, 0x7ff80000
	v_cmp_ngt_f64_e64 s[46:47], -1.0, v[32:33]
	s_nop 1
	v_cndmask_b32_e64 v35, v54, v35, s[46:47]
	v_cmp_nge_f64_e64 s[46:47], -1.0, v[32:33]
	s_nop 1
	v_cndmask_b32_e64 v54, 0, v1, s[46:47]
	v_mov_b32_e32 v1, 0xfff00000
	v_cmp_neq_f64_e64 s[46:47], -1.0, v[32:33]
	s_nop 1
	v_cndmask_b32_e64 v55, v1, v35, s[46:47]
	v_add_f64 v[72:73], v[30:31], v[54:55]
.LBB60_46:
	s_or_b64 exec, exec, s[50:51]
	v_max_f64 v[54:55], v[16:17], v[16:17]
	v_max_f64 v[30:31], v[72:73], v[72:73]
	v_min_f64 v[32:33], v[30:31], v[54:55]
	v_cmp_u_f64_e64 s[48:49], v[72:73], v[72:73]
	v_cmp_u_f64_e64 s[46:47], v[16:17], v[16:17]
	v_max_f64 v[30:31], v[30:31], v[54:55]
	v_cndmask_b32_e64 v1, v32, v72, s[48:49]
	v_cndmask_b32_e64 v32, v33, v73, s[48:49]
	v_cndmask_b32_e64 v33, v32, v17, s[46:47]
	v_cndmask_b32_e64 v32, v1, v16, s[46:47]
	v_cndmask_b32_e64 v1, v30, v72, s[48:49]
	v_cndmask_b32_e64 v30, v31, v73, s[48:49]
	v_cndmask_b32_e64 v31, v30, v17, s[46:47]
	v_cndmask_b32_e64 v30, v1, v16, s[46:47]
	v_cmp_neq_f64_e64 s[48:49], v[32:33], v[30:31]
	v_cmp_class_f64_e64 s[50:51], v[32:33], s33
	s_or_b64 s[48:49], s[48:49], s[50:51]
	s_and_saveexec_b64 s[52:53], s[48:49]
	s_cbranch_execz .LBB60_48
; %bb.47:
	s_mov_b32 s48, 0x652b82fe
	v_add_f64 v[32:33], v[32:33], -v[30:31]
	s_mov_b32 s49, 0x3ff71547
	v_mul_f64 v[56:57], v[32:33], s[48:49]
	v_rndne_f64_e32 v[56:57], v[56:57]
	s_mov_b32 s55, 0xbfe62e42
	s_mov_b32 s54, 0xfefa39ef
	v_fma_f64 v[58:59], s[54:55], v[56:57], v[32:33]
	s_mov_b32 s57, 0xbc7abc9e
	s_mov_b32 s56, 0x3b39803f
	;; [unrolled: 1-line block ×3, first 2 shown]
	v_fmac_f64_e32 v[58:59], s[56:57], v[56:57]
	v_mov_b32_e32 v60, 0xfca7ab0c
	v_mov_b32_e32 v61, 0x3e928af3
	s_mov_b32 s49, 0x3e5ade15
	v_fmac_f64_e32 v[60:61], s[48:49], v[58:59]
	v_mov_b32_e32 v62, 0x623fde64
	v_mov_b32_e32 v63, 0x3ec71dee
	v_fmac_f64_e32 v[62:63], v[58:59], v[60:61]
	v_mov_b32_e32 v60, 0x7c89e6b0
	v_mov_b32_e32 v61, 0x3efa0199
	;; [unrolled: 3-line block ×8, first 2 shown]
	v_fmac_f64_e32 v[60:61], v[58:59], v[62:63]
	v_fma_f64 v[60:61], v[58:59], v[60:61], 1.0
	s_mov_b32 s48, 0
	s_mov_b32 s50, 0
	v_fma_f64 v[58:59], v[58:59], v[60:61], 1.0
	v_cvt_i32_f64_e32 v1, v[56:57]
	s_mov_b32 s49, 0x40900000
	s_mov_b32 s51, 0xc090cc00
	v_ldexp_f64 v[56:57], v[58:59], v1
	v_mov_b32_e32 v1, 0x7ff00000
	v_cmp_nlt_f64_e64 s[48:49], s[48:49], v[32:33]
	v_cmp_ngt_f64_e64 s[50:51], s[50:51], v[32:33]
	s_mov_b32 s55, 0x3fe62e42
	v_cndmask_b32_e64 v1, v1, v57, s[48:49]
	s_and_b64 s[48:49], s[50:51], s[48:49]
	v_cndmask_b32_e64 v33, 0, v1, s[50:51]
	v_cndmask_b32_e64 v32, 0, v56, s[48:49]
	v_add_f64 v[56:57], v[32:33], 1.0
	v_add_f64 v[58:59], v[56:57], -1.0
	v_add_f64 v[60:61], v[58:59], -v[56:57]
	v_add_f64 v[60:61], v[60:61], 1.0
	v_add_f64 v[58:59], v[32:33], -v[58:59]
	s_mov_b32 s48, 0x55555555
	v_add_f64 v[58:59], v[58:59], v[60:61]
	v_frexp_mant_f64_e32 v[60:61], v[56:57]
	s_mov_b32 s49, 0x3fe55555
	v_frexp_exp_i32_f64_e32 v1, v[56:57]
	v_cmp_gt_f64_e64 s[48:49], s[48:49], v[60:61]
	s_mov_b32 s57, 0x3c7abc9e
	s_nop 0
	v_subbrev_co_u32_e64 v1, s[48:49], 0, v1, s[48:49]
	v_sub_u32_e32 v35, 0, v1
	v_ldexp_f64 v[56:57], v[56:57], v35
	v_add_f64 v[60:61], v[56:57], -1.0
	v_add_f64 v[72:73], v[56:57], 1.0
	v_add_f64 v[62:63], v[60:61], 1.0
	v_add_f64 v[74:75], v[72:73], -1.0
	v_ldexp_f64 v[58:59], v[58:59], v35
	v_add_f64 v[62:63], v[56:57], -v[62:63]
	v_add_f64 v[56:57], v[56:57], -v[74:75]
	v_add_f64 v[56:57], v[58:59], v[56:57]
	v_add_f64 v[62:63], v[58:59], v[62:63]
	v_add_f64 v[58:59], v[72:73], v[56:57]
	v_rcp_f64_e32 v[74:75], v[58:59]
	v_add_f64 v[64:65], v[60:61], v[62:63]
	v_add_f64 v[60:61], v[64:65], -v[60:61]
	v_add_f64 v[60:61], v[62:63], -v[60:61]
	;; [unrolled: 1-line block ×4, first 2 shown]
	v_fma_f64 v[62:63], -v[58:59], v[74:75], 1.0
	v_fmac_f64_e32 v[74:75], v[62:63], v[74:75]
	v_fma_f64 v[62:63], -v[58:59], v[74:75], 1.0
	v_fmac_f64_e32 v[74:75], v[62:63], v[74:75]
	v_mul_f64 v[62:63], v[64:65], v[74:75]
	v_mul_f64 v[72:73], v[58:59], v[62:63]
	v_fma_f64 v[76:77], v[62:63], v[58:59], -v[72:73]
	v_fmac_f64_e32 v[76:77], v[62:63], v[56:57]
	v_add_f64 v[78:79], v[72:73], v[76:77]
	v_add_f64 v[80:81], v[64:65], -v[78:79]
	v_add_f64 v[64:65], v[64:65], -v[80:81]
	;; [unrolled: 1-line block ×4, first 2 shown]
	v_add_f64 v[60:61], v[60:61], v[64:65]
	v_add_f64 v[64:65], v[72:73], -v[76:77]
	v_add_f64 v[60:61], v[64:65], v[60:61]
	v_add_f64 v[64:65], v[80:81], v[60:61]
	v_add_f64 v[72:73], v[80:81], -v[64:65]
	v_add_f64 v[60:61], v[60:61], v[72:73]
	v_mul_f64 v[72:73], v[74:75], v[64:65]
	v_mul_f64 v[76:77], v[58:59], v[72:73]
	v_fma_f64 v[58:59], v[72:73], v[58:59], -v[76:77]
	v_fmac_f64_e32 v[58:59], v[72:73], v[56:57]
	v_add_f64 v[56:57], v[76:77], v[58:59]
	v_add_f64 v[78:79], v[64:65], -v[56:57]
	v_add_f64 v[64:65], v[64:65], -v[78:79]
	;; [unrolled: 1-line block ×4, first 2 shown]
	v_add_f64 v[56:57], v[60:61], v[56:57]
	v_add_f64 v[58:59], v[76:77], -v[58:59]
	v_add_f64 v[56:57], v[58:59], v[56:57]
	v_add_f64 v[58:59], v[62:63], v[72:73]
	;; [unrolled: 1-line block ×3, first 2 shown]
	v_add_f64 v[60:61], v[58:59], -v[62:63]
	v_mul_f64 v[56:57], v[74:75], v[56:57]
	v_add_f64 v[60:61], v[72:73], -v[60:61]
	v_add_f64 v[56:57], v[60:61], v[56:57]
	v_add_f64 v[60:61], v[58:59], v[56:57]
	v_add_f64 v[58:59], v[60:61], -v[58:59]
	s_mov_b32 s48, 0xbf559e2b
	v_add_f64 v[56:57], v[56:57], -v[58:59]
	v_mul_f64 v[58:59], v[60:61], v[60:61]
	v_mov_b32_e32 v62, 0x6b47b09a
	v_mov_b32_e32 v63, 0x3fc38538
	s_mov_b32 s49, 0x3fc3ab76
	v_fmac_f64_e32 v[62:63], s[48:49], v[58:59]
	v_mov_b32_e32 v64, 0xd7f4df2e
	v_mov_b32_e32 v65, 0x3fc7474d
	v_fmac_f64_e32 v[64:65], v[58:59], v[62:63]
	v_mov_b32_e32 v62, 0x16291751
	v_mov_b32_e32 v63, 0x3fcc71c0
	;; [unrolled: 3-line block ×5, first 2 shown]
	v_fmac_f64_e32 v[64:65], v[58:59], v[62:63]
	v_cvt_f64_i32_e32 v[62:63], v1
	v_mul_f64 v[72:73], v[62:63], s[54:55]
	v_fma_f64 v[74:75], v[62:63], s[54:55], -v[72:73]
	v_fmac_f64_e32 v[74:75], s[56:57], v[62:63]
	v_add_f64 v[62:63], v[72:73], v[74:75]
	v_add_f64 v[72:73], v[62:63], -v[72:73]
	v_mul_f64 v[58:59], v[60:61], v[58:59]
	v_add_f64 v[72:73], v[74:75], -v[72:73]
	v_ldexp_f64 v[74:75], v[60:61], 1
	v_mul_f64 v[58:59], v[58:59], v[64:65]
	v_add_f64 v[60:61], v[74:75], v[58:59]
	v_add_f64 v[64:65], v[60:61], -v[74:75]
	v_ldexp_f64 v[56:57], v[56:57], 1
	v_add_f64 v[58:59], v[58:59], -v[64:65]
	v_add_f64 v[56:57], v[56:57], v[58:59]
	v_add_f64 v[58:59], v[60:61], v[56:57]
	v_add_f64 v[60:61], v[58:59], -v[60:61]
	v_add_f64 v[56:57], v[56:57], -v[60:61]
	v_add_f64 v[60:61], v[62:63], v[58:59]
	v_add_f64 v[64:65], v[60:61], -v[62:63]
	v_add_f64 v[74:75], v[60:61], -v[64:65]
	;; [unrolled: 1-line block ×4, first 2 shown]
	v_add_f64 v[58:59], v[58:59], v[62:63]
	v_add_f64 v[62:63], v[72:73], v[56:57]
	v_add_f64 v[64:65], v[62:63], -v[72:73]
	v_add_f64 v[58:59], v[62:63], v[58:59]
	v_add_f64 v[74:75], v[62:63], -v[64:65]
	;; [unrolled: 2-line block ×3, first 2 shown]
	v_add_f64 v[56:57], v[56:57], -v[64:65]
	v_add_f64 v[60:61], v[62:63], -v[60:61]
	v_add_f64 v[56:57], v[56:57], v[72:73]
	v_add_f64 v[58:59], v[58:59], -v[60:61]
	s_mov_b32 s48, 0
	v_add_f64 v[56:57], v[56:57], v[58:59]
	s_mov_b32 s49, 0x7ff00000
	v_add_f64 v[56:57], v[62:63], v[56:57]
	v_cmp_eq_f64_e64 s[48:49], s[48:49], v[32:33]
	s_nop 1
	v_cndmask_b32_e64 v1, v56, v32, s[48:49]
	v_cndmask_b32_e64 v35, v57, v33, s[48:49]
	v_mov_b32_e32 v56, 0x7ff80000
	v_cmp_ngt_f64_e64 s[48:49], -1.0, v[32:33]
	s_nop 1
	v_cndmask_b32_e64 v35, v56, v35, s[48:49]
	v_cmp_nge_f64_e64 s[48:49], -1.0, v[32:33]
	s_nop 1
	v_cndmask_b32_e64 v56, 0, v1, s[48:49]
	v_mov_b32_e32 v1, 0xfff00000
	v_cmp_neq_f64_e64 s[48:49], -1.0, v[32:33]
	s_nop 1
	v_cndmask_b32_e64 v57, v1, v35, s[48:49]
	v_add_f64 v[72:73], v[30:31], v[56:57]
.LBB60_48:
	s_or_b64 exec, exec, s[52:53]
	v_max_f64 v[56:57], v[10:11], v[10:11]
	v_max_f64 v[30:31], v[72:73], v[72:73]
	v_min_f64 v[32:33], v[30:31], v[56:57]
	v_cmp_u_f64_e64 s[50:51], v[72:73], v[72:73]
	v_cmp_u_f64_e64 s[48:49], v[10:11], v[10:11]
	v_max_f64 v[30:31], v[30:31], v[56:57]
	v_cndmask_b32_e64 v1, v32, v72, s[50:51]
	v_cndmask_b32_e64 v32, v33, v73, s[50:51]
	;; [unrolled: 1-line block ×8, first 2 shown]
	v_cmp_neq_f64_e64 s[50:51], v[32:33], v[30:31]
	v_cmp_class_f64_e64 s[52:53], v[32:33], s33
	s_or_b64 s[50:51], s[50:51], s[52:53]
	s_and_saveexec_b64 s[54:55], s[50:51]
	s_cbranch_execz .LBB60_50
; %bb.49:
	s_mov_b32 s50, 0x652b82fe
	v_add_f64 v[32:33], v[32:33], -v[30:31]
	s_mov_b32 s51, 0x3ff71547
	v_mul_f64 v[58:59], v[32:33], s[50:51]
	v_rndne_f64_e32 v[58:59], v[58:59]
	s_mov_b32 s57, 0xbfe62e42
	s_mov_b32 s56, 0xfefa39ef
	v_fma_f64 v[60:61], s[56:57], v[58:59], v[32:33]
	s_mov_b32 s63, 0xbc7abc9e
	s_mov_b32 s62, 0x3b39803f
	;; [unrolled: 1-line block ×3, first 2 shown]
	v_fmac_f64_e32 v[60:61], s[62:63], v[58:59]
	v_mov_b32_e32 v62, 0xfca7ab0c
	v_mov_b32_e32 v63, 0x3e928af3
	s_mov_b32 s51, 0x3e5ade15
	v_fmac_f64_e32 v[62:63], s[50:51], v[60:61]
	v_mov_b32_e32 v64, 0x623fde64
	v_mov_b32_e32 v65, 0x3ec71dee
	v_fmac_f64_e32 v[64:65], v[60:61], v[62:63]
	v_mov_b32_e32 v62, 0x7c89e6b0
	v_mov_b32_e32 v63, 0x3efa0199
	v_fmac_f64_e32 v[62:63], v[60:61], v[64:65]
	v_mov_b32_e32 v64, 0x14761f6e
	v_mov_b32_e32 v65, 0x3f2a01a0
	v_fmac_f64_e32 v[64:65], v[60:61], v[62:63]
	v_mov_b32_e32 v62, 0x1852b7b0
	v_mov_b32_e32 v63, 0x3f56c16c
	v_fmac_f64_e32 v[62:63], v[60:61], v[64:65]
	v_mov_b32_e32 v64, 0x11122322
	v_mov_b32_e32 v65, 0x3f811111
	v_fmac_f64_e32 v[64:65], v[60:61], v[62:63]
	v_mov_b32_e32 v62, 0x555502a1
	v_mov_b32_e32 v63, 0x3fa55555
	v_fmac_f64_e32 v[62:63], v[60:61], v[64:65]
	v_mov_b32_e32 v64, 0x55555511
	v_mov_b32_e32 v65, 0x3fc55555
	v_fmac_f64_e32 v[64:65], v[60:61], v[62:63]
	v_mov_b32_e32 v62, 11
	v_mov_b32_e32 v63, 0x3fe00000
	v_fmac_f64_e32 v[62:63], v[60:61], v[64:65]
	v_fma_f64 v[62:63], v[60:61], v[62:63], 1.0
	s_mov_b32 s50, 0
	s_mov_b32 s52, 0
	v_fma_f64 v[60:61], v[60:61], v[62:63], 1.0
	v_cvt_i32_f64_e32 v1, v[58:59]
	s_mov_b32 s51, 0x40900000
	s_mov_b32 s53, 0xc090cc00
	v_ldexp_f64 v[58:59], v[60:61], v1
	v_mov_b32_e32 v1, 0x7ff00000
	v_cmp_nlt_f64_e64 s[50:51], s[50:51], v[32:33]
	v_cmp_ngt_f64_e64 s[52:53], s[52:53], v[32:33]
	s_mov_b32 s57, 0x3fe62e42
	v_cndmask_b32_e64 v1, v1, v59, s[50:51]
	s_and_b64 s[50:51], s[52:53], s[50:51]
	v_cndmask_b32_e64 v33, 0, v1, s[52:53]
	v_cndmask_b32_e64 v32, 0, v58, s[50:51]
	v_add_f64 v[58:59], v[32:33], 1.0
	v_add_f64 v[60:61], v[58:59], -1.0
	v_add_f64 v[62:63], v[60:61], -v[58:59]
	v_add_f64 v[62:63], v[62:63], 1.0
	v_add_f64 v[60:61], v[32:33], -v[60:61]
	s_mov_b32 s50, 0x55555555
	v_add_f64 v[60:61], v[60:61], v[62:63]
	v_frexp_mant_f64_e32 v[62:63], v[58:59]
	s_mov_b32 s51, 0x3fe55555
	v_frexp_exp_i32_f64_e32 v1, v[58:59]
	v_cmp_gt_f64_e64 s[50:51], s[50:51], v[62:63]
	s_mov_b32 s63, 0x3c7abc9e
	s_nop 0
	v_subbrev_co_u32_e64 v1, s[50:51], 0, v1, s[50:51]
	v_sub_u32_e32 v35, 0, v1
	v_ldexp_f64 v[58:59], v[58:59], v35
	v_add_f64 v[62:63], v[58:59], -1.0
	v_add_f64 v[74:75], v[58:59], 1.0
	v_add_f64 v[64:65], v[62:63], 1.0
	v_add_f64 v[76:77], v[74:75], -1.0
	v_ldexp_f64 v[60:61], v[60:61], v35
	v_add_f64 v[64:65], v[58:59], -v[64:65]
	v_add_f64 v[58:59], v[58:59], -v[76:77]
	v_add_f64 v[58:59], v[60:61], v[58:59]
	v_add_f64 v[64:65], v[60:61], v[64:65]
	;; [unrolled: 1-line block ×3, first 2 shown]
	v_rcp_f64_e32 v[76:77], v[60:61]
	v_add_f64 v[72:73], v[62:63], v[64:65]
	v_add_f64 v[62:63], v[72:73], -v[62:63]
	v_add_f64 v[62:63], v[64:65], -v[62:63]
	;; [unrolled: 1-line block ×4, first 2 shown]
	v_fma_f64 v[64:65], -v[60:61], v[76:77], 1.0
	v_fmac_f64_e32 v[76:77], v[64:65], v[76:77]
	v_fma_f64 v[64:65], -v[60:61], v[76:77], 1.0
	v_fmac_f64_e32 v[76:77], v[64:65], v[76:77]
	v_mul_f64 v[64:65], v[72:73], v[76:77]
	v_mul_f64 v[74:75], v[60:61], v[64:65]
	v_fma_f64 v[78:79], v[64:65], v[60:61], -v[74:75]
	v_fmac_f64_e32 v[78:79], v[64:65], v[58:59]
	v_add_f64 v[80:81], v[74:75], v[78:79]
	v_add_f64 v[82:83], v[72:73], -v[80:81]
	v_add_f64 v[72:73], v[72:73], -v[82:83]
	;; [unrolled: 1-line block ×4, first 2 shown]
	v_add_f64 v[62:63], v[62:63], v[72:73]
	v_add_f64 v[72:73], v[74:75], -v[78:79]
	v_add_f64 v[62:63], v[72:73], v[62:63]
	v_add_f64 v[72:73], v[82:83], v[62:63]
	v_add_f64 v[74:75], v[82:83], -v[72:73]
	v_add_f64 v[62:63], v[62:63], v[74:75]
	v_mul_f64 v[74:75], v[76:77], v[72:73]
	v_mul_f64 v[78:79], v[60:61], v[74:75]
	v_fma_f64 v[60:61], v[74:75], v[60:61], -v[78:79]
	v_fmac_f64_e32 v[60:61], v[74:75], v[58:59]
	v_add_f64 v[58:59], v[78:79], v[60:61]
	v_add_f64 v[80:81], v[72:73], -v[58:59]
	v_add_f64 v[72:73], v[72:73], -v[80:81]
	;; [unrolled: 1-line block ×4, first 2 shown]
	v_add_f64 v[58:59], v[62:63], v[58:59]
	v_add_f64 v[60:61], v[78:79], -v[60:61]
	v_add_f64 v[58:59], v[60:61], v[58:59]
	v_add_f64 v[60:61], v[64:65], v[74:75]
	;; [unrolled: 1-line block ×3, first 2 shown]
	v_add_f64 v[62:63], v[60:61], -v[64:65]
	v_mul_f64 v[58:59], v[76:77], v[58:59]
	v_add_f64 v[62:63], v[74:75], -v[62:63]
	v_add_f64 v[58:59], v[62:63], v[58:59]
	v_add_f64 v[62:63], v[60:61], v[58:59]
	v_add_f64 v[60:61], v[62:63], -v[60:61]
	s_mov_b32 s50, 0xbf559e2b
	v_add_f64 v[58:59], v[58:59], -v[60:61]
	v_mul_f64 v[60:61], v[62:63], v[62:63]
	v_mov_b32_e32 v64, 0x6b47b09a
	v_mov_b32_e32 v65, 0x3fc38538
	s_mov_b32 s51, 0x3fc3ab76
	v_fmac_f64_e32 v[64:65], s[50:51], v[60:61]
	v_mov_b32_e32 v72, 0xd7f4df2e
	v_mov_b32_e32 v73, 0x3fc7474d
	v_fmac_f64_e32 v[72:73], v[60:61], v[64:65]
	v_mov_b32_e32 v64, 0x16291751
	v_mov_b32_e32 v65, 0x3fcc71c0
	;; [unrolled: 3-line block ×5, first 2 shown]
	v_fmac_f64_e32 v[72:73], v[60:61], v[64:65]
	v_cvt_f64_i32_e32 v[64:65], v1
	v_mul_f64 v[74:75], v[64:65], s[56:57]
	v_fma_f64 v[76:77], v[64:65], s[56:57], -v[74:75]
	v_fmac_f64_e32 v[76:77], s[62:63], v[64:65]
	v_add_f64 v[64:65], v[74:75], v[76:77]
	v_add_f64 v[74:75], v[64:65], -v[74:75]
	v_mul_f64 v[60:61], v[62:63], v[60:61]
	v_add_f64 v[74:75], v[76:77], -v[74:75]
	v_ldexp_f64 v[76:77], v[62:63], 1
	v_mul_f64 v[60:61], v[60:61], v[72:73]
	v_add_f64 v[62:63], v[76:77], v[60:61]
	v_add_f64 v[72:73], v[62:63], -v[76:77]
	v_ldexp_f64 v[58:59], v[58:59], 1
	v_add_f64 v[60:61], v[60:61], -v[72:73]
	v_add_f64 v[58:59], v[58:59], v[60:61]
	v_add_f64 v[60:61], v[62:63], v[58:59]
	v_add_f64 v[62:63], v[60:61], -v[62:63]
	v_add_f64 v[58:59], v[58:59], -v[62:63]
	v_add_f64 v[62:63], v[64:65], v[60:61]
	v_add_f64 v[72:73], v[62:63], -v[64:65]
	v_add_f64 v[76:77], v[62:63], -v[72:73]
	;; [unrolled: 1-line block ×4, first 2 shown]
	v_add_f64 v[60:61], v[60:61], v[64:65]
	v_add_f64 v[64:65], v[74:75], v[58:59]
	v_add_f64 v[72:73], v[64:65], -v[74:75]
	v_add_f64 v[60:61], v[64:65], v[60:61]
	v_add_f64 v[76:77], v[64:65], -v[72:73]
	;; [unrolled: 2-line block ×3, first 2 shown]
	v_add_f64 v[58:59], v[58:59], -v[72:73]
	v_add_f64 v[62:63], v[64:65], -v[62:63]
	v_add_f64 v[58:59], v[58:59], v[74:75]
	v_add_f64 v[60:61], v[60:61], -v[62:63]
	s_mov_b32 s50, 0
	v_add_f64 v[58:59], v[58:59], v[60:61]
	s_mov_b32 s51, 0x7ff00000
	v_add_f64 v[58:59], v[64:65], v[58:59]
	v_cmp_eq_f64_e64 s[50:51], s[50:51], v[32:33]
	s_nop 1
	v_cndmask_b32_e64 v1, v58, v32, s[50:51]
	v_cndmask_b32_e64 v35, v59, v33, s[50:51]
	v_mov_b32_e32 v58, 0x7ff80000
	v_cmp_ngt_f64_e64 s[50:51], -1.0, v[32:33]
	s_nop 1
	v_cndmask_b32_e64 v35, v58, v35, s[50:51]
	v_cmp_nge_f64_e64 s[50:51], -1.0, v[32:33]
	s_nop 1
	v_cndmask_b32_e64 v58, 0, v1, s[50:51]
	v_mov_b32_e32 v1, 0xfff00000
	v_cmp_neq_f64_e64 s[50:51], -1.0, v[32:33]
	s_nop 1
	v_cndmask_b32_e64 v59, v1, v35, s[50:51]
	v_add_f64 v[72:73], v[30:31], v[58:59]
.LBB60_50:
	s_or_b64 exec, exec, s[54:55]
	v_max_f64 v[58:59], v[12:13], v[12:13]
	v_max_f64 v[30:31], v[72:73], v[72:73]
	v_min_f64 v[32:33], v[30:31], v[58:59]
	v_cmp_u_f64_e64 s[52:53], v[72:73], v[72:73]
	v_cmp_u_f64_e64 s[50:51], v[12:13], v[12:13]
	v_max_f64 v[30:31], v[30:31], v[58:59]
	v_cndmask_b32_e64 v1, v32, v72, s[52:53]
	v_cndmask_b32_e64 v32, v33, v73, s[52:53]
	;; [unrolled: 1-line block ×8, first 2 shown]
	v_cmp_neq_f64_e64 s[52:53], v[32:33], v[30:31]
	v_cmp_class_f64_e64 s[54:55], v[32:33], s33
	s_or_b64 s[52:53], s[52:53], s[54:55]
	s_and_saveexec_b64 s[56:57], s[52:53]
	s_cbranch_execz .LBB60_52
; %bb.51:
	s_mov_b32 s52, 0x652b82fe
	v_add_f64 v[32:33], v[32:33], -v[30:31]
	s_mov_b32 s53, 0x3ff71547
	v_mul_f64 v[60:61], v[32:33], s[52:53]
	v_rndne_f64_e32 v[60:61], v[60:61]
	s_mov_b32 s63, 0xbfe62e42
	s_mov_b32 s62, 0xfefa39ef
	v_fma_f64 v[62:63], s[62:63], v[60:61], v[32:33]
	s_mov_b32 s65, 0xbc7abc9e
	s_mov_b32 s64, 0x3b39803f
	;; [unrolled: 1-line block ×3, first 2 shown]
	v_fmac_f64_e32 v[62:63], s[64:65], v[60:61]
	v_mov_b32_e32 v64, 0xfca7ab0c
	v_mov_b32_e32 v65, 0x3e928af3
	s_mov_b32 s53, 0x3e5ade15
	v_fmac_f64_e32 v[64:65], s[52:53], v[62:63]
	v_mov_b32_e32 v72, 0x623fde64
	v_mov_b32_e32 v73, 0x3ec71dee
	v_fmac_f64_e32 v[72:73], v[62:63], v[64:65]
	v_mov_b32_e32 v64, 0x7c89e6b0
	v_mov_b32_e32 v65, 0x3efa0199
	;; [unrolled: 3-line block ×8, first 2 shown]
	v_fmac_f64_e32 v[64:65], v[62:63], v[72:73]
	v_fma_f64 v[64:65], v[62:63], v[64:65], 1.0
	s_mov_b32 s52, 0
	s_mov_b32 s54, 0
	v_fma_f64 v[62:63], v[62:63], v[64:65], 1.0
	v_cvt_i32_f64_e32 v1, v[60:61]
	s_mov_b32 s53, 0x40900000
	s_mov_b32 s55, 0xc090cc00
	v_ldexp_f64 v[60:61], v[62:63], v1
	v_mov_b32_e32 v1, 0x7ff00000
	v_cmp_nlt_f64_e64 s[52:53], s[52:53], v[32:33]
	v_cmp_ngt_f64_e64 s[54:55], s[54:55], v[32:33]
	s_mov_b32 s63, 0x3fe62e42
	v_cndmask_b32_e64 v1, v1, v61, s[52:53]
	s_and_b64 s[52:53], s[54:55], s[52:53]
	v_cndmask_b32_e64 v33, 0, v1, s[54:55]
	v_cndmask_b32_e64 v32, 0, v60, s[52:53]
	v_add_f64 v[60:61], v[32:33], 1.0
	v_add_f64 v[62:63], v[60:61], -1.0
	v_add_f64 v[64:65], v[62:63], -v[60:61]
	v_add_f64 v[64:65], v[64:65], 1.0
	v_add_f64 v[62:63], v[32:33], -v[62:63]
	s_mov_b32 s52, 0x55555555
	v_add_f64 v[62:63], v[62:63], v[64:65]
	v_frexp_mant_f64_e32 v[64:65], v[60:61]
	s_mov_b32 s53, 0x3fe55555
	v_frexp_exp_i32_f64_e32 v1, v[60:61]
	v_cmp_gt_f64_e64 s[52:53], s[52:53], v[64:65]
	s_mov_b32 s65, 0x3c7abc9e
	s_nop 0
	v_subbrev_co_u32_e64 v1, s[52:53], 0, v1, s[52:53]
	v_sub_u32_e32 v35, 0, v1
	v_ldexp_f64 v[60:61], v[60:61], v35
	v_add_f64 v[64:65], v[60:61], -1.0
	v_add_f64 v[76:77], v[60:61], 1.0
	v_add_f64 v[72:73], v[64:65], 1.0
	v_add_f64 v[78:79], v[76:77], -1.0
	v_ldexp_f64 v[62:63], v[62:63], v35
	v_add_f64 v[72:73], v[60:61], -v[72:73]
	v_add_f64 v[60:61], v[60:61], -v[78:79]
	v_add_f64 v[60:61], v[62:63], v[60:61]
	v_add_f64 v[72:73], v[62:63], v[72:73]
	;; [unrolled: 1-line block ×3, first 2 shown]
	v_rcp_f64_e32 v[78:79], v[62:63]
	v_add_f64 v[74:75], v[64:65], v[72:73]
	v_add_f64 v[64:65], v[74:75], -v[64:65]
	v_add_f64 v[64:65], v[72:73], -v[64:65]
	v_add_f64 v[72:73], v[62:63], -v[76:77]
	v_add_f64 v[60:61], v[60:61], -v[72:73]
	v_fma_f64 v[72:73], -v[62:63], v[78:79], 1.0
	v_fmac_f64_e32 v[78:79], v[72:73], v[78:79]
	v_fma_f64 v[72:73], -v[62:63], v[78:79], 1.0
	v_fmac_f64_e32 v[78:79], v[72:73], v[78:79]
	v_mul_f64 v[72:73], v[74:75], v[78:79]
	v_mul_f64 v[76:77], v[62:63], v[72:73]
	v_fma_f64 v[80:81], v[72:73], v[62:63], -v[76:77]
	v_fmac_f64_e32 v[80:81], v[72:73], v[60:61]
	v_add_f64 v[82:83], v[76:77], v[80:81]
	v_add_f64 v[84:85], v[74:75], -v[82:83]
	v_add_f64 v[74:75], v[74:75], -v[84:85]
	;; [unrolled: 1-line block ×4, first 2 shown]
	v_add_f64 v[64:65], v[64:65], v[74:75]
	v_add_f64 v[74:75], v[76:77], -v[80:81]
	v_add_f64 v[64:65], v[74:75], v[64:65]
	v_add_f64 v[74:75], v[84:85], v[64:65]
	v_add_f64 v[76:77], v[84:85], -v[74:75]
	v_add_f64 v[64:65], v[64:65], v[76:77]
	v_mul_f64 v[76:77], v[78:79], v[74:75]
	v_mul_f64 v[80:81], v[62:63], v[76:77]
	v_fma_f64 v[62:63], v[76:77], v[62:63], -v[80:81]
	v_fmac_f64_e32 v[62:63], v[76:77], v[60:61]
	v_add_f64 v[60:61], v[80:81], v[62:63]
	v_add_f64 v[82:83], v[74:75], -v[60:61]
	v_add_f64 v[74:75], v[74:75], -v[82:83]
	;; [unrolled: 1-line block ×4, first 2 shown]
	v_add_f64 v[60:61], v[64:65], v[60:61]
	v_add_f64 v[62:63], v[80:81], -v[62:63]
	v_add_f64 v[60:61], v[62:63], v[60:61]
	v_add_f64 v[62:63], v[72:73], v[76:77]
	;; [unrolled: 1-line block ×3, first 2 shown]
	v_add_f64 v[64:65], v[62:63], -v[72:73]
	v_mul_f64 v[60:61], v[78:79], v[60:61]
	v_add_f64 v[64:65], v[76:77], -v[64:65]
	v_add_f64 v[60:61], v[64:65], v[60:61]
	v_add_f64 v[64:65], v[62:63], v[60:61]
	v_add_f64 v[62:63], v[64:65], -v[62:63]
	s_mov_b32 s52, 0xbf559e2b
	v_add_f64 v[60:61], v[60:61], -v[62:63]
	v_mul_f64 v[62:63], v[64:65], v[64:65]
	v_mov_b32_e32 v72, 0x6b47b09a
	v_mov_b32_e32 v73, 0x3fc38538
	s_mov_b32 s53, 0x3fc3ab76
	v_fmac_f64_e32 v[72:73], s[52:53], v[62:63]
	v_mov_b32_e32 v74, 0xd7f4df2e
	v_mov_b32_e32 v75, 0x3fc7474d
	v_fmac_f64_e32 v[74:75], v[62:63], v[72:73]
	v_mov_b32_e32 v72, 0x16291751
	v_mov_b32_e32 v73, 0x3fcc71c0
	;; [unrolled: 3-line block ×5, first 2 shown]
	v_fmac_f64_e32 v[74:75], v[62:63], v[72:73]
	v_cvt_f64_i32_e32 v[72:73], v1
	v_mul_f64 v[76:77], v[72:73], s[62:63]
	v_fma_f64 v[78:79], v[72:73], s[62:63], -v[76:77]
	v_fmac_f64_e32 v[78:79], s[64:65], v[72:73]
	v_add_f64 v[72:73], v[76:77], v[78:79]
	v_add_f64 v[76:77], v[72:73], -v[76:77]
	v_mul_f64 v[62:63], v[64:65], v[62:63]
	v_add_f64 v[76:77], v[78:79], -v[76:77]
	v_ldexp_f64 v[78:79], v[64:65], 1
	v_mul_f64 v[62:63], v[62:63], v[74:75]
	v_add_f64 v[64:65], v[78:79], v[62:63]
	v_add_f64 v[74:75], v[64:65], -v[78:79]
	v_ldexp_f64 v[60:61], v[60:61], 1
	v_add_f64 v[62:63], v[62:63], -v[74:75]
	v_add_f64 v[60:61], v[60:61], v[62:63]
	v_add_f64 v[62:63], v[64:65], v[60:61]
	v_add_f64 v[64:65], v[62:63], -v[64:65]
	v_add_f64 v[60:61], v[60:61], -v[64:65]
	v_add_f64 v[64:65], v[72:73], v[62:63]
	v_add_f64 v[74:75], v[64:65], -v[72:73]
	v_add_f64 v[78:79], v[64:65], -v[74:75]
	;; [unrolled: 1-line block ×4, first 2 shown]
	v_add_f64 v[62:63], v[62:63], v[72:73]
	v_add_f64 v[72:73], v[76:77], v[60:61]
	v_add_f64 v[74:75], v[72:73], -v[76:77]
	v_add_f64 v[62:63], v[72:73], v[62:63]
	v_add_f64 v[78:79], v[72:73], -v[74:75]
	;; [unrolled: 2-line block ×3, first 2 shown]
	v_add_f64 v[60:61], v[60:61], -v[74:75]
	v_add_f64 v[64:65], v[72:73], -v[64:65]
	v_add_f64 v[60:61], v[60:61], v[76:77]
	v_add_f64 v[62:63], v[62:63], -v[64:65]
	s_mov_b32 s52, 0
	v_add_f64 v[60:61], v[60:61], v[62:63]
	s_mov_b32 s53, 0x7ff00000
	v_add_f64 v[60:61], v[72:73], v[60:61]
	v_cmp_eq_f64_e64 s[52:53], s[52:53], v[32:33]
	s_nop 1
	v_cndmask_b32_e64 v1, v60, v32, s[52:53]
	v_cndmask_b32_e64 v35, v61, v33, s[52:53]
	v_mov_b32_e32 v60, 0x7ff80000
	v_cmp_ngt_f64_e64 s[52:53], -1.0, v[32:33]
	s_nop 1
	v_cndmask_b32_e64 v35, v60, v35, s[52:53]
	v_cmp_nge_f64_e64 s[52:53], -1.0, v[32:33]
	s_nop 1
	v_cndmask_b32_e64 v60, 0, v1, s[52:53]
	v_mov_b32_e32 v1, 0xfff00000
	v_cmp_neq_f64_e64 s[52:53], -1.0, v[32:33]
	s_nop 1
	v_cndmask_b32_e64 v61, v1, v35, s[52:53]
	v_add_f64 v[72:73], v[30:31], v[60:61]
.LBB60_52:
	s_or_b64 exec, exec, s[56:57]
	v_max_f64 v[60:61], v[6:7], v[6:7]
	v_max_f64 v[30:31], v[72:73], v[72:73]
	v_min_f64 v[32:33], v[30:31], v[60:61]
	v_cmp_u_f64_e64 s[54:55], v[72:73], v[72:73]
	v_cmp_u_f64_e64 s[52:53], v[6:7], v[6:7]
	v_max_f64 v[30:31], v[30:31], v[60:61]
	v_cndmask_b32_e64 v1, v32, v72, s[54:55]
	v_cndmask_b32_e64 v32, v33, v73, s[54:55]
	;; [unrolled: 1-line block ×8, first 2 shown]
	v_cmp_neq_f64_e64 s[54:55], v[32:33], v[30:31]
	v_cmp_class_f64_e64 s[56:57], v[32:33], s33
	s_or_b64 s[54:55], s[54:55], s[56:57]
	s_and_saveexec_b64 s[62:63], s[54:55]
	s_cbranch_execz .LBB60_54
; %bb.53:
	s_mov_b32 s54, 0x652b82fe
	v_add_f64 v[32:33], v[32:33], -v[30:31]
	s_mov_b32 s55, 0x3ff71547
	v_mul_f64 v[62:63], v[32:33], s[54:55]
	v_rndne_f64_e32 v[62:63], v[62:63]
	s_mov_b32 s65, 0xbfe62e42
	s_mov_b32 s64, 0xfefa39ef
	v_fma_f64 v[64:65], s[64:65], v[62:63], v[32:33]
	s_mov_b32 s67, 0xbc7abc9e
	s_mov_b32 s66, 0x3b39803f
	;; [unrolled: 1-line block ×3, first 2 shown]
	v_fmac_f64_e32 v[64:65], s[66:67], v[62:63]
	v_mov_b32_e32 v72, 0xfca7ab0c
	v_mov_b32_e32 v73, 0x3e928af3
	s_mov_b32 s55, 0x3e5ade15
	v_fmac_f64_e32 v[72:73], s[54:55], v[64:65]
	v_mov_b32_e32 v74, 0x623fde64
	v_mov_b32_e32 v75, 0x3ec71dee
	v_fmac_f64_e32 v[74:75], v[64:65], v[72:73]
	v_mov_b32_e32 v72, 0x7c89e6b0
	v_mov_b32_e32 v73, 0x3efa0199
	;; [unrolled: 3-line block ×8, first 2 shown]
	v_fmac_f64_e32 v[72:73], v[64:65], v[74:75]
	v_fma_f64 v[72:73], v[64:65], v[72:73], 1.0
	s_mov_b32 s54, 0
	s_mov_b32 s56, 0
	v_fma_f64 v[64:65], v[64:65], v[72:73], 1.0
	v_cvt_i32_f64_e32 v1, v[62:63]
	s_mov_b32 s55, 0x40900000
	s_mov_b32 s57, 0xc090cc00
	v_ldexp_f64 v[62:63], v[64:65], v1
	v_mov_b32_e32 v1, 0x7ff00000
	v_cmp_nlt_f64_e64 s[54:55], s[54:55], v[32:33]
	v_cmp_ngt_f64_e64 s[56:57], s[56:57], v[32:33]
	s_mov_b32 s65, 0x3fe62e42
	v_cndmask_b32_e64 v1, v1, v63, s[54:55]
	s_and_b64 s[54:55], s[56:57], s[54:55]
	v_cndmask_b32_e64 v33, 0, v1, s[56:57]
	v_cndmask_b32_e64 v32, 0, v62, s[54:55]
	v_add_f64 v[62:63], v[32:33], 1.0
	v_add_f64 v[64:65], v[62:63], -1.0
	v_add_f64 v[72:73], v[64:65], -v[62:63]
	v_add_f64 v[72:73], v[72:73], 1.0
	v_add_f64 v[64:65], v[32:33], -v[64:65]
	s_mov_b32 s54, 0x55555555
	v_add_f64 v[64:65], v[64:65], v[72:73]
	v_frexp_mant_f64_e32 v[72:73], v[62:63]
	s_mov_b32 s55, 0x3fe55555
	v_frexp_exp_i32_f64_e32 v1, v[62:63]
	v_cmp_gt_f64_e64 s[54:55], s[54:55], v[72:73]
	s_mov_b32 s67, 0x3c7abc9e
	s_nop 0
	v_subbrev_co_u32_e64 v1, s[54:55], 0, v1, s[54:55]
	v_sub_u32_e32 v35, 0, v1
	v_ldexp_f64 v[62:63], v[62:63], v35
	v_add_f64 v[72:73], v[62:63], -1.0
	v_add_f64 v[78:79], v[62:63], 1.0
	v_add_f64 v[74:75], v[72:73], 1.0
	v_add_f64 v[80:81], v[78:79], -1.0
	v_ldexp_f64 v[64:65], v[64:65], v35
	v_add_f64 v[74:75], v[62:63], -v[74:75]
	v_add_f64 v[62:63], v[62:63], -v[80:81]
	v_add_f64 v[62:63], v[64:65], v[62:63]
	v_add_f64 v[74:75], v[64:65], v[74:75]
	v_add_f64 v[64:65], v[78:79], v[62:63]
	v_rcp_f64_e32 v[80:81], v[64:65]
	v_add_f64 v[76:77], v[72:73], v[74:75]
	v_add_f64 v[72:73], v[76:77], -v[72:73]
	v_add_f64 v[72:73], v[74:75], -v[72:73]
	;; [unrolled: 1-line block ×4, first 2 shown]
	v_fma_f64 v[74:75], -v[64:65], v[80:81], 1.0
	v_fmac_f64_e32 v[80:81], v[74:75], v[80:81]
	v_fma_f64 v[74:75], -v[64:65], v[80:81], 1.0
	v_fmac_f64_e32 v[80:81], v[74:75], v[80:81]
	v_mul_f64 v[74:75], v[76:77], v[80:81]
	v_mul_f64 v[78:79], v[64:65], v[74:75]
	v_fma_f64 v[82:83], v[74:75], v[64:65], -v[78:79]
	v_fmac_f64_e32 v[82:83], v[74:75], v[62:63]
	v_add_f64 v[84:85], v[78:79], v[82:83]
	v_add_f64 v[86:87], v[76:77], -v[84:85]
	v_add_f64 v[76:77], v[76:77], -v[86:87]
	;; [unrolled: 1-line block ×4, first 2 shown]
	v_add_f64 v[72:73], v[72:73], v[76:77]
	v_add_f64 v[76:77], v[78:79], -v[82:83]
	v_add_f64 v[72:73], v[76:77], v[72:73]
	v_add_f64 v[76:77], v[86:87], v[72:73]
	v_add_f64 v[78:79], v[86:87], -v[76:77]
	v_add_f64 v[72:73], v[72:73], v[78:79]
	v_mul_f64 v[78:79], v[80:81], v[76:77]
	v_mul_f64 v[82:83], v[64:65], v[78:79]
	v_fma_f64 v[64:65], v[78:79], v[64:65], -v[82:83]
	v_fmac_f64_e32 v[64:65], v[78:79], v[62:63]
	v_add_f64 v[62:63], v[82:83], v[64:65]
	v_add_f64 v[84:85], v[76:77], -v[62:63]
	v_add_f64 v[76:77], v[76:77], -v[84:85]
	;; [unrolled: 1-line block ×4, first 2 shown]
	v_add_f64 v[62:63], v[72:73], v[62:63]
	v_add_f64 v[64:65], v[82:83], -v[64:65]
	v_add_f64 v[62:63], v[64:65], v[62:63]
	v_add_f64 v[64:65], v[74:75], v[78:79]
	;; [unrolled: 1-line block ×3, first 2 shown]
	v_add_f64 v[72:73], v[64:65], -v[74:75]
	v_mul_f64 v[62:63], v[80:81], v[62:63]
	v_add_f64 v[72:73], v[78:79], -v[72:73]
	v_add_f64 v[62:63], v[72:73], v[62:63]
	v_add_f64 v[72:73], v[64:65], v[62:63]
	v_add_f64 v[64:65], v[72:73], -v[64:65]
	s_mov_b32 s54, 0xbf559e2b
	v_add_f64 v[62:63], v[62:63], -v[64:65]
	v_mul_f64 v[64:65], v[72:73], v[72:73]
	v_mov_b32_e32 v74, 0x6b47b09a
	v_mov_b32_e32 v75, 0x3fc38538
	s_mov_b32 s55, 0x3fc3ab76
	v_fmac_f64_e32 v[74:75], s[54:55], v[64:65]
	v_mov_b32_e32 v76, 0xd7f4df2e
	v_mov_b32_e32 v77, 0x3fc7474d
	v_fmac_f64_e32 v[76:77], v[64:65], v[74:75]
	v_mov_b32_e32 v74, 0x16291751
	v_mov_b32_e32 v75, 0x3fcc71c0
	;; [unrolled: 3-line block ×5, first 2 shown]
	v_fmac_f64_e32 v[76:77], v[64:65], v[74:75]
	v_cvt_f64_i32_e32 v[74:75], v1
	v_mul_f64 v[78:79], v[74:75], s[64:65]
	v_fma_f64 v[80:81], v[74:75], s[64:65], -v[78:79]
	v_fmac_f64_e32 v[80:81], s[66:67], v[74:75]
	v_add_f64 v[74:75], v[78:79], v[80:81]
	v_add_f64 v[78:79], v[74:75], -v[78:79]
	v_mul_f64 v[64:65], v[72:73], v[64:65]
	v_add_f64 v[78:79], v[80:81], -v[78:79]
	v_ldexp_f64 v[80:81], v[72:73], 1
	v_mul_f64 v[64:65], v[64:65], v[76:77]
	v_add_f64 v[72:73], v[80:81], v[64:65]
	v_add_f64 v[76:77], v[72:73], -v[80:81]
	v_ldexp_f64 v[62:63], v[62:63], 1
	v_add_f64 v[64:65], v[64:65], -v[76:77]
	v_add_f64 v[62:63], v[62:63], v[64:65]
	v_add_f64 v[64:65], v[72:73], v[62:63]
	v_add_f64 v[72:73], v[64:65], -v[72:73]
	v_add_f64 v[62:63], v[62:63], -v[72:73]
	v_add_f64 v[72:73], v[74:75], v[64:65]
	v_add_f64 v[76:77], v[72:73], -v[74:75]
	v_add_f64 v[80:81], v[72:73], -v[76:77]
	;; [unrolled: 1-line block ×4, first 2 shown]
	v_add_f64 v[64:65], v[64:65], v[74:75]
	v_add_f64 v[74:75], v[78:79], v[62:63]
	v_add_f64 v[76:77], v[74:75], -v[78:79]
	v_add_f64 v[64:65], v[74:75], v[64:65]
	v_add_f64 v[80:81], v[74:75], -v[76:77]
	;; [unrolled: 2-line block ×3, first 2 shown]
	v_add_f64 v[62:63], v[62:63], -v[76:77]
	v_add_f64 v[72:73], v[74:75], -v[72:73]
	v_add_f64 v[62:63], v[62:63], v[78:79]
	v_add_f64 v[64:65], v[64:65], -v[72:73]
	s_mov_b32 s54, 0
	v_add_f64 v[62:63], v[62:63], v[64:65]
	s_mov_b32 s55, 0x7ff00000
	v_add_f64 v[62:63], v[74:75], v[62:63]
	v_cmp_eq_f64_e64 s[54:55], s[54:55], v[32:33]
	s_nop 1
	v_cndmask_b32_e64 v1, v62, v32, s[54:55]
	v_cndmask_b32_e64 v35, v63, v33, s[54:55]
	v_mov_b32_e32 v62, 0x7ff80000
	v_cmp_ngt_f64_e64 s[54:55], -1.0, v[32:33]
	s_nop 1
	v_cndmask_b32_e64 v35, v62, v35, s[54:55]
	v_cmp_nge_f64_e64 s[54:55], -1.0, v[32:33]
	s_nop 1
	v_cndmask_b32_e64 v62, 0, v1, s[54:55]
	v_mov_b32_e32 v1, 0xfff00000
	v_cmp_neq_f64_e64 s[54:55], -1.0, v[32:33]
	s_nop 1
	v_cndmask_b32_e64 v63, v1, v35, s[54:55]
	v_add_f64 v[72:73], v[30:31], v[62:63]
.LBB60_54:
	s_or_b64 exec, exec, s[62:63]
	v_max_f64 v[62:63], v[8:9], v[8:9]
	v_max_f64 v[30:31], v[72:73], v[72:73]
	v_min_f64 v[32:33], v[30:31], v[62:63]
	v_cmp_u_f64_e64 s[56:57], v[72:73], v[72:73]
	v_cmp_u_f64_e64 s[54:55], v[8:9], v[8:9]
	v_max_f64 v[30:31], v[30:31], v[62:63]
	v_cndmask_b32_e64 v1, v32, v72, s[56:57]
	v_cndmask_b32_e64 v32, v33, v73, s[56:57]
	;; [unrolled: 1-line block ×8, first 2 shown]
	v_cmp_neq_f64_e64 s[56:57], v[32:33], v[30:31]
	v_cmp_class_f64_e64 s[62:63], v[32:33], s33
	s_or_b64 s[56:57], s[56:57], s[62:63]
	s_and_saveexec_b64 s[64:65], s[56:57]
	s_cbranch_execz .LBB60_56
; %bb.55:
	s_mov_b32 s56, 0x652b82fe
	v_add_f64 v[32:33], v[32:33], -v[30:31]
	s_mov_b32 s57, 0x3ff71547
	v_mul_f64 v[64:65], v[32:33], s[56:57]
	v_rndne_f64_e32 v[64:65], v[64:65]
	s_mov_b32 s67, 0xbfe62e42
	s_mov_b32 s66, 0xfefa39ef
	v_fma_f64 v[72:73], s[66:67], v[64:65], v[32:33]
	s_mov_b32 s69, 0xbc7abc9e
	s_mov_b32 s68, 0x3b39803f
	;; [unrolled: 1-line block ×3, first 2 shown]
	v_fmac_f64_e32 v[72:73], s[68:69], v[64:65]
	v_mov_b32_e32 v74, 0xfca7ab0c
	v_mov_b32_e32 v75, 0x3e928af3
	s_mov_b32 s57, 0x3e5ade15
	v_fmac_f64_e32 v[74:75], s[56:57], v[72:73]
	v_mov_b32_e32 v76, 0x623fde64
	v_mov_b32_e32 v77, 0x3ec71dee
	v_fmac_f64_e32 v[76:77], v[72:73], v[74:75]
	v_mov_b32_e32 v74, 0x7c89e6b0
	v_mov_b32_e32 v75, 0x3efa0199
	;; [unrolled: 3-line block ×8, first 2 shown]
	v_fmac_f64_e32 v[74:75], v[72:73], v[76:77]
	v_fma_f64 v[74:75], v[72:73], v[74:75], 1.0
	s_mov_b32 s56, 0
	s_mov_b32 s62, 0
	v_fma_f64 v[72:73], v[72:73], v[74:75], 1.0
	v_cvt_i32_f64_e32 v1, v[64:65]
	s_mov_b32 s57, 0x40900000
	s_mov_b32 s63, 0xc090cc00
	v_ldexp_f64 v[64:65], v[72:73], v1
	v_mov_b32_e32 v1, 0x7ff00000
	v_cmp_nlt_f64_e64 s[56:57], s[56:57], v[32:33]
	v_cmp_ngt_f64_e64 s[62:63], s[62:63], v[32:33]
	s_mov_b32 s67, 0x3fe62e42
	v_cndmask_b32_e64 v1, v1, v65, s[56:57]
	s_and_b64 s[56:57], s[62:63], s[56:57]
	v_cndmask_b32_e64 v33, 0, v1, s[62:63]
	v_cndmask_b32_e64 v32, 0, v64, s[56:57]
	v_add_f64 v[64:65], v[32:33], 1.0
	v_add_f64 v[72:73], v[64:65], -1.0
	v_add_f64 v[74:75], v[72:73], -v[64:65]
	v_add_f64 v[74:75], v[74:75], 1.0
	v_add_f64 v[72:73], v[32:33], -v[72:73]
	s_mov_b32 s56, 0x55555555
	v_add_f64 v[72:73], v[72:73], v[74:75]
	v_frexp_mant_f64_e32 v[74:75], v[64:65]
	s_mov_b32 s57, 0x3fe55555
	v_frexp_exp_i32_f64_e32 v1, v[64:65]
	v_cmp_gt_f64_e64 s[56:57], s[56:57], v[74:75]
	s_mov_b32 s69, 0x3c7abc9e
	s_nop 0
	v_subbrev_co_u32_e64 v1, s[56:57], 0, v1, s[56:57]
	v_sub_u32_e32 v35, 0, v1
	v_ldexp_f64 v[64:65], v[64:65], v35
	v_add_f64 v[74:75], v[64:65], -1.0
	v_add_f64 v[80:81], v[64:65], 1.0
	v_add_f64 v[76:77], v[74:75], 1.0
	v_add_f64 v[82:83], v[80:81], -1.0
	v_ldexp_f64 v[72:73], v[72:73], v35
	v_add_f64 v[76:77], v[64:65], -v[76:77]
	v_add_f64 v[64:65], v[64:65], -v[82:83]
	v_add_f64 v[64:65], v[72:73], v[64:65]
	v_add_f64 v[76:77], v[72:73], v[76:77]
	;; [unrolled: 1-line block ×3, first 2 shown]
	v_rcp_f64_e32 v[82:83], v[72:73]
	v_add_f64 v[78:79], v[74:75], v[76:77]
	v_add_f64 v[74:75], v[78:79], -v[74:75]
	v_add_f64 v[74:75], v[76:77], -v[74:75]
	;; [unrolled: 1-line block ×4, first 2 shown]
	v_fma_f64 v[76:77], -v[72:73], v[82:83], 1.0
	v_fmac_f64_e32 v[82:83], v[76:77], v[82:83]
	v_fma_f64 v[76:77], -v[72:73], v[82:83], 1.0
	v_fmac_f64_e32 v[82:83], v[76:77], v[82:83]
	v_mul_f64 v[76:77], v[78:79], v[82:83]
	v_mul_f64 v[80:81], v[72:73], v[76:77]
	v_fma_f64 v[84:85], v[76:77], v[72:73], -v[80:81]
	v_fmac_f64_e32 v[84:85], v[76:77], v[64:65]
	v_add_f64 v[86:87], v[80:81], v[84:85]
	v_add_f64 v[88:89], v[78:79], -v[86:87]
	v_add_f64 v[78:79], v[78:79], -v[88:89]
	;; [unrolled: 1-line block ×4, first 2 shown]
	v_add_f64 v[74:75], v[74:75], v[78:79]
	v_add_f64 v[78:79], v[80:81], -v[84:85]
	v_add_f64 v[74:75], v[78:79], v[74:75]
	v_add_f64 v[78:79], v[88:89], v[74:75]
	v_add_f64 v[80:81], v[88:89], -v[78:79]
	v_add_f64 v[74:75], v[74:75], v[80:81]
	v_mul_f64 v[80:81], v[82:83], v[78:79]
	v_mul_f64 v[84:85], v[72:73], v[80:81]
	v_fma_f64 v[72:73], v[80:81], v[72:73], -v[84:85]
	v_fmac_f64_e32 v[72:73], v[80:81], v[64:65]
	v_add_f64 v[64:65], v[84:85], v[72:73]
	v_add_f64 v[86:87], v[78:79], -v[64:65]
	v_add_f64 v[78:79], v[78:79], -v[86:87]
	;; [unrolled: 1-line block ×4, first 2 shown]
	v_add_f64 v[64:65], v[74:75], v[64:65]
	v_add_f64 v[72:73], v[84:85], -v[72:73]
	v_add_f64 v[64:65], v[72:73], v[64:65]
	v_add_f64 v[72:73], v[76:77], v[80:81]
	;; [unrolled: 1-line block ×3, first 2 shown]
	v_add_f64 v[74:75], v[72:73], -v[76:77]
	v_mul_f64 v[64:65], v[82:83], v[64:65]
	v_add_f64 v[74:75], v[80:81], -v[74:75]
	v_add_f64 v[64:65], v[74:75], v[64:65]
	v_add_f64 v[74:75], v[72:73], v[64:65]
	v_add_f64 v[72:73], v[74:75], -v[72:73]
	s_mov_b32 s56, 0xbf559e2b
	v_add_f64 v[64:65], v[64:65], -v[72:73]
	v_mul_f64 v[72:73], v[74:75], v[74:75]
	v_mov_b32_e32 v76, 0x6b47b09a
	v_mov_b32_e32 v77, 0x3fc38538
	s_mov_b32 s57, 0x3fc3ab76
	v_fmac_f64_e32 v[76:77], s[56:57], v[72:73]
	v_mov_b32_e32 v78, 0xd7f4df2e
	v_mov_b32_e32 v79, 0x3fc7474d
	v_fmac_f64_e32 v[78:79], v[72:73], v[76:77]
	v_mov_b32_e32 v76, 0x16291751
	v_mov_b32_e32 v77, 0x3fcc71c0
	;; [unrolled: 3-line block ×5, first 2 shown]
	v_fmac_f64_e32 v[78:79], v[72:73], v[76:77]
	v_cvt_f64_i32_e32 v[76:77], v1
	v_mul_f64 v[80:81], v[76:77], s[66:67]
	v_fma_f64 v[82:83], v[76:77], s[66:67], -v[80:81]
	v_fmac_f64_e32 v[82:83], s[68:69], v[76:77]
	v_add_f64 v[76:77], v[80:81], v[82:83]
	v_add_f64 v[80:81], v[76:77], -v[80:81]
	v_mul_f64 v[72:73], v[74:75], v[72:73]
	v_add_f64 v[80:81], v[82:83], -v[80:81]
	v_ldexp_f64 v[82:83], v[74:75], 1
	v_mul_f64 v[72:73], v[72:73], v[78:79]
	v_add_f64 v[74:75], v[82:83], v[72:73]
	v_add_f64 v[78:79], v[74:75], -v[82:83]
	v_ldexp_f64 v[64:65], v[64:65], 1
	v_add_f64 v[72:73], v[72:73], -v[78:79]
	v_add_f64 v[64:65], v[64:65], v[72:73]
	v_add_f64 v[72:73], v[74:75], v[64:65]
	v_add_f64 v[74:75], v[72:73], -v[74:75]
	v_add_f64 v[64:65], v[64:65], -v[74:75]
	v_add_f64 v[74:75], v[76:77], v[72:73]
	v_add_f64 v[78:79], v[74:75], -v[76:77]
	v_add_f64 v[82:83], v[74:75], -v[78:79]
	;; [unrolled: 1-line block ×4, first 2 shown]
	v_add_f64 v[72:73], v[72:73], v[76:77]
	v_add_f64 v[76:77], v[80:81], v[64:65]
	v_add_f64 v[78:79], v[76:77], -v[80:81]
	v_add_f64 v[72:73], v[76:77], v[72:73]
	v_add_f64 v[82:83], v[76:77], -v[78:79]
	v_add_f64 v[76:77], v[74:75], v[72:73]
	v_add_f64 v[80:81], v[80:81], -v[82:83]
	v_add_f64 v[64:65], v[64:65], -v[78:79]
	v_add_f64 v[74:75], v[76:77], -v[74:75]
	v_add_f64 v[64:65], v[64:65], v[80:81]
	v_add_f64 v[72:73], v[72:73], -v[74:75]
	s_mov_b32 s56, 0
	v_add_f64 v[64:65], v[64:65], v[72:73]
	s_mov_b32 s57, 0x7ff00000
	v_add_f64 v[64:65], v[76:77], v[64:65]
	v_cmp_eq_f64_e64 s[56:57], s[56:57], v[32:33]
	s_nop 1
	v_cndmask_b32_e64 v1, v64, v32, s[56:57]
	v_cndmask_b32_e64 v35, v65, v33, s[56:57]
	v_mov_b32_e32 v64, 0x7ff80000
	v_cmp_ngt_f64_e64 s[56:57], -1.0, v[32:33]
	s_nop 1
	v_cndmask_b32_e64 v35, v64, v35, s[56:57]
	v_cmp_nge_f64_e64 s[56:57], -1.0, v[32:33]
	s_nop 1
	v_cndmask_b32_e64 v64, 0, v1, s[56:57]
	v_mov_b32_e32 v1, 0xfff00000
	v_cmp_neq_f64_e64 s[56:57], -1.0, v[32:33]
	s_nop 1
	v_cndmask_b32_e64 v65, v1, v35, s[56:57]
	v_add_f64 v[72:73], v[30:31], v[64:65]
.LBB60_56:
	s_or_b64 exec, exec, s[64:65]
	v_max_f64 v[64:65], v[36:37], v[36:37]
	v_max_f64 v[30:31], v[72:73], v[72:73]
	v_min_f64 v[32:33], v[30:31], v[64:65]
	v_cmp_u_f64_e64 s[62:63], v[72:73], v[72:73]
	v_cmp_u_f64_e64 s[56:57], v[36:37], v[36:37]
	v_max_f64 v[30:31], v[30:31], v[64:65]
	v_cndmask_b32_e64 v1, v32, v72, s[62:63]
	v_cndmask_b32_e64 v32, v33, v73, s[62:63]
	v_cndmask_b32_e64 v33, v32, v37, s[56:57]
	v_cndmask_b32_e64 v32, v1, v36, s[56:57]
	v_cndmask_b32_e64 v1, v30, v72, s[62:63]
	v_cndmask_b32_e64 v30, v31, v73, s[62:63]
	v_cndmask_b32_e64 v31, v30, v37, s[56:57]
	v_cndmask_b32_e64 v30, v1, v36, s[56:57]
	v_cmp_neq_f64_e64 s[62:63], v[32:33], v[30:31]
	v_cmp_class_f64_e64 s[64:65], v[32:33], s33
	s_or_b64 s[62:63], s[62:63], s[64:65]
	s_and_saveexec_b64 s[66:67], s[62:63]
	s_cbranch_execz .LBB60_58
; %bb.57:
	s_mov_b32 s62, 0x652b82fe
	v_add_f64 v[32:33], v[32:33], -v[30:31]
	s_mov_b32 s63, 0x3ff71547
	v_mul_f64 v[72:73], v[32:33], s[62:63]
	v_rndne_f64_e32 v[72:73], v[72:73]
	s_mov_b32 s69, 0xbfe62e42
	s_mov_b32 s68, 0xfefa39ef
	v_fma_f64 v[74:75], s[68:69], v[72:73], v[32:33]
	s_mov_b32 s71, 0xbc7abc9e
	s_mov_b32 s70, 0x3b39803f
	;; [unrolled: 1-line block ×3, first 2 shown]
	v_fmac_f64_e32 v[74:75], s[70:71], v[72:73]
	v_mov_b32_e32 v76, 0xfca7ab0c
	v_mov_b32_e32 v77, 0x3e928af3
	s_mov_b32 s63, 0x3e5ade15
	v_fmac_f64_e32 v[76:77], s[62:63], v[74:75]
	v_mov_b32_e32 v78, 0x623fde64
	v_mov_b32_e32 v79, 0x3ec71dee
	v_fmac_f64_e32 v[78:79], v[74:75], v[76:77]
	v_mov_b32_e32 v76, 0x7c89e6b0
	v_mov_b32_e32 v77, 0x3efa0199
	;; [unrolled: 3-line block ×8, first 2 shown]
	v_fmac_f64_e32 v[76:77], v[74:75], v[78:79]
	v_fma_f64 v[76:77], v[74:75], v[76:77], 1.0
	s_mov_b32 s62, 0
	s_mov_b32 s64, 0
	v_fma_f64 v[74:75], v[74:75], v[76:77], 1.0
	v_cvt_i32_f64_e32 v1, v[72:73]
	s_mov_b32 s63, 0x40900000
	s_mov_b32 s65, 0xc090cc00
	v_ldexp_f64 v[72:73], v[74:75], v1
	v_mov_b32_e32 v1, 0x7ff00000
	v_cmp_nlt_f64_e64 s[62:63], s[62:63], v[32:33]
	v_cmp_ngt_f64_e64 s[64:65], s[64:65], v[32:33]
	s_mov_b32 s69, 0x3fe62e42
	v_cndmask_b32_e64 v1, v1, v73, s[62:63]
	s_and_b64 s[62:63], s[64:65], s[62:63]
	v_cndmask_b32_e64 v33, 0, v1, s[64:65]
	v_cndmask_b32_e64 v32, 0, v72, s[62:63]
	v_add_f64 v[72:73], v[32:33], 1.0
	v_add_f64 v[74:75], v[72:73], -1.0
	v_add_f64 v[76:77], v[74:75], -v[72:73]
	v_add_f64 v[76:77], v[76:77], 1.0
	v_add_f64 v[74:75], v[32:33], -v[74:75]
	s_mov_b32 s62, 0x55555555
	v_add_f64 v[74:75], v[74:75], v[76:77]
	v_frexp_mant_f64_e32 v[76:77], v[72:73]
	s_mov_b32 s63, 0x3fe55555
	v_frexp_exp_i32_f64_e32 v1, v[72:73]
	v_cmp_gt_f64_e64 s[62:63], s[62:63], v[76:77]
	s_mov_b32 s71, 0x3c7abc9e
	s_nop 0
	v_subbrev_co_u32_e64 v1, s[62:63], 0, v1, s[62:63]
	v_sub_u32_e32 v35, 0, v1
	v_ldexp_f64 v[72:73], v[72:73], v35
	v_add_f64 v[76:77], v[72:73], -1.0
	v_add_f64 v[82:83], v[72:73], 1.0
	v_add_f64 v[78:79], v[76:77], 1.0
	v_add_f64 v[84:85], v[82:83], -1.0
	v_ldexp_f64 v[74:75], v[74:75], v35
	v_add_f64 v[78:79], v[72:73], -v[78:79]
	v_add_f64 v[72:73], v[72:73], -v[84:85]
	v_add_f64 v[72:73], v[74:75], v[72:73]
	v_add_f64 v[78:79], v[74:75], v[78:79]
	;; [unrolled: 1-line block ×3, first 2 shown]
	v_rcp_f64_e32 v[84:85], v[74:75]
	v_add_f64 v[80:81], v[76:77], v[78:79]
	v_add_f64 v[76:77], v[80:81], -v[76:77]
	v_add_f64 v[76:77], v[78:79], -v[76:77]
	;; [unrolled: 1-line block ×4, first 2 shown]
	v_fma_f64 v[78:79], -v[74:75], v[84:85], 1.0
	v_fmac_f64_e32 v[84:85], v[78:79], v[84:85]
	v_fma_f64 v[78:79], -v[74:75], v[84:85], 1.0
	v_fmac_f64_e32 v[84:85], v[78:79], v[84:85]
	v_mul_f64 v[78:79], v[80:81], v[84:85]
	v_mul_f64 v[82:83], v[74:75], v[78:79]
	v_fma_f64 v[86:87], v[78:79], v[74:75], -v[82:83]
	v_fmac_f64_e32 v[86:87], v[78:79], v[72:73]
	v_add_f64 v[88:89], v[82:83], v[86:87]
	v_add_f64 v[90:91], v[80:81], -v[88:89]
	v_add_f64 v[80:81], v[80:81], -v[90:91]
	v_add_f64 v[82:83], v[88:89], -v[82:83]
	v_add_f64 v[80:81], v[80:81], -v[88:89]
	v_add_f64 v[76:77], v[76:77], v[80:81]
	v_add_f64 v[80:81], v[82:83], -v[86:87]
	v_add_f64 v[76:77], v[80:81], v[76:77]
	v_add_f64 v[80:81], v[90:91], v[76:77]
	v_add_f64 v[82:83], v[90:91], -v[80:81]
	v_add_f64 v[76:77], v[76:77], v[82:83]
	v_mul_f64 v[82:83], v[84:85], v[80:81]
	v_mul_f64 v[86:87], v[74:75], v[82:83]
	v_fma_f64 v[74:75], v[82:83], v[74:75], -v[86:87]
	v_fmac_f64_e32 v[74:75], v[82:83], v[72:73]
	v_add_f64 v[72:73], v[86:87], v[74:75]
	v_add_f64 v[88:89], v[80:81], -v[72:73]
	v_add_f64 v[80:81], v[80:81], -v[88:89]
	;; [unrolled: 1-line block ×4, first 2 shown]
	v_add_f64 v[72:73], v[76:77], v[72:73]
	v_add_f64 v[74:75], v[86:87], -v[74:75]
	v_add_f64 v[72:73], v[74:75], v[72:73]
	v_add_f64 v[74:75], v[78:79], v[82:83]
	v_add_f64 v[72:73], v[88:89], v[72:73]
	v_add_f64 v[76:77], v[74:75], -v[78:79]
	v_mul_f64 v[72:73], v[84:85], v[72:73]
	v_add_f64 v[76:77], v[82:83], -v[76:77]
	v_add_f64 v[72:73], v[76:77], v[72:73]
	v_add_f64 v[76:77], v[74:75], v[72:73]
	v_add_f64 v[74:75], v[76:77], -v[74:75]
	s_mov_b32 s62, 0xbf559e2b
	v_add_f64 v[72:73], v[72:73], -v[74:75]
	v_mul_f64 v[74:75], v[76:77], v[76:77]
	v_mov_b32_e32 v78, 0x6b47b09a
	v_mov_b32_e32 v79, 0x3fc38538
	s_mov_b32 s63, 0x3fc3ab76
	v_fmac_f64_e32 v[78:79], s[62:63], v[74:75]
	v_mov_b32_e32 v80, 0xd7f4df2e
	v_mov_b32_e32 v81, 0x3fc7474d
	v_fmac_f64_e32 v[80:81], v[74:75], v[78:79]
	v_mov_b32_e32 v78, 0x16291751
	v_mov_b32_e32 v79, 0x3fcc71c0
	;; [unrolled: 3-line block ×5, first 2 shown]
	v_fmac_f64_e32 v[80:81], v[74:75], v[78:79]
	v_cvt_f64_i32_e32 v[78:79], v1
	v_mul_f64 v[82:83], v[78:79], s[68:69]
	v_fma_f64 v[84:85], v[78:79], s[68:69], -v[82:83]
	v_fmac_f64_e32 v[84:85], s[70:71], v[78:79]
	v_add_f64 v[78:79], v[82:83], v[84:85]
	v_add_f64 v[82:83], v[78:79], -v[82:83]
	v_mul_f64 v[74:75], v[76:77], v[74:75]
	v_add_f64 v[82:83], v[84:85], -v[82:83]
	v_ldexp_f64 v[84:85], v[76:77], 1
	v_mul_f64 v[74:75], v[74:75], v[80:81]
	v_add_f64 v[76:77], v[84:85], v[74:75]
	v_add_f64 v[80:81], v[76:77], -v[84:85]
	v_ldexp_f64 v[72:73], v[72:73], 1
	v_add_f64 v[74:75], v[74:75], -v[80:81]
	v_add_f64 v[72:73], v[72:73], v[74:75]
	v_add_f64 v[74:75], v[76:77], v[72:73]
	v_add_f64 v[76:77], v[74:75], -v[76:77]
	v_add_f64 v[72:73], v[72:73], -v[76:77]
	v_add_f64 v[76:77], v[78:79], v[74:75]
	v_add_f64 v[80:81], v[76:77], -v[78:79]
	v_add_f64 v[84:85], v[76:77], -v[80:81]
	;; [unrolled: 1-line block ×4, first 2 shown]
	v_add_f64 v[74:75], v[74:75], v[78:79]
	v_add_f64 v[78:79], v[82:83], v[72:73]
	v_add_f64 v[80:81], v[78:79], -v[82:83]
	v_add_f64 v[74:75], v[78:79], v[74:75]
	v_add_f64 v[84:85], v[78:79], -v[80:81]
	;; [unrolled: 2-line block ×3, first 2 shown]
	v_add_f64 v[72:73], v[72:73], -v[80:81]
	v_add_f64 v[76:77], v[78:79], -v[76:77]
	v_add_f64 v[72:73], v[72:73], v[82:83]
	v_add_f64 v[74:75], v[74:75], -v[76:77]
	s_mov_b32 s62, 0
	v_add_f64 v[72:73], v[72:73], v[74:75]
	s_mov_b32 s63, 0x7ff00000
	v_add_f64 v[72:73], v[78:79], v[72:73]
	v_cmp_eq_f64_e64 s[62:63], s[62:63], v[32:33]
	s_nop 1
	v_cndmask_b32_e64 v1, v72, v32, s[62:63]
	v_cndmask_b32_e64 v35, v73, v33, s[62:63]
	v_mov_b32_e32 v72, 0x7ff80000
	v_cmp_ngt_f64_e64 s[62:63], -1.0, v[32:33]
	s_nop 1
	v_cndmask_b32_e64 v35, v72, v35, s[62:63]
	v_cmp_nge_f64_e64 s[62:63], -1.0, v[32:33]
	s_nop 1
	v_cndmask_b32_e64 v72, 0, v1, s[62:63]
	v_mov_b32_e32 v1, 0xfff00000
	v_cmp_neq_f64_e64 s[62:63], -1.0, v[32:33]
	s_nop 1
	v_cndmask_b32_e64 v73, v1, v35, s[62:63]
	v_add_f64 v[72:73], v[30:31], v[72:73]
.LBB60_58:
	s_or_b64 exec, exec, s[66:67]
	v_lshrrev_b32_e32 v1, 2, v0
	v_and_b32_e32 v1, 56, v1
	v_add_u32_e32 v1, v34, v1
	v_cmp_gt_u32_e64 s[62:63], 64, v0
	ds_write_b64 v1, v[72:73]
	s_waitcnt lgkmcnt(0)
	s_barrier
	s_and_saveexec_b64 s[68:69], s[62:63]
	s_cbranch_execz .LBB60_98
; %bb.59:
	v_lshlrev_b32_e32 v1, 2, v0
	v_lshrrev_b32_e32 v30, 3, v0
	v_add_lshl_u32 v1, v30, v1, 3
	ds_read2_b64 v[30:33], v1 offset1:1
	s_waitcnt lgkmcnt(0)
	v_max_f64 v[76:77], v[32:33], v[32:33]
	v_max_f64 v[74:75], v[30:31], v[30:31]
	v_min_f64 v[78:79], v[74:75], v[76:77]
	v_cmp_u_f64_e64 s[62:63], v[30:31], v[30:31]
	v_cmp_u_f64_e64 s[64:65], v[32:33], v[32:33]
	v_max_f64 v[76:77], v[74:75], v[76:77]
	v_cndmask_b32_e64 v35, v78, v30, s[62:63]
	v_cndmask_b32_e64 v78, v79, v31, s[62:63]
	;; [unrolled: 1-line block ×8, first 2 shown]
	v_cmp_neq_f64_e64 s[64:65], v[78:79], v[76:77]
	v_cmp_class_f64_e64 s[66:67], v[78:79], s33
	s_or_b64 s[64:65], s[64:65], s[66:67]
	v_mov_b64_e32 v[32:33], v[30:31]
	s_and_saveexec_b64 s[70:71], s[64:65]
	s_cbranch_execz .LBB60_61
; %bb.60:
	s_mov_b32 s64, 0x652b82fe
	v_add_f64 v[32:33], v[78:79], -v[76:77]
	s_mov_b32 s65, 0x3ff71547
	v_mul_f64 v[78:79], v[32:33], s[64:65]
	v_rndne_f64_e32 v[78:79], v[78:79]
	s_mov_b32 s73, 0xbfe62e42
	s_mov_b32 s72, 0xfefa39ef
	v_fma_f64 v[80:81], s[72:73], v[78:79], v[32:33]
	s_mov_b32 s75, 0xbc7abc9e
	s_mov_b32 s74, 0x3b39803f
	;; [unrolled: 1-line block ×3, first 2 shown]
	v_fmac_f64_e32 v[80:81], s[74:75], v[78:79]
	v_mov_b32_e32 v82, 0xfca7ab0c
	v_mov_b32_e32 v83, 0x3e928af3
	s_mov_b32 s65, 0x3e5ade15
	v_fmac_f64_e32 v[82:83], s[64:65], v[80:81]
	v_mov_b32_e32 v84, 0x623fde64
	v_mov_b32_e32 v85, 0x3ec71dee
	v_fmac_f64_e32 v[84:85], v[80:81], v[82:83]
	v_mov_b32_e32 v82, 0x7c89e6b0
	v_mov_b32_e32 v83, 0x3efa0199
	;; [unrolled: 3-line block ×8, first 2 shown]
	v_fmac_f64_e32 v[82:83], v[80:81], v[84:85]
	v_fma_f64 v[82:83], v[80:81], v[82:83], 1.0
	s_mov_b32 s64, 0
	s_mov_b32 s66, 0
	v_fma_f64 v[80:81], v[80:81], v[82:83], 1.0
	v_cvt_i32_f64_e32 v35, v[78:79]
	s_mov_b32 s65, 0x40900000
	s_mov_b32 s67, 0xc090cc00
	v_ldexp_f64 v[78:79], v[80:81], v35
	v_mov_b32_e32 v35, 0x7ff00000
	v_cmp_nlt_f64_e64 s[64:65], s[64:65], v[32:33]
	v_cmp_ngt_f64_e64 s[66:67], s[66:67], v[32:33]
	s_mov_b32 s73, 0x3fe62e42
	v_cndmask_b32_e64 v35, v35, v79, s[64:65]
	s_and_b64 s[64:65], s[66:67], s[64:65]
	v_cndmask_b32_e64 v33, 0, v35, s[66:67]
	v_cndmask_b32_e64 v32, 0, v78, s[64:65]
	v_add_f64 v[78:79], v[32:33], 1.0
	v_add_f64 v[80:81], v[78:79], -1.0
	v_add_f64 v[82:83], v[80:81], -v[78:79]
	v_add_f64 v[82:83], v[82:83], 1.0
	v_add_f64 v[80:81], v[32:33], -v[80:81]
	s_mov_b32 s64, 0x55555555
	v_add_f64 v[80:81], v[80:81], v[82:83]
	v_frexp_mant_f64_e32 v[82:83], v[78:79]
	s_mov_b32 s65, 0x3fe55555
	v_frexp_exp_i32_f64_e32 v35, v[78:79]
	v_cmp_gt_f64_e64 s[64:65], s[64:65], v[82:83]
	s_mov_b32 s75, 0x3c7abc9e
	s_nop 0
	v_subbrev_co_u32_e64 v35, s[64:65], 0, v35, s[64:65]
	v_sub_u32_e32 v82, 0, v35
	v_ldexp_f64 v[78:79], v[78:79], v82
	v_ldexp_f64 v[80:81], v[80:81], v82
	v_add_f64 v[82:83], v[78:79], -1.0
	v_add_f64 v[88:89], v[78:79], 1.0
	v_add_f64 v[84:85], v[82:83], 1.0
	v_add_f64 v[90:91], v[88:89], -1.0
	v_add_f64 v[84:85], v[78:79], -v[84:85]
	v_add_f64 v[78:79], v[78:79], -v[90:91]
	v_add_f64 v[78:79], v[80:81], v[78:79]
	v_add_f64 v[84:85], v[80:81], v[84:85]
	;; [unrolled: 1-line block ×3, first 2 shown]
	v_rcp_f64_e32 v[90:91], v[80:81]
	v_add_f64 v[86:87], v[82:83], v[84:85]
	v_add_f64 v[82:83], v[86:87], -v[82:83]
	v_add_f64 v[82:83], v[84:85], -v[82:83]
	;; [unrolled: 1-line block ×4, first 2 shown]
	v_fma_f64 v[84:85], -v[80:81], v[90:91], 1.0
	v_fmac_f64_e32 v[90:91], v[84:85], v[90:91]
	v_fma_f64 v[84:85], -v[80:81], v[90:91], 1.0
	v_fmac_f64_e32 v[90:91], v[84:85], v[90:91]
	v_mul_f64 v[84:85], v[86:87], v[90:91]
	v_mul_f64 v[88:89], v[80:81], v[84:85]
	v_fma_f64 v[92:93], v[84:85], v[80:81], -v[88:89]
	v_fmac_f64_e32 v[92:93], v[84:85], v[78:79]
	v_add_f64 v[94:95], v[88:89], v[92:93]
	v_add_f64 v[96:97], v[86:87], -v[94:95]
	v_add_f64 v[86:87], v[86:87], -v[96:97]
	;; [unrolled: 1-line block ×4, first 2 shown]
	v_add_f64 v[82:83], v[82:83], v[86:87]
	v_add_f64 v[86:87], v[88:89], -v[92:93]
	v_add_f64 v[82:83], v[86:87], v[82:83]
	v_add_f64 v[86:87], v[96:97], v[82:83]
	v_add_f64 v[88:89], v[96:97], -v[86:87]
	v_add_f64 v[82:83], v[82:83], v[88:89]
	v_mul_f64 v[88:89], v[90:91], v[86:87]
	v_mul_f64 v[92:93], v[80:81], v[88:89]
	v_fma_f64 v[80:81], v[88:89], v[80:81], -v[92:93]
	v_fmac_f64_e32 v[80:81], v[88:89], v[78:79]
	v_add_f64 v[78:79], v[92:93], v[80:81]
	v_add_f64 v[94:95], v[86:87], -v[78:79]
	v_add_f64 v[86:87], v[86:87], -v[94:95]
	;; [unrolled: 1-line block ×4, first 2 shown]
	v_add_f64 v[78:79], v[82:83], v[78:79]
	v_add_f64 v[80:81], v[92:93], -v[80:81]
	v_add_f64 v[78:79], v[80:81], v[78:79]
	v_add_f64 v[80:81], v[84:85], v[88:89]
	v_add_f64 v[78:79], v[94:95], v[78:79]
	v_add_f64 v[82:83], v[80:81], -v[84:85]
	v_mul_f64 v[78:79], v[90:91], v[78:79]
	v_add_f64 v[82:83], v[88:89], -v[82:83]
	v_add_f64 v[78:79], v[82:83], v[78:79]
	v_add_f64 v[82:83], v[80:81], v[78:79]
	v_add_f64 v[80:81], v[82:83], -v[80:81]
	s_mov_b32 s64, 0xbf559e2b
	v_add_f64 v[78:79], v[78:79], -v[80:81]
	v_mul_f64 v[80:81], v[82:83], v[82:83]
	v_mov_b32_e32 v84, 0x6b47b09a
	v_mov_b32_e32 v85, 0x3fc38538
	s_mov_b32 s65, 0x3fc3ab76
	v_fmac_f64_e32 v[84:85], s[64:65], v[80:81]
	v_mov_b32_e32 v86, 0xd7f4df2e
	v_mov_b32_e32 v87, 0x3fc7474d
	v_fmac_f64_e32 v[86:87], v[80:81], v[84:85]
	v_mov_b32_e32 v84, 0x16291751
	v_mov_b32_e32 v85, 0x3fcc71c0
	;; [unrolled: 3-line block ×5, first 2 shown]
	v_fmac_f64_e32 v[86:87], v[80:81], v[84:85]
	v_cvt_f64_i32_e32 v[84:85], v35
	v_mul_f64 v[88:89], v[84:85], s[72:73]
	v_fma_f64 v[90:91], v[84:85], s[72:73], -v[88:89]
	v_fmac_f64_e32 v[90:91], s[74:75], v[84:85]
	v_add_f64 v[84:85], v[88:89], v[90:91]
	v_add_f64 v[88:89], v[84:85], -v[88:89]
	v_mul_f64 v[80:81], v[82:83], v[80:81]
	v_add_f64 v[88:89], v[90:91], -v[88:89]
	v_ldexp_f64 v[90:91], v[82:83], 1
	v_mul_f64 v[80:81], v[80:81], v[86:87]
	v_add_f64 v[82:83], v[90:91], v[80:81]
	v_add_f64 v[86:87], v[82:83], -v[90:91]
	v_ldexp_f64 v[78:79], v[78:79], 1
	v_add_f64 v[80:81], v[80:81], -v[86:87]
	v_add_f64 v[78:79], v[78:79], v[80:81]
	v_add_f64 v[80:81], v[82:83], v[78:79]
	v_add_f64 v[82:83], v[80:81], -v[82:83]
	v_add_f64 v[78:79], v[78:79], -v[82:83]
	v_add_f64 v[82:83], v[84:85], v[80:81]
	v_add_f64 v[86:87], v[82:83], -v[84:85]
	v_add_f64 v[90:91], v[82:83], -v[86:87]
	;; [unrolled: 1-line block ×4, first 2 shown]
	v_add_f64 v[80:81], v[80:81], v[84:85]
	v_add_f64 v[84:85], v[88:89], v[78:79]
	v_add_f64 v[86:87], v[84:85], -v[88:89]
	v_add_f64 v[80:81], v[84:85], v[80:81]
	v_add_f64 v[90:91], v[84:85], -v[86:87]
	v_add_f64 v[84:85], v[82:83], v[80:81]
	v_add_f64 v[88:89], v[88:89], -v[90:91]
	v_add_f64 v[78:79], v[78:79], -v[86:87]
	v_add_f64 v[82:83], v[84:85], -v[82:83]
	v_add_f64 v[78:79], v[78:79], v[88:89]
	v_add_f64 v[80:81], v[80:81], -v[82:83]
	s_mov_b32 s64, 0
	v_add_f64 v[78:79], v[78:79], v[80:81]
	s_mov_b32 s65, 0x7ff00000
	v_add_f64 v[78:79], v[84:85], v[78:79]
	v_cmp_eq_f64_e64 s[64:65], s[64:65], v[32:33]
	s_nop 1
	v_cndmask_b32_e64 v35, v78, v32, s[64:65]
	v_cndmask_b32_e64 v78, v79, v33, s[64:65]
	v_mov_b32_e32 v79, 0x7ff80000
	v_cmp_ngt_f64_e64 s[64:65], -1.0, v[32:33]
	s_nop 1
	v_cndmask_b32_e64 v79, v79, v78, s[64:65]
	v_cmp_nge_f64_e64 s[64:65], -1.0, v[32:33]
	s_nop 1
	v_cndmask_b32_e64 v78, 0, v35, s[64:65]
	v_mov_b32_e32 v35, 0xfff00000
	v_cmp_neq_f64_e64 s[64:65], -1.0, v[32:33]
	s_nop 1
	v_cndmask_b32_e64 v79, v35, v79, s[64:65]
	v_add_f64 v[32:33], v[76:77], v[78:79]
.LBB60_61:
	s_or_b64 exec, exec, s[70:71]
	ds_read_b64 v[76:77], v1 offset:16
	v_max_f64 v[80:81], v[32:33], v[32:33]
	v_cmp_u_f64_e64 s[64:65], v[32:33], v[32:33]
	s_waitcnt lgkmcnt(0)
	v_max_f64 v[82:83], v[76:77], v[76:77]
	v_min_f64 v[78:79], v[80:81], v[82:83]
	v_cndmask_b32_e64 v35, v78, v32, s[64:65]
	v_cndmask_b32_e64 v78, v79, v33, s[64:65]
	v_cmp_u_f64_e64 s[66:67], v[76:77], v[76:77]
	v_max_f64 v[80:81], v[80:81], v[82:83]
	s_nop 0
	v_cndmask_b32_e64 v79, v78, v77, s[66:67]
	v_cndmask_b32_e64 v78, v35, v76, s[66:67]
	;; [unrolled: 1-line block ×6, first 2 shown]
	v_cmp_neq_f64_e64 s[64:65], v[78:79], v[76:77]
	v_cmp_class_f64_e64 s[66:67], v[78:79], s33
	s_or_b64 s[64:65], s[64:65], s[66:67]
	s_and_saveexec_b64 s[70:71], s[64:65]
	s_cbranch_execz .LBB60_63
; %bb.62:
	s_mov_b32 s64, 0x652b82fe
	v_add_f64 v[32:33], v[78:79], -v[76:77]
	s_mov_b32 s65, 0x3ff71547
	v_mul_f64 v[78:79], v[32:33], s[64:65]
	v_rndne_f64_e32 v[78:79], v[78:79]
	s_mov_b32 s73, 0xbfe62e42
	s_mov_b32 s72, 0xfefa39ef
	v_fma_f64 v[80:81], s[72:73], v[78:79], v[32:33]
	s_mov_b32 s75, 0xbc7abc9e
	s_mov_b32 s74, 0x3b39803f
	;; [unrolled: 1-line block ×3, first 2 shown]
	v_fmac_f64_e32 v[80:81], s[74:75], v[78:79]
	v_mov_b32_e32 v82, 0xfca7ab0c
	v_mov_b32_e32 v83, 0x3e928af3
	s_mov_b32 s65, 0x3e5ade15
	v_fmac_f64_e32 v[82:83], s[64:65], v[80:81]
	v_mov_b32_e32 v84, 0x623fde64
	v_mov_b32_e32 v85, 0x3ec71dee
	v_fmac_f64_e32 v[84:85], v[80:81], v[82:83]
	v_mov_b32_e32 v82, 0x7c89e6b0
	v_mov_b32_e32 v83, 0x3efa0199
	;; [unrolled: 3-line block ×8, first 2 shown]
	v_fmac_f64_e32 v[82:83], v[80:81], v[84:85]
	v_fma_f64 v[82:83], v[80:81], v[82:83], 1.0
	s_mov_b32 s64, 0
	s_mov_b32 s66, 0
	v_fma_f64 v[80:81], v[80:81], v[82:83], 1.0
	v_cvt_i32_f64_e32 v35, v[78:79]
	s_mov_b32 s65, 0x40900000
	s_mov_b32 s67, 0xc090cc00
	v_ldexp_f64 v[78:79], v[80:81], v35
	v_mov_b32_e32 v35, 0x7ff00000
	v_cmp_nlt_f64_e64 s[64:65], s[64:65], v[32:33]
	v_cmp_ngt_f64_e64 s[66:67], s[66:67], v[32:33]
	s_mov_b32 s73, 0x3fe62e42
	v_cndmask_b32_e64 v35, v35, v79, s[64:65]
	s_and_b64 s[64:65], s[66:67], s[64:65]
	v_cndmask_b32_e64 v33, 0, v35, s[66:67]
	v_cndmask_b32_e64 v32, 0, v78, s[64:65]
	v_add_f64 v[78:79], v[32:33], 1.0
	v_add_f64 v[80:81], v[78:79], -1.0
	v_add_f64 v[82:83], v[80:81], -v[78:79]
	v_add_f64 v[82:83], v[82:83], 1.0
	v_add_f64 v[80:81], v[32:33], -v[80:81]
	s_mov_b32 s64, 0x55555555
	v_add_f64 v[80:81], v[80:81], v[82:83]
	v_frexp_mant_f64_e32 v[82:83], v[78:79]
	s_mov_b32 s65, 0x3fe55555
	v_frexp_exp_i32_f64_e32 v35, v[78:79]
	v_cmp_gt_f64_e64 s[64:65], s[64:65], v[82:83]
	s_mov_b32 s75, 0x3c7abc9e
	s_nop 0
	v_subbrev_co_u32_e64 v35, s[64:65], 0, v35, s[64:65]
	v_sub_u32_e32 v82, 0, v35
	v_ldexp_f64 v[78:79], v[78:79], v82
	v_ldexp_f64 v[80:81], v[80:81], v82
	v_add_f64 v[82:83], v[78:79], -1.0
	v_add_f64 v[88:89], v[78:79], 1.0
	v_add_f64 v[84:85], v[82:83], 1.0
	v_add_f64 v[90:91], v[88:89], -1.0
	v_add_f64 v[84:85], v[78:79], -v[84:85]
	v_add_f64 v[78:79], v[78:79], -v[90:91]
	v_add_f64 v[78:79], v[80:81], v[78:79]
	v_add_f64 v[84:85], v[80:81], v[84:85]
	;; [unrolled: 1-line block ×3, first 2 shown]
	v_rcp_f64_e32 v[90:91], v[80:81]
	v_add_f64 v[86:87], v[82:83], v[84:85]
	v_add_f64 v[82:83], v[86:87], -v[82:83]
	v_add_f64 v[82:83], v[84:85], -v[82:83]
	;; [unrolled: 1-line block ×4, first 2 shown]
	v_fma_f64 v[84:85], -v[80:81], v[90:91], 1.0
	v_fmac_f64_e32 v[90:91], v[84:85], v[90:91]
	v_fma_f64 v[84:85], -v[80:81], v[90:91], 1.0
	v_fmac_f64_e32 v[90:91], v[84:85], v[90:91]
	v_mul_f64 v[84:85], v[86:87], v[90:91]
	v_mul_f64 v[88:89], v[80:81], v[84:85]
	v_fma_f64 v[92:93], v[84:85], v[80:81], -v[88:89]
	v_fmac_f64_e32 v[92:93], v[84:85], v[78:79]
	v_add_f64 v[94:95], v[88:89], v[92:93]
	v_add_f64 v[96:97], v[86:87], -v[94:95]
	v_add_f64 v[86:87], v[86:87], -v[96:97]
	;; [unrolled: 1-line block ×4, first 2 shown]
	v_add_f64 v[82:83], v[82:83], v[86:87]
	v_add_f64 v[86:87], v[88:89], -v[92:93]
	v_add_f64 v[82:83], v[86:87], v[82:83]
	v_add_f64 v[86:87], v[96:97], v[82:83]
	v_add_f64 v[88:89], v[96:97], -v[86:87]
	v_add_f64 v[82:83], v[82:83], v[88:89]
	v_mul_f64 v[88:89], v[90:91], v[86:87]
	v_mul_f64 v[92:93], v[80:81], v[88:89]
	v_fma_f64 v[80:81], v[88:89], v[80:81], -v[92:93]
	v_fmac_f64_e32 v[80:81], v[88:89], v[78:79]
	v_add_f64 v[78:79], v[92:93], v[80:81]
	v_add_f64 v[94:95], v[86:87], -v[78:79]
	v_add_f64 v[86:87], v[86:87], -v[94:95]
	;; [unrolled: 1-line block ×4, first 2 shown]
	v_add_f64 v[78:79], v[82:83], v[78:79]
	v_add_f64 v[80:81], v[92:93], -v[80:81]
	v_add_f64 v[78:79], v[80:81], v[78:79]
	v_add_f64 v[80:81], v[84:85], v[88:89]
	;; [unrolled: 1-line block ×3, first 2 shown]
	v_add_f64 v[82:83], v[80:81], -v[84:85]
	v_mul_f64 v[78:79], v[90:91], v[78:79]
	v_add_f64 v[82:83], v[88:89], -v[82:83]
	v_add_f64 v[78:79], v[82:83], v[78:79]
	v_add_f64 v[82:83], v[80:81], v[78:79]
	v_add_f64 v[80:81], v[82:83], -v[80:81]
	s_mov_b32 s64, 0xbf559e2b
	v_add_f64 v[78:79], v[78:79], -v[80:81]
	v_mul_f64 v[80:81], v[82:83], v[82:83]
	v_mov_b32_e32 v84, 0x6b47b09a
	v_mov_b32_e32 v85, 0x3fc38538
	s_mov_b32 s65, 0x3fc3ab76
	v_fmac_f64_e32 v[84:85], s[64:65], v[80:81]
	v_mov_b32_e32 v86, 0xd7f4df2e
	v_mov_b32_e32 v87, 0x3fc7474d
	v_fmac_f64_e32 v[86:87], v[80:81], v[84:85]
	v_mov_b32_e32 v84, 0x16291751
	v_mov_b32_e32 v85, 0x3fcc71c0
	;; [unrolled: 3-line block ×5, first 2 shown]
	v_fmac_f64_e32 v[86:87], v[80:81], v[84:85]
	v_cvt_f64_i32_e32 v[84:85], v35
	v_mul_f64 v[88:89], v[84:85], s[72:73]
	v_fma_f64 v[90:91], v[84:85], s[72:73], -v[88:89]
	v_fmac_f64_e32 v[90:91], s[74:75], v[84:85]
	v_add_f64 v[84:85], v[88:89], v[90:91]
	v_add_f64 v[88:89], v[84:85], -v[88:89]
	v_mul_f64 v[80:81], v[82:83], v[80:81]
	v_add_f64 v[88:89], v[90:91], -v[88:89]
	v_ldexp_f64 v[90:91], v[82:83], 1
	v_mul_f64 v[80:81], v[80:81], v[86:87]
	v_add_f64 v[82:83], v[90:91], v[80:81]
	v_add_f64 v[86:87], v[82:83], -v[90:91]
	v_ldexp_f64 v[78:79], v[78:79], 1
	v_add_f64 v[80:81], v[80:81], -v[86:87]
	v_add_f64 v[78:79], v[78:79], v[80:81]
	v_add_f64 v[80:81], v[82:83], v[78:79]
	v_add_f64 v[82:83], v[80:81], -v[82:83]
	v_add_f64 v[78:79], v[78:79], -v[82:83]
	v_add_f64 v[82:83], v[84:85], v[80:81]
	v_add_f64 v[86:87], v[82:83], -v[84:85]
	v_add_f64 v[90:91], v[82:83], -v[86:87]
	;; [unrolled: 1-line block ×4, first 2 shown]
	v_add_f64 v[80:81], v[80:81], v[84:85]
	v_add_f64 v[84:85], v[88:89], v[78:79]
	v_add_f64 v[86:87], v[84:85], -v[88:89]
	v_add_f64 v[80:81], v[84:85], v[80:81]
	v_add_f64 v[90:91], v[84:85], -v[86:87]
	v_add_f64 v[84:85], v[82:83], v[80:81]
	v_add_f64 v[88:89], v[88:89], -v[90:91]
	v_add_f64 v[78:79], v[78:79], -v[86:87]
	v_add_f64 v[82:83], v[84:85], -v[82:83]
	v_add_f64 v[78:79], v[78:79], v[88:89]
	v_add_f64 v[80:81], v[80:81], -v[82:83]
	s_mov_b32 s64, 0
	v_add_f64 v[78:79], v[78:79], v[80:81]
	s_mov_b32 s65, 0x7ff00000
	v_add_f64 v[78:79], v[84:85], v[78:79]
	v_cmp_eq_f64_e64 s[64:65], s[64:65], v[32:33]
	s_nop 1
	v_cndmask_b32_e64 v35, v78, v32, s[64:65]
	v_cndmask_b32_e64 v78, v79, v33, s[64:65]
	v_mov_b32_e32 v79, 0x7ff80000
	v_cmp_ngt_f64_e64 s[64:65], -1.0, v[32:33]
	s_nop 1
	v_cndmask_b32_e64 v79, v79, v78, s[64:65]
	v_cmp_nge_f64_e64 s[64:65], -1.0, v[32:33]
	s_nop 1
	v_cndmask_b32_e64 v78, 0, v35, s[64:65]
	v_mov_b32_e32 v35, 0xfff00000
	v_cmp_neq_f64_e64 s[64:65], -1.0, v[32:33]
	s_nop 1
	v_cndmask_b32_e64 v79, v35, v79, s[64:65]
	v_add_f64 v[32:33], v[76:77], v[78:79]
.LBB60_63:
	s_or_b64 exec, exec, s[70:71]
	ds_read_b64 v[76:77], v1 offset:24
	v_max_f64 v[80:81], v[32:33], v[32:33]
	v_cmp_u_f64_e64 s[64:65], v[32:33], v[32:33]
	s_waitcnt lgkmcnt(0)
	v_max_f64 v[82:83], v[76:77], v[76:77]
	v_min_f64 v[78:79], v[80:81], v[82:83]
	v_cndmask_b32_e64 v35, v78, v32, s[64:65]
	v_cndmask_b32_e64 v78, v79, v33, s[64:65]
	v_cmp_u_f64_e64 s[66:67], v[76:77], v[76:77]
	v_max_f64 v[80:81], v[80:81], v[82:83]
	s_nop 0
	v_cndmask_b32_e64 v79, v78, v77, s[66:67]
	v_cndmask_b32_e64 v78, v35, v76, s[66:67]
	;; [unrolled: 1-line block ×6, first 2 shown]
	v_cmp_neq_f64_e64 s[64:65], v[78:79], v[76:77]
	v_cmp_class_f64_e64 s[66:67], v[78:79], s33
	s_or_b64 s[64:65], s[64:65], s[66:67]
	s_and_saveexec_b64 s[70:71], s[64:65]
	s_cbranch_execz .LBB60_65
; %bb.64:
	s_mov_b32 s64, 0x652b82fe
	v_add_f64 v[32:33], v[78:79], -v[76:77]
	s_mov_b32 s65, 0x3ff71547
	v_mul_f64 v[78:79], v[32:33], s[64:65]
	v_rndne_f64_e32 v[78:79], v[78:79]
	s_mov_b32 s73, 0xbfe62e42
	s_mov_b32 s72, 0xfefa39ef
	v_fma_f64 v[80:81], s[72:73], v[78:79], v[32:33]
	s_mov_b32 s75, 0xbc7abc9e
	s_mov_b32 s74, 0x3b39803f
	;; [unrolled: 1-line block ×3, first 2 shown]
	v_fmac_f64_e32 v[80:81], s[74:75], v[78:79]
	v_mov_b32_e32 v82, 0xfca7ab0c
	v_mov_b32_e32 v83, 0x3e928af3
	s_mov_b32 s65, 0x3e5ade15
	v_fmac_f64_e32 v[82:83], s[64:65], v[80:81]
	v_mov_b32_e32 v84, 0x623fde64
	v_mov_b32_e32 v85, 0x3ec71dee
	v_fmac_f64_e32 v[84:85], v[80:81], v[82:83]
	v_mov_b32_e32 v82, 0x7c89e6b0
	v_mov_b32_e32 v83, 0x3efa0199
	;; [unrolled: 3-line block ×8, first 2 shown]
	v_fmac_f64_e32 v[82:83], v[80:81], v[84:85]
	v_fma_f64 v[82:83], v[80:81], v[82:83], 1.0
	s_mov_b32 s64, 0
	s_mov_b32 s66, 0
	v_fma_f64 v[80:81], v[80:81], v[82:83], 1.0
	v_cvt_i32_f64_e32 v35, v[78:79]
	s_mov_b32 s65, 0x40900000
	s_mov_b32 s67, 0xc090cc00
	v_ldexp_f64 v[78:79], v[80:81], v35
	v_mov_b32_e32 v35, 0x7ff00000
	v_cmp_nlt_f64_e64 s[64:65], s[64:65], v[32:33]
	v_cmp_ngt_f64_e64 s[66:67], s[66:67], v[32:33]
	s_mov_b32 s73, 0x3fe62e42
	v_cndmask_b32_e64 v35, v35, v79, s[64:65]
	s_and_b64 s[64:65], s[66:67], s[64:65]
	v_cndmask_b32_e64 v33, 0, v35, s[66:67]
	v_cndmask_b32_e64 v32, 0, v78, s[64:65]
	v_add_f64 v[78:79], v[32:33], 1.0
	v_add_f64 v[80:81], v[78:79], -1.0
	v_add_f64 v[82:83], v[80:81], -v[78:79]
	v_add_f64 v[82:83], v[82:83], 1.0
	v_add_f64 v[80:81], v[32:33], -v[80:81]
	s_mov_b32 s64, 0x55555555
	v_add_f64 v[80:81], v[80:81], v[82:83]
	v_frexp_mant_f64_e32 v[82:83], v[78:79]
	s_mov_b32 s65, 0x3fe55555
	v_frexp_exp_i32_f64_e32 v35, v[78:79]
	v_cmp_gt_f64_e64 s[64:65], s[64:65], v[82:83]
	s_mov_b32 s75, 0x3c7abc9e
	s_nop 0
	v_subbrev_co_u32_e64 v35, s[64:65], 0, v35, s[64:65]
	v_sub_u32_e32 v82, 0, v35
	v_ldexp_f64 v[78:79], v[78:79], v82
	v_ldexp_f64 v[80:81], v[80:81], v82
	v_add_f64 v[82:83], v[78:79], -1.0
	v_add_f64 v[88:89], v[78:79], 1.0
	v_add_f64 v[84:85], v[82:83], 1.0
	v_add_f64 v[90:91], v[88:89], -1.0
	v_add_f64 v[84:85], v[78:79], -v[84:85]
	v_add_f64 v[78:79], v[78:79], -v[90:91]
	v_add_f64 v[78:79], v[80:81], v[78:79]
	v_add_f64 v[84:85], v[80:81], v[84:85]
	;; [unrolled: 1-line block ×3, first 2 shown]
	v_rcp_f64_e32 v[90:91], v[80:81]
	v_add_f64 v[86:87], v[82:83], v[84:85]
	v_add_f64 v[82:83], v[86:87], -v[82:83]
	v_add_f64 v[82:83], v[84:85], -v[82:83]
	;; [unrolled: 1-line block ×4, first 2 shown]
	v_fma_f64 v[84:85], -v[80:81], v[90:91], 1.0
	v_fmac_f64_e32 v[90:91], v[84:85], v[90:91]
	v_fma_f64 v[84:85], -v[80:81], v[90:91], 1.0
	v_fmac_f64_e32 v[90:91], v[84:85], v[90:91]
	v_mul_f64 v[84:85], v[86:87], v[90:91]
	v_mul_f64 v[88:89], v[80:81], v[84:85]
	v_fma_f64 v[92:93], v[84:85], v[80:81], -v[88:89]
	v_fmac_f64_e32 v[92:93], v[84:85], v[78:79]
	v_add_f64 v[94:95], v[88:89], v[92:93]
	v_add_f64 v[96:97], v[86:87], -v[94:95]
	v_add_f64 v[86:87], v[86:87], -v[96:97]
	;; [unrolled: 1-line block ×4, first 2 shown]
	v_add_f64 v[82:83], v[82:83], v[86:87]
	v_add_f64 v[86:87], v[88:89], -v[92:93]
	v_add_f64 v[82:83], v[86:87], v[82:83]
	v_add_f64 v[86:87], v[96:97], v[82:83]
	v_add_f64 v[88:89], v[96:97], -v[86:87]
	v_add_f64 v[82:83], v[82:83], v[88:89]
	v_mul_f64 v[88:89], v[90:91], v[86:87]
	v_mul_f64 v[92:93], v[80:81], v[88:89]
	v_fma_f64 v[80:81], v[88:89], v[80:81], -v[92:93]
	v_fmac_f64_e32 v[80:81], v[88:89], v[78:79]
	v_add_f64 v[78:79], v[92:93], v[80:81]
	v_add_f64 v[94:95], v[86:87], -v[78:79]
	v_add_f64 v[86:87], v[86:87], -v[94:95]
	;; [unrolled: 1-line block ×4, first 2 shown]
	v_add_f64 v[78:79], v[82:83], v[78:79]
	v_add_f64 v[80:81], v[92:93], -v[80:81]
	v_add_f64 v[78:79], v[80:81], v[78:79]
	v_add_f64 v[80:81], v[84:85], v[88:89]
	;; [unrolled: 1-line block ×3, first 2 shown]
	v_add_f64 v[82:83], v[80:81], -v[84:85]
	v_mul_f64 v[78:79], v[90:91], v[78:79]
	v_add_f64 v[82:83], v[88:89], -v[82:83]
	v_add_f64 v[78:79], v[82:83], v[78:79]
	v_add_f64 v[82:83], v[80:81], v[78:79]
	v_add_f64 v[80:81], v[82:83], -v[80:81]
	s_mov_b32 s64, 0xbf559e2b
	v_add_f64 v[78:79], v[78:79], -v[80:81]
	v_mul_f64 v[80:81], v[82:83], v[82:83]
	v_mov_b32_e32 v84, 0x6b47b09a
	v_mov_b32_e32 v85, 0x3fc38538
	s_mov_b32 s65, 0x3fc3ab76
	v_fmac_f64_e32 v[84:85], s[64:65], v[80:81]
	v_mov_b32_e32 v86, 0xd7f4df2e
	v_mov_b32_e32 v87, 0x3fc7474d
	v_fmac_f64_e32 v[86:87], v[80:81], v[84:85]
	v_mov_b32_e32 v84, 0x16291751
	v_mov_b32_e32 v85, 0x3fcc71c0
	;; [unrolled: 3-line block ×5, first 2 shown]
	v_fmac_f64_e32 v[86:87], v[80:81], v[84:85]
	v_cvt_f64_i32_e32 v[84:85], v35
	v_mul_f64 v[88:89], v[84:85], s[72:73]
	v_fma_f64 v[90:91], v[84:85], s[72:73], -v[88:89]
	v_fmac_f64_e32 v[90:91], s[74:75], v[84:85]
	v_add_f64 v[84:85], v[88:89], v[90:91]
	v_add_f64 v[88:89], v[84:85], -v[88:89]
	v_mul_f64 v[80:81], v[82:83], v[80:81]
	v_add_f64 v[88:89], v[90:91], -v[88:89]
	v_ldexp_f64 v[90:91], v[82:83], 1
	v_mul_f64 v[80:81], v[80:81], v[86:87]
	v_add_f64 v[82:83], v[90:91], v[80:81]
	v_add_f64 v[86:87], v[82:83], -v[90:91]
	v_ldexp_f64 v[78:79], v[78:79], 1
	v_add_f64 v[80:81], v[80:81], -v[86:87]
	v_add_f64 v[78:79], v[78:79], v[80:81]
	v_add_f64 v[80:81], v[82:83], v[78:79]
	v_add_f64 v[82:83], v[80:81], -v[82:83]
	v_add_f64 v[78:79], v[78:79], -v[82:83]
	v_add_f64 v[82:83], v[84:85], v[80:81]
	v_add_f64 v[86:87], v[82:83], -v[84:85]
	v_add_f64 v[90:91], v[82:83], -v[86:87]
	;; [unrolled: 1-line block ×4, first 2 shown]
	v_add_f64 v[80:81], v[80:81], v[84:85]
	v_add_f64 v[84:85], v[88:89], v[78:79]
	v_add_f64 v[86:87], v[84:85], -v[88:89]
	v_add_f64 v[80:81], v[84:85], v[80:81]
	v_add_f64 v[90:91], v[84:85], -v[86:87]
	;; [unrolled: 2-line block ×3, first 2 shown]
	v_add_f64 v[78:79], v[78:79], -v[86:87]
	v_add_f64 v[82:83], v[84:85], -v[82:83]
	v_add_f64 v[78:79], v[78:79], v[88:89]
	v_add_f64 v[80:81], v[80:81], -v[82:83]
	s_mov_b32 s64, 0
	v_add_f64 v[78:79], v[78:79], v[80:81]
	s_mov_b32 s65, 0x7ff00000
	v_add_f64 v[78:79], v[84:85], v[78:79]
	v_cmp_eq_f64_e64 s[64:65], s[64:65], v[32:33]
	s_nop 1
	v_cndmask_b32_e64 v35, v78, v32, s[64:65]
	v_cndmask_b32_e64 v78, v79, v33, s[64:65]
	v_mov_b32_e32 v79, 0x7ff80000
	v_cmp_ngt_f64_e64 s[64:65], -1.0, v[32:33]
	s_nop 1
	v_cndmask_b32_e64 v79, v79, v78, s[64:65]
	v_cmp_nge_f64_e64 s[64:65], -1.0, v[32:33]
	s_nop 1
	v_cndmask_b32_e64 v78, 0, v35, s[64:65]
	v_mov_b32_e32 v35, 0xfff00000
	v_cmp_neq_f64_e64 s[64:65], -1.0, v[32:33]
	s_nop 1
	v_cndmask_b32_e64 v79, v35, v79, s[64:65]
	v_add_f64 v[32:33], v[76:77], v[78:79]
.LBB60_65:
	s_or_b64 exec, exec, s[70:71]
	v_mbcnt_lo_u32_b32 v35, -1, 0
	v_mbcnt_hi_u32_b32 v35, -1, v35
	v_and_b32_e32 v80, 15, v35
	v_mov_b32_dpp v76, v32 row_shr:1 row_mask:0xf bank_mask:0xf
	v_mov_b32_dpp v77, v33 row_shr:1 row_mask:0xf bank_mask:0xf
	v_cmp_ne_u32_e64 s[64:65], 0, v80
	v_mov_b32_e32 v78, v32
	v_mov_b32_e32 v79, v33
	s_and_saveexec_b64 s[66:67], s[64:65]
	s_xor_b64 s[70:71], exec, s[66:67]
	s_cbranch_execz .LBB60_69
; %bb.66:
	v_max_f64 v[82:83], v[76:77], v[76:77]
	v_max_f64 v[84:85], v[32:33], v[32:33]
	v_min_f64 v[78:79], v[82:83], v[84:85]
	v_cmp_u_f64_e64 s[64:65], v[76:77], v[76:77]
	v_max_f64 v[82:83], v[82:83], v[84:85]
	v_cmp_u_f64_e64 s[66:67], v[32:33], v[32:33]
	v_cndmask_b32_e64 v78, v78, v76, s[64:65]
	v_cndmask_b32_e64 v79, v79, v77, s[64:65]
	;; [unrolled: 1-line block ×8, first 2 shown]
	v_cmp_neq_f64_e64 s[64:65], v[78:79], v[32:33]
	v_cmp_class_f64_e64 s[66:67], v[78:79], s33
	s_or_b64 s[64:65], s[64:65], s[66:67]
	s_and_saveexec_b64 s[72:73], s[64:65]
	s_cbranch_execz .LBB60_68
; %bb.67:
	s_mov_b32 s64, 0x652b82fe
	v_add_f64 v[76:77], v[78:79], -v[32:33]
	s_mov_b32 s65, 0x3ff71547
	v_mul_f64 v[78:79], v[76:77], s[64:65]
	v_rndne_f64_e32 v[78:79], v[78:79]
	s_mov_b32 s75, 0xbfe62e42
	s_mov_b32 s74, 0xfefa39ef
	v_fma_f64 v[82:83], s[74:75], v[78:79], v[76:77]
	s_mov_b32 s77, 0xbc7abc9e
	s_mov_b32 s76, 0x3b39803f
	s_mov_b32 s64, 0x6a5dcb37
	v_fmac_f64_e32 v[82:83], s[76:77], v[78:79]
	v_mov_b32_e32 v84, 0xfca7ab0c
	v_mov_b32_e32 v85, 0x3e928af3
	s_mov_b32 s65, 0x3e5ade15
	v_fmac_f64_e32 v[84:85], s[64:65], v[82:83]
	v_mov_b32_e32 v86, 0x623fde64
	v_mov_b32_e32 v87, 0x3ec71dee
	v_fmac_f64_e32 v[86:87], v[82:83], v[84:85]
	v_mov_b32_e32 v84, 0x7c89e6b0
	v_mov_b32_e32 v85, 0x3efa0199
	;; [unrolled: 3-line block ×8, first 2 shown]
	v_fmac_f64_e32 v[84:85], v[82:83], v[86:87]
	v_fma_f64 v[84:85], v[82:83], v[84:85], 1.0
	s_mov_b32 s64, 0
	s_mov_b32 s66, 0
	v_fma_f64 v[82:83], v[82:83], v[84:85], 1.0
	v_cvt_i32_f64_e32 v78, v[78:79]
	s_mov_b32 s65, 0x40900000
	s_mov_b32 s67, 0xc090cc00
	v_ldexp_f64 v[78:79], v[82:83], v78
	v_mov_b32_e32 v81, 0x7ff00000
	v_cmp_nlt_f64_e64 s[64:65], s[64:65], v[76:77]
	v_cmp_ngt_f64_e64 s[66:67], s[66:67], v[76:77]
	s_mov_b32 s75, 0x3fe62e42
	v_cndmask_b32_e64 v79, v81, v79, s[64:65]
	s_and_b64 s[64:65], s[66:67], s[64:65]
	v_cndmask_b32_e64 v77, 0, v79, s[66:67]
	v_cndmask_b32_e64 v76, 0, v78, s[64:65]
	v_add_f64 v[78:79], v[76:77], 1.0
	v_add_f64 v[82:83], v[78:79], -1.0
	v_add_f64 v[84:85], v[82:83], -v[78:79]
	v_add_f64 v[84:85], v[84:85], 1.0
	v_add_f64 v[82:83], v[76:77], -v[82:83]
	s_mov_b32 s64, 0x55555555
	v_add_f64 v[82:83], v[82:83], v[84:85]
	v_frexp_mant_f64_e32 v[84:85], v[78:79]
	s_mov_b32 s65, 0x3fe55555
	v_frexp_exp_i32_f64_e32 v81, v[78:79]
	v_cmp_gt_f64_e64 s[64:65], s[64:65], v[84:85]
	s_mov_b32 s77, 0x3c7abc9e
	s_nop 0
	v_subbrev_co_u32_e64 v81, s[64:65], 0, v81, s[64:65]
	v_sub_u32_e32 v84, 0, v81
	v_ldexp_f64 v[78:79], v[78:79], v84
	v_ldexp_f64 v[82:83], v[82:83], v84
	v_add_f64 v[84:85], v[78:79], -1.0
	v_add_f64 v[90:91], v[78:79], 1.0
	v_add_f64 v[86:87], v[84:85], 1.0
	v_add_f64 v[92:93], v[90:91], -1.0
	v_add_f64 v[86:87], v[78:79], -v[86:87]
	v_add_f64 v[78:79], v[78:79], -v[92:93]
	v_add_f64 v[78:79], v[82:83], v[78:79]
	v_add_f64 v[86:87], v[82:83], v[86:87]
	;; [unrolled: 1-line block ×3, first 2 shown]
	v_rcp_f64_e32 v[92:93], v[82:83]
	v_add_f64 v[88:89], v[84:85], v[86:87]
	v_add_f64 v[84:85], v[88:89], -v[84:85]
	v_add_f64 v[84:85], v[86:87], -v[84:85]
	;; [unrolled: 1-line block ×4, first 2 shown]
	v_fma_f64 v[86:87], -v[82:83], v[92:93], 1.0
	v_fmac_f64_e32 v[92:93], v[86:87], v[92:93]
	v_fma_f64 v[86:87], -v[82:83], v[92:93], 1.0
	v_fmac_f64_e32 v[92:93], v[86:87], v[92:93]
	v_mul_f64 v[86:87], v[88:89], v[92:93]
	v_mul_f64 v[90:91], v[82:83], v[86:87]
	v_fma_f64 v[94:95], v[86:87], v[82:83], -v[90:91]
	v_fmac_f64_e32 v[94:95], v[86:87], v[78:79]
	v_add_f64 v[96:97], v[90:91], v[94:95]
	v_add_f64 v[98:99], v[88:89], -v[96:97]
	v_add_f64 v[88:89], v[88:89], -v[98:99]
	;; [unrolled: 1-line block ×4, first 2 shown]
	v_add_f64 v[84:85], v[84:85], v[88:89]
	v_add_f64 v[88:89], v[90:91], -v[94:95]
	v_add_f64 v[84:85], v[88:89], v[84:85]
	v_add_f64 v[88:89], v[98:99], v[84:85]
	v_add_f64 v[90:91], v[98:99], -v[88:89]
	v_add_f64 v[84:85], v[84:85], v[90:91]
	v_mul_f64 v[90:91], v[92:93], v[88:89]
	v_mul_f64 v[94:95], v[82:83], v[90:91]
	v_fma_f64 v[82:83], v[90:91], v[82:83], -v[94:95]
	v_fmac_f64_e32 v[82:83], v[90:91], v[78:79]
	v_add_f64 v[78:79], v[94:95], v[82:83]
	v_add_f64 v[96:97], v[88:89], -v[78:79]
	v_add_f64 v[88:89], v[88:89], -v[96:97]
	;; [unrolled: 1-line block ×4, first 2 shown]
	v_add_f64 v[78:79], v[84:85], v[78:79]
	v_add_f64 v[82:83], v[94:95], -v[82:83]
	v_add_f64 v[78:79], v[82:83], v[78:79]
	v_add_f64 v[82:83], v[86:87], v[90:91]
	;; [unrolled: 1-line block ×3, first 2 shown]
	v_add_f64 v[84:85], v[82:83], -v[86:87]
	v_mul_f64 v[78:79], v[92:93], v[78:79]
	v_add_f64 v[84:85], v[90:91], -v[84:85]
	v_add_f64 v[78:79], v[84:85], v[78:79]
	v_add_f64 v[84:85], v[82:83], v[78:79]
	v_add_f64 v[82:83], v[84:85], -v[82:83]
	s_mov_b32 s64, 0xbf559e2b
	v_add_f64 v[78:79], v[78:79], -v[82:83]
	v_mul_f64 v[82:83], v[84:85], v[84:85]
	v_mov_b32_e32 v86, 0x6b47b09a
	v_mov_b32_e32 v87, 0x3fc38538
	s_mov_b32 s65, 0x3fc3ab76
	v_fmac_f64_e32 v[86:87], s[64:65], v[82:83]
	v_mov_b32_e32 v88, 0xd7f4df2e
	v_mov_b32_e32 v89, 0x3fc7474d
	v_fmac_f64_e32 v[88:89], v[82:83], v[86:87]
	v_mov_b32_e32 v86, 0x16291751
	v_mov_b32_e32 v87, 0x3fcc71c0
	;; [unrolled: 3-line block ×5, first 2 shown]
	v_fmac_f64_e32 v[88:89], v[82:83], v[86:87]
	v_cvt_f64_i32_e32 v[86:87], v81
	v_mul_f64 v[90:91], v[86:87], s[74:75]
	v_fma_f64 v[92:93], v[86:87], s[74:75], -v[90:91]
	v_fmac_f64_e32 v[92:93], s[76:77], v[86:87]
	v_add_f64 v[86:87], v[90:91], v[92:93]
	v_add_f64 v[90:91], v[86:87], -v[90:91]
	v_mul_f64 v[82:83], v[84:85], v[82:83]
	v_add_f64 v[90:91], v[92:93], -v[90:91]
	v_ldexp_f64 v[92:93], v[84:85], 1
	v_mul_f64 v[82:83], v[82:83], v[88:89]
	v_add_f64 v[84:85], v[92:93], v[82:83]
	v_add_f64 v[88:89], v[84:85], -v[92:93]
	v_ldexp_f64 v[78:79], v[78:79], 1
	v_add_f64 v[82:83], v[82:83], -v[88:89]
	v_add_f64 v[78:79], v[78:79], v[82:83]
	v_add_f64 v[82:83], v[84:85], v[78:79]
	v_add_f64 v[84:85], v[82:83], -v[84:85]
	v_add_f64 v[78:79], v[78:79], -v[84:85]
	v_add_f64 v[84:85], v[86:87], v[82:83]
	v_add_f64 v[88:89], v[84:85], -v[86:87]
	v_add_f64 v[92:93], v[84:85], -v[88:89]
	;; [unrolled: 1-line block ×4, first 2 shown]
	v_add_f64 v[82:83], v[82:83], v[86:87]
	v_add_f64 v[86:87], v[90:91], v[78:79]
	v_add_f64 v[88:89], v[86:87], -v[90:91]
	v_add_f64 v[82:83], v[86:87], v[82:83]
	v_add_f64 v[92:93], v[86:87], -v[88:89]
	;; [unrolled: 2-line block ×3, first 2 shown]
	v_add_f64 v[78:79], v[78:79], -v[88:89]
	v_add_f64 v[84:85], v[86:87], -v[84:85]
	v_add_f64 v[78:79], v[78:79], v[90:91]
	v_add_f64 v[82:83], v[82:83], -v[84:85]
	s_mov_b32 s64, 0
	v_add_f64 v[78:79], v[78:79], v[82:83]
	s_mov_b32 s65, 0x7ff00000
	v_add_f64 v[78:79], v[86:87], v[78:79]
	v_cmp_eq_f64_e64 s[64:65], s[64:65], v[76:77]
	v_mov_b32_e32 v81, 0x7ff80000
	s_nop 0
	v_cndmask_b32_e64 v78, v78, v76, s[64:65]
	v_cndmask_b32_e64 v79, v79, v77, s[64:65]
	v_cmp_ngt_f64_e64 s[64:65], -1.0, v[76:77]
	s_nop 1
	v_cndmask_b32_e64 v79, v81, v79, s[64:65]
	v_cmp_nge_f64_e64 s[64:65], -1.0, v[76:77]
	v_mov_b32_e32 v81, 0xfff00000
	s_nop 0
	v_cndmask_b32_e64 v78, 0, v78, s[64:65]
	v_cmp_neq_f64_e64 s[64:65], -1.0, v[76:77]
	s_nop 1
	v_cndmask_b32_e64 v79, v81, v79, s[64:65]
	v_add_f64 v[76:77], v[32:33], v[78:79]
.LBB60_68:
	s_or_b64 exec, exec, s[72:73]
	v_mov_b32_e32 v78, v76
	v_mov_b32_e32 v79, v77
	v_mov_b64_e32 v[32:33], v[76:77]
.LBB60_69:
	s_or_b64 exec, exec, s[70:71]
	v_mov_b32_dpp v76, v78 row_shr:2 row_mask:0xf bank_mask:0xf
	v_mov_b32_dpp v77, v79 row_shr:2 row_mask:0xf bank_mask:0xf
	v_cmp_lt_u32_e64 s[64:65], 1, v80
	s_and_saveexec_b64 s[70:71], s[64:65]
	s_cbranch_execz .LBB60_73
; %bb.70:
	v_max_f64 v[82:83], v[76:77], v[76:77]
	v_max_f64 v[84:85], v[32:33], v[32:33]
	v_min_f64 v[78:79], v[82:83], v[84:85]
	v_cmp_u_f64_e64 s[64:65], v[76:77], v[76:77]
	v_max_f64 v[82:83], v[82:83], v[84:85]
	v_cmp_u_f64_e64 s[66:67], v[32:33], v[32:33]
	v_cndmask_b32_e64 v78, v78, v76, s[64:65]
	v_cndmask_b32_e64 v79, v79, v77, s[64:65]
	;; [unrolled: 1-line block ×8, first 2 shown]
	v_cmp_neq_f64_e64 s[64:65], v[78:79], v[32:33]
	v_cmp_class_f64_e64 s[66:67], v[78:79], s33
	s_or_b64 s[64:65], s[64:65], s[66:67]
	s_and_saveexec_b64 s[72:73], s[64:65]
	s_cbranch_execz .LBB60_72
; %bb.71:
	s_mov_b32 s64, 0x652b82fe
	v_add_f64 v[76:77], v[78:79], -v[32:33]
	s_mov_b32 s65, 0x3ff71547
	v_mul_f64 v[78:79], v[76:77], s[64:65]
	v_rndne_f64_e32 v[78:79], v[78:79]
	s_mov_b32 s75, 0xbfe62e42
	s_mov_b32 s74, 0xfefa39ef
	v_fma_f64 v[82:83], s[74:75], v[78:79], v[76:77]
	s_mov_b32 s77, 0xbc7abc9e
	s_mov_b32 s76, 0x3b39803f
	;; [unrolled: 1-line block ×3, first 2 shown]
	v_fmac_f64_e32 v[82:83], s[76:77], v[78:79]
	v_mov_b32_e32 v84, 0xfca7ab0c
	v_mov_b32_e32 v85, 0x3e928af3
	s_mov_b32 s65, 0x3e5ade15
	v_fmac_f64_e32 v[84:85], s[64:65], v[82:83]
	v_mov_b32_e32 v86, 0x623fde64
	v_mov_b32_e32 v87, 0x3ec71dee
	v_fmac_f64_e32 v[86:87], v[82:83], v[84:85]
	v_mov_b32_e32 v84, 0x7c89e6b0
	v_mov_b32_e32 v85, 0x3efa0199
	;; [unrolled: 3-line block ×8, first 2 shown]
	v_fmac_f64_e32 v[84:85], v[82:83], v[86:87]
	v_fma_f64 v[84:85], v[82:83], v[84:85], 1.0
	s_mov_b32 s64, 0
	s_mov_b32 s66, 0
	v_fma_f64 v[82:83], v[82:83], v[84:85], 1.0
	v_cvt_i32_f64_e32 v78, v[78:79]
	s_mov_b32 s65, 0x40900000
	s_mov_b32 s67, 0xc090cc00
	v_ldexp_f64 v[78:79], v[82:83], v78
	v_mov_b32_e32 v81, 0x7ff00000
	v_cmp_nlt_f64_e64 s[64:65], s[64:65], v[76:77]
	v_cmp_ngt_f64_e64 s[66:67], s[66:67], v[76:77]
	s_mov_b32 s75, 0x3fe62e42
	v_cndmask_b32_e64 v79, v81, v79, s[64:65]
	s_and_b64 s[64:65], s[66:67], s[64:65]
	v_cndmask_b32_e64 v77, 0, v79, s[66:67]
	v_cndmask_b32_e64 v76, 0, v78, s[64:65]
	v_add_f64 v[78:79], v[76:77], 1.0
	v_add_f64 v[82:83], v[78:79], -1.0
	v_add_f64 v[84:85], v[82:83], -v[78:79]
	v_add_f64 v[84:85], v[84:85], 1.0
	v_add_f64 v[82:83], v[76:77], -v[82:83]
	s_mov_b32 s64, 0x55555555
	v_add_f64 v[82:83], v[82:83], v[84:85]
	v_frexp_mant_f64_e32 v[84:85], v[78:79]
	s_mov_b32 s65, 0x3fe55555
	v_frexp_exp_i32_f64_e32 v81, v[78:79]
	v_cmp_gt_f64_e64 s[64:65], s[64:65], v[84:85]
	s_mov_b32 s77, 0x3c7abc9e
	s_nop 0
	v_subbrev_co_u32_e64 v81, s[64:65], 0, v81, s[64:65]
	v_sub_u32_e32 v84, 0, v81
	v_ldexp_f64 v[78:79], v[78:79], v84
	v_ldexp_f64 v[82:83], v[82:83], v84
	v_add_f64 v[84:85], v[78:79], -1.0
	v_add_f64 v[90:91], v[78:79], 1.0
	v_add_f64 v[86:87], v[84:85], 1.0
	v_add_f64 v[92:93], v[90:91], -1.0
	v_add_f64 v[86:87], v[78:79], -v[86:87]
	v_add_f64 v[78:79], v[78:79], -v[92:93]
	v_add_f64 v[78:79], v[82:83], v[78:79]
	v_add_f64 v[86:87], v[82:83], v[86:87]
	;; [unrolled: 1-line block ×3, first 2 shown]
	v_rcp_f64_e32 v[92:93], v[82:83]
	v_add_f64 v[88:89], v[84:85], v[86:87]
	v_add_f64 v[84:85], v[88:89], -v[84:85]
	v_add_f64 v[84:85], v[86:87], -v[84:85]
	;; [unrolled: 1-line block ×4, first 2 shown]
	v_fma_f64 v[86:87], -v[82:83], v[92:93], 1.0
	v_fmac_f64_e32 v[92:93], v[86:87], v[92:93]
	v_fma_f64 v[86:87], -v[82:83], v[92:93], 1.0
	v_fmac_f64_e32 v[92:93], v[86:87], v[92:93]
	v_mul_f64 v[86:87], v[88:89], v[92:93]
	v_mul_f64 v[90:91], v[82:83], v[86:87]
	v_fma_f64 v[94:95], v[86:87], v[82:83], -v[90:91]
	v_fmac_f64_e32 v[94:95], v[86:87], v[78:79]
	v_add_f64 v[96:97], v[90:91], v[94:95]
	v_add_f64 v[98:99], v[88:89], -v[96:97]
	v_add_f64 v[88:89], v[88:89], -v[98:99]
	v_add_f64 v[90:91], v[96:97], -v[90:91]
	v_add_f64 v[88:89], v[88:89], -v[96:97]
	v_add_f64 v[84:85], v[84:85], v[88:89]
	v_add_f64 v[88:89], v[90:91], -v[94:95]
	v_add_f64 v[84:85], v[88:89], v[84:85]
	v_add_f64 v[88:89], v[98:99], v[84:85]
	v_add_f64 v[90:91], v[98:99], -v[88:89]
	v_add_f64 v[84:85], v[84:85], v[90:91]
	v_mul_f64 v[90:91], v[92:93], v[88:89]
	v_mul_f64 v[94:95], v[82:83], v[90:91]
	v_fma_f64 v[82:83], v[90:91], v[82:83], -v[94:95]
	v_fmac_f64_e32 v[82:83], v[90:91], v[78:79]
	v_add_f64 v[78:79], v[94:95], v[82:83]
	v_add_f64 v[96:97], v[88:89], -v[78:79]
	v_add_f64 v[88:89], v[88:89], -v[96:97]
	;; [unrolled: 1-line block ×4, first 2 shown]
	v_add_f64 v[78:79], v[84:85], v[78:79]
	v_add_f64 v[82:83], v[94:95], -v[82:83]
	v_add_f64 v[78:79], v[82:83], v[78:79]
	v_add_f64 v[82:83], v[86:87], v[90:91]
	;; [unrolled: 1-line block ×3, first 2 shown]
	v_add_f64 v[84:85], v[82:83], -v[86:87]
	v_mul_f64 v[78:79], v[92:93], v[78:79]
	v_add_f64 v[84:85], v[90:91], -v[84:85]
	v_add_f64 v[78:79], v[84:85], v[78:79]
	v_add_f64 v[84:85], v[82:83], v[78:79]
	v_add_f64 v[82:83], v[84:85], -v[82:83]
	s_mov_b32 s64, 0xbf559e2b
	v_add_f64 v[78:79], v[78:79], -v[82:83]
	v_mul_f64 v[82:83], v[84:85], v[84:85]
	v_mov_b32_e32 v86, 0x6b47b09a
	v_mov_b32_e32 v87, 0x3fc38538
	s_mov_b32 s65, 0x3fc3ab76
	v_fmac_f64_e32 v[86:87], s[64:65], v[82:83]
	v_mov_b32_e32 v88, 0xd7f4df2e
	v_mov_b32_e32 v89, 0x3fc7474d
	v_fmac_f64_e32 v[88:89], v[82:83], v[86:87]
	v_mov_b32_e32 v86, 0x16291751
	v_mov_b32_e32 v87, 0x3fcc71c0
	;; [unrolled: 3-line block ×5, first 2 shown]
	v_fmac_f64_e32 v[88:89], v[82:83], v[86:87]
	v_cvt_f64_i32_e32 v[86:87], v81
	v_mul_f64 v[90:91], v[86:87], s[74:75]
	v_fma_f64 v[92:93], v[86:87], s[74:75], -v[90:91]
	v_fmac_f64_e32 v[92:93], s[76:77], v[86:87]
	v_add_f64 v[86:87], v[90:91], v[92:93]
	v_add_f64 v[90:91], v[86:87], -v[90:91]
	v_mul_f64 v[82:83], v[84:85], v[82:83]
	v_add_f64 v[90:91], v[92:93], -v[90:91]
	v_ldexp_f64 v[92:93], v[84:85], 1
	v_mul_f64 v[82:83], v[82:83], v[88:89]
	v_add_f64 v[84:85], v[92:93], v[82:83]
	v_add_f64 v[88:89], v[84:85], -v[92:93]
	v_ldexp_f64 v[78:79], v[78:79], 1
	v_add_f64 v[82:83], v[82:83], -v[88:89]
	v_add_f64 v[78:79], v[78:79], v[82:83]
	v_add_f64 v[82:83], v[84:85], v[78:79]
	v_add_f64 v[84:85], v[82:83], -v[84:85]
	v_add_f64 v[78:79], v[78:79], -v[84:85]
	v_add_f64 v[84:85], v[86:87], v[82:83]
	v_add_f64 v[88:89], v[84:85], -v[86:87]
	v_add_f64 v[92:93], v[84:85], -v[88:89]
	;; [unrolled: 1-line block ×4, first 2 shown]
	v_add_f64 v[82:83], v[82:83], v[86:87]
	v_add_f64 v[86:87], v[90:91], v[78:79]
	v_add_f64 v[88:89], v[86:87], -v[90:91]
	v_add_f64 v[82:83], v[86:87], v[82:83]
	v_add_f64 v[92:93], v[86:87], -v[88:89]
	;; [unrolled: 2-line block ×3, first 2 shown]
	v_add_f64 v[78:79], v[78:79], -v[88:89]
	v_add_f64 v[84:85], v[86:87], -v[84:85]
	v_add_f64 v[78:79], v[78:79], v[90:91]
	v_add_f64 v[82:83], v[82:83], -v[84:85]
	s_mov_b32 s64, 0
	v_add_f64 v[78:79], v[78:79], v[82:83]
	s_mov_b32 s65, 0x7ff00000
	v_add_f64 v[78:79], v[86:87], v[78:79]
	v_cmp_eq_f64_e64 s[64:65], s[64:65], v[76:77]
	v_mov_b32_e32 v81, 0x7ff80000
	s_nop 0
	v_cndmask_b32_e64 v78, v78, v76, s[64:65]
	v_cndmask_b32_e64 v79, v79, v77, s[64:65]
	v_cmp_ngt_f64_e64 s[64:65], -1.0, v[76:77]
	s_nop 1
	v_cndmask_b32_e64 v79, v81, v79, s[64:65]
	v_cmp_nge_f64_e64 s[64:65], -1.0, v[76:77]
	v_mov_b32_e32 v81, 0xfff00000
	s_nop 0
	v_cndmask_b32_e64 v78, 0, v78, s[64:65]
	v_cmp_neq_f64_e64 s[64:65], -1.0, v[76:77]
	s_nop 1
	v_cndmask_b32_e64 v79, v81, v79, s[64:65]
	v_add_f64 v[76:77], v[32:33], v[78:79]
.LBB60_72:
	s_or_b64 exec, exec, s[72:73]
	v_mov_b64_e32 v[32:33], v[76:77]
	v_mov_b32_e32 v78, v76
	v_mov_b32_e32 v79, v77
.LBB60_73:
	s_or_b64 exec, exec, s[70:71]
	v_mov_b32_dpp v76, v78 row_shr:4 row_mask:0xf bank_mask:0xf
	v_mov_b32_dpp v77, v79 row_shr:4 row_mask:0xf bank_mask:0xf
	v_cmp_lt_u32_e64 s[64:65], 3, v80
	s_and_saveexec_b64 s[70:71], s[64:65]
	s_cbranch_execz .LBB60_77
; %bb.74:
	v_max_f64 v[82:83], v[76:77], v[76:77]
	v_max_f64 v[84:85], v[32:33], v[32:33]
	v_min_f64 v[78:79], v[82:83], v[84:85]
	v_cmp_u_f64_e64 s[64:65], v[76:77], v[76:77]
	v_max_f64 v[82:83], v[82:83], v[84:85]
	v_cmp_u_f64_e64 s[66:67], v[32:33], v[32:33]
	v_cndmask_b32_e64 v78, v78, v76, s[64:65]
	v_cndmask_b32_e64 v79, v79, v77, s[64:65]
	;; [unrolled: 1-line block ×8, first 2 shown]
	v_cmp_neq_f64_e64 s[64:65], v[78:79], v[32:33]
	v_cmp_class_f64_e64 s[66:67], v[78:79], s33
	s_or_b64 s[64:65], s[64:65], s[66:67]
	s_and_saveexec_b64 s[72:73], s[64:65]
	s_cbranch_execz .LBB60_76
; %bb.75:
	s_mov_b32 s64, 0x652b82fe
	v_add_f64 v[76:77], v[78:79], -v[32:33]
	s_mov_b32 s65, 0x3ff71547
	v_mul_f64 v[78:79], v[76:77], s[64:65]
	v_rndne_f64_e32 v[78:79], v[78:79]
	s_mov_b32 s75, 0xbfe62e42
	s_mov_b32 s74, 0xfefa39ef
	v_fma_f64 v[82:83], s[74:75], v[78:79], v[76:77]
	s_mov_b32 s77, 0xbc7abc9e
	s_mov_b32 s76, 0x3b39803f
	;; [unrolled: 1-line block ×3, first 2 shown]
	v_fmac_f64_e32 v[82:83], s[76:77], v[78:79]
	v_mov_b32_e32 v84, 0xfca7ab0c
	v_mov_b32_e32 v85, 0x3e928af3
	s_mov_b32 s65, 0x3e5ade15
	v_fmac_f64_e32 v[84:85], s[64:65], v[82:83]
	v_mov_b32_e32 v86, 0x623fde64
	v_mov_b32_e32 v87, 0x3ec71dee
	v_fmac_f64_e32 v[86:87], v[82:83], v[84:85]
	v_mov_b32_e32 v84, 0x7c89e6b0
	v_mov_b32_e32 v85, 0x3efa0199
	;; [unrolled: 3-line block ×8, first 2 shown]
	v_fmac_f64_e32 v[84:85], v[82:83], v[86:87]
	v_fma_f64 v[84:85], v[82:83], v[84:85], 1.0
	s_mov_b32 s64, 0
	s_mov_b32 s66, 0
	v_fma_f64 v[82:83], v[82:83], v[84:85], 1.0
	v_cvt_i32_f64_e32 v78, v[78:79]
	s_mov_b32 s65, 0x40900000
	s_mov_b32 s67, 0xc090cc00
	v_ldexp_f64 v[78:79], v[82:83], v78
	v_mov_b32_e32 v81, 0x7ff00000
	v_cmp_nlt_f64_e64 s[64:65], s[64:65], v[76:77]
	v_cmp_ngt_f64_e64 s[66:67], s[66:67], v[76:77]
	s_mov_b32 s75, 0x3fe62e42
	v_cndmask_b32_e64 v79, v81, v79, s[64:65]
	s_and_b64 s[64:65], s[66:67], s[64:65]
	v_cndmask_b32_e64 v77, 0, v79, s[66:67]
	v_cndmask_b32_e64 v76, 0, v78, s[64:65]
	v_add_f64 v[78:79], v[76:77], 1.0
	v_add_f64 v[82:83], v[78:79], -1.0
	v_add_f64 v[84:85], v[82:83], -v[78:79]
	v_add_f64 v[84:85], v[84:85], 1.0
	v_add_f64 v[82:83], v[76:77], -v[82:83]
	s_mov_b32 s64, 0x55555555
	v_add_f64 v[82:83], v[82:83], v[84:85]
	v_frexp_mant_f64_e32 v[84:85], v[78:79]
	s_mov_b32 s65, 0x3fe55555
	v_frexp_exp_i32_f64_e32 v81, v[78:79]
	v_cmp_gt_f64_e64 s[64:65], s[64:65], v[84:85]
	s_mov_b32 s77, 0x3c7abc9e
	s_nop 0
	v_subbrev_co_u32_e64 v81, s[64:65], 0, v81, s[64:65]
	v_sub_u32_e32 v84, 0, v81
	v_ldexp_f64 v[78:79], v[78:79], v84
	v_ldexp_f64 v[82:83], v[82:83], v84
	v_add_f64 v[84:85], v[78:79], -1.0
	v_add_f64 v[90:91], v[78:79], 1.0
	v_add_f64 v[86:87], v[84:85], 1.0
	v_add_f64 v[92:93], v[90:91], -1.0
	v_add_f64 v[86:87], v[78:79], -v[86:87]
	v_add_f64 v[78:79], v[78:79], -v[92:93]
	v_add_f64 v[78:79], v[82:83], v[78:79]
	v_add_f64 v[86:87], v[82:83], v[86:87]
	;; [unrolled: 1-line block ×3, first 2 shown]
	v_rcp_f64_e32 v[92:93], v[82:83]
	v_add_f64 v[88:89], v[84:85], v[86:87]
	v_add_f64 v[84:85], v[88:89], -v[84:85]
	v_add_f64 v[84:85], v[86:87], -v[84:85]
	v_add_f64 v[86:87], v[82:83], -v[90:91]
	v_add_f64 v[78:79], v[78:79], -v[86:87]
	v_fma_f64 v[86:87], -v[82:83], v[92:93], 1.0
	v_fmac_f64_e32 v[92:93], v[86:87], v[92:93]
	v_fma_f64 v[86:87], -v[82:83], v[92:93], 1.0
	v_fmac_f64_e32 v[92:93], v[86:87], v[92:93]
	v_mul_f64 v[86:87], v[88:89], v[92:93]
	v_mul_f64 v[90:91], v[82:83], v[86:87]
	v_fma_f64 v[94:95], v[86:87], v[82:83], -v[90:91]
	v_fmac_f64_e32 v[94:95], v[86:87], v[78:79]
	v_add_f64 v[96:97], v[90:91], v[94:95]
	v_add_f64 v[98:99], v[88:89], -v[96:97]
	v_add_f64 v[88:89], v[88:89], -v[98:99]
	;; [unrolled: 1-line block ×4, first 2 shown]
	v_add_f64 v[84:85], v[84:85], v[88:89]
	v_add_f64 v[88:89], v[90:91], -v[94:95]
	v_add_f64 v[84:85], v[88:89], v[84:85]
	v_add_f64 v[88:89], v[98:99], v[84:85]
	v_add_f64 v[90:91], v[98:99], -v[88:89]
	v_add_f64 v[84:85], v[84:85], v[90:91]
	v_mul_f64 v[90:91], v[92:93], v[88:89]
	v_mul_f64 v[94:95], v[82:83], v[90:91]
	v_fma_f64 v[82:83], v[90:91], v[82:83], -v[94:95]
	v_fmac_f64_e32 v[82:83], v[90:91], v[78:79]
	v_add_f64 v[78:79], v[94:95], v[82:83]
	v_add_f64 v[96:97], v[88:89], -v[78:79]
	v_add_f64 v[88:89], v[88:89], -v[96:97]
	;; [unrolled: 1-line block ×4, first 2 shown]
	v_add_f64 v[78:79], v[84:85], v[78:79]
	v_add_f64 v[82:83], v[94:95], -v[82:83]
	v_add_f64 v[78:79], v[82:83], v[78:79]
	v_add_f64 v[82:83], v[86:87], v[90:91]
	;; [unrolled: 1-line block ×3, first 2 shown]
	v_add_f64 v[84:85], v[82:83], -v[86:87]
	v_mul_f64 v[78:79], v[92:93], v[78:79]
	v_add_f64 v[84:85], v[90:91], -v[84:85]
	v_add_f64 v[78:79], v[84:85], v[78:79]
	v_add_f64 v[84:85], v[82:83], v[78:79]
	v_add_f64 v[82:83], v[84:85], -v[82:83]
	s_mov_b32 s64, 0xbf559e2b
	v_add_f64 v[78:79], v[78:79], -v[82:83]
	v_mul_f64 v[82:83], v[84:85], v[84:85]
	v_mov_b32_e32 v86, 0x6b47b09a
	v_mov_b32_e32 v87, 0x3fc38538
	s_mov_b32 s65, 0x3fc3ab76
	v_fmac_f64_e32 v[86:87], s[64:65], v[82:83]
	v_mov_b32_e32 v88, 0xd7f4df2e
	v_mov_b32_e32 v89, 0x3fc7474d
	v_fmac_f64_e32 v[88:89], v[82:83], v[86:87]
	v_mov_b32_e32 v86, 0x16291751
	v_mov_b32_e32 v87, 0x3fcc71c0
	;; [unrolled: 3-line block ×5, first 2 shown]
	v_fmac_f64_e32 v[88:89], v[82:83], v[86:87]
	v_cvt_f64_i32_e32 v[86:87], v81
	v_mul_f64 v[90:91], v[86:87], s[74:75]
	v_fma_f64 v[92:93], v[86:87], s[74:75], -v[90:91]
	v_fmac_f64_e32 v[92:93], s[76:77], v[86:87]
	v_add_f64 v[86:87], v[90:91], v[92:93]
	v_add_f64 v[90:91], v[86:87], -v[90:91]
	v_mul_f64 v[82:83], v[84:85], v[82:83]
	v_add_f64 v[90:91], v[92:93], -v[90:91]
	v_ldexp_f64 v[92:93], v[84:85], 1
	v_mul_f64 v[82:83], v[82:83], v[88:89]
	v_add_f64 v[84:85], v[92:93], v[82:83]
	v_add_f64 v[88:89], v[84:85], -v[92:93]
	v_ldexp_f64 v[78:79], v[78:79], 1
	v_add_f64 v[82:83], v[82:83], -v[88:89]
	v_add_f64 v[78:79], v[78:79], v[82:83]
	v_add_f64 v[82:83], v[84:85], v[78:79]
	v_add_f64 v[84:85], v[82:83], -v[84:85]
	v_add_f64 v[78:79], v[78:79], -v[84:85]
	v_add_f64 v[84:85], v[86:87], v[82:83]
	v_add_f64 v[88:89], v[84:85], -v[86:87]
	v_add_f64 v[92:93], v[84:85], -v[88:89]
	;; [unrolled: 1-line block ×4, first 2 shown]
	v_add_f64 v[82:83], v[82:83], v[86:87]
	v_add_f64 v[86:87], v[90:91], v[78:79]
	v_add_f64 v[88:89], v[86:87], -v[90:91]
	v_add_f64 v[82:83], v[86:87], v[82:83]
	v_add_f64 v[92:93], v[86:87], -v[88:89]
	;; [unrolled: 2-line block ×3, first 2 shown]
	v_add_f64 v[78:79], v[78:79], -v[88:89]
	v_add_f64 v[84:85], v[86:87], -v[84:85]
	v_add_f64 v[78:79], v[78:79], v[90:91]
	v_add_f64 v[82:83], v[82:83], -v[84:85]
	s_mov_b32 s64, 0
	v_add_f64 v[78:79], v[78:79], v[82:83]
	s_mov_b32 s65, 0x7ff00000
	v_add_f64 v[78:79], v[86:87], v[78:79]
	v_cmp_eq_f64_e64 s[64:65], s[64:65], v[76:77]
	v_mov_b32_e32 v81, 0x7ff80000
	s_nop 0
	v_cndmask_b32_e64 v78, v78, v76, s[64:65]
	v_cndmask_b32_e64 v79, v79, v77, s[64:65]
	v_cmp_ngt_f64_e64 s[64:65], -1.0, v[76:77]
	s_nop 1
	v_cndmask_b32_e64 v79, v81, v79, s[64:65]
	v_cmp_nge_f64_e64 s[64:65], -1.0, v[76:77]
	v_mov_b32_e32 v81, 0xfff00000
	s_nop 0
	v_cndmask_b32_e64 v78, 0, v78, s[64:65]
	v_cmp_neq_f64_e64 s[64:65], -1.0, v[76:77]
	s_nop 1
	v_cndmask_b32_e64 v79, v81, v79, s[64:65]
	v_add_f64 v[76:77], v[32:33], v[78:79]
.LBB60_76:
	s_or_b64 exec, exec, s[72:73]
	v_mov_b64_e32 v[32:33], v[76:77]
	v_mov_b32_e32 v78, v76
	v_mov_b32_e32 v79, v77
.LBB60_77:
	s_or_b64 exec, exec, s[70:71]
	v_mov_b32_dpp v76, v78 row_shr:8 row_mask:0xf bank_mask:0xf
	v_mov_b32_dpp v77, v79 row_shr:8 row_mask:0xf bank_mask:0xf
	v_cmp_lt_u32_e64 s[64:65], 7, v80
	s_and_saveexec_b64 s[70:71], s[64:65]
	s_cbranch_execz .LBB60_81
; %bb.78:
	v_max_f64 v[80:81], v[76:77], v[76:77]
	v_max_f64 v[82:83], v[32:33], v[32:33]
	v_min_f64 v[78:79], v[80:81], v[82:83]
	v_cmp_u_f64_e64 s[64:65], v[76:77], v[76:77]
	v_max_f64 v[80:81], v[80:81], v[82:83]
	v_cmp_u_f64_e64 s[66:67], v[32:33], v[32:33]
	v_cndmask_b32_e64 v78, v78, v76, s[64:65]
	v_cndmask_b32_e64 v79, v79, v77, s[64:65]
	;; [unrolled: 1-line block ×8, first 2 shown]
	v_cmp_neq_f64_e64 s[64:65], v[78:79], v[32:33]
	v_cmp_class_f64_e64 s[66:67], v[78:79], s33
	s_or_b64 s[64:65], s[64:65], s[66:67]
	s_and_saveexec_b64 s[72:73], s[64:65]
	s_cbranch_execz .LBB60_80
; %bb.79:
	s_mov_b32 s64, 0x652b82fe
	v_add_f64 v[76:77], v[78:79], -v[32:33]
	s_mov_b32 s65, 0x3ff71547
	v_mul_f64 v[78:79], v[76:77], s[64:65]
	v_rndne_f64_e32 v[78:79], v[78:79]
	s_mov_b32 s75, 0xbfe62e42
	s_mov_b32 s74, 0xfefa39ef
	v_fma_f64 v[80:81], s[74:75], v[78:79], v[76:77]
	s_mov_b32 s77, 0xbc7abc9e
	s_mov_b32 s76, 0x3b39803f
	s_mov_b32 s64, 0x6a5dcb37
	v_fmac_f64_e32 v[80:81], s[76:77], v[78:79]
	v_mov_b32_e32 v82, 0xfca7ab0c
	v_mov_b32_e32 v83, 0x3e928af3
	s_mov_b32 s65, 0x3e5ade15
	v_fmac_f64_e32 v[82:83], s[64:65], v[80:81]
	v_mov_b32_e32 v84, 0x623fde64
	v_mov_b32_e32 v85, 0x3ec71dee
	v_fmac_f64_e32 v[84:85], v[80:81], v[82:83]
	v_mov_b32_e32 v82, 0x7c89e6b0
	v_mov_b32_e32 v83, 0x3efa0199
	v_fmac_f64_e32 v[82:83], v[80:81], v[84:85]
	v_mov_b32_e32 v84, 0x14761f6e
	v_mov_b32_e32 v85, 0x3f2a01a0
	v_fmac_f64_e32 v[84:85], v[80:81], v[82:83]
	v_mov_b32_e32 v82, 0x1852b7b0
	v_mov_b32_e32 v83, 0x3f56c16c
	v_fmac_f64_e32 v[82:83], v[80:81], v[84:85]
	v_mov_b32_e32 v84, 0x11122322
	v_mov_b32_e32 v85, 0x3f811111
	v_fmac_f64_e32 v[84:85], v[80:81], v[82:83]
	v_mov_b32_e32 v82, 0x555502a1
	v_mov_b32_e32 v83, 0x3fa55555
	v_fmac_f64_e32 v[82:83], v[80:81], v[84:85]
	v_mov_b32_e32 v84, 0x55555511
	v_mov_b32_e32 v85, 0x3fc55555
	v_fmac_f64_e32 v[84:85], v[80:81], v[82:83]
	v_mov_b32_e32 v82, 11
	v_mov_b32_e32 v83, 0x3fe00000
	v_fmac_f64_e32 v[82:83], v[80:81], v[84:85]
	v_fma_f64 v[82:83], v[80:81], v[82:83], 1.0
	s_mov_b32 s64, 0
	s_mov_b32 s66, 0
	v_fma_f64 v[80:81], v[80:81], v[82:83], 1.0
	v_cvt_i32_f64_e32 v78, v[78:79]
	s_mov_b32 s65, 0x40900000
	s_mov_b32 s67, 0xc090cc00
	v_ldexp_f64 v[78:79], v[80:81], v78
	v_mov_b32_e32 v80, 0x7ff00000
	v_cmp_nlt_f64_e64 s[64:65], s[64:65], v[76:77]
	v_cmp_ngt_f64_e64 s[66:67], s[66:67], v[76:77]
	s_mov_b32 s75, 0x3fe62e42
	v_cndmask_b32_e64 v79, v80, v79, s[64:65]
	s_and_b64 s[64:65], s[66:67], s[64:65]
	v_cndmask_b32_e64 v77, 0, v79, s[66:67]
	v_cndmask_b32_e64 v76, 0, v78, s[64:65]
	v_add_f64 v[78:79], v[76:77], 1.0
	v_add_f64 v[80:81], v[78:79], -1.0
	v_add_f64 v[82:83], v[80:81], -v[78:79]
	v_add_f64 v[82:83], v[82:83], 1.0
	v_add_f64 v[80:81], v[76:77], -v[80:81]
	s_mov_b32 s64, 0x55555555
	v_add_f64 v[80:81], v[80:81], v[82:83]
	v_frexp_mant_f64_e32 v[82:83], v[78:79]
	s_mov_b32 s65, 0x3fe55555
	v_frexp_exp_i32_f64_e32 v84, v[78:79]
	v_cmp_gt_f64_e64 s[64:65], s[64:65], v[82:83]
	s_mov_b32 s77, 0x3c7abc9e
	s_nop 0
	v_subbrev_co_u32_e64 v98, s[64:65], 0, v84, s[64:65]
	v_sub_u32_e32 v82, 0, v98
	v_ldexp_f64 v[78:79], v[78:79], v82
	v_ldexp_f64 v[80:81], v[80:81], v82
	v_add_f64 v[82:83], v[78:79], -1.0
	v_add_f64 v[88:89], v[78:79], 1.0
	v_add_f64 v[84:85], v[82:83], 1.0
	v_add_f64 v[90:91], v[88:89], -1.0
	v_add_f64 v[84:85], v[78:79], -v[84:85]
	v_add_f64 v[78:79], v[78:79], -v[90:91]
	v_add_f64 v[78:79], v[80:81], v[78:79]
	v_add_f64 v[84:85], v[80:81], v[84:85]
	;; [unrolled: 1-line block ×3, first 2 shown]
	v_rcp_f64_e32 v[90:91], v[80:81]
	v_add_f64 v[86:87], v[82:83], v[84:85]
	v_add_f64 v[82:83], v[86:87], -v[82:83]
	v_add_f64 v[82:83], v[84:85], -v[82:83]
	;; [unrolled: 1-line block ×4, first 2 shown]
	v_fma_f64 v[84:85], -v[80:81], v[90:91], 1.0
	v_fmac_f64_e32 v[90:91], v[84:85], v[90:91]
	v_fma_f64 v[84:85], -v[80:81], v[90:91], 1.0
	v_fmac_f64_e32 v[90:91], v[84:85], v[90:91]
	v_mul_f64 v[84:85], v[86:87], v[90:91]
	v_mul_f64 v[88:89], v[80:81], v[84:85]
	v_fma_f64 v[92:93], v[84:85], v[80:81], -v[88:89]
	v_fmac_f64_e32 v[92:93], v[84:85], v[78:79]
	v_add_f64 v[94:95], v[88:89], v[92:93]
	v_add_f64 v[96:97], v[86:87], -v[94:95]
	v_add_f64 v[86:87], v[86:87], -v[96:97]
	;; [unrolled: 1-line block ×4, first 2 shown]
	v_add_f64 v[82:83], v[82:83], v[86:87]
	v_add_f64 v[86:87], v[88:89], -v[92:93]
	v_add_f64 v[82:83], v[86:87], v[82:83]
	v_add_f64 v[86:87], v[96:97], v[82:83]
	v_add_f64 v[88:89], v[96:97], -v[86:87]
	v_add_f64 v[82:83], v[82:83], v[88:89]
	v_mul_f64 v[88:89], v[90:91], v[86:87]
	v_mul_f64 v[92:93], v[80:81], v[88:89]
	v_fma_f64 v[80:81], v[88:89], v[80:81], -v[92:93]
	v_fmac_f64_e32 v[80:81], v[88:89], v[78:79]
	v_add_f64 v[78:79], v[92:93], v[80:81]
	v_add_f64 v[94:95], v[86:87], -v[78:79]
	v_add_f64 v[86:87], v[86:87], -v[94:95]
	;; [unrolled: 1-line block ×4, first 2 shown]
	v_add_f64 v[78:79], v[82:83], v[78:79]
	v_add_f64 v[80:81], v[92:93], -v[80:81]
	v_add_f64 v[78:79], v[80:81], v[78:79]
	v_add_f64 v[80:81], v[84:85], v[88:89]
	;; [unrolled: 1-line block ×3, first 2 shown]
	v_add_f64 v[82:83], v[80:81], -v[84:85]
	v_mul_f64 v[78:79], v[90:91], v[78:79]
	v_add_f64 v[82:83], v[88:89], -v[82:83]
	v_add_f64 v[78:79], v[82:83], v[78:79]
	v_add_f64 v[82:83], v[80:81], v[78:79]
	v_add_f64 v[80:81], v[82:83], -v[80:81]
	s_mov_b32 s64, 0xbf559e2b
	v_add_f64 v[78:79], v[78:79], -v[80:81]
	v_mul_f64 v[80:81], v[82:83], v[82:83]
	v_mov_b32_e32 v84, 0x6b47b09a
	v_mov_b32_e32 v85, 0x3fc38538
	s_mov_b32 s65, 0x3fc3ab76
	v_fmac_f64_e32 v[84:85], s[64:65], v[80:81]
	v_mov_b32_e32 v86, 0xd7f4df2e
	v_mov_b32_e32 v87, 0x3fc7474d
	v_fmac_f64_e32 v[86:87], v[80:81], v[84:85]
	v_mov_b32_e32 v84, 0x16291751
	v_mov_b32_e32 v85, 0x3fcc71c0
	;; [unrolled: 3-line block ×5, first 2 shown]
	v_fmac_f64_e32 v[86:87], v[80:81], v[84:85]
	v_cvt_f64_i32_e32 v[84:85], v98
	v_mul_f64 v[88:89], v[84:85], s[74:75]
	v_fma_f64 v[90:91], v[84:85], s[74:75], -v[88:89]
	v_fmac_f64_e32 v[90:91], s[76:77], v[84:85]
	v_add_f64 v[84:85], v[88:89], v[90:91]
	v_add_f64 v[88:89], v[84:85], -v[88:89]
	v_mul_f64 v[80:81], v[82:83], v[80:81]
	v_add_f64 v[88:89], v[90:91], -v[88:89]
	v_ldexp_f64 v[90:91], v[82:83], 1
	v_mul_f64 v[80:81], v[80:81], v[86:87]
	v_add_f64 v[82:83], v[90:91], v[80:81]
	v_add_f64 v[86:87], v[82:83], -v[90:91]
	v_ldexp_f64 v[78:79], v[78:79], 1
	v_add_f64 v[80:81], v[80:81], -v[86:87]
	v_add_f64 v[78:79], v[78:79], v[80:81]
	v_add_f64 v[80:81], v[82:83], v[78:79]
	v_add_f64 v[82:83], v[80:81], -v[82:83]
	v_add_f64 v[78:79], v[78:79], -v[82:83]
	v_add_f64 v[82:83], v[84:85], v[80:81]
	v_add_f64 v[86:87], v[82:83], -v[84:85]
	v_add_f64 v[90:91], v[82:83], -v[86:87]
	;; [unrolled: 1-line block ×4, first 2 shown]
	v_add_f64 v[80:81], v[80:81], v[84:85]
	v_add_f64 v[84:85], v[88:89], v[78:79]
	v_add_f64 v[86:87], v[84:85], -v[88:89]
	v_add_f64 v[80:81], v[84:85], v[80:81]
	v_add_f64 v[90:91], v[84:85], -v[86:87]
	;; [unrolled: 2-line block ×3, first 2 shown]
	v_add_f64 v[78:79], v[78:79], -v[86:87]
	v_add_f64 v[82:83], v[84:85], -v[82:83]
	v_add_f64 v[78:79], v[78:79], v[88:89]
	v_add_f64 v[80:81], v[80:81], -v[82:83]
	s_mov_b32 s64, 0
	v_add_f64 v[78:79], v[78:79], v[80:81]
	s_mov_b32 s65, 0x7ff00000
	v_add_f64 v[78:79], v[84:85], v[78:79]
	v_cmp_eq_f64_e64 s[64:65], s[64:65], v[76:77]
	v_mov_b32_e32 v80, 0x7ff80000
	s_nop 0
	v_cndmask_b32_e64 v78, v78, v76, s[64:65]
	v_cndmask_b32_e64 v79, v79, v77, s[64:65]
	v_cmp_ngt_f64_e64 s[64:65], -1.0, v[76:77]
	s_nop 1
	v_cndmask_b32_e64 v79, v80, v79, s[64:65]
	v_cmp_nge_f64_e64 s[64:65], -1.0, v[76:77]
	v_mov_b32_e32 v80, 0xfff00000
	s_nop 0
	v_cndmask_b32_e64 v78, 0, v78, s[64:65]
	v_cmp_neq_f64_e64 s[64:65], -1.0, v[76:77]
	s_nop 1
	v_cndmask_b32_e64 v79, v80, v79, s[64:65]
	v_add_f64 v[76:77], v[32:33], v[78:79]
.LBB60_80:
	s_or_b64 exec, exec, s[72:73]
	v_mov_b64_e32 v[32:33], v[76:77]
	v_mov_b32_e32 v78, v76
	v_mov_b32_e32 v79, v77
.LBB60_81:
	s_or_b64 exec, exec, s[70:71]
	v_and_b32_e32 v80, 16, v35
	v_mov_b32_dpp v76, v78 row_bcast:15 row_mask:0xf bank_mask:0xf
	v_mov_b32_dpp v77, v79 row_bcast:15 row_mask:0xf bank_mask:0xf
	v_cmp_ne_u32_e64 s[64:65], 0, v80
	s_and_saveexec_b64 s[70:71], s[64:65]
	s_cbranch_execz .LBB60_85
; %bb.82:
	v_max_f64 v[80:81], v[76:77], v[76:77]
	v_max_f64 v[82:83], v[32:33], v[32:33]
	v_min_f64 v[78:79], v[80:81], v[82:83]
	v_cmp_u_f64_e64 s[64:65], v[76:77], v[76:77]
	v_max_f64 v[80:81], v[80:81], v[82:83]
	v_cmp_u_f64_e64 s[66:67], v[32:33], v[32:33]
	v_cndmask_b32_e64 v78, v78, v76, s[64:65]
	v_cndmask_b32_e64 v79, v79, v77, s[64:65]
	;; [unrolled: 1-line block ×8, first 2 shown]
	v_cmp_neq_f64_e64 s[64:65], v[78:79], v[32:33]
	v_cmp_class_f64_e64 s[66:67], v[78:79], s33
	s_or_b64 s[64:65], s[64:65], s[66:67]
	s_and_saveexec_b64 s[72:73], s[64:65]
	s_cbranch_execz .LBB60_84
; %bb.83:
	s_mov_b32 s64, 0x652b82fe
	v_add_f64 v[76:77], v[78:79], -v[32:33]
	s_mov_b32 s65, 0x3ff71547
	v_mul_f64 v[78:79], v[76:77], s[64:65]
	v_rndne_f64_e32 v[78:79], v[78:79]
	s_mov_b32 s75, 0xbfe62e42
	s_mov_b32 s74, 0xfefa39ef
	v_fma_f64 v[80:81], s[74:75], v[78:79], v[76:77]
	s_mov_b32 s77, 0xbc7abc9e
	s_mov_b32 s76, 0x3b39803f
	;; [unrolled: 1-line block ×3, first 2 shown]
	v_fmac_f64_e32 v[80:81], s[76:77], v[78:79]
	v_mov_b32_e32 v82, 0xfca7ab0c
	v_mov_b32_e32 v83, 0x3e928af3
	s_mov_b32 s65, 0x3e5ade15
	v_fmac_f64_e32 v[82:83], s[64:65], v[80:81]
	v_mov_b32_e32 v84, 0x623fde64
	v_mov_b32_e32 v85, 0x3ec71dee
	v_fmac_f64_e32 v[84:85], v[80:81], v[82:83]
	v_mov_b32_e32 v82, 0x7c89e6b0
	v_mov_b32_e32 v83, 0x3efa0199
	;; [unrolled: 3-line block ×8, first 2 shown]
	v_fmac_f64_e32 v[82:83], v[80:81], v[84:85]
	v_fma_f64 v[82:83], v[80:81], v[82:83], 1.0
	s_mov_b32 s64, 0
	s_mov_b32 s66, 0
	v_fma_f64 v[80:81], v[80:81], v[82:83], 1.0
	v_cvt_i32_f64_e32 v78, v[78:79]
	s_mov_b32 s65, 0x40900000
	s_mov_b32 s67, 0xc090cc00
	v_ldexp_f64 v[78:79], v[80:81], v78
	v_mov_b32_e32 v80, 0x7ff00000
	v_cmp_nlt_f64_e64 s[64:65], s[64:65], v[76:77]
	v_cmp_ngt_f64_e64 s[66:67], s[66:67], v[76:77]
	s_mov_b32 s75, 0x3fe62e42
	v_cndmask_b32_e64 v79, v80, v79, s[64:65]
	s_and_b64 s[64:65], s[66:67], s[64:65]
	v_cndmask_b32_e64 v77, 0, v79, s[66:67]
	v_cndmask_b32_e64 v76, 0, v78, s[64:65]
	v_add_f64 v[78:79], v[76:77], 1.0
	v_add_f64 v[80:81], v[78:79], -1.0
	v_add_f64 v[82:83], v[80:81], -v[78:79]
	v_add_f64 v[82:83], v[82:83], 1.0
	v_add_f64 v[80:81], v[76:77], -v[80:81]
	s_mov_b32 s64, 0x55555555
	v_add_f64 v[80:81], v[80:81], v[82:83]
	v_frexp_mant_f64_e32 v[82:83], v[78:79]
	s_mov_b32 s65, 0x3fe55555
	v_frexp_exp_i32_f64_e32 v84, v[78:79]
	v_cmp_gt_f64_e64 s[64:65], s[64:65], v[82:83]
	s_mov_b32 s77, 0x3c7abc9e
	s_nop 0
	v_subbrev_co_u32_e64 v98, s[64:65], 0, v84, s[64:65]
	v_sub_u32_e32 v82, 0, v98
	v_ldexp_f64 v[78:79], v[78:79], v82
	v_ldexp_f64 v[80:81], v[80:81], v82
	v_add_f64 v[82:83], v[78:79], -1.0
	v_add_f64 v[88:89], v[78:79], 1.0
	v_add_f64 v[84:85], v[82:83], 1.0
	v_add_f64 v[90:91], v[88:89], -1.0
	v_add_f64 v[84:85], v[78:79], -v[84:85]
	v_add_f64 v[78:79], v[78:79], -v[90:91]
	v_add_f64 v[78:79], v[80:81], v[78:79]
	v_add_f64 v[84:85], v[80:81], v[84:85]
	;; [unrolled: 1-line block ×3, first 2 shown]
	v_rcp_f64_e32 v[90:91], v[80:81]
	v_add_f64 v[86:87], v[82:83], v[84:85]
	v_add_f64 v[82:83], v[86:87], -v[82:83]
	v_add_f64 v[82:83], v[84:85], -v[82:83]
	;; [unrolled: 1-line block ×4, first 2 shown]
	v_fma_f64 v[84:85], -v[80:81], v[90:91], 1.0
	v_fmac_f64_e32 v[90:91], v[84:85], v[90:91]
	v_fma_f64 v[84:85], -v[80:81], v[90:91], 1.0
	v_fmac_f64_e32 v[90:91], v[84:85], v[90:91]
	v_mul_f64 v[84:85], v[86:87], v[90:91]
	v_mul_f64 v[88:89], v[80:81], v[84:85]
	v_fma_f64 v[92:93], v[84:85], v[80:81], -v[88:89]
	v_fmac_f64_e32 v[92:93], v[84:85], v[78:79]
	v_add_f64 v[94:95], v[88:89], v[92:93]
	v_add_f64 v[96:97], v[86:87], -v[94:95]
	v_add_f64 v[86:87], v[86:87], -v[96:97]
	;; [unrolled: 1-line block ×4, first 2 shown]
	v_add_f64 v[82:83], v[82:83], v[86:87]
	v_add_f64 v[86:87], v[88:89], -v[92:93]
	v_add_f64 v[82:83], v[86:87], v[82:83]
	v_add_f64 v[86:87], v[96:97], v[82:83]
	v_add_f64 v[88:89], v[96:97], -v[86:87]
	v_add_f64 v[82:83], v[82:83], v[88:89]
	v_mul_f64 v[88:89], v[90:91], v[86:87]
	v_mul_f64 v[92:93], v[80:81], v[88:89]
	v_fma_f64 v[80:81], v[88:89], v[80:81], -v[92:93]
	v_fmac_f64_e32 v[80:81], v[88:89], v[78:79]
	v_add_f64 v[78:79], v[92:93], v[80:81]
	v_add_f64 v[94:95], v[86:87], -v[78:79]
	v_add_f64 v[86:87], v[86:87], -v[94:95]
	;; [unrolled: 1-line block ×4, first 2 shown]
	v_add_f64 v[78:79], v[82:83], v[78:79]
	v_add_f64 v[80:81], v[92:93], -v[80:81]
	v_add_f64 v[78:79], v[80:81], v[78:79]
	v_add_f64 v[80:81], v[84:85], v[88:89]
	;; [unrolled: 1-line block ×3, first 2 shown]
	v_add_f64 v[82:83], v[80:81], -v[84:85]
	v_mul_f64 v[78:79], v[90:91], v[78:79]
	v_add_f64 v[82:83], v[88:89], -v[82:83]
	v_add_f64 v[78:79], v[82:83], v[78:79]
	v_add_f64 v[82:83], v[80:81], v[78:79]
	v_add_f64 v[80:81], v[82:83], -v[80:81]
	s_mov_b32 s64, 0xbf559e2b
	v_add_f64 v[78:79], v[78:79], -v[80:81]
	v_mul_f64 v[80:81], v[82:83], v[82:83]
	v_mov_b32_e32 v84, 0x6b47b09a
	v_mov_b32_e32 v85, 0x3fc38538
	s_mov_b32 s65, 0x3fc3ab76
	v_fmac_f64_e32 v[84:85], s[64:65], v[80:81]
	v_mov_b32_e32 v86, 0xd7f4df2e
	v_mov_b32_e32 v87, 0x3fc7474d
	v_fmac_f64_e32 v[86:87], v[80:81], v[84:85]
	v_mov_b32_e32 v84, 0x16291751
	v_mov_b32_e32 v85, 0x3fcc71c0
	;; [unrolled: 3-line block ×5, first 2 shown]
	v_fmac_f64_e32 v[86:87], v[80:81], v[84:85]
	v_cvt_f64_i32_e32 v[84:85], v98
	v_mul_f64 v[88:89], v[84:85], s[74:75]
	v_fma_f64 v[90:91], v[84:85], s[74:75], -v[88:89]
	v_fmac_f64_e32 v[90:91], s[76:77], v[84:85]
	v_add_f64 v[84:85], v[88:89], v[90:91]
	v_add_f64 v[88:89], v[84:85], -v[88:89]
	v_mul_f64 v[80:81], v[82:83], v[80:81]
	v_add_f64 v[88:89], v[90:91], -v[88:89]
	v_ldexp_f64 v[90:91], v[82:83], 1
	v_mul_f64 v[80:81], v[80:81], v[86:87]
	v_add_f64 v[82:83], v[90:91], v[80:81]
	v_add_f64 v[86:87], v[82:83], -v[90:91]
	v_ldexp_f64 v[78:79], v[78:79], 1
	v_add_f64 v[80:81], v[80:81], -v[86:87]
	v_add_f64 v[78:79], v[78:79], v[80:81]
	v_add_f64 v[80:81], v[82:83], v[78:79]
	v_add_f64 v[82:83], v[80:81], -v[82:83]
	v_add_f64 v[78:79], v[78:79], -v[82:83]
	v_add_f64 v[82:83], v[84:85], v[80:81]
	v_add_f64 v[86:87], v[82:83], -v[84:85]
	v_add_f64 v[90:91], v[82:83], -v[86:87]
	;; [unrolled: 1-line block ×4, first 2 shown]
	v_add_f64 v[80:81], v[80:81], v[84:85]
	v_add_f64 v[84:85], v[88:89], v[78:79]
	v_add_f64 v[86:87], v[84:85], -v[88:89]
	v_add_f64 v[80:81], v[84:85], v[80:81]
	v_add_f64 v[90:91], v[84:85], -v[86:87]
	;; [unrolled: 2-line block ×3, first 2 shown]
	v_add_f64 v[78:79], v[78:79], -v[86:87]
	v_add_f64 v[82:83], v[84:85], -v[82:83]
	v_add_f64 v[78:79], v[78:79], v[88:89]
	v_add_f64 v[80:81], v[80:81], -v[82:83]
	s_mov_b32 s64, 0
	v_add_f64 v[78:79], v[78:79], v[80:81]
	s_mov_b32 s65, 0x7ff00000
	v_add_f64 v[78:79], v[84:85], v[78:79]
	v_cmp_eq_f64_e64 s[64:65], s[64:65], v[76:77]
	v_mov_b32_e32 v80, 0x7ff80000
	s_nop 0
	v_cndmask_b32_e64 v78, v78, v76, s[64:65]
	v_cndmask_b32_e64 v79, v79, v77, s[64:65]
	v_cmp_ngt_f64_e64 s[64:65], -1.0, v[76:77]
	s_nop 1
	v_cndmask_b32_e64 v79, v80, v79, s[64:65]
	v_cmp_nge_f64_e64 s[64:65], -1.0, v[76:77]
	v_mov_b32_e32 v80, 0xfff00000
	s_nop 0
	v_cndmask_b32_e64 v78, 0, v78, s[64:65]
	v_cmp_neq_f64_e64 s[64:65], -1.0, v[76:77]
	s_nop 1
	v_cndmask_b32_e64 v79, v80, v79, s[64:65]
	v_add_f64 v[76:77], v[32:33], v[78:79]
.LBB60_84:
	s_or_b64 exec, exec, s[72:73]
	v_mov_b32_e32 v78, v76
	v_mov_b32_e32 v79, v77
	v_mov_b64_e32 v[32:33], v[76:77]
.LBB60_85:
	s_or_b64 exec, exec, s[70:71]
	v_mov_b32_dpp v76, v78 row_bcast:31 row_mask:0xf bank_mask:0xf
	v_mov_b32_dpp v77, v79 row_bcast:31 row_mask:0xf bank_mask:0xf
	v_cmp_lt_u32_e64 s[64:65], 31, v35
	s_and_saveexec_b64 s[70:71], s[64:65]
	s_cbranch_execz .LBB60_89
; %bb.86:
	v_max_f64 v[80:81], v[76:77], v[76:77]
	v_max_f64 v[82:83], v[32:33], v[32:33]
	v_min_f64 v[78:79], v[80:81], v[82:83]
	v_cmp_u_f64_e64 s[64:65], v[76:77], v[76:77]
	v_max_f64 v[80:81], v[80:81], v[82:83]
	v_cmp_u_f64_e64 s[66:67], v[32:33], v[32:33]
	v_cndmask_b32_e64 v78, v78, v76, s[64:65]
	v_cndmask_b32_e64 v79, v79, v77, s[64:65]
	;; [unrolled: 1-line block ×8, first 2 shown]
	v_cmp_neq_f64_e64 s[64:65], v[78:79], v[32:33]
	v_cmp_class_f64_e64 s[66:67], v[78:79], s33
	s_or_b64 s[64:65], s[64:65], s[66:67]
	s_and_saveexec_b64 s[72:73], s[64:65]
	s_cbranch_execz .LBB60_88
; %bb.87:
	s_mov_b32 s64, 0x652b82fe
	v_add_f64 v[76:77], v[78:79], -v[32:33]
	s_mov_b32 s65, 0x3ff71547
	v_mul_f64 v[78:79], v[76:77], s[64:65]
	v_rndne_f64_e32 v[78:79], v[78:79]
	s_mov_b32 s75, 0xbfe62e42
	s_mov_b32 s74, 0xfefa39ef
	v_fma_f64 v[80:81], s[74:75], v[78:79], v[76:77]
	s_mov_b32 s77, 0xbc7abc9e
	s_mov_b32 s76, 0x3b39803f
	;; [unrolled: 1-line block ×3, first 2 shown]
	v_fmac_f64_e32 v[80:81], s[76:77], v[78:79]
	v_mov_b32_e32 v82, 0xfca7ab0c
	v_mov_b32_e32 v83, 0x3e928af3
	s_mov_b32 s65, 0x3e5ade15
	v_fmac_f64_e32 v[82:83], s[64:65], v[80:81]
	v_mov_b32_e32 v84, 0x623fde64
	v_mov_b32_e32 v85, 0x3ec71dee
	v_fmac_f64_e32 v[84:85], v[80:81], v[82:83]
	v_mov_b32_e32 v82, 0x7c89e6b0
	v_mov_b32_e32 v83, 0x3efa0199
	;; [unrolled: 3-line block ×8, first 2 shown]
	v_fmac_f64_e32 v[82:83], v[80:81], v[84:85]
	v_fma_f64 v[82:83], v[80:81], v[82:83], 1.0
	s_mov_b32 s64, 0
	s_mov_b32 s66, 0
	v_fma_f64 v[80:81], v[80:81], v[82:83], 1.0
	v_cvt_i32_f64_e32 v78, v[78:79]
	s_mov_b32 s65, 0x40900000
	s_mov_b32 s67, 0xc090cc00
	v_ldexp_f64 v[78:79], v[80:81], v78
	v_mov_b32_e32 v80, 0x7ff00000
	v_cmp_nlt_f64_e64 s[64:65], s[64:65], v[76:77]
	v_cmp_ngt_f64_e64 s[66:67], s[66:67], v[76:77]
	s_mov_b32 s75, 0x3fe62e42
	v_cndmask_b32_e64 v79, v80, v79, s[64:65]
	s_and_b64 s[64:65], s[66:67], s[64:65]
	v_cndmask_b32_e64 v77, 0, v79, s[66:67]
	v_cndmask_b32_e64 v76, 0, v78, s[64:65]
	v_add_f64 v[78:79], v[76:77], 1.0
	v_add_f64 v[80:81], v[78:79], -1.0
	v_add_f64 v[82:83], v[80:81], -v[78:79]
	v_add_f64 v[82:83], v[82:83], 1.0
	v_add_f64 v[80:81], v[76:77], -v[80:81]
	s_mov_b32 s64, 0x55555555
	v_add_f64 v[80:81], v[80:81], v[82:83]
	v_frexp_mant_f64_e32 v[82:83], v[78:79]
	s_mov_b32 s65, 0x3fe55555
	v_frexp_exp_i32_f64_e32 v84, v[78:79]
	v_cmp_gt_f64_e64 s[64:65], s[64:65], v[82:83]
	s_mov_b32 s77, 0x3c7abc9e
	s_nop 0
	v_subbrev_co_u32_e64 v98, s[64:65], 0, v84, s[64:65]
	v_sub_u32_e32 v82, 0, v98
	v_ldexp_f64 v[78:79], v[78:79], v82
	v_ldexp_f64 v[80:81], v[80:81], v82
	v_add_f64 v[82:83], v[78:79], -1.0
	v_add_f64 v[88:89], v[78:79], 1.0
	v_add_f64 v[84:85], v[82:83], 1.0
	v_add_f64 v[90:91], v[88:89], -1.0
	v_add_f64 v[84:85], v[78:79], -v[84:85]
	v_add_f64 v[78:79], v[78:79], -v[90:91]
	v_add_f64 v[78:79], v[80:81], v[78:79]
	v_add_f64 v[84:85], v[80:81], v[84:85]
	;; [unrolled: 1-line block ×3, first 2 shown]
	v_rcp_f64_e32 v[90:91], v[80:81]
	v_add_f64 v[86:87], v[82:83], v[84:85]
	v_add_f64 v[82:83], v[86:87], -v[82:83]
	v_add_f64 v[82:83], v[84:85], -v[82:83]
	;; [unrolled: 1-line block ×4, first 2 shown]
	v_fma_f64 v[84:85], -v[80:81], v[90:91], 1.0
	v_fmac_f64_e32 v[90:91], v[84:85], v[90:91]
	v_fma_f64 v[84:85], -v[80:81], v[90:91], 1.0
	v_fmac_f64_e32 v[90:91], v[84:85], v[90:91]
	v_mul_f64 v[84:85], v[86:87], v[90:91]
	v_mul_f64 v[88:89], v[80:81], v[84:85]
	v_fma_f64 v[92:93], v[84:85], v[80:81], -v[88:89]
	v_fmac_f64_e32 v[92:93], v[84:85], v[78:79]
	v_add_f64 v[94:95], v[88:89], v[92:93]
	v_add_f64 v[96:97], v[86:87], -v[94:95]
	v_add_f64 v[86:87], v[86:87], -v[96:97]
	;; [unrolled: 1-line block ×4, first 2 shown]
	v_add_f64 v[82:83], v[82:83], v[86:87]
	v_add_f64 v[86:87], v[88:89], -v[92:93]
	v_add_f64 v[82:83], v[86:87], v[82:83]
	v_add_f64 v[86:87], v[96:97], v[82:83]
	v_add_f64 v[88:89], v[96:97], -v[86:87]
	v_add_f64 v[82:83], v[82:83], v[88:89]
	v_mul_f64 v[88:89], v[90:91], v[86:87]
	v_mul_f64 v[92:93], v[80:81], v[88:89]
	v_fma_f64 v[80:81], v[88:89], v[80:81], -v[92:93]
	v_fmac_f64_e32 v[80:81], v[88:89], v[78:79]
	v_add_f64 v[78:79], v[92:93], v[80:81]
	v_add_f64 v[94:95], v[86:87], -v[78:79]
	v_add_f64 v[86:87], v[86:87], -v[94:95]
	;; [unrolled: 1-line block ×4, first 2 shown]
	v_add_f64 v[78:79], v[82:83], v[78:79]
	v_add_f64 v[80:81], v[92:93], -v[80:81]
	v_add_f64 v[78:79], v[80:81], v[78:79]
	v_add_f64 v[80:81], v[84:85], v[88:89]
	;; [unrolled: 1-line block ×3, first 2 shown]
	v_add_f64 v[82:83], v[80:81], -v[84:85]
	v_mul_f64 v[78:79], v[90:91], v[78:79]
	v_add_f64 v[82:83], v[88:89], -v[82:83]
	v_add_f64 v[78:79], v[82:83], v[78:79]
	v_add_f64 v[82:83], v[80:81], v[78:79]
	v_add_f64 v[80:81], v[82:83], -v[80:81]
	s_mov_b32 s64, 0xbf559e2b
	v_add_f64 v[78:79], v[78:79], -v[80:81]
	v_mul_f64 v[80:81], v[82:83], v[82:83]
	v_mov_b32_e32 v84, 0x6b47b09a
	v_mov_b32_e32 v85, 0x3fc38538
	s_mov_b32 s65, 0x3fc3ab76
	v_fmac_f64_e32 v[84:85], s[64:65], v[80:81]
	v_mov_b32_e32 v86, 0xd7f4df2e
	v_mov_b32_e32 v87, 0x3fc7474d
	v_fmac_f64_e32 v[86:87], v[80:81], v[84:85]
	v_mov_b32_e32 v84, 0x16291751
	v_mov_b32_e32 v85, 0x3fcc71c0
	;; [unrolled: 3-line block ×5, first 2 shown]
	v_fmac_f64_e32 v[86:87], v[80:81], v[84:85]
	v_cvt_f64_i32_e32 v[84:85], v98
	v_mul_f64 v[88:89], v[84:85], s[74:75]
	v_fma_f64 v[90:91], v[84:85], s[74:75], -v[88:89]
	v_fmac_f64_e32 v[90:91], s[76:77], v[84:85]
	v_add_f64 v[84:85], v[88:89], v[90:91]
	v_add_f64 v[88:89], v[84:85], -v[88:89]
	v_mul_f64 v[80:81], v[82:83], v[80:81]
	v_add_f64 v[88:89], v[90:91], -v[88:89]
	v_ldexp_f64 v[90:91], v[82:83], 1
	v_mul_f64 v[80:81], v[80:81], v[86:87]
	v_add_f64 v[82:83], v[90:91], v[80:81]
	v_add_f64 v[86:87], v[82:83], -v[90:91]
	v_ldexp_f64 v[78:79], v[78:79], 1
	v_add_f64 v[80:81], v[80:81], -v[86:87]
	v_add_f64 v[78:79], v[78:79], v[80:81]
	v_add_f64 v[80:81], v[82:83], v[78:79]
	v_add_f64 v[82:83], v[80:81], -v[82:83]
	v_add_f64 v[78:79], v[78:79], -v[82:83]
	v_add_f64 v[82:83], v[84:85], v[80:81]
	v_add_f64 v[86:87], v[82:83], -v[84:85]
	v_add_f64 v[90:91], v[82:83], -v[86:87]
	;; [unrolled: 1-line block ×4, first 2 shown]
	v_add_f64 v[80:81], v[80:81], v[84:85]
	v_add_f64 v[84:85], v[88:89], v[78:79]
	v_add_f64 v[86:87], v[84:85], -v[88:89]
	v_add_f64 v[80:81], v[84:85], v[80:81]
	v_add_f64 v[90:91], v[84:85], -v[86:87]
	;; [unrolled: 2-line block ×3, first 2 shown]
	v_add_f64 v[78:79], v[78:79], -v[86:87]
	v_add_f64 v[82:83], v[84:85], -v[82:83]
	v_add_f64 v[78:79], v[78:79], v[88:89]
	v_add_f64 v[80:81], v[80:81], -v[82:83]
	s_mov_b32 s64, 0
	v_add_f64 v[78:79], v[78:79], v[80:81]
	s_mov_b32 s65, 0x7ff00000
	v_add_f64 v[78:79], v[84:85], v[78:79]
	v_cmp_eq_f64_e64 s[64:65], s[64:65], v[76:77]
	v_mov_b32_e32 v80, 0x7ff80000
	s_nop 0
	v_cndmask_b32_e64 v78, v78, v76, s[64:65]
	v_cndmask_b32_e64 v79, v79, v77, s[64:65]
	v_cmp_ngt_f64_e64 s[64:65], -1.0, v[76:77]
	s_nop 1
	v_cndmask_b32_e64 v79, v80, v79, s[64:65]
	v_cmp_nge_f64_e64 s[64:65], -1.0, v[76:77]
	v_mov_b32_e32 v80, 0xfff00000
	s_nop 0
	v_cndmask_b32_e64 v78, 0, v78, s[64:65]
	v_cmp_neq_f64_e64 s[64:65], -1.0, v[76:77]
	s_nop 1
	v_cndmask_b32_e64 v79, v80, v79, s[64:65]
	v_add_f64 v[76:77], v[32:33], v[78:79]
.LBB60_88:
	s_or_b64 exec, exec, s[72:73]
	v_mov_b64_e32 v[32:33], v[76:77]
.LBB60_89:
	s_or_b64 exec, exec, s[70:71]
	v_add_u32_e32 v76, -1, v35
	v_and_b32_e32 v77, 64, v35
	v_cmp_lt_i32_e64 s[64:65], v76, v77
	s_nop 1
	v_cndmask_b32_e64 v35, v76, v35, s[64:65]
	v_lshlrev_b32_e32 v35, 2, v35
	ds_bpermute_b32 v32, v35, v32
	ds_bpermute_b32 v33, v35, v33
	s_waitcnt lgkmcnt(0)
	v_max_f64 v[78:79], v[32:33], v[32:33]
	v_min_f64 v[76:77], v[78:79], v[74:75]
	v_cmp_u_f64_e64 s[64:65], v[32:33], v[32:33]
	v_max_f64 v[74:75], v[78:79], v[74:75]
	s_nop 0
	v_cndmask_b32_e64 v35, v76, v32, s[64:65]
	v_cndmask_b32_e64 v76, v77, v33, s[64:65]
	;; [unrolled: 1-line block ×8, first 2 shown]
	v_cmp_neq_f64_e64 s[62:63], v[76:77], v[30:31]
	v_cmp_class_f64_e64 s[64:65], v[76:77], s33
	s_or_b64 s[62:63], s[62:63], s[64:65]
	s_and_saveexec_b64 s[66:67], s[62:63]
	s_cbranch_execz .LBB60_91
; %bb.90:
	s_mov_b32 s62, 0x652b82fe
	v_add_f64 v[32:33], v[76:77], -v[30:31]
	s_mov_b32 s63, 0x3ff71547
	v_mul_f64 v[74:75], v[32:33], s[62:63]
	v_rndne_f64_e32 v[74:75], v[74:75]
	s_mov_b32 s71, 0xbfe62e42
	s_mov_b32 s70, 0xfefa39ef
	v_fma_f64 v[76:77], s[70:71], v[74:75], v[32:33]
	s_mov_b32 s73, 0xbc7abc9e
	s_mov_b32 s72, 0x3b39803f
	;; [unrolled: 1-line block ×3, first 2 shown]
	v_fmac_f64_e32 v[76:77], s[72:73], v[74:75]
	v_mov_b32_e32 v78, 0xfca7ab0c
	v_mov_b32_e32 v79, 0x3e928af3
	s_mov_b32 s63, 0x3e5ade15
	v_fmac_f64_e32 v[78:79], s[62:63], v[76:77]
	v_mov_b32_e32 v80, 0x623fde64
	v_mov_b32_e32 v81, 0x3ec71dee
	v_fmac_f64_e32 v[80:81], v[76:77], v[78:79]
	v_mov_b32_e32 v78, 0x7c89e6b0
	v_mov_b32_e32 v79, 0x3efa0199
	;; [unrolled: 3-line block ×8, first 2 shown]
	v_fmac_f64_e32 v[78:79], v[76:77], v[80:81]
	v_fma_f64 v[78:79], v[76:77], v[78:79], 1.0
	s_mov_b32 s62, 0
	s_mov_b32 s64, 0
	v_fma_f64 v[76:77], v[76:77], v[78:79], 1.0
	v_cvt_i32_f64_e32 v35, v[74:75]
	s_mov_b32 s63, 0x40900000
	s_mov_b32 s65, 0xc090cc00
	v_ldexp_f64 v[74:75], v[76:77], v35
	v_mov_b32_e32 v35, 0x7ff00000
	v_cmp_nlt_f64_e64 s[62:63], s[62:63], v[32:33]
	v_cmp_ngt_f64_e64 s[64:65], s[64:65], v[32:33]
	s_mov_b32 s71, 0x3fe62e42
	v_cndmask_b32_e64 v35, v35, v75, s[62:63]
	s_and_b64 s[62:63], s[64:65], s[62:63]
	v_cndmask_b32_e64 v33, 0, v35, s[64:65]
	v_cndmask_b32_e64 v32, 0, v74, s[62:63]
	v_add_f64 v[74:75], v[32:33], 1.0
	v_add_f64 v[76:77], v[74:75], -1.0
	v_add_f64 v[78:79], v[76:77], -v[74:75]
	v_add_f64 v[78:79], v[78:79], 1.0
	v_add_f64 v[76:77], v[32:33], -v[76:77]
	s_mov_b32 s62, 0x55555555
	v_add_f64 v[76:77], v[76:77], v[78:79]
	v_frexp_mant_f64_e32 v[78:79], v[74:75]
	s_mov_b32 s63, 0x3fe55555
	v_frexp_exp_i32_f64_e32 v35, v[74:75]
	v_cmp_gt_f64_e64 s[62:63], s[62:63], v[78:79]
	s_mov_b32 s73, 0x3c7abc9e
	s_nop 0
	v_subbrev_co_u32_e64 v35, s[62:63], 0, v35, s[62:63]
	v_sub_u32_e32 v78, 0, v35
	v_ldexp_f64 v[74:75], v[74:75], v78
	v_ldexp_f64 v[76:77], v[76:77], v78
	v_add_f64 v[78:79], v[74:75], -1.0
	v_add_f64 v[84:85], v[74:75], 1.0
	v_add_f64 v[80:81], v[78:79], 1.0
	v_add_f64 v[86:87], v[84:85], -1.0
	v_add_f64 v[80:81], v[74:75], -v[80:81]
	v_add_f64 v[74:75], v[74:75], -v[86:87]
	v_add_f64 v[74:75], v[76:77], v[74:75]
	v_add_f64 v[80:81], v[76:77], v[80:81]
	;; [unrolled: 1-line block ×3, first 2 shown]
	v_rcp_f64_e32 v[86:87], v[76:77]
	v_add_f64 v[82:83], v[78:79], v[80:81]
	v_add_f64 v[78:79], v[82:83], -v[78:79]
	v_add_f64 v[78:79], v[80:81], -v[78:79]
	;; [unrolled: 1-line block ×4, first 2 shown]
	v_fma_f64 v[80:81], -v[76:77], v[86:87], 1.0
	v_fmac_f64_e32 v[86:87], v[80:81], v[86:87]
	v_fma_f64 v[80:81], -v[76:77], v[86:87], 1.0
	v_fmac_f64_e32 v[86:87], v[80:81], v[86:87]
	v_mul_f64 v[80:81], v[82:83], v[86:87]
	v_mul_f64 v[84:85], v[76:77], v[80:81]
	v_fma_f64 v[88:89], v[80:81], v[76:77], -v[84:85]
	v_fmac_f64_e32 v[88:89], v[80:81], v[74:75]
	v_add_f64 v[90:91], v[84:85], v[88:89]
	v_add_f64 v[92:93], v[82:83], -v[90:91]
	v_add_f64 v[82:83], v[82:83], -v[92:93]
	;; [unrolled: 1-line block ×4, first 2 shown]
	v_add_f64 v[78:79], v[78:79], v[82:83]
	v_add_f64 v[82:83], v[84:85], -v[88:89]
	v_add_f64 v[78:79], v[82:83], v[78:79]
	v_add_f64 v[82:83], v[92:93], v[78:79]
	v_add_f64 v[84:85], v[92:93], -v[82:83]
	v_add_f64 v[78:79], v[78:79], v[84:85]
	v_mul_f64 v[84:85], v[86:87], v[82:83]
	v_mul_f64 v[88:89], v[76:77], v[84:85]
	v_fma_f64 v[76:77], v[84:85], v[76:77], -v[88:89]
	v_fmac_f64_e32 v[76:77], v[84:85], v[74:75]
	v_add_f64 v[74:75], v[88:89], v[76:77]
	v_add_f64 v[90:91], v[82:83], -v[74:75]
	v_add_f64 v[82:83], v[82:83], -v[90:91]
	;; [unrolled: 1-line block ×4, first 2 shown]
	v_add_f64 v[74:75], v[78:79], v[74:75]
	v_add_f64 v[76:77], v[88:89], -v[76:77]
	v_add_f64 v[74:75], v[76:77], v[74:75]
	v_add_f64 v[76:77], v[80:81], v[84:85]
	;; [unrolled: 1-line block ×3, first 2 shown]
	v_add_f64 v[78:79], v[76:77], -v[80:81]
	v_mul_f64 v[74:75], v[86:87], v[74:75]
	v_add_f64 v[78:79], v[84:85], -v[78:79]
	v_add_f64 v[74:75], v[78:79], v[74:75]
	v_add_f64 v[78:79], v[76:77], v[74:75]
	v_add_f64 v[76:77], v[78:79], -v[76:77]
	s_mov_b32 s62, 0xbf559e2b
	v_add_f64 v[74:75], v[74:75], -v[76:77]
	v_mul_f64 v[76:77], v[78:79], v[78:79]
	v_mov_b32_e32 v80, 0x6b47b09a
	v_mov_b32_e32 v81, 0x3fc38538
	s_mov_b32 s63, 0x3fc3ab76
	v_fmac_f64_e32 v[80:81], s[62:63], v[76:77]
	v_mov_b32_e32 v82, 0xd7f4df2e
	v_mov_b32_e32 v83, 0x3fc7474d
	v_fmac_f64_e32 v[82:83], v[76:77], v[80:81]
	v_mov_b32_e32 v80, 0x16291751
	v_mov_b32_e32 v81, 0x3fcc71c0
	;; [unrolled: 3-line block ×5, first 2 shown]
	v_fmac_f64_e32 v[82:83], v[76:77], v[80:81]
	v_cvt_f64_i32_e32 v[80:81], v35
	v_mul_f64 v[84:85], v[80:81], s[70:71]
	v_fma_f64 v[86:87], v[80:81], s[70:71], -v[84:85]
	v_fmac_f64_e32 v[86:87], s[72:73], v[80:81]
	v_add_f64 v[80:81], v[84:85], v[86:87]
	v_add_f64 v[84:85], v[80:81], -v[84:85]
	v_mul_f64 v[76:77], v[78:79], v[76:77]
	v_add_f64 v[84:85], v[86:87], -v[84:85]
	v_ldexp_f64 v[86:87], v[78:79], 1
	v_mul_f64 v[76:77], v[76:77], v[82:83]
	v_add_f64 v[78:79], v[86:87], v[76:77]
	v_add_f64 v[82:83], v[78:79], -v[86:87]
	v_ldexp_f64 v[74:75], v[74:75], 1
	v_add_f64 v[76:77], v[76:77], -v[82:83]
	v_add_f64 v[74:75], v[74:75], v[76:77]
	v_add_f64 v[76:77], v[78:79], v[74:75]
	v_add_f64 v[78:79], v[76:77], -v[78:79]
	v_add_f64 v[74:75], v[74:75], -v[78:79]
	v_add_f64 v[78:79], v[80:81], v[76:77]
	v_add_f64 v[82:83], v[78:79], -v[80:81]
	v_add_f64 v[86:87], v[78:79], -v[82:83]
	v_add_f64 v[80:81], v[80:81], -v[86:87]
	v_add_f64 v[76:77], v[76:77], -v[82:83]
	v_add_f64 v[76:77], v[76:77], v[80:81]
	v_add_f64 v[80:81], v[84:85], v[74:75]
	v_add_f64 v[82:83], v[80:81], -v[84:85]
	v_add_f64 v[76:77], v[80:81], v[76:77]
	v_add_f64 v[86:87], v[80:81], -v[82:83]
	;; [unrolled: 2-line block ×3, first 2 shown]
	v_add_f64 v[74:75], v[74:75], -v[82:83]
	v_add_f64 v[78:79], v[80:81], -v[78:79]
	v_add_f64 v[74:75], v[74:75], v[84:85]
	v_add_f64 v[76:77], v[76:77], -v[78:79]
	s_mov_b32 s62, 0
	v_add_f64 v[74:75], v[74:75], v[76:77]
	s_mov_b32 s63, 0x7ff00000
	v_add_f64 v[74:75], v[80:81], v[74:75]
	v_cmp_eq_f64_e64 s[62:63], s[62:63], v[32:33]
	s_nop 1
	v_cndmask_b32_e64 v35, v74, v32, s[62:63]
	v_cndmask_b32_e64 v74, v75, v33, s[62:63]
	v_mov_b32_e32 v75, 0x7ff80000
	v_cmp_ngt_f64_e64 s[62:63], -1.0, v[32:33]
	s_nop 1
	v_cndmask_b32_e64 v75, v75, v74, s[62:63]
	v_cmp_nge_f64_e64 s[62:63], -1.0, v[32:33]
	s_nop 1
	v_cndmask_b32_e64 v74, 0, v35, s[62:63]
	v_mov_b32_e32 v35, 0xfff00000
	v_cmp_neq_f64_e64 s[62:63], -1.0, v[32:33]
	s_nop 1
	v_cndmask_b32_e64 v75, v35, v75, s[62:63]
	v_add_f64 v[32:33], v[30:31], v[74:75]
.LBB60_91:
	s_or_b64 exec, exec, s[66:67]
	v_cmp_eq_u32_e64 s[62:63], 0, v0
	; wave barrier
	s_nop 1
	v_cndmask_b32_e64 v33, v33, v73, s[62:63]
	v_cndmask_b32_e64 v32, v32, v72, s[62:63]
	ds_write_b64 v1, v[32:33]
	; wave barrier
	ds_read_b64 v[30:31], v1 offset:8
	v_max_f64 v[76:77], v[32:33], v[32:33]
	v_cmp_u_f64_e64 s[62:63], v[32:33], v[32:33]
	s_waitcnt lgkmcnt(0)
	v_max_f64 v[78:79], v[30:31], v[30:31]
	v_min_f64 v[74:75], v[76:77], v[78:79]
	v_cndmask_b32_e64 v35, v74, v32, s[62:63]
	v_cndmask_b32_e64 v74, v75, v33, s[62:63]
	v_cmp_u_f64_e64 s[64:65], v[30:31], v[30:31]
	v_max_f64 v[76:77], v[76:77], v[78:79]
	s_nop 0
	v_cndmask_b32_e64 v75, v74, v31, s[64:65]
	v_cndmask_b32_e64 v74, v35, v30, s[64:65]
	;; [unrolled: 1-line block ×6, first 2 shown]
	v_cmp_neq_f64_e64 s[62:63], v[74:75], v[30:31]
	v_cmp_class_f64_e64 s[64:65], v[74:75], s33
	s_or_b64 s[62:63], s[62:63], s[64:65]
	s_and_saveexec_b64 s[66:67], s[62:63]
	s_cbranch_execz .LBB60_93
; %bb.92:
	s_mov_b32 s62, 0x652b82fe
	v_add_f64 v[32:33], v[74:75], -v[30:31]
	s_mov_b32 s63, 0x3ff71547
	v_mul_f64 v[74:75], v[32:33], s[62:63]
	v_rndne_f64_e32 v[74:75], v[74:75]
	s_mov_b32 s71, 0xbfe62e42
	s_mov_b32 s70, 0xfefa39ef
	v_fma_f64 v[76:77], s[70:71], v[74:75], v[32:33]
	s_mov_b32 s73, 0xbc7abc9e
	s_mov_b32 s72, 0x3b39803f
	;; [unrolled: 1-line block ×3, first 2 shown]
	v_fmac_f64_e32 v[76:77], s[72:73], v[74:75]
	v_mov_b32_e32 v78, 0xfca7ab0c
	v_mov_b32_e32 v79, 0x3e928af3
	s_mov_b32 s63, 0x3e5ade15
	v_fmac_f64_e32 v[78:79], s[62:63], v[76:77]
	v_mov_b32_e32 v80, 0x623fde64
	v_mov_b32_e32 v81, 0x3ec71dee
	v_fmac_f64_e32 v[80:81], v[76:77], v[78:79]
	v_mov_b32_e32 v78, 0x7c89e6b0
	v_mov_b32_e32 v79, 0x3efa0199
	;; [unrolled: 3-line block ×8, first 2 shown]
	v_fmac_f64_e32 v[78:79], v[76:77], v[80:81]
	v_fma_f64 v[78:79], v[76:77], v[78:79], 1.0
	s_mov_b32 s62, 0
	s_mov_b32 s64, 0
	v_fma_f64 v[76:77], v[76:77], v[78:79], 1.0
	v_cvt_i32_f64_e32 v35, v[74:75]
	s_mov_b32 s63, 0x40900000
	s_mov_b32 s65, 0xc090cc00
	v_ldexp_f64 v[74:75], v[76:77], v35
	v_mov_b32_e32 v35, 0x7ff00000
	v_cmp_nlt_f64_e64 s[62:63], s[62:63], v[32:33]
	v_cmp_ngt_f64_e64 s[64:65], s[64:65], v[32:33]
	s_mov_b32 s71, 0x3fe62e42
	v_cndmask_b32_e64 v35, v35, v75, s[62:63]
	s_and_b64 s[62:63], s[64:65], s[62:63]
	v_cndmask_b32_e64 v33, 0, v35, s[64:65]
	v_cndmask_b32_e64 v32, 0, v74, s[62:63]
	v_add_f64 v[74:75], v[32:33], 1.0
	v_add_f64 v[76:77], v[74:75], -1.0
	v_add_f64 v[78:79], v[76:77], -v[74:75]
	v_add_f64 v[78:79], v[78:79], 1.0
	v_add_f64 v[76:77], v[32:33], -v[76:77]
	s_mov_b32 s62, 0x55555555
	v_add_f64 v[76:77], v[76:77], v[78:79]
	v_frexp_mant_f64_e32 v[78:79], v[74:75]
	s_mov_b32 s63, 0x3fe55555
	v_frexp_exp_i32_f64_e32 v35, v[74:75]
	v_cmp_gt_f64_e64 s[62:63], s[62:63], v[78:79]
	s_mov_b32 s73, 0x3c7abc9e
	s_nop 0
	v_subbrev_co_u32_e64 v35, s[62:63], 0, v35, s[62:63]
	v_sub_u32_e32 v78, 0, v35
	v_ldexp_f64 v[74:75], v[74:75], v78
	v_ldexp_f64 v[76:77], v[76:77], v78
	v_add_f64 v[78:79], v[74:75], -1.0
	v_add_f64 v[84:85], v[74:75], 1.0
	v_add_f64 v[80:81], v[78:79], 1.0
	v_add_f64 v[86:87], v[84:85], -1.0
	v_add_f64 v[80:81], v[74:75], -v[80:81]
	v_add_f64 v[74:75], v[74:75], -v[86:87]
	v_add_f64 v[74:75], v[76:77], v[74:75]
	v_add_f64 v[80:81], v[76:77], v[80:81]
	;; [unrolled: 1-line block ×3, first 2 shown]
	v_rcp_f64_e32 v[86:87], v[76:77]
	v_add_f64 v[82:83], v[78:79], v[80:81]
	v_add_f64 v[78:79], v[82:83], -v[78:79]
	v_add_f64 v[78:79], v[80:81], -v[78:79]
	;; [unrolled: 1-line block ×4, first 2 shown]
	v_fma_f64 v[80:81], -v[76:77], v[86:87], 1.0
	v_fmac_f64_e32 v[86:87], v[80:81], v[86:87]
	v_fma_f64 v[80:81], -v[76:77], v[86:87], 1.0
	v_fmac_f64_e32 v[86:87], v[80:81], v[86:87]
	v_mul_f64 v[80:81], v[82:83], v[86:87]
	v_mul_f64 v[84:85], v[76:77], v[80:81]
	v_fma_f64 v[88:89], v[80:81], v[76:77], -v[84:85]
	v_fmac_f64_e32 v[88:89], v[80:81], v[74:75]
	v_add_f64 v[90:91], v[84:85], v[88:89]
	v_add_f64 v[92:93], v[82:83], -v[90:91]
	v_add_f64 v[82:83], v[82:83], -v[92:93]
	;; [unrolled: 1-line block ×4, first 2 shown]
	v_add_f64 v[78:79], v[78:79], v[82:83]
	v_add_f64 v[82:83], v[84:85], -v[88:89]
	v_add_f64 v[78:79], v[82:83], v[78:79]
	v_add_f64 v[82:83], v[92:93], v[78:79]
	v_add_f64 v[84:85], v[92:93], -v[82:83]
	v_add_f64 v[78:79], v[78:79], v[84:85]
	v_mul_f64 v[84:85], v[86:87], v[82:83]
	v_mul_f64 v[88:89], v[76:77], v[84:85]
	v_fma_f64 v[76:77], v[84:85], v[76:77], -v[88:89]
	v_fmac_f64_e32 v[76:77], v[84:85], v[74:75]
	v_add_f64 v[74:75], v[88:89], v[76:77]
	v_add_f64 v[90:91], v[82:83], -v[74:75]
	v_add_f64 v[82:83], v[82:83], -v[90:91]
	;; [unrolled: 1-line block ×4, first 2 shown]
	v_add_f64 v[74:75], v[78:79], v[74:75]
	v_add_f64 v[76:77], v[88:89], -v[76:77]
	v_add_f64 v[74:75], v[76:77], v[74:75]
	v_add_f64 v[76:77], v[80:81], v[84:85]
	v_add_f64 v[74:75], v[90:91], v[74:75]
	v_add_f64 v[78:79], v[76:77], -v[80:81]
	v_mul_f64 v[74:75], v[86:87], v[74:75]
	v_add_f64 v[78:79], v[84:85], -v[78:79]
	v_add_f64 v[74:75], v[78:79], v[74:75]
	v_add_f64 v[78:79], v[76:77], v[74:75]
	v_add_f64 v[76:77], v[78:79], -v[76:77]
	s_mov_b32 s62, 0xbf559e2b
	v_add_f64 v[74:75], v[74:75], -v[76:77]
	v_mul_f64 v[76:77], v[78:79], v[78:79]
	v_mov_b32_e32 v80, 0x6b47b09a
	v_mov_b32_e32 v81, 0x3fc38538
	s_mov_b32 s63, 0x3fc3ab76
	v_fmac_f64_e32 v[80:81], s[62:63], v[76:77]
	v_mov_b32_e32 v82, 0xd7f4df2e
	v_mov_b32_e32 v83, 0x3fc7474d
	v_fmac_f64_e32 v[82:83], v[76:77], v[80:81]
	v_mov_b32_e32 v80, 0x16291751
	v_mov_b32_e32 v81, 0x3fcc71c0
	;; [unrolled: 3-line block ×5, first 2 shown]
	v_fmac_f64_e32 v[82:83], v[76:77], v[80:81]
	v_cvt_f64_i32_e32 v[80:81], v35
	v_mul_f64 v[84:85], v[80:81], s[70:71]
	v_fma_f64 v[86:87], v[80:81], s[70:71], -v[84:85]
	v_fmac_f64_e32 v[86:87], s[72:73], v[80:81]
	v_add_f64 v[80:81], v[84:85], v[86:87]
	v_add_f64 v[84:85], v[80:81], -v[84:85]
	v_mul_f64 v[76:77], v[78:79], v[76:77]
	v_add_f64 v[84:85], v[86:87], -v[84:85]
	v_ldexp_f64 v[86:87], v[78:79], 1
	v_mul_f64 v[76:77], v[76:77], v[82:83]
	v_add_f64 v[78:79], v[86:87], v[76:77]
	v_add_f64 v[82:83], v[78:79], -v[86:87]
	v_ldexp_f64 v[74:75], v[74:75], 1
	v_add_f64 v[76:77], v[76:77], -v[82:83]
	v_add_f64 v[74:75], v[74:75], v[76:77]
	v_add_f64 v[76:77], v[78:79], v[74:75]
	v_add_f64 v[78:79], v[76:77], -v[78:79]
	v_add_f64 v[74:75], v[74:75], -v[78:79]
	v_add_f64 v[78:79], v[80:81], v[76:77]
	v_add_f64 v[82:83], v[78:79], -v[80:81]
	v_add_f64 v[86:87], v[78:79], -v[82:83]
	;; [unrolled: 1-line block ×4, first 2 shown]
	v_add_f64 v[76:77], v[76:77], v[80:81]
	v_add_f64 v[80:81], v[84:85], v[74:75]
	v_add_f64 v[82:83], v[80:81], -v[84:85]
	v_add_f64 v[76:77], v[80:81], v[76:77]
	v_add_f64 v[86:87], v[80:81], -v[82:83]
	v_add_f64 v[80:81], v[78:79], v[76:77]
	v_add_f64 v[84:85], v[84:85], -v[86:87]
	v_add_f64 v[74:75], v[74:75], -v[82:83]
	v_add_f64 v[78:79], v[80:81], -v[78:79]
	v_add_f64 v[74:75], v[74:75], v[84:85]
	v_add_f64 v[76:77], v[76:77], -v[78:79]
	s_mov_b32 s62, 0
	v_add_f64 v[74:75], v[74:75], v[76:77]
	s_mov_b32 s63, 0x7ff00000
	v_add_f64 v[74:75], v[80:81], v[74:75]
	v_cmp_eq_f64_e64 s[62:63], s[62:63], v[32:33]
	s_nop 1
	v_cndmask_b32_e64 v35, v74, v32, s[62:63]
	v_cndmask_b32_e64 v74, v75, v33, s[62:63]
	v_mov_b32_e32 v75, 0x7ff80000
	v_cmp_ngt_f64_e64 s[62:63], -1.0, v[32:33]
	s_nop 1
	v_cndmask_b32_e64 v75, v75, v74, s[62:63]
	v_cmp_nge_f64_e64 s[62:63], -1.0, v[32:33]
	s_nop 1
	v_cndmask_b32_e64 v74, 0, v35, s[62:63]
	v_mov_b32_e32 v35, 0xfff00000
	v_cmp_neq_f64_e64 s[62:63], -1.0, v[32:33]
	s_nop 1
	v_cndmask_b32_e64 v75, v35, v75, s[62:63]
	v_add_f64 v[32:33], v[30:31], v[74:75]
.LBB60_93:
	s_or_b64 exec, exec, s[66:67]
	ds_read_b64 v[30:31], v1 offset:16
	v_max_f64 v[76:77], v[32:33], v[32:33]
	v_cmp_u_f64_e64 s[62:63], v[32:33], v[32:33]
	ds_write_b64 v1, v[32:33] offset:8
	s_waitcnt lgkmcnt(1)
	v_max_f64 v[78:79], v[30:31], v[30:31]
	v_min_f64 v[74:75], v[76:77], v[78:79]
	v_cndmask_b32_e64 v35, v74, v32, s[62:63]
	v_cndmask_b32_e64 v74, v75, v33, s[62:63]
	v_cmp_u_f64_e64 s[64:65], v[30:31], v[30:31]
	v_max_f64 v[76:77], v[76:77], v[78:79]
	s_nop 0
	v_cndmask_b32_e64 v75, v74, v31, s[64:65]
	v_cndmask_b32_e64 v74, v35, v30, s[64:65]
	;; [unrolled: 1-line block ×6, first 2 shown]
	v_cmp_neq_f64_e64 s[62:63], v[74:75], v[30:31]
	v_cmp_class_f64_e64 s[64:65], v[74:75], s33
	s_or_b64 s[62:63], s[62:63], s[64:65]
	s_and_saveexec_b64 s[66:67], s[62:63]
	s_cbranch_execz .LBB60_95
; %bb.94:
	s_mov_b32 s62, 0x652b82fe
	v_add_f64 v[32:33], v[74:75], -v[30:31]
	s_mov_b32 s63, 0x3ff71547
	v_mul_f64 v[74:75], v[32:33], s[62:63]
	v_rndne_f64_e32 v[74:75], v[74:75]
	s_mov_b32 s71, 0xbfe62e42
	s_mov_b32 s70, 0xfefa39ef
	v_fma_f64 v[76:77], s[70:71], v[74:75], v[32:33]
	s_mov_b32 s73, 0xbc7abc9e
	s_mov_b32 s72, 0x3b39803f
	s_mov_b32 s62, 0x6a5dcb37
	v_fmac_f64_e32 v[76:77], s[72:73], v[74:75]
	v_mov_b32_e32 v78, 0xfca7ab0c
	v_mov_b32_e32 v79, 0x3e928af3
	s_mov_b32 s63, 0x3e5ade15
	v_fmac_f64_e32 v[78:79], s[62:63], v[76:77]
	v_mov_b32_e32 v80, 0x623fde64
	v_mov_b32_e32 v81, 0x3ec71dee
	v_fmac_f64_e32 v[80:81], v[76:77], v[78:79]
	v_mov_b32_e32 v78, 0x7c89e6b0
	v_mov_b32_e32 v79, 0x3efa0199
	;; [unrolled: 3-line block ×8, first 2 shown]
	v_fmac_f64_e32 v[78:79], v[76:77], v[80:81]
	v_fma_f64 v[78:79], v[76:77], v[78:79], 1.0
	s_mov_b32 s62, 0
	s_mov_b32 s64, 0
	v_fma_f64 v[76:77], v[76:77], v[78:79], 1.0
	v_cvt_i32_f64_e32 v35, v[74:75]
	s_mov_b32 s63, 0x40900000
	s_mov_b32 s65, 0xc090cc00
	v_ldexp_f64 v[74:75], v[76:77], v35
	v_mov_b32_e32 v35, 0x7ff00000
	v_cmp_nlt_f64_e64 s[62:63], s[62:63], v[32:33]
	v_cmp_ngt_f64_e64 s[64:65], s[64:65], v[32:33]
	s_mov_b32 s71, 0x3fe62e42
	v_cndmask_b32_e64 v35, v35, v75, s[62:63]
	s_and_b64 s[62:63], s[64:65], s[62:63]
	v_cndmask_b32_e64 v33, 0, v35, s[64:65]
	v_cndmask_b32_e64 v32, 0, v74, s[62:63]
	v_add_f64 v[74:75], v[32:33], 1.0
	v_add_f64 v[76:77], v[74:75], -1.0
	v_add_f64 v[78:79], v[76:77], -v[74:75]
	v_add_f64 v[78:79], v[78:79], 1.0
	v_add_f64 v[76:77], v[32:33], -v[76:77]
	s_mov_b32 s62, 0x55555555
	v_add_f64 v[76:77], v[76:77], v[78:79]
	v_frexp_mant_f64_e32 v[78:79], v[74:75]
	s_mov_b32 s63, 0x3fe55555
	v_frexp_exp_i32_f64_e32 v35, v[74:75]
	v_cmp_gt_f64_e64 s[62:63], s[62:63], v[78:79]
	s_mov_b32 s73, 0x3c7abc9e
	s_nop 0
	v_subbrev_co_u32_e64 v35, s[62:63], 0, v35, s[62:63]
	v_sub_u32_e32 v78, 0, v35
	v_ldexp_f64 v[74:75], v[74:75], v78
	v_ldexp_f64 v[76:77], v[76:77], v78
	v_add_f64 v[78:79], v[74:75], -1.0
	v_add_f64 v[84:85], v[74:75], 1.0
	v_add_f64 v[80:81], v[78:79], 1.0
	v_add_f64 v[86:87], v[84:85], -1.0
	v_add_f64 v[80:81], v[74:75], -v[80:81]
	v_add_f64 v[74:75], v[74:75], -v[86:87]
	v_add_f64 v[74:75], v[76:77], v[74:75]
	v_add_f64 v[80:81], v[76:77], v[80:81]
	;; [unrolled: 1-line block ×3, first 2 shown]
	v_rcp_f64_e32 v[86:87], v[76:77]
	v_add_f64 v[82:83], v[78:79], v[80:81]
	v_add_f64 v[78:79], v[82:83], -v[78:79]
	v_add_f64 v[78:79], v[80:81], -v[78:79]
	;; [unrolled: 1-line block ×4, first 2 shown]
	v_fma_f64 v[80:81], -v[76:77], v[86:87], 1.0
	v_fmac_f64_e32 v[86:87], v[80:81], v[86:87]
	v_fma_f64 v[80:81], -v[76:77], v[86:87], 1.0
	v_fmac_f64_e32 v[86:87], v[80:81], v[86:87]
	v_mul_f64 v[80:81], v[82:83], v[86:87]
	v_mul_f64 v[84:85], v[76:77], v[80:81]
	v_fma_f64 v[88:89], v[80:81], v[76:77], -v[84:85]
	v_fmac_f64_e32 v[88:89], v[80:81], v[74:75]
	v_add_f64 v[90:91], v[84:85], v[88:89]
	v_add_f64 v[92:93], v[82:83], -v[90:91]
	v_add_f64 v[82:83], v[82:83], -v[92:93]
	;; [unrolled: 1-line block ×4, first 2 shown]
	v_add_f64 v[78:79], v[78:79], v[82:83]
	v_add_f64 v[82:83], v[84:85], -v[88:89]
	v_add_f64 v[78:79], v[82:83], v[78:79]
	v_add_f64 v[82:83], v[92:93], v[78:79]
	v_add_f64 v[84:85], v[92:93], -v[82:83]
	v_add_f64 v[78:79], v[78:79], v[84:85]
	v_mul_f64 v[84:85], v[86:87], v[82:83]
	v_mul_f64 v[88:89], v[76:77], v[84:85]
	v_fma_f64 v[76:77], v[84:85], v[76:77], -v[88:89]
	v_fmac_f64_e32 v[76:77], v[84:85], v[74:75]
	v_add_f64 v[74:75], v[88:89], v[76:77]
	v_add_f64 v[90:91], v[82:83], -v[74:75]
	v_add_f64 v[82:83], v[82:83], -v[90:91]
	;; [unrolled: 1-line block ×4, first 2 shown]
	v_add_f64 v[74:75], v[78:79], v[74:75]
	v_add_f64 v[76:77], v[88:89], -v[76:77]
	v_add_f64 v[74:75], v[76:77], v[74:75]
	v_add_f64 v[76:77], v[80:81], v[84:85]
	;; [unrolled: 1-line block ×3, first 2 shown]
	v_add_f64 v[78:79], v[76:77], -v[80:81]
	v_mul_f64 v[74:75], v[86:87], v[74:75]
	v_add_f64 v[78:79], v[84:85], -v[78:79]
	v_add_f64 v[74:75], v[78:79], v[74:75]
	v_add_f64 v[78:79], v[76:77], v[74:75]
	v_add_f64 v[76:77], v[78:79], -v[76:77]
	s_mov_b32 s62, 0xbf559e2b
	v_add_f64 v[74:75], v[74:75], -v[76:77]
	v_mul_f64 v[76:77], v[78:79], v[78:79]
	v_mov_b32_e32 v80, 0x6b47b09a
	v_mov_b32_e32 v81, 0x3fc38538
	s_mov_b32 s63, 0x3fc3ab76
	v_fmac_f64_e32 v[80:81], s[62:63], v[76:77]
	v_mov_b32_e32 v82, 0xd7f4df2e
	v_mov_b32_e32 v83, 0x3fc7474d
	v_fmac_f64_e32 v[82:83], v[76:77], v[80:81]
	v_mov_b32_e32 v80, 0x16291751
	v_mov_b32_e32 v81, 0x3fcc71c0
	;; [unrolled: 3-line block ×5, first 2 shown]
	v_fmac_f64_e32 v[82:83], v[76:77], v[80:81]
	v_cvt_f64_i32_e32 v[80:81], v35
	v_mul_f64 v[84:85], v[80:81], s[70:71]
	v_fma_f64 v[86:87], v[80:81], s[70:71], -v[84:85]
	v_fmac_f64_e32 v[86:87], s[72:73], v[80:81]
	v_add_f64 v[80:81], v[84:85], v[86:87]
	v_add_f64 v[84:85], v[80:81], -v[84:85]
	v_mul_f64 v[76:77], v[78:79], v[76:77]
	v_add_f64 v[84:85], v[86:87], -v[84:85]
	v_ldexp_f64 v[86:87], v[78:79], 1
	v_mul_f64 v[76:77], v[76:77], v[82:83]
	v_add_f64 v[78:79], v[86:87], v[76:77]
	v_add_f64 v[82:83], v[78:79], -v[86:87]
	v_ldexp_f64 v[74:75], v[74:75], 1
	v_add_f64 v[76:77], v[76:77], -v[82:83]
	v_add_f64 v[74:75], v[74:75], v[76:77]
	v_add_f64 v[76:77], v[78:79], v[74:75]
	v_add_f64 v[78:79], v[76:77], -v[78:79]
	v_add_f64 v[74:75], v[74:75], -v[78:79]
	v_add_f64 v[78:79], v[80:81], v[76:77]
	v_add_f64 v[82:83], v[78:79], -v[80:81]
	v_add_f64 v[86:87], v[78:79], -v[82:83]
	;; [unrolled: 1-line block ×4, first 2 shown]
	v_add_f64 v[76:77], v[76:77], v[80:81]
	v_add_f64 v[80:81], v[84:85], v[74:75]
	v_add_f64 v[82:83], v[80:81], -v[84:85]
	v_add_f64 v[76:77], v[80:81], v[76:77]
	v_add_f64 v[86:87], v[80:81], -v[82:83]
	;; [unrolled: 2-line block ×3, first 2 shown]
	v_add_f64 v[74:75], v[74:75], -v[82:83]
	v_add_f64 v[78:79], v[80:81], -v[78:79]
	v_add_f64 v[74:75], v[74:75], v[84:85]
	v_add_f64 v[76:77], v[76:77], -v[78:79]
	s_mov_b32 s62, 0
	v_add_f64 v[74:75], v[74:75], v[76:77]
	s_mov_b32 s63, 0x7ff00000
	v_add_f64 v[74:75], v[80:81], v[74:75]
	v_cmp_eq_f64_e64 s[62:63], s[62:63], v[32:33]
	s_nop 1
	v_cndmask_b32_e64 v35, v74, v32, s[62:63]
	v_cndmask_b32_e64 v74, v75, v33, s[62:63]
	v_mov_b32_e32 v75, 0x7ff80000
	v_cmp_ngt_f64_e64 s[62:63], -1.0, v[32:33]
	s_nop 1
	v_cndmask_b32_e64 v75, v75, v74, s[62:63]
	v_cmp_nge_f64_e64 s[62:63], -1.0, v[32:33]
	s_nop 1
	v_cndmask_b32_e64 v74, 0, v35, s[62:63]
	v_mov_b32_e32 v35, 0xfff00000
	v_cmp_neq_f64_e64 s[62:63], -1.0, v[32:33]
	s_nop 1
	v_cndmask_b32_e64 v75, v35, v75, s[62:63]
	v_add_f64 v[32:33], v[30:31], v[74:75]
.LBB60_95:
	s_or_b64 exec, exec, s[66:67]
	ds_read_b64 v[30:31], v1 offset:24
	v_max_f64 v[76:77], v[32:33], v[32:33]
	v_cmp_u_f64_e64 s[62:63], v[32:33], v[32:33]
	ds_write_b64 v1, v[32:33] offset:16
	s_waitcnt lgkmcnt(1)
	v_max_f64 v[78:79], v[30:31], v[30:31]
	v_min_f64 v[74:75], v[76:77], v[78:79]
	v_cndmask_b32_e64 v35, v74, v32, s[62:63]
	v_cndmask_b32_e64 v74, v75, v33, s[62:63]
	v_cmp_u_f64_e64 s[64:65], v[30:31], v[30:31]
	v_max_f64 v[76:77], v[76:77], v[78:79]
	s_nop 0
	v_cndmask_b32_e64 v75, v74, v31, s[64:65]
	v_cndmask_b32_e64 v74, v35, v30, s[64:65]
	;; [unrolled: 1-line block ×6, first 2 shown]
	v_cmp_neq_f64_e64 s[62:63], v[74:75], v[30:31]
	v_cmp_class_f64_e64 s[64:65], v[74:75], s33
	s_or_b64 s[62:63], s[62:63], s[64:65]
	s_and_saveexec_b64 s[66:67], s[62:63]
	s_cbranch_execz .LBB60_97
; %bb.96:
	s_mov_b32 s62, 0x652b82fe
	v_add_f64 v[32:33], v[74:75], -v[30:31]
	s_mov_b32 s63, 0x3ff71547
	v_mul_f64 v[74:75], v[32:33], s[62:63]
	v_rndne_f64_e32 v[74:75], v[74:75]
	s_mov_b32 s71, 0xbfe62e42
	s_mov_b32 s70, 0xfefa39ef
	v_fma_f64 v[76:77], s[70:71], v[74:75], v[32:33]
	s_mov_b32 s73, 0xbc7abc9e
	s_mov_b32 s72, 0x3b39803f
	;; [unrolled: 1-line block ×3, first 2 shown]
	v_fmac_f64_e32 v[76:77], s[72:73], v[74:75]
	v_mov_b32_e32 v78, 0xfca7ab0c
	v_mov_b32_e32 v79, 0x3e928af3
	s_mov_b32 s63, 0x3e5ade15
	v_fmac_f64_e32 v[78:79], s[62:63], v[76:77]
	v_mov_b32_e32 v80, 0x623fde64
	v_mov_b32_e32 v81, 0x3ec71dee
	v_fmac_f64_e32 v[80:81], v[76:77], v[78:79]
	v_mov_b32_e32 v78, 0x7c89e6b0
	v_mov_b32_e32 v79, 0x3efa0199
	;; [unrolled: 3-line block ×8, first 2 shown]
	v_fmac_f64_e32 v[78:79], v[76:77], v[80:81]
	v_fma_f64 v[78:79], v[76:77], v[78:79], 1.0
	s_mov_b32 s62, 0
	s_mov_b32 s64, 0
	v_fma_f64 v[76:77], v[76:77], v[78:79], 1.0
	v_cvt_i32_f64_e32 v35, v[74:75]
	s_mov_b32 s63, 0x40900000
	s_mov_b32 s65, 0xc090cc00
	v_ldexp_f64 v[74:75], v[76:77], v35
	v_mov_b32_e32 v35, 0x7ff00000
	v_cmp_nlt_f64_e64 s[62:63], s[62:63], v[32:33]
	v_cmp_ngt_f64_e64 s[64:65], s[64:65], v[32:33]
	s_mov_b32 s71, 0x3fe62e42
	v_cndmask_b32_e64 v35, v35, v75, s[62:63]
	s_and_b64 s[62:63], s[64:65], s[62:63]
	v_cndmask_b32_e64 v33, 0, v35, s[64:65]
	v_cndmask_b32_e64 v32, 0, v74, s[62:63]
	v_add_f64 v[74:75], v[32:33], 1.0
	v_add_f64 v[76:77], v[74:75], -1.0
	v_add_f64 v[78:79], v[76:77], -v[74:75]
	v_add_f64 v[78:79], v[78:79], 1.0
	v_add_f64 v[76:77], v[32:33], -v[76:77]
	s_mov_b32 s62, 0x55555555
	v_add_f64 v[76:77], v[76:77], v[78:79]
	v_frexp_mant_f64_e32 v[78:79], v[74:75]
	s_mov_b32 s63, 0x3fe55555
	v_frexp_exp_i32_f64_e32 v35, v[74:75]
	v_cmp_gt_f64_e64 s[62:63], s[62:63], v[78:79]
	s_mov_b32 s73, 0x3c7abc9e
	s_nop 0
	v_subbrev_co_u32_e64 v35, s[62:63], 0, v35, s[62:63]
	v_sub_u32_e32 v78, 0, v35
	v_ldexp_f64 v[74:75], v[74:75], v78
	v_ldexp_f64 v[76:77], v[76:77], v78
	v_add_f64 v[78:79], v[74:75], -1.0
	v_add_f64 v[84:85], v[74:75], 1.0
	v_add_f64 v[80:81], v[78:79], 1.0
	v_add_f64 v[86:87], v[84:85], -1.0
	v_add_f64 v[80:81], v[74:75], -v[80:81]
	v_add_f64 v[74:75], v[74:75], -v[86:87]
	v_add_f64 v[74:75], v[76:77], v[74:75]
	v_add_f64 v[80:81], v[76:77], v[80:81]
	;; [unrolled: 1-line block ×3, first 2 shown]
	v_rcp_f64_e32 v[86:87], v[76:77]
	v_add_f64 v[82:83], v[78:79], v[80:81]
	v_add_f64 v[78:79], v[82:83], -v[78:79]
	v_add_f64 v[78:79], v[80:81], -v[78:79]
	;; [unrolled: 1-line block ×4, first 2 shown]
	v_fma_f64 v[80:81], -v[76:77], v[86:87], 1.0
	v_fmac_f64_e32 v[86:87], v[80:81], v[86:87]
	v_fma_f64 v[80:81], -v[76:77], v[86:87], 1.0
	v_fmac_f64_e32 v[86:87], v[80:81], v[86:87]
	v_mul_f64 v[80:81], v[82:83], v[86:87]
	v_mul_f64 v[84:85], v[76:77], v[80:81]
	v_fma_f64 v[88:89], v[80:81], v[76:77], -v[84:85]
	v_fmac_f64_e32 v[88:89], v[80:81], v[74:75]
	v_add_f64 v[90:91], v[84:85], v[88:89]
	v_add_f64 v[92:93], v[82:83], -v[90:91]
	v_add_f64 v[82:83], v[82:83], -v[92:93]
	;; [unrolled: 1-line block ×4, first 2 shown]
	v_add_f64 v[78:79], v[78:79], v[82:83]
	v_add_f64 v[82:83], v[84:85], -v[88:89]
	v_add_f64 v[78:79], v[82:83], v[78:79]
	v_add_f64 v[82:83], v[92:93], v[78:79]
	v_add_f64 v[84:85], v[92:93], -v[82:83]
	v_add_f64 v[78:79], v[78:79], v[84:85]
	v_mul_f64 v[84:85], v[86:87], v[82:83]
	v_mul_f64 v[88:89], v[76:77], v[84:85]
	v_fma_f64 v[76:77], v[84:85], v[76:77], -v[88:89]
	v_fmac_f64_e32 v[76:77], v[84:85], v[74:75]
	v_add_f64 v[74:75], v[88:89], v[76:77]
	v_add_f64 v[90:91], v[82:83], -v[74:75]
	v_add_f64 v[82:83], v[82:83], -v[90:91]
	;; [unrolled: 1-line block ×4, first 2 shown]
	v_add_f64 v[74:75], v[78:79], v[74:75]
	v_add_f64 v[76:77], v[88:89], -v[76:77]
	v_add_f64 v[74:75], v[76:77], v[74:75]
	v_add_f64 v[76:77], v[80:81], v[84:85]
	;; [unrolled: 1-line block ×3, first 2 shown]
	v_add_f64 v[78:79], v[76:77], -v[80:81]
	v_mul_f64 v[74:75], v[86:87], v[74:75]
	v_add_f64 v[78:79], v[84:85], -v[78:79]
	v_add_f64 v[74:75], v[78:79], v[74:75]
	v_add_f64 v[78:79], v[76:77], v[74:75]
	v_add_f64 v[76:77], v[78:79], -v[76:77]
	s_mov_b32 s62, 0xbf559e2b
	v_add_f64 v[74:75], v[74:75], -v[76:77]
	v_mul_f64 v[76:77], v[78:79], v[78:79]
	v_mov_b32_e32 v80, 0x6b47b09a
	v_mov_b32_e32 v81, 0x3fc38538
	s_mov_b32 s63, 0x3fc3ab76
	v_fmac_f64_e32 v[80:81], s[62:63], v[76:77]
	v_mov_b32_e32 v82, 0xd7f4df2e
	v_mov_b32_e32 v83, 0x3fc7474d
	v_fmac_f64_e32 v[82:83], v[76:77], v[80:81]
	v_mov_b32_e32 v80, 0x16291751
	v_mov_b32_e32 v81, 0x3fcc71c0
	;; [unrolled: 3-line block ×5, first 2 shown]
	v_fmac_f64_e32 v[82:83], v[76:77], v[80:81]
	v_cvt_f64_i32_e32 v[80:81], v35
	v_mul_f64 v[84:85], v[80:81], s[70:71]
	v_fma_f64 v[86:87], v[80:81], s[70:71], -v[84:85]
	v_fmac_f64_e32 v[86:87], s[72:73], v[80:81]
	v_add_f64 v[80:81], v[84:85], v[86:87]
	v_add_f64 v[84:85], v[80:81], -v[84:85]
	v_mul_f64 v[76:77], v[78:79], v[76:77]
	v_add_f64 v[84:85], v[86:87], -v[84:85]
	v_ldexp_f64 v[86:87], v[78:79], 1
	v_mul_f64 v[76:77], v[76:77], v[82:83]
	v_add_f64 v[78:79], v[86:87], v[76:77]
	v_add_f64 v[82:83], v[78:79], -v[86:87]
	v_ldexp_f64 v[74:75], v[74:75], 1
	v_add_f64 v[76:77], v[76:77], -v[82:83]
	v_add_f64 v[74:75], v[74:75], v[76:77]
	v_add_f64 v[76:77], v[78:79], v[74:75]
	v_add_f64 v[78:79], v[76:77], -v[78:79]
	v_add_f64 v[74:75], v[74:75], -v[78:79]
	v_add_f64 v[78:79], v[80:81], v[76:77]
	v_add_f64 v[82:83], v[78:79], -v[80:81]
	v_add_f64 v[86:87], v[78:79], -v[82:83]
	;; [unrolled: 1-line block ×4, first 2 shown]
	v_add_f64 v[76:77], v[76:77], v[80:81]
	v_add_f64 v[80:81], v[84:85], v[74:75]
	v_add_f64 v[82:83], v[80:81], -v[84:85]
	v_add_f64 v[76:77], v[80:81], v[76:77]
	v_add_f64 v[86:87], v[80:81], -v[82:83]
	;; [unrolled: 2-line block ×3, first 2 shown]
	v_add_f64 v[74:75], v[74:75], -v[82:83]
	v_add_f64 v[78:79], v[80:81], -v[78:79]
	v_add_f64 v[74:75], v[74:75], v[84:85]
	v_add_f64 v[76:77], v[76:77], -v[78:79]
	s_mov_b32 s62, 0
	v_add_f64 v[74:75], v[74:75], v[76:77]
	s_mov_b32 s63, 0x7ff00000
	v_add_f64 v[74:75], v[80:81], v[74:75]
	v_cmp_eq_f64_e64 s[62:63], s[62:63], v[32:33]
	s_nop 1
	v_cndmask_b32_e64 v35, v74, v32, s[62:63]
	v_cndmask_b32_e64 v74, v75, v33, s[62:63]
	v_mov_b32_e32 v75, 0x7ff80000
	v_cmp_ngt_f64_e64 s[62:63], -1.0, v[32:33]
	s_nop 1
	v_cndmask_b32_e64 v75, v75, v74, s[62:63]
	v_cmp_nge_f64_e64 s[62:63], -1.0, v[32:33]
	s_nop 1
	v_cndmask_b32_e64 v74, 0, v35, s[62:63]
	v_mov_b32_e32 v35, 0xfff00000
	v_cmp_neq_f64_e64 s[62:63], -1.0, v[32:33]
	s_nop 1
	v_cndmask_b32_e64 v75, v35, v75, s[62:63]
	v_add_f64 v[32:33], v[30:31], v[74:75]
.LBB60_97:
	s_or_b64 exec, exec, s[66:67]
	ds_write_b64 v1, v[32:33] offset:24
.LBB60_98:
	s_or_b64 exec, exec, s[68:69]
	s_load_dwordx2 s[62:63], s[0:1], 0x20
	v_mul_u32_u24_e32 v35, 0x70, v0
	v_cmp_ne_u32_e64 s[0:1], 0, v0
	s_waitcnt lgkmcnt(0)
	s_barrier
	s_and_saveexec_b64 s[64:65], s[0:1]
	s_cbranch_execz .LBB60_100
; %bb.99:
	v_add_u32_e32 v0, -1, v0
	v_lshrrev_b32_e32 v1, 5, v0
	v_add_lshl_u32 v0, v1, v0, 3
	ds_read_b64 v[72:73], v0
.LBB60_100:
	s_or_b64 exec, exec, s[64:65]
	s_and_saveexec_b64 s[64:65], s[0:1]
	s_cbranch_execz .LBB60_104
; %bb.101:
	s_waitcnt lgkmcnt(0)
	v_max_f64 v[0:1], v[72:73], v[72:73]
	v_min_f64 v[30:31], v[0:1], v[68:69]
	v_cmp_u_f64_e64 s[0:1], v[72:73], v[72:73]
	v_max_f64 v[0:1], v[0:1], v[68:69]
	s_nop 0
	v_cndmask_b32_e64 v30, v30, v72, s[0:1]
	v_cndmask_b32_e64 v31, v31, v73, s[0:1]
	v_cndmask_b32_e64 v0, v0, v72, s[0:1]
	v_cndmask_b32_e64 v1, v1, v73, s[0:1]
	v_cndmask_b32_e64 v31, v31, v3, s[60:61]
	v_cndmask_b32_e64 v30, v30, v2, s[60:61]
	v_cndmask_b32_e64 v1, v1, v3, s[60:61]
	v_cndmask_b32_e64 v0, v0, v2, s[60:61]
	v_cmp_neq_f64_e64 s[0:1], v[30:31], v[0:1]
	v_cmp_class_f64_e64 s[60:61], v[30:31], s33
	s_or_b64 s[0:1], s[0:1], s[60:61]
	s_and_saveexec_b64 s[66:67], s[0:1]
	s_cbranch_execz .LBB60_103
; %bb.102:
	s_mov_b32 s0, 0x652b82fe
	v_add_f64 v[2:3], v[30:31], -v[0:1]
	s_mov_b32 s1, 0x3ff71547
	v_mul_f64 v[30:31], v[2:3], s[0:1]
	v_rndne_f64_e32 v[30:31], v[30:31]
	s_mov_b32 s69, 0xbfe62e42
	s_mov_b32 s68, 0xfefa39ef
	v_fma_f64 v[32:33], s[68:69], v[30:31], v[2:3]
	s_mov_b32 s71, 0xbc7abc9e
	s_mov_b32 s70, 0x3b39803f
	s_mov_b32 s0, 0x6a5dcb37
	v_fmac_f64_e32 v[32:33], s[70:71], v[30:31]
	v_mov_b32_e32 v66, 0xfca7ab0c
	v_mov_b32_e32 v67, 0x3e928af3
	s_mov_b32 s1, 0x3e5ade15
	v_fmac_f64_e32 v[66:67], s[0:1], v[32:33]
	v_mov_b32_e32 v68, 0x623fde64
	v_mov_b32_e32 v69, 0x3ec71dee
	v_fmac_f64_e32 v[68:69], v[32:33], v[66:67]
	v_mov_b32_e32 v66, 0x7c89e6b0
	v_mov_b32_e32 v67, 0x3efa0199
	;; [unrolled: 3-line block ×8, first 2 shown]
	v_fmac_f64_e32 v[66:67], v[32:33], v[68:69]
	v_fma_f64 v[66:67], v[32:33], v[66:67], 1.0
	s_mov_b32 s0, 0
	s_mov_b32 s60, 0
	v_fma_f64 v[32:33], v[32:33], v[66:67], 1.0
	v_cvt_i32_f64_e32 v30, v[30:31]
	s_mov_b32 s1, 0x40900000
	s_mov_b32 s61, 0xc090cc00
	v_ldexp_f64 v[30:31], v[32:33], v30
	v_mov_b32_e32 v32, 0x7ff00000
	v_cmp_nlt_f64_e64 s[0:1], s[0:1], v[2:3]
	v_cmp_ngt_f64_e64 s[60:61], s[60:61], v[2:3]
	s_mov_b32 s69, 0x3fe62e42
	v_cndmask_b32_e64 v31, v32, v31, s[0:1]
	s_and_b64 s[0:1], s[60:61], s[0:1]
	v_cndmask_b32_e64 v3, 0, v31, s[60:61]
	v_cndmask_b32_e64 v2, 0, v30, s[0:1]
	v_add_f64 v[30:31], v[2:3], 1.0
	v_add_f64 v[32:33], v[30:31], -1.0
	v_add_f64 v[66:67], v[32:33], -v[30:31]
	v_add_f64 v[66:67], v[66:67], 1.0
	v_add_f64 v[32:33], v[2:3], -v[32:33]
	s_mov_b32 s0, 0x55555555
	v_add_f64 v[32:33], v[32:33], v[66:67]
	v_frexp_mant_f64_e32 v[66:67], v[30:31]
	s_mov_b32 s1, 0x3fe55555
	v_frexp_exp_i32_f64_e32 v68, v[30:31]
	v_cmp_gt_f64_e64 s[0:1], s[0:1], v[66:67]
	s_mov_b32 s71, 0x3c7abc9e
	s_nop 0
	v_subbrev_co_u32_e64 v82, s[0:1], 0, v68, s[0:1]
	v_sub_u32_e32 v66, 0, v82
	v_ldexp_f64 v[30:31], v[30:31], v66
	v_ldexp_f64 v[32:33], v[32:33], v66
	v_add_f64 v[66:67], v[30:31], -1.0
	v_add_f64 v[72:73], v[30:31], 1.0
	v_add_f64 v[68:69], v[66:67], 1.0
	v_add_f64 v[74:75], v[72:73], -1.0
	v_add_f64 v[68:69], v[30:31], -v[68:69]
	v_add_f64 v[30:31], v[30:31], -v[74:75]
	v_add_f64 v[30:31], v[32:33], v[30:31]
	v_add_f64 v[68:69], v[32:33], v[68:69]
	;; [unrolled: 1-line block ×3, first 2 shown]
	v_rcp_f64_e32 v[74:75], v[32:33]
	v_add_f64 v[70:71], v[66:67], v[68:69]
	v_add_f64 v[66:67], v[70:71], -v[66:67]
	v_add_f64 v[66:67], v[68:69], -v[66:67]
	;; [unrolled: 1-line block ×4, first 2 shown]
	v_fma_f64 v[68:69], -v[32:33], v[74:75], 1.0
	v_fmac_f64_e32 v[74:75], v[68:69], v[74:75]
	v_fma_f64 v[68:69], -v[32:33], v[74:75], 1.0
	v_fmac_f64_e32 v[74:75], v[68:69], v[74:75]
	v_mul_f64 v[68:69], v[70:71], v[74:75]
	v_mul_f64 v[72:73], v[32:33], v[68:69]
	v_fma_f64 v[76:77], v[68:69], v[32:33], -v[72:73]
	v_fmac_f64_e32 v[76:77], v[68:69], v[30:31]
	v_add_f64 v[78:79], v[72:73], v[76:77]
	v_add_f64 v[80:81], v[70:71], -v[78:79]
	v_add_f64 v[70:71], v[70:71], -v[80:81]
	;; [unrolled: 1-line block ×4, first 2 shown]
	v_add_f64 v[66:67], v[66:67], v[70:71]
	v_add_f64 v[70:71], v[72:73], -v[76:77]
	v_add_f64 v[66:67], v[70:71], v[66:67]
	v_add_f64 v[70:71], v[80:81], v[66:67]
	v_add_f64 v[72:73], v[80:81], -v[70:71]
	v_add_f64 v[66:67], v[66:67], v[72:73]
	v_mul_f64 v[72:73], v[74:75], v[70:71]
	v_mul_f64 v[76:77], v[32:33], v[72:73]
	v_fma_f64 v[32:33], v[72:73], v[32:33], -v[76:77]
	v_fmac_f64_e32 v[32:33], v[72:73], v[30:31]
	v_add_f64 v[30:31], v[76:77], v[32:33]
	v_add_f64 v[78:79], v[70:71], -v[30:31]
	v_add_f64 v[70:71], v[70:71], -v[78:79]
	;; [unrolled: 1-line block ×4, first 2 shown]
	v_add_f64 v[30:31], v[66:67], v[30:31]
	v_add_f64 v[32:33], v[76:77], -v[32:33]
	v_add_f64 v[30:31], v[32:33], v[30:31]
	v_add_f64 v[32:33], v[68:69], v[72:73]
	;; [unrolled: 1-line block ×3, first 2 shown]
	v_add_f64 v[66:67], v[32:33], -v[68:69]
	v_mul_f64 v[30:31], v[74:75], v[30:31]
	v_add_f64 v[66:67], v[72:73], -v[66:67]
	v_add_f64 v[30:31], v[66:67], v[30:31]
	v_add_f64 v[66:67], v[32:33], v[30:31]
	v_add_f64 v[32:33], v[66:67], -v[32:33]
	s_mov_b32 s0, 0xbf559e2b
	v_add_f64 v[30:31], v[30:31], -v[32:33]
	v_mul_f64 v[32:33], v[66:67], v[66:67]
	v_mov_b32_e32 v68, 0x6b47b09a
	v_mov_b32_e32 v69, 0x3fc38538
	s_mov_b32 s1, 0x3fc3ab76
	v_fmac_f64_e32 v[68:69], s[0:1], v[32:33]
	v_mov_b32_e32 v70, 0xd7f4df2e
	v_mov_b32_e32 v71, 0x3fc7474d
	v_fmac_f64_e32 v[70:71], v[32:33], v[68:69]
	v_mov_b32_e32 v68, 0x16291751
	v_mov_b32_e32 v69, 0x3fcc71c0
	;; [unrolled: 3-line block ×5, first 2 shown]
	v_fmac_f64_e32 v[70:71], v[32:33], v[68:69]
	v_cvt_f64_i32_e32 v[68:69], v82
	v_mul_f64 v[72:73], v[68:69], s[68:69]
	v_fma_f64 v[74:75], v[68:69], s[68:69], -v[72:73]
	v_fmac_f64_e32 v[74:75], s[70:71], v[68:69]
	v_add_f64 v[68:69], v[72:73], v[74:75]
	v_add_f64 v[72:73], v[68:69], -v[72:73]
	v_mul_f64 v[32:33], v[66:67], v[32:33]
	v_add_f64 v[72:73], v[74:75], -v[72:73]
	v_ldexp_f64 v[74:75], v[66:67], 1
	v_mul_f64 v[32:33], v[32:33], v[70:71]
	v_add_f64 v[66:67], v[74:75], v[32:33]
	v_add_f64 v[70:71], v[66:67], -v[74:75]
	v_ldexp_f64 v[30:31], v[30:31], 1
	v_add_f64 v[32:33], v[32:33], -v[70:71]
	v_add_f64 v[30:31], v[30:31], v[32:33]
	v_add_f64 v[32:33], v[66:67], v[30:31]
	v_add_f64 v[66:67], v[32:33], -v[66:67]
	v_add_f64 v[30:31], v[30:31], -v[66:67]
	v_add_f64 v[66:67], v[68:69], v[32:33]
	v_add_f64 v[70:71], v[66:67], -v[68:69]
	v_add_f64 v[74:75], v[66:67], -v[70:71]
	;; [unrolled: 1-line block ×4, first 2 shown]
	v_add_f64 v[32:33], v[32:33], v[68:69]
	v_add_f64 v[68:69], v[72:73], v[30:31]
	v_add_f64 v[70:71], v[68:69], -v[72:73]
	v_add_f64 v[32:33], v[68:69], v[32:33]
	v_add_f64 v[74:75], v[68:69], -v[70:71]
	;; [unrolled: 2-line block ×3, first 2 shown]
	v_add_f64 v[30:31], v[30:31], -v[70:71]
	v_add_f64 v[66:67], v[68:69], -v[66:67]
	v_add_f64 v[30:31], v[30:31], v[72:73]
	v_add_f64 v[32:33], v[32:33], -v[66:67]
	s_mov_b32 s0, 0
	v_add_f64 v[30:31], v[30:31], v[32:33]
	s_mov_b32 s1, 0x7ff00000
	v_add_f64 v[30:31], v[68:69], v[30:31]
	v_cmp_eq_f64_e64 s[0:1], s[0:1], v[2:3]
	v_mov_b32_e32 v32, 0x7ff80000
	s_nop 0
	v_cndmask_b32_e64 v30, v30, v2, s[0:1]
	v_cndmask_b32_e64 v31, v31, v3, s[0:1]
	v_cmp_ngt_f64_e64 s[0:1], -1.0, v[2:3]
	s_nop 1
	v_cndmask_b32_e64 v31, v32, v31, s[0:1]
	v_cmp_nge_f64_e64 s[0:1], -1.0, v[2:3]
	v_mov_b32_e32 v32, 0xfff00000
	s_nop 0
	v_cndmask_b32_e64 v30, 0, v30, s[0:1]
	v_cmp_neq_f64_e64 s[0:1], -1.0, v[2:3]
	s_nop 1
	v_cndmask_b32_e64 v31, v32, v31, s[0:1]
	v_add_f64 v[72:73], v[0:1], v[30:31]
.LBB60_103:
	s_or_b64 exec, exec, s[66:67]
	v_max_f64 v[0:1], v[72:73], v[72:73]
	v_min_f64 v[66:67], v[0:1], v[42:43]
	v_max_f64 v[70:71], v[0:1], v[42:43]
	v_mov_b64_e32 v[2:3], v[72:73]
	;;#ASMSTART
	;;#ASMEND
.LBB60_104:
	s_or_b64 exec, exec, s[64:65]
	v_cmp_u_f64_e64 s[0:1], v[2:3], v[2:3]
	s_nop 1
	v_cndmask_b32_e64 v0, v66, v2, s[0:1]
	v_cndmask_b32_e64 v1, v67, v3, s[0:1]
	v_cndmask_b32_e64 v31, v1, v5, s[28:29]
	v_cndmask_b32_e64 v30, v0, v4, s[28:29]
	v_cndmask_b32_e64 v0, v70, v2, s[0:1]
	v_cndmask_b32_e64 v1, v71, v3, s[0:1]
	v_cndmask_b32_e64 v5, v1, v5, s[28:29]
	v_cndmask_b32_e64 v4, v0, v4, s[28:29]
	v_cmp_neq_f64_e64 s[0:1], v[30:31], v[4:5]
	v_cmp_class_f64_e64 s[28:29], v[30:31], s33
	s_or_b64 s[0:1], s[0:1], s[28:29]
	v_mov_b64_e32 v[0:1], v[2:3]
	s_and_saveexec_b64 s[60:61], s[0:1]
	s_cbranch_execz .LBB60_106
; %bb.105:
	s_mov_b32 s0, 0x652b82fe
	v_add_f64 v[0:1], v[30:31], -v[4:5]
	s_mov_b32 s1, 0x3ff71547
	v_mul_f64 v[30:31], v[0:1], s[0:1]
	v_rndne_f64_e32 v[30:31], v[30:31]
	s_mov_b32 s65, 0xbfe62e42
	s_mov_b32 s64, 0xfefa39ef
	v_fma_f64 v[32:33], s[64:65], v[30:31], v[0:1]
	s_mov_b32 s67, 0xbc7abc9e
	s_mov_b32 s66, 0x3b39803f
	;; [unrolled: 1-line block ×3, first 2 shown]
	v_fmac_f64_e32 v[32:33], s[66:67], v[30:31]
	v_mov_b32_e32 v42, 0xfca7ab0c
	v_mov_b32_e32 v43, 0x3e928af3
	s_mov_b32 s1, 0x3e5ade15
	v_fmac_f64_e32 v[42:43], s[0:1], v[32:33]
	v_mov_b32_e32 v66, 0x623fde64
	v_mov_b32_e32 v67, 0x3ec71dee
	v_fmac_f64_e32 v[66:67], v[32:33], v[42:43]
	v_mov_b32_e32 v42, 0x7c89e6b0
	v_mov_b32_e32 v43, 0x3efa0199
	;; [unrolled: 3-line block ×8, first 2 shown]
	v_fmac_f64_e32 v[42:43], v[32:33], v[66:67]
	v_fma_f64 v[42:43], v[32:33], v[42:43], 1.0
	s_mov_b32 s0, 0
	s_mov_b32 s28, 0
	v_fma_f64 v[32:33], v[32:33], v[42:43], 1.0
	v_cvt_i32_f64_e32 v30, v[30:31]
	s_mov_b32 s1, 0x40900000
	s_mov_b32 s29, 0xc090cc00
	v_ldexp_f64 v[30:31], v[32:33], v30
	v_mov_b32_e32 v32, 0x7ff00000
	v_cmp_nlt_f64_e64 s[0:1], s[0:1], v[0:1]
	v_cmp_ngt_f64_e64 s[28:29], s[28:29], v[0:1]
	s_mov_b32 s65, 0x3fe62e42
	v_cndmask_b32_e64 v31, v32, v31, s[0:1]
	s_and_b64 s[0:1], s[28:29], s[0:1]
	v_cndmask_b32_e64 v1, 0, v31, s[28:29]
	v_cndmask_b32_e64 v0, 0, v30, s[0:1]
	v_add_f64 v[30:31], v[0:1], 1.0
	v_add_f64 v[32:33], v[30:31], -1.0
	v_add_f64 v[42:43], v[32:33], -v[30:31]
	v_add_f64 v[42:43], v[42:43], 1.0
	v_add_f64 v[32:33], v[0:1], -v[32:33]
	s_mov_b32 s0, 0x55555555
	v_add_f64 v[32:33], v[32:33], v[42:43]
	v_frexp_mant_f64_e32 v[42:43], v[30:31]
	s_mov_b32 s1, 0x3fe55555
	v_frexp_exp_i32_f64_e32 v66, v[30:31]
	v_cmp_gt_f64_e64 s[0:1], s[0:1], v[42:43]
	s_mov_b32 s67, 0x3c7abc9e
	s_nop 0
	v_subbrev_co_u32_e64 v80, s[0:1], 0, v66, s[0:1]
	v_sub_u32_e32 v42, 0, v80
	v_ldexp_f64 v[30:31], v[30:31], v42
	v_ldexp_f64 v[32:33], v[32:33], v42
	v_add_f64 v[42:43], v[30:31], -1.0
	v_add_f64 v[70:71], v[30:31], 1.0
	v_add_f64 v[66:67], v[42:43], 1.0
	s_waitcnt lgkmcnt(0)
	v_add_f64 v[72:73], v[70:71], -1.0
	v_add_f64 v[66:67], v[30:31], -v[66:67]
	v_add_f64 v[30:31], v[30:31], -v[72:73]
	v_add_f64 v[30:31], v[32:33], v[30:31]
	v_add_f64 v[66:67], v[32:33], v[66:67]
	v_add_f64 v[32:33], v[70:71], v[30:31]
	v_rcp_f64_e32 v[72:73], v[32:33]
	v_add_f64 v[68:69], v[42:43], v[66:67]
	v_add_f64 v[42:43], v[68:69], -v[42:43]
	v_add_f64 v[42:43], v[66:67], -v[42:43]
	;; [unrolled: 1-line block ×4, first 2 shown]
	v_fma_f64 v[66:67], -v[32:33], v[72:73], 1.0
	v_fmac_f64_e32 v[72:73], v[66:67], v[72:73]
	v_fma_f64 v[66:67], -v[32:33], v[72:73], 1.0
	v_fmac_f64_e32 v[72:73], v[66:67], v[72:73]
	v_mul_f64 v[66:67], v[68:69], v[72:73]
	v_mul_f64 v[70:71], v[32:33], v[66:67]
	v_fma_f64 v[74:75], v[66:67], v[32:33], -v[70:71]
	v_fmac_f64_e32 v[74:75], v[66:67], v[30:31]
	v_add_f64 v[76:77], v[70:71], v[74:75]
	v_add_f64 v[78:79], v[68:69], -v[76:77]
	v_add_f64 v[68:69], v[68:69], -v[78:79]
	;; [unrolled: 1-line block ×4, first 2 shown]
	v_add_f64 v[42:43], v[42:43], v[68:69]
	v_add_f64 v[68:69], v[70:71], -v[74:75]
	v_add_f64 v[42:43], v[68:69], v[42:43]
	v_add_f64 v[68:69], v[78:79], v[42:43]
	v_add_f64 v[70:71], v[78:79], -v[68:69]
	v_add_f64 v[42:43], v[42:43], v[70:71]
	v_mul_f64 v[70:71], v[72:73], v[68:69]
	v_mul_f64 v[74:75], v[32:33], v[70:71]
	v_fma_f64 v[32:33], v[70:71], v[32:33], -v[74:75]
	v_fmac_f64_e32 v[32:33], v[70:71], v[30:31]
	v_add_f64 v[30:31], v[74:75], v[32:33]
	v_add_f64 v[76:77], v[68:69], -v[30:31]
	v_add_f64 v[68:69], v[68:69], -v[76:77]
	v_add_f64 v[74:75], v[30:31], -v[74:75]
	v_add_f64 v[30:31], v[68:69], -v[30:31]
	v_add_f64 v[30:31], v[42:43], v[30:31]
	v_add_f64 v[32:33], v[74:75], -v[32:33]
	v_add_f64 v[30:31], v[32:33], v[30:31]
	v_add_f64 v[32:33], v[66:67], v[70:71]
	;; [unrolled: 1-line block ×3, first 2 shown]
	v_add_f64 v[42:43], v[32:33], -v[66:67]
	v_mul_f64 v[30:31], v[72:73], v[30:31]
	v_add_f64 v[42:43], v[70:71], -v[42:43]
	v_add_f64 v[30:31], v[42:43], v[30:31]
	v_add_f64 v[42:43], v[32:33], v[30:31]
	v_add_f64 v[32:33], v[42:43], -v[32:33]
	s_mov_b32 s0, 0xbf559e2b
	v_add_f64 v[30:31], v[30:31], -v[32:33]
	v_mul_f64 v[32:33], v[42:43], v[42:43]
	v_mov_b32_e32 v66, 0x6b47b09a
	v_mov_b32_e32 v67, 0x3fc38538
	s_mov_b32 s1, 0x3fc3ab76
	v_fmac_f64_e32 v[66:67], s[0:1], v[32:33]
	v_mov_b32_e32 v68, 0xd7f4df2e
	v_mov_b32_e32 v69, 0x3fc7474d
	v_fmac_f64_e32 v[68:69], v[32:33], v[66:67]
	v_mov_b32_e32 v66, 0x16291751
	v_mov_b32_e32 v67, 0x3fcc71c0
	;; [unrolled: 3-line block ×5, first 2 shown]
	v_fmac_f64_e32 v[68:69], v[32:33], v[66:67]
	v_cvt_f64_i32_e32 v[66:67], v80
	v_mul_f64 v[70:71], v[66:67], s[64:65]
	v_fma_f64 v[72:73], v[66:67], s[64:65], -v[70:71]
	v_fmac_f64_e32 v[72:73], s[66:67], v[66:67]
	v_add_f64 v[66:67], v[70:71], v[72:73]
	v_add_f64 v[70:71], v[66:67], -v[70:71]
	v_mul_f64 v[32:33], v[42:43], v[32:33]
	v_add_f64 v[70:71], v[72:73], -v[70:71]
	v_ldexp_f64 v[72:73], v[42:43], 1
	v_mul_f64 v[32:33], v[32:33], v[68:69]
	v_add_f64 v[42:43], v[72:73], v[32:33]
	v_add_f64 v[68:69], v[42:43], -v[72:73]
	v_ldexp_f64 v[30:31], v[30:31], 1
	v_add_f64 v[32:33], v[32:33], -v[68:69]
	v_add_f64 v[30:31], v[30:31], v[32:33]
	v_add_f64 v[32:33], v[42:43], v[30:31]
	v_add_f64 v[42:43], v[32:33], -v[42:43]
	v_add_f64 v[30:31], v[30:31], -v[42:43]
	v_add_f64 v[42:43], v[66:67], v[32:33]
	v_add_f64 v[68:69], v[42:43], -v[66:67]
	v_add_f64 v[72:73], v[42:43], -v[68:69]
	;; [unrolled: 1-line block ×4, first 2 shown]
	v_add_f64 v[32:33], v[32:33], v[66:67]
	v_add_f64 v[66:67], v[70:71], v[30:31]
	v_add_f64 v[68:69], v[66:67], -v[70:71]
	v_add_f64 v[32:33], v[66:67], v[32:33]
	v_add_f64 v[72:73], v[66:67], -v[68:69]
	;; [unrolled: 2-line block ×3, first 2 shown]
	v_add_f64 v[30:31], v[30:31], -v[68:69]
	v_add_f64 v[42:43], v[66:67], -v[42:43]
	v_add_f64 v[30:31], v[30:31], v[70:71]
	v_add_f64 v[32:33], v[32:33], -v[42:43]
	s_mov_b32 s0, 0
	v_add_f64 v[30:31], v[30:31], v[32:33]
	s_mov_b32 s1, 0x7ff00000
	v_add_f64 v[30:31], v[66:67], v[30:31]
	v_cmp_eq_f64_e64 s[0:1], s[0:1], v[0:1]
	v_mov_b32_e32 v32, 0x7ff80000
	s_nop 0
	v_cndmask_b32_e64 v30, v30, v0, s[0:1]
	v_cndmask_b32_e64 v31, v31, v1, s[0:1]
	v_cmp_ngt_f64_e64 s[0:1], -1.0, v[0:1]
	s_nop 1
	v_cndmask_b32_e64 v31, v32, v31, s[0:1]
	v_cmp_nge_f64_e64 s[0:1], -1.0, v[0:1]
	v_mov_b32_e32 v32, 0xfff00000
	s_nop 0
	v_cndmask_b32_e64 v30, 0, v30, s[0:1]
	v_cmp_neq_f64_e64 s[0:1], -1.0, v[0:1]
	s_nop 1
	v_cndmask_b32_e64 v31, v32, v31, s[0:1]
	v_add_f64 v[0:1], v[4:5], v[30:31]
.LBB60_106:
	s_or_b64 exec, exec, s[60:61]
	v_max_f64 v[4:5], v[0:1], v[0:1]
	v_min_f64 v[30:31], v[4:5], v[38:39]
	v_cmp_u_f64_e64 s[0:1], v[0:1], v[0:1]
	v_max_f64 v[4:5], v[4:5], v[38:39]
	s_nop 0
	v_cndmask_b32_e64 v30, v30, v0, s[0:1]
	v_cndmask_b32_e64 v31, v31, v1, s[0:1]
	;; [unrolled: 1-line block ×8, first 2 shown]
	v_cmp_neq_f64_e64 s[0:1], v[30:31], v[26:27]
	v_cmp_class_f64_e64 s[28:29], v[30:31], s33
	s_or_b64 s[0:1], s[0:1], s[28:29]
	v_mov_b64_e32 v[4:5], v[0:1]
	s_and_saveexec_b64 s[30:31], s[0:1]
	s_cbranch_execz .LBB60_108
; %bb.107:
	s_mov_b32 s0, 0x652b82fe
	v_add_f64 v[4:5], v[30:31], -v[26:27]
	s_mov_b32 s1, 0x3ff71547
	v_mul_f64 v[30:31], v[4:5], s[0:1]
	v_rndne_f64_e32 v[30:31], v[30:31]
	s_mov_b32 s61, 0xbfe62e42
	s_mov_b32 s60, 0xfefa39ef
	v_fma_f64 v[32:33], s[60:61], v[30:31], v[4:5]
	s_mov_b32 s65, 0xbc7abc9e
	s_mov_b32 s64, 0x3b39803f
	;; [unrolled: 1-line block ×3, first 2 shown]
	v_fmac_f64_e32 v[32:33], s[64:65], v[30:31]
	v_mov_b32_e32 v38, 0xfca7ab0c
	v_mov_b32_e32 v39, 0x3e928af3
	s_mov_b32 s1, 0x3e5ade15
	v_fmac_f64_e32 v[38:39], s[0:1], v[32:33]
	v_mov_b32_e32 v42, 0x623fde64
	v_mov_b32_e32 v43, 0x3ec71dee
	v_fmac_f64_e32 v[42:43], v[32:33], v[38:39]
	v_mov_b32_e32 v38, 0x7c89e6b0
	v_mov_b32_e32 v39, 0x3efa0199
	;; [unrolled: 3-line block ×8, first 2 shown]
	v_fmac_f64_e32 v[38:39], v[32:33], v[42:43]
	v_fma_f64 v[38:39], v[32:33], v[38:39], 1.0
	s_mov_b32 s0, 0
	s_mov_b32 s28, 0
	v_fma_f64 v[32:33], v[32:33], v[38:39], 1.0
	v_cvt_i32_f64_e32 v30, v[30:31]
	s_mov_b32 s1, 0x40900000
	s_mov_b32 s29, 0xc090cc00
	v_ldexp_f64 v[30:31], v[32:33], v30
	v_mov_b32_e32 v32, 0x7ff00000
	v_cmp_nlt_f64_e64 s[0:1], s[0:1], v[4:5]
	v_cmp_ngt_f64_e64 s[28:29], s[28:29], v[4:5]
	s_mov_b32 s61, 0x3fe62e42
	v_cndmask_b32_e64 v31, v32, v31, s[0:1]
	s_and_b64 s[0:1], s[28:29], s[0:1]
	v_cndmask_b32_e64 v5, 0, v31, s[28:29]
	v_cndmask_b32_e64 v4, 0, v30, s[0:1]
	v_add_f64 v[30:31], v[4:5], 1.0
	v_add_f64 v[32:33], v[30:31], -1.0
	v_add_f64 v[38:39], v[32:33], -v[30:31]
	v_add_f64 v[38:39], v[38:39], 1.0
	v_add_f64 v[32:33], v[4:5], -v[32:33]
	s_mov_b32 s0, 0x55555555
	v_add_f64 v[32:33], v[32:33], v[38:39]
	v_frexp_mant_f64_e32 v[38:39], v[30:31]
	s_mov_b32 s1, 0x3fe55555
	v_frexp_exp_i32_f64_e32 v42, v[30:31]
	v_cmp_gt_f64_e64 s[0:1], s[0:1], v[38:39]
	s_mov_b32 s65, 0x3c7abc9e
	s_nop 0
	v_subbrev_co_u32_e64 v78, s[0:1], 0, v42, s[0:1]
	v_sub_u32_e32 v38, 0, v78
	v_ldexp_f64 v[30:31], v[30:31], v38
	v_ldexp_f64 v[32:33], v[32:33], v38
	v_add_f64 v[38:39], v[30:31], -1.0
	v_add_f64 v[68:69], v[30:31], 1.0
	v_add_f64 v[42:43], v[38:39], 1.0
	v_add_f64 v[70:71], v[68:69], -1.0
	v_add_f64 v[42:43], v[30:31], -v[42:43]
	v_add_f64 v[30:31], v[30:31], -v[70:71]
	v_add_f64 v[30:31], v[32:33], v[30:31]
	v_add_f64 v[42:43], v[32:33], v[42:43]
	;; [unrolled: 1-line block ×3, first 2 shown]
	v_rcp_f64_e32 v[70:71], v[32:33]
	v_add_f64 v[66:67], v[38:39], v[42:43]
	v_add_f64 v[38:39], v[66:67], -v[38:39]
	v_add_f64 v[38:39], v[42:43], -v[38:39]
	;; [unrolled: 1-line block ×4, first 2 shown]
	v_fma_f64 v[42:43], -v[32:33], v[70:71], 1.0
	v_fmac_f64_e32 v[70:71], v[42:43], v[70:71]
	v_fma_f64 v[42:43], -v[32:33], v[70:71], 1.0
	v_fmac_f64_e32 v[70:71], v[42:43], v[70:71]
	v_mul_f64 v[42:43], v[66:67], v[70:71]
	v_mul_f64 v[68:69], v[32:33], v[42:43]
	s_waitcnt lgkmcnt(0)
	v_fma_f64 v[72:73], v[42:43], v[32:33], -v[68:69]
	v_fmac_f64_e32 v[72:73], v[42:43], v[30:31]
	v_add_f64 v[74:75], v[68:69], v[72:73]
	v_add_f64 v[76:77], v[66:67], -v[74:75]
	v_add_f64 v[66:67], v[66:67], -v[76:77]
	;; [unrolled: 1-line block ×4, first 2 shown]
	v_add_f64 v[38:39], v[38:39], v[66:67]
	v_add_f64 v[66:67], v[68:69], -v[72:73]
	v_add_f64 v[38:39], v[66:67], v[38:39]
	v_add_f64 v[66:67], v[76:77], v[38:39]
	v_add_f64 v[68:69], v[76:77], -v[66:67]
	v_add_f64 v[38:39], v[38:39], v[68:69]
	v_mul_f64 v[68:69], v[70:71], v[66:67]
	v_mul_f64 v[72:73], v[32:33], v[68:69]
	v_fma_f64 v[32:33], v[68:69], v[32:33], -v[72:73]
	v_fmac_f64_e32 v[32:33], v[68:69], v[30:31]
	v_add_f64 v[30:31], v[72:73], v[32:33]
	v_add_f64 v[74:75], v[66:67], -v[30:31]
	v_add_f64 v[66:67], v[66:67], -v[74:75]
	;; [unrolled: 1-line block ×4, first 2 shown]
	v_add_f64 v[30:31], v[38:39], v[30:31]
	v_add_f64 v[32:33], v[72:73], -v[32:33]
	v_add_f64 v[30:31], v[32:33], v[30:31]
	v_add_f64 v[32:33], v[42:43], v[68:69]
	;; [unrolled: 1-line block ×3, first 2 shown]
	v_add_f64 v[38:39], v[32:33], -v[42:43]
	v_mul_f64 v[30:31], v[70:71], v[30:31]
	v_add_f64 v[38:39], v[68:69], -v[38:39]
	v_add_f64 v[30:31], v[38:39], v[30:31]
	v_add_f64 v[38:39], v[32:33], v[30:31]
	v_add_f64 v[32:33], v[38:39], -v[32:33]
	s_mov_b32 s0, 0xbf559e2b
	v_add_f64 v[30:31], v[30:31], -v[32:33]
	v_mul_f64 v[32:33], v[38:39], v[38:39]
	v_mov_b32_e32 v42, 0x6b47b09a
	v_mov_b32_e32 v43, 0x3fc38538
	s_mov_b32 s1, 0x3fc3ab76
	v_fmac_f64_e32 v[42:43], s[0:1], v[32:33]
	v_mov_b32_e32 v66, 0xd7f4df2e
	v_mov_b32_e32 v67, 0x3fc7474d
	v_fmac_f64_e32 v[66:67], v[32:33], v[42:43]
	v_mov_b32_e32 v42, 0x16291751
	v_mov_b32_e32 v43, 0x3fcc71c0
	;; [unrolled: 3-line block ×5, first 2 shown]
	v_fmac_f64_e32 v[66:67], v[32:33], v[42:43]
	v_cvt_f64_i32_e32 v[42:43], v78
	v_mul_f64 v[68:69], v[42:43], s[60:61]
	v_fma_f64 v[70:71], v[42:43], s[60:61], -v[68:69]
	v_fmac_f64_e32 v[70:71], s[64:65], v[42:43]
	v_add_f64 v[42:43], v[68:69], v[70:71]
	v_add_f64 v[68:69], v[42:43], -v[68:69]
	v_mul_f64 v[32:33], v[38:39], v[32:33]
	v_add_f64 v[68:69], v[70:71], -v[68:69]
	v_ldexp_f64 v[70:71], v[38:39], 1
	v_mul_f64 v[32:33], v[32:33], v[66:67]
	v_add_f64 v[38:39], v[70:71], v[32:33]
	v_add_f64 v[66:67], v[38:39], -v[70:71]
	v_ldexp_f64 v[30:31], v[30:31], 1
	v_add_f64 v[32:33], v[32:33], -v[66:67]
	v_add_f64 v[30:31], v[30:31], v[32:33]
	v_add_f64 v[32:33], v[38:39], v[30:31]
	v_add_f64 v[38:39], v[32:33], -v[38:39]
	v_add_f64 v[30:31], v[30:31], -v[38:39]
	v_add_f64 v[38:39], v[42:43], v[32:33]
	v_add_f64 v[66:67], v[38:39], -v[42:43]
	v_add_f64 v[70:71], v[38:39], -v[66:67]
	v_add_f64 v[42:43], v[42:43], -v[70:71]
	v_add_f64 v[32:33], v[32:33], -v[66:67]
	v_add_f64 v[32:33], v[32:33], v[42:43]
	v_add_f64 v[42:43], v[68:69], v[30:31]
	v_add_f64 v[66:67], v[42:43], -v[68:69]
	v_add_f64 v[32:33], v[42:43], v[32:33]
	v_add_f64 v[70:71], v[42:43], -v[66:67]
	;; [unrolled: 2-line block ×3, first 2 shown]
	v_add_f64 v[30:31], v[30:31], -v[66:67]
	v_add_f64 v[38:39], v[42:43], -v[38:39]
	v_add_f64 v[30:31], v[30:31], v[68:69]
	v_add_f64 v[32:33], v[32:33], -v[38:39]
	s_mov_b32 s0, 0
	v_add_f64 v[30:31], v[30:31], v[32:33]
	s_mov_b32 s1, 0x7ff00000
	v_add_f64 v[30:31], v[42:43], v[30:31]
	v_cmp_eq_f64_e64 s[0:1], s[0:1], v[4:5]
	v_mov_b32_e32 v32, 0x7ff80000
	s_nop 0
	v_cndmask_b32_e64 v30, v30, v4, s[0:1]
	v_cndmask_b32_e64 v31, v31, v5, s[0:1]
	v_cmp_ngt_f64_e64 s[0:1], -1.0, v[4:5]
	s_nop 1
	v_cndmask_b32_e64 v31, v32, v31, s[0:1]
	v_cmp_nge_f64_e64 s[0:1], -1.0, v[4:5]
	v_mov_b32_e32 v32, 0xfff00000
	s_nop 0
	v_cndmask_b32_e64 v30, 0, v30, s[0:1]
	v_cmp_neq_f64_e64 s[0:1], -1.0, v[4:5]
	s_nop 1
	v_cndmask_b32_e64 v31, v32, v31, s[0:1]
	v_add_f64 v[4:5], v[26:27], v[30:31]
.LBB60_108:
	s_or_b64 exec, exec, s[30:31]
	v_max_f64 v[26:27], v[4:5], v[4:5]
	v_min_f64 v[30:31], v[26:27], v[40:41]
	v_cmp_u_f64_e64 s[0:1], v[4:5], v[4:5]
	v_max_f64 v[26:27], v[26:27], v[40:41]
	s_nop 0
	v_cndmask_b32_e64 v30, v30, v4, s[0:1]
	v_cndmask_b32_e64 v31, v31, v5, s[0:1]
	;; [unrolled: 1-line block ×8, first 2 shown]
	v_cmp_neq_f64_e64 s[0:1], v[30:31], v[28:29]
	v_cmp_class_f64_e64 s[28:29], v[30:31], s33
	s_or_b64 s[0:1], s[0:1], s[28:29]
	v_mov_b64_e32 v[26:27], v[4:5]
	s_and_saveexec_b64 s[30:31], s[0:1]
	s_cbranch_execz .LBB60_110
; %bb.109:
	s_mov_b32 s0, 0x652b82fe
	v_add_f64 v[26:27], v[30:31], -v[28:29]
	s_mov_b32 s1, 0x3ff71547
	v_mul_f64 v[30:31], v[26:27], s[0:1]
	v_rndne_f64_e32 v[30:31], v[30:31]
	s_mov_b32 s35, 0xbfe62e42
	s_mov_b32 s34, 0xfefa39ef
	v_fma_f64 v[32:33], s[34:35], v[30:31], v[26:27]
	s_mov_b32 s61, 0xbc7abc9e
	s_mov_b32 s60, 0x3b39803f
	;; [unrolled: 1-line block ×3, first 2 shown]
	v_fmac_f64_e32 v[32:33], s[60:61], v[30:31]
	v_mov_b32_e32 v38, 0xfca7ab0c
	v_mov_b32_e32 v39, 0x3e928af3
	s_mov_b32 s1, 0x3e5ade15
	v_fmac_f64_e32 v[38:39], s[0:1], v[32:33]
	v_mov_b32_e32 v40, 0x623fde64
	v_mov_b32_e32 v41, 0x3ec71dee
	v_fmac_f64_e32 v[40:41], v[32:33], v[38:39]
	v_mov_b32_e32 v38, 0x7c89e6b0
	v_mov_b32_e32 v39, 0x3efa0199
	;; [unrolled: 3-line block ×8, first 2 shown]
	v_fmac_f64_e32 v[38:39], v[32:33], v[40:41]
	v_fma_f64 v[38:39], v[32:33], v[38:39], 1.0
	s_mov_b32 s0, 0
	s_mov_b32 s28, 0
	v_fma_f64 v[32:33], v[32:33], v[38:39], 1.0
	v_cvt_i32_f64_e32 v30, v[30:31]
	s_mov_b32 s1, 0x40900000
	s_mov_b32 s29, 0xc090cc00
	v_ldexp_f64 v[30:31], v[32:33], v30
	v_mov_b32_e32 v32, 0x7ff00000
	v_cmp_nlt_f64_e64 s[0:1], s[0:1], v[26:27]
	v_cmp_ngt_f64_e64 s[28:29], s[28:29], v[26:27]
	s_mov_b32 s35, 0x3fe62e42
	v_cndmask_b32_e64 v31, v32, v31, s[0:1]
	s_and_b64 s[0:1], s[28:29], s[0:1]
	v_cndmask_b32_e64 v27, 0, v31, s[28:29]
	v_cndmask_b32_e64 v26, 0, v30, s[0:1]
	v_add_f64 v[30:31], v[26:27], 1.0
	v_add_f64 v[32:33], v[30:31], -1.0
	v_add_f64 v[38:39], v[32:33], -v[30:31]
	v_add_f64 v[38:39], v[38:39], 1.0
	v_add_f64 v[32:33], v[26:27], -v[32:33]
	s_mov_b32 s0, 0x55555555
	v_add_f64 v[32:33], v[32:33], v[38:39]
	v_frexp_mant_f64_e32 v[38:39], v[30:31]
	s_mov_b32 s1, 0x3fe55555
	v_frexp_exp_i32_f64_e32 v40, v[30:31]
	v_cmp_gt_f64_e64 s[0:1], s[0:1], v[38:39]
	s_mov_b32 s61, 0x3c7abc9e
	s_nop 0
	v_subbrev_co_u32_e64 v76, s[0:1], 0, v40, s[0:1]
	v_sub_u32_e32 v38, 0, v76
	v_ldexp_f64 v[30:31], v[30:31], v38
	v_ldexp_f64 v[32:33], v[32:33], v38
	v_add_f64 v[38:39], v[30:31], -1.0
	v_add_f64 v[66:67], v[30:31], 1.0
	v_add_f64 v[40:41], v[38:39], 1.0
	v_add_f64 v[68:69], v[66:67], -1.0
	v_add_f64 v[40:41], v[30:31], -v[40:41]
	v_add_f64 v[30:31], v[30:31], -v[68:69]
	v_add_f64 v[30:31], v[32:33], v[30:31]
	v_add_f64 v[40:41], v[32:33], v[40:41]
	;; [unrolled: 1-line block ×3, first 2 shown]
	v_rcp_f64_e32 v[68:69], v[32:33]
	v_add_f64 v[42:43], v[38:39], v[40:41]
	v_add_f64 v[38:39], v[42:43], -v[38:39]
	v_add_f64 v[38:39], v[40:41], -v[38:39]
	;; [unrolled: 1-line block ×4, first 2 shown]
	v_fma_f64 v[40:41], -v[32:33], v[68:69], 1.0
	v_fmac_f64_e32 v[68:69], v[40:41], v[68:69]
	v_fma_f64 v[40:41], -v[32:33], v[68:69], 1.0
	v_fmac_f64_e32 v[68:69], v[40:41], v[68:69]
	v_mul_f64 v[40:41], v[42:43], v[68:69]
	v_mul_f64 v[66:67], v[32:33], v[40:41]
	v_fma_f64 v[70:71], v[40:41], v[32:33], -v[66:67]
	v_fmac_f64_e32 v[70:71], v[40:41], v[30:31]
	s_waitcnt lgkmcnt(0)
	v_add_f64 v[72:73], v[66:67], v[70:71]
	v_add_f64 v[74:75], v[42:43], -v[72:73]
	v_add_f64 v[42:43], v[42:43], -v[74:75]
	;; [unrolled: 1-line block ×4, first 2 shown]
	v_add_f64 v[38:39], v[38:39], v[42:43]
	v_add_f64 v[42:43], v[66:67], -v[70:71]
	v_add_f64 v[38:39], v[42:43], v[38:39]
	v_add_f64 v[42:43], v[74:75], v[38:39]
	v_add_f64 v[66:67], v[74:75], -v[42:43]
	v_add_f64 v[38:39], v[38:39], v[66:67]
	v_mul_f64 v[66:67], v[68:69], v[42:43]
	v_mul_f64 v[70:71], v[32:33], v[66:67]
	v_fma_f64 v[32:33], v[66:67], v[32:33], -v[70:71]
	v_fmac_f64_e32 v[32:33], v[66:67], v[30:31]
	v_add_f64 v[30:31], v[70:71], v[32:33]
	v_add_f64 v[72:73], v[42:43], -v[30:31]
	v_add_f64 v[42:43], v[42:43], -v[72:73]
	;; [unrolled: 1-line block ×4, first 2 shown]
	v_add_f64 v[30:31], v[38:39], v[30:31]
	v_add_f64 v[32:33], v[70:71], -v[32:33]
	v_add_f64 v[30:31], v[32:33], v[30:31]
	v_add_f64 v[32:33], v[40:41], v[66:67]
	;; [unrolled: 1-line block ×3, first 2 shown]
	v_add_f64 v[38:39], v[32:33], -v[40:41]
	v_mul_f64 v[30:31], v[68:69], v[30:31]
	v_add_f64 v[38:39], v[66:67], -v[38:39]
	v_add_f64 v[30:31], v[38:39], v[30:31]
	v_add_f64 v[38:39], v[32:33], v[30:31]
	v_add_f64 v[32:33], v[38:39], -v[32:33]
	s_mov_b32 s0, 0xbf559e2b
	v_add_f64 v[30:31], v[30:31], -v[32:33]
	v_mul_f64 v[32:33], v[38:39], v[38:39]
	v_mov_b32_e32 v40, 0x6b47b09a
	v_mov_b32_e32 v41, 0x3fc38538
	s_mov_b32 s1, 0x3fc3ab76
	v_fmac_f64_e32 v[40:41], s[0:1], v[32:33]
	v_mov_b32_e32 v42, 0xd7f4df2e
	v_mov_b32_e32 v43, 0x3fc7474d
	v_fmac_f64_e32 v[42:43], v[32:33], v[40:41]
	v_mov_b32_e32 v40, 0x16291751
	v_mov_b32_e32 v41, 0x3fcc71c0
	;; [unrolled: 3-line block ×5, first 2 shown]
	v_fmac_f64_e32 v[42:43], v[32:33], v[40:41]
	v_cvt_f64_i32_e32 v[40:41], v76
	v_mul_f64 v[66:67], v[40:41], s[34:35]
	v_fma_f64 v[68:69], v[40:41], s[34:35], -v[66:67]
	v_fmac_f64_e32 v[68:69], s[60:61], v[40:41]
	v_add_f64 v[40:41], v[66:67], v[68:69]
	v_add_f64 v[66:67], v[40:41], -v[66:67]
	v_mul_f64 v[32:33], v[38:39], v[32:33]
	v_add_f64 v[66:67], v[68:69], -v[66:67]
	v_ldexp_f64 v[68:69], v[38:39], 1
	v_mul_f64 v[32:33], v[32:33], v[42:43]
	v_add_f64 v[38:39], v[68:69], v[32:33]
	v_add_f64 v[42:43], v[38:39], -v[68:69]
	v_ldexp_f64 v[30:31], v[30:31], 1
	v_add_f64 v[32:33], v[32:33], -v[42:43]
	v_add_f64 v[30:31], v[30:31], v[32:33]
	v_add_f64 v[32:33], v[38:39], v[30:31]
	v_add_f64 v[38:39], v[32:33], -v[38:39]
	v_add_f64 v[30:31], v[30:31], -v[38:39]
	v_add_f64 v[38:39], v[40:41], v[32:33]
	v_add_f64 v[42:43], v[38:39], -v[40:41]
	v_add_f64 v[68:69], v[38:39], -v[42:43]
	;; [unrolled: 1-line block ×4, first 2 shown]
	v_add_f64 v[32:33], v[32:33], v[40:41]
	v_add_f64 v[40:41], v[66:67], v[30:31]
	v_add_f64 v[42:43], v[40:41], -v[66:67]
	v_add_f64 v[32:33], v[40:41], v[32:33]
	v_add_f64 v[68:69], v[40:41], -v[42:43]
	;; [unrolled: 2-line block ×3, first 2 shown]
	v_add_f64 v[30:31], v[30:31], -v[42:43]
	v_add_f64 v[38:39], v[40:41], -v[38:39]
	v_add_f64 v[30:31], v[30:31], v[66:67]
	v_add_f64 v[32:33], v[32:33], -v[38:39]
	s_mov_b32 s0, 0
	v_add_f64 v[30:31], v[30:31], v[32:33]
	s_mov_b32 s1, 0x7ff00000
	v_add_f64 v[30:31], v[40:41], v[30:31]
	v_cmp_eq_f64_e64 s[0:1], s[0:1], v[26:27]
	v_mov_b32_e32 v32, 0x7ff80000
	s_nop 0
	v_cndmask_b32_e64 v30, v30, v26, s[0:1]
	v_cndmask_b32_e64 v31, v31, v27, s[0:1]
	v_cmp_ngt_f64_e64 s[0:1], -1.0, v[26:27]
	s_nop 1
	v_cndmask_b32_e64 v31, v32, v31, s[0:1]
	v_cmp_nge_f64_e64 s[0:1], -1.0, v[26:27]
	v_mov_b32_e32 v32, 0xfff00000
	s_nop 0
	v_cndmask_b32_e64 v30, 0, v30, s[0:1]
	v_cmp_neq_f64_e64 s[0:1], -1.0, v[26:27]
	s_nop 1
	v_cndmask_b32_e64 v31, v32, v31, s[0:1]
	v_add_f64 v[26:27], v[28:29], v[30:31]
.LBB60_110:
	s_or_b64 exec, exec, s[30:31]
	v_max_f64 v[28:29], v[26:27], v[26:27]
	v_min_f64 v[30:31], v[28:29], v[44:45]
	v_cmp_u_f64_e64 s[0:1], v[26:27], v[26:27]
	v_max_f64 v[28:29], v[28:29], v[44:45]
	s_nop 0
	v_cndmask_b32_e64 v30, v30, v26, s[0:1]
	v_cndmask_b32_e64 v31, v31, v27, s[0:1]
	;; [unrolled: 1-line block ×8, first 2 shown]
	v_cmp_neq_f64_e64 s[0:1], v[30:31], v[28:29]
	v_cmp_class_f64_e64 s[28:29], v[30:31], s33
	s_or_b64 s[0:1], s[0:1], s[28:29]
	v_mov_b64_e32 v[22:23], v[26:27]
	s_and_saveexec_b64 s[30:31], s[0:1]
	s_cbranch_execz .LBB60_112
; %bb.111:
	s_mov_b32 s0, 0x652b82fe
	v_add_f64 v[22:23], v[30:31], -v[28:29]
	s_mov_b32 s1, 0x3ff71547
	v_mul_f64 v[30:31], v[22:23], s[0:1]
	v_rndne_f64_e32 v[30:31], v[30:31]
	s_mov_b32 s35, 0xbfe62e42
	s_mov_b32 s34, 0xfefa39ef
	v_fma_f64 v[32:33], s[34:35], v[30:31], v[22:23]
	s_mov_b32 s37, 0xbc7abc9e
	s_mov_b32 s36, 0x3b39803f
	;; [unrolled: 1-line block ×3, first 2 shown]
	v_fmac_f64_e32 v[32:33], s[36:37], v[30:31]
	v_mov_b32_e32 v38, 0xfca7ab0c
	v_mov_b32_e32 v39, 0x3e928af3
	s_mov_b32 s1, 0x3e5ade15
	v_fmac_f64_e32 v[38:39], s[0:1], v[32:33]
	v_mov_b32_e32 v40, 0x623fde64
	v_mov_b32_e32 v41, 0x3ec71dee
	v_fmac_f64_e32 v[40:41], v[32:33], v[38:39]
	v_mov_b32_e32 v38, 0x7c89e6b0
	v_mov_b32_e32 v39, 0x3efa0199
	v_fmac_f64_e32 v[38:39], v[32:33], v[40:41]
	v_mov_b32_e32 v40, 0x14761f6e
	v_mov_b32_e32 v41, 0x3f2a01a0
	v_fmac_f64_e32 v[40:41], v[32:33], v[38:39]
	v_mov_b32_e32 v38, 0x1852b7b0
	v_mov_b32_e32 v39, 0x3f56c16c
	v_fmac_f64_e32 v[38:39], v[32:33], v[40:41]
	v_mov_b32_e32 v40, 0x11122322
	v_mov_b32_e32 v41, 0x3f811111
	v_fmac_f64_e32 v[40:41], v[32:33], v[38:39]
	v_mov_b32_e32 v38, 0x555502a1
	v_mov_b32_e32 v39, 0x3fa55555
	v_fmac_f64_e32 v[38:39], v[32:33], v[40:41]
	v_mov_b32_e32 v40, 0x55555511
	v_mov_b32_e32 v41, 0x3fc55555
	v_fmac_f64_e32 v[40:41], v[32:33], v[38:39]
	v_mov_b32_e32 v38, 11
	v_mov_b32_e32 v39, 0x3fe00000
	v_fmac_f64_e32 v[38:39], v[32:33], v[40:41]
	v_fma_f64 v[38:39], v[32:33], v[38:39], 1.0
	s_mov_b32 s0, 0
	s_mov_b32 s28, 0
	v_fma_f64 v[32:33], v[32:33], v[38:39], 1.0
	v_cvt_i32_f64_e32 v30, v[30:31]
	s_mov_b32 s1, 0x40900000
	s_mov_b32 s29, 0xc090cc00
	v_ldexp_f64 v[30:31], v[32:33], v30
	v_mov_b32_e32 v32, 0x7ff00000
	v_cmp_nlt_f64_e64 s[0:1], s[0:1], v[22:23]
	v_cmp_ngt_f64_e64 s[28:29], s[28:29], v[22:23]
	s_mov_b32 s35, 0x3fe62e42
	v_cndmask_b32_e64 v31, v32, v31, s[0:1]
	s_and_b64 s[0:1], s[28:29], s[0:1]
	v_cndmask_b32_e64 v23, 0, v31, s[28:29]
	v_cndmask_b32_e64 v22, 0, v30, s[0:1]
	v_add_f64 v[30:31], v[22:23], 1.0
	v_add_f64 v[32:33], v[30:31], -1.0
	v_add_f64 v[38:39], v[32:33], -v[30:31]
	v_add_f64 v[38:39], v[38:39], 1.0
	v_add_f64 v[32:33], v[22:23], -v[32:33]
	s_mov_b32 s0, 0x55555555
	v_add_f64 v[32:33], v[32:33], v[38:39]
	v_frexp_mant_f64_e32 v[38:39], v[30:31]
	s_mov_b32 s1, 0x3fe55555
	v_frexp_exp_i32_f64_e32 v40, v[30:31]
	v_cmp_gt_f64_e64 s[0:1], s[0:1], v[38:39]
	s_mov_b32 s37, 0x3c7abc9e
	s_nop 0
	v_subbrev_co_u32_e64 v74, s[0:1], 0, v40, s[0:1]
	v_sub_u32_e32 v38, 0, v74
	v_ldexp_f64 v[30:31], v[30:31], v38
	v_ldexp_f64 v[32:33], v[32:33], v38
	v_add_f64 v[38:39], v[30:31], -1.0
	v_add_f64 v[44:45], v[30:31], 1.0
	v_add_f64 v[40:41], v[38:39], 1.0
	v_add_f64 v[66:67], v[44:45], -1.0
	v_add_f64 v[40:41], v[30:31], -v[40:41]
	v_add_f64 v[30:31], v[30:31], -v[66:67]
	v_add_f64 v[30:31], v[32:33], v[30:31]
	v_add_f64 v[40:41], v[32:33], v[40:41]
	;; [unrolled: 1-line block ×3, first 2 shown]
	v_rcp_f64_e32 v[66:67], v[32:33]
	v_add_f64 v[42:43], v[38:39], v[40:41]
	v_add_f64 v[38:39], v[42:43], -v[38:39]
	v_add_f64 v[38:39], v[40:41], -v[38:39]
	;; [unrolled: 1-line block ×4, first 2 shown]
	v_fma_f64 v[40:41], -v[32:33], v[66:67], 1.0
	v_fmac_f64_e32 v[66:67], v[40:41], v[66:67]
	v_fma_f64 v[40:41], -v[32:33], v[66:67], 1.0
	v_fmac_f64_e32 v[66:67], v[40:41], v[66:67]
	v_mul_f64 v[40:41], v[42:43], v[66:67]
	v_mul_f64 v[44:45], v[32:33], v[40:41]
	v_fma_f64 v[68:69], v[40:41], v[32:33], -v[44:45]
	v_fmac_f64_e32 v[68:69], v[40:41], v[30:31]
	v_add_f64 v[70:71], v[44:45], v[68:69]
	s_waitcnt lgkmcnt(0)
	v_add_f64 v[72:73], v[42:43], -v[70:71]
	v_add_f64 v[42:43], v[42:43], -v[72:73]
	;; [unrolled: 1-line block ×4, first 2 shown]
	v_add_f64 v[38:39], v[38:39], v[42:43]
	v_add_f64 v[42:43], v[44:45], -v[68:69]
	v_add_f64 v[38:39], v[42:43], v[38:39]
	v_add_f64 v[42:43], v[72:73], v[38:39]
	v_add_f64 v[44:45], v[72:73], -v[42:43]
	v_add_f64 v[38:39], v[38:39], v[44:45]
	v_mul_f64 v[44:45], v[66:67], v[42:43]
	v_mul_f64 v[68:69], v[32:33], v[44:45]
	v_fma_f64 v[32:33], v[44:45], v[32:33], -v[68:69]
	v_fmac_f64_e32 v[32:33], v[44:45], v[30:31]
	v_add_f64 v[30:31], v[68:69], v[32:33]
	v_add_f64 v[70:71], v[42:43], -v[30:31]
	v_add_f64 v[42:43], v[42:43], -v[70:71]
	v_add_f64 v[68:69], v[30:31], -v[68:69]
	v_add_f64 v[30:31], v[42:43], -v[30:31]
	v_add_f64 v[30:31], v[38:39], v[30:31]
	v_add_f64 v[32:33], v[68:69], -v[32:33]
	v_add_f64 v[30:31], v[32:33], v[30:31]
	v_add_f64 v[32:33], v[40:41], v[44:45]
	;; [unrolled: 1-line block ×3, first 2 shown]
	v_add_f64 v[38:39], v[32:33], -v[40:41]
	v_mul_f64 v[30:31], v[66:67], v[30:31]
	v_add_f64 v[38:39], v[44:45], -v[38:39]
	v_add_f64 v[30:31], v[38:39], v[30:31]
	v_add_f64 v[38:39], v[32:33], v[30:31]
	v_add_f64 v[32:33], v[38:39], -v[32:33]
	s_mov_b32 s0, 0xbf559e2b
	v_add_f64 v[30:31], v[30:31], -v[32:33]
	v_mul_f64 v[32:33], v[38:39], v[38:39]
	v_mov_b32_e32 v40, 0x6b47b09a
	v_mov_b32_e32 v41, 0x3fc38538
	s_mov_b32 s1, 0x3fc3ab76
	v_fmac_f64_e32 v[40:41], s[0:1], v[32:33]
	v_mov_b32_e32 v42, 0xd7f4df2e
	v_mov_b32_e32 v43, 0x3fc7474d
	v_fmac_f64_e32 v[42:43], v[32:33], v[40:41]
	v_mov_b32_e32 v40, 0x16291751
	v_mov_b32_e32 v41, 0x3fcc71c0
	;; [unrolled: 3-line block ×5, first 2 shown]
	v_fmac_f64_e32 v[42:43], v[32:33], v[40:41]
	v_cvt_f64_i32_e32 v[40:41], v74
	v_mul_f64 v[44:45], v[40:41], s[34:35]
	v_fma_f64 v[66:67], v[40:41], s[34:35], -v[44:45]
	v_fmac_f64_e32 v[66:67], s[36:37], v[40:41]
	v_add_f64 v[40:41], v[44:45], v[66:67]
	v_add_f64 v[44:45], v[40:41], -v[44:45]
	v_mul_f64 v[32:33], v[38:39], v[32:33]
	v_add_f64 v[44:45], v[66:67], -v[44:45]
	v_ldexp_f64 v[66:67], v[38:39], 1
	v_mul_f64 v[32:33], v[32:33], v[42:43]
	v_add_f64 v[38:39], v[66:67], v[32:33]
	v_add_f64 v[42:43], v[38:39], -v[66:67]
	v_ldexp_f64 v[30:31], v[30:31], 1
	v_add_f64 v[32:33], v[32:33], -v[42:43]
	v_add_f64 v[30:31], v[30:31], v[32:33]
	v_add_f64 v[32:33], v[38:39], v[30:31]
	v_add_f64 v[38:39], v[32:33], -v[38:39]
	v_add_f64 v[30:31], v[30:31], -v[38:39]
	v_add_f64 v[38:39], v[40:41], v[32:33]
	v_add_f64 v[42:43], v[38:39], -v[40:41]
	v_add_f64 v[66:67], v[38:39], -v[42:43]
	;; [unrolled: 1-line block ×4, first 2 shown]
	v_add_f64 v[32:33], v[32:33], v[40:41]
	v_add_f64 v[40:41], v[44:45], v[30:31]
	v_add_f64 v[42:43], v[40:41], -v[44:45]
	v_add_f64 v[32:33], v[40:41], v[32:33]
	v_add_f64 v[66:67], v[40:41], -v[42:43]
	;; [unrolled: 2-line block ×3, first 2 shown]
	v_add_f64 v[30:31], v[30:31], -v[42:43]
	v_add_f64 v[38:39], v[40:41], -v[38:39]
	v_add_f64 v[30:31], v[30:31], v[44:45]
	v_add_f64 v[32:33], v[32:33], -v[38:39]
	s_mov_b32 s0, 0
	v_add_f64 v[30:31], v[30:31], v[32:33]
	s_mov_b32 s1, 0x7ff00000
	v_add_f64 v[30:31], v[40:41], v[30:31]
	v_cmp_eq_f64_e64 s[0:1], s[0:1], v[22:23]
	v_mov_b32_e32 v32, 0x7ff80000
	s_nop 0
	v_cndmask_b32_e64 v30, v30, v22, s[0:1]
	v_cndmask_b32_e64 v31, v31, v23, s[0:1]
	v_cmp_ngt_f64_e64 s[0:1], -1.0, v[22:23]
	s_nop 1
	v_cndmask_b32_e64 v31, v32, v31, s[0:1]
	v_cmp_nge_f64_e64 s[0:1], -1.0, v[22:23]
	v_mov_b32_e32 v32, 0xfff00000
	s_nop 0
	v_cndmask_b32_e64 v30, 0, v30, s[0:1]
	v_cmp_neq_f64_e64 s[0:1], -1.0, v[22:23]
	s_nop 1
	v_cndmask_b32_e64 v31, v32, v31, s[0:1]
	v_add_f64 v[22:23], v[28:29], v[30:31]
.LBB60_112:
	s_or_b64 exec, exec, s[30:31]
	v_max_f64 v[28:29], v[22:23], v[22:23]
	v_min_f64 v[30:31], v[28:29], v[46:47]
	v_cmp_u_f64_e64 s[0:1], v[22:23], v[22:23]
	v_max_f64 v[28:29], v[28:29], v[46:47]
	s_nop 0
	v_cndmask_b32_e64 v30, v30, v22, s[0:1]
	v_cndmask_b32_e64 v31, v31, v23, s[0:1]
	;; [unrolled: 1-line block ×8, first 2 shown]
	v_cmp_neq_f64_e64 s[0:1], v[30:31], v[28:29]
	v_cmp_class_f64_e64 s[28:29], v[30:31], s33
	s_or_b64 s[0:1], s[0:1], s[28:29]
	v_mov_b64_e32 v[24:25], v[22:23]
	s_and_saveexec_b64 s[30:31], s[0:1]
	s_cbranch_execz .LBB60_114
; %bb.113:
	s_mov_b32 s0, 0x652b82fe
	v_add_f64 v[24:25], v[30:31], -v[28:29]
	s_mov_b32 s1, 0x3ff71547
	v_mul_f64 v[30:31], v[24:25], s[0:1]
	v_rndne_f64_e32 v[30:31], v[30:31]
	s_mov_b32 s35, 0xbfe62e42
	s_mov_b32 s34, 0xfefa39ef
	v_fma_f64 v[32:33], s[34:35], v[30:31], v[24:25]
	s_mov_b32 s37, 0xbc7abc9e
	s_mov_b32 s36, 0x3b39803f
	;; [unrolled: 1-line block ×3, first 2 shown]
	v_fmac_f64_e32 v[32:33], s[36:37], v[30:31]
	v_mov_b32_e32 v38, 0xfca7ab0c
	v_mov_b32_e32 v39, 0x3e928af3
	s_mov_b32 s1, 0x3e5ade15
	v_fmac_f64_e32 v[38:39], s[0:1], v[32:33]
	v_mov_b32_e32 v40, 0x623fde64
	v_mov_b32_e32 v41, 0x3ec71dee
	v_fmac_f64_e32 v[40:41], v[32:33], v[38:39]
	v_mov_b32_e32 v38, 0x7c89e6b0
	v_mov_b32_e32 v39, 0x3efa0199
	;; [unrolled: 3-line block ×8, first 2 shown]
	v_fmac_f64_e32 v[38:39], v[32:33], v[40:41]
	v_fma_f64 v[38:39], v[32:33], v[38:39], 1.0
	s_mov_b32 s0, 0
	s_mov_b32 s28, 0
	v_fma_f64 v[32:33], v[32:33], v[38:39], 1.0
	v_cvt_i32_f64_e32 v30, v[30:31]
	s_mov_b32 s1, 0x40900000
	s_mov_b32 s29, 0xc090cc00
	v_ldexp_f64 v[30:31], v[32:33], v30
	v_mov_b32_e32 v32, 0x7ff00000
	v_cmp_nlt_f64_e64 s[0:1], s[0:1], v[24:25]
	v_cmp_ngt_f64_e64 s[28:29], s[28:29], v[24:25]
	s_mov_b32 s35, 0x3fe62e42
	v_cndmask_b32_e64 v31, v32, v31, s[0:1]
	s_and_b64 s[0:1], s[28:29], s[0:1]
	v_cndmask_b32_e64 v25, 0, v31, s[28:29]
	v_cndmask_b32_e64 v24, 0, v30, s[0:1]
	v_add_f64 v[30:31], v[24:25], 1.0
	v_add_f64 v[32:33], v[30:31], -1.0
	v_add_f64 v[38:39], v[32:33], -v[30:31]
	v_add_f64 v[38:39], v[38:39], 1.0
	v_add_f64 v[32:33], v[24:25], -v[32:33]
	s_mov_b32 s0, 0x55555555
	v_add_f64 v[32:33], v[32:33], v[38:39]
	v_frexp_mant_f64_e32 v[38:39], v[30:31]
	s_mov_b32 s1, 0x3fe55555
	v_frexp_exp_i32_f64_e32 v40, v[30:31]
	v_cmp_gt_f64_e64 s[0:1], s[0:1], v[38:39]
	s_mov_b32 s37, 0x3c7abc9e
	s_waitcnt lgkmcnt(0)
	v_subbrev_co_u32_e64 v72, s[0:1], 0, v40, s[0:1]
	v_sub_u32_e32 v38, 0, v72
	v_ldexp_f64 v[30:31], v[30:31], v38
	v_ldexp_f64 v[32:33], v[32:33], v38
	v_add_f64 v[38:39], v[30:31], -1.0
	v_add_f64 v[44:45], v[30:31], 1.0
	v_add_f64 v[40:41], v[38:39], 1.0
	v_add_f64 v[46:47], v[44:45], -1.0
	v_add_f64 v[40:41], v[30:31], -v[40:41]
	v_add_f64 v[30:31], v[30:31], -v[46:47]
	v_add_f64 v[30:31], v[32:33], v[30:31]
	v_add_f64 v[40:41], v[32:33], v[40:41]
	;; [unrolled: 1-line block ×3, first 2 shown]
	v_rcp_f64_e32 v[46:47], v[32:33]
	v_add_f64 v[42:43], v[38:39], v[40:41]
	v_add_f64 v[38:39], v[42:43], -v[38:39]
	v_add_f64 v[38:39], v[40:41], -v[38:39]
	;; [unrolled: 1-line block ×4, first 2 shown]
	v_fma_f64 v[40:41], -v[32:33], v[46:47], 1.0
	v_fmac_f64_e32 v[46:47], v[40:41], v[46:47]
	v_fma_f64 v[40:41], -v[32:33], v[46:47], 1.0
	v_fmac_f64_e32 v[46:47], v[40:41], v[46:47]
	v_mul_f64 v[40:41], v[42:43], v[46:47]
	v_mul_f64 v[44:45], v[32:33], v[40:41]
	v_fma_f64 v[66:67], v[40:41], v[32:33], -v[44:45]
	v_fmac_f64_e32 v[66:67], v[40:41], v[30:31]
	v_add_f64 v[68:69], v[44:45], v[66:67]
	v_add_f64 v[70:71], v[42:43], -v[68:69]
	v_add_f64 v[42:43], v[42:43], -v[70:71]
	;; [unrolled: 1-line block ×4, first 2 shown]
	v_add_f64 v[38:39], v[38:39], v[42:43]
	v_add_f64 v[42:43], v[44:45], -v[66:67]
	v_add_f64 v[38:39], v[42:43], v[38:39]
	v_add_f64 v[42:43], v[70:71], v[38:39]
	v_add_f64 v[44:45], v[70:71], -v[42:43]
	v_add_f64 v[38:39], v[38:39], v[44:45]
	v_mul_f64 v[44:45], v[46:47], v[42:43]
	v_mul_f64 v[66:67], v[32:33], v[44:45]
	v_fma_f64 v[32:33], v[44:45], v[32:33], -v[66:67]
	v_fmac_f64_e32 v[32:33], v[44:45], v[30:31]
	v_add_f64 v[30:31], v[66:67], v[32:33]
	v_add_f64 v[68:69], v[42:43], -v[30:31]
	v_add_f64 v[42:43], v[42:43], -v[68:69]
	;; [unrolled: 1-line block ×4, first 2 shown]
	v_add_f64 v[30:31], v[38:39], v[30:31]
	v_add_f64 v[32:33], v[66:67], -v[32:33]
	v_add_f64 v[30:31], v[32:33], v[30:31]
	v_add_f64 v[32:33], v[40:41], v[44:45]
	;; [unrolled: 1-line block ×3, first 2 shown]
	v_add_f64 v[38:39], v[32:33], -v[40:41]
	v_mul_f64 v[30:31], v[46:47], v[30:31]
	v_add_f64 v[38:39], v[44:45], -v[38:39]
	v_add_f64 v[30:31], v[38:39], v[30:31]
	v_add_f64 v[38:39], v[32:33], v[30:31]
	v_add_f64 v[32:33], v[38:39], -v[32:33]
	s_mov_b32 s0, 0xbf559e2b
	v_add_f64 v[30:31], v[30:31], -v[32:33]
	v_mul_f64 v[32:33], v[38:39], v[38:39]
	v_mov_b32_e32 v40, 0x6b47b09a
	v_mov_b32_e32 v41, 0x3fc38538
	s_mov_b32 s1, 0x3fc3ab76
	v_fmac_f64_e32 v[40:41], s[0:1], v[32:33]
	v_mov_b32_e32 v42, 0xd7f4df2e
	v_mov_b32_e32 v43, 0x3fc7474d
	v_fmac_f64_e32 v[42:43], v[32:33], v[40:41]
	v_mov_b32_e32 v40, 0x16291751
	v_mov_b32_e32 v41, 0x3fcc71c0
	;; [unrolled: 3-line block ×5, first 2 shown]
	v_fmac_f64_e32 v[42:43], v[32:33], v[40:41]
	v_cvt_f64_i32_e32 v[40:41], v72
	v_mul_f64 v[44:45], v[40:41], s[34:35]
	v_fma_f64 v[46:47], v[40:41], s[34:35], -v[44:45]
	v_fmac_f64_e32 v[46:47], s[36:37], v[40:41]
	v_add_f64 v[40:41], v[44:45], v[46:47]
	v_add_f64 v[44:45], v[40:41], -v[44:45]
	v_mul_f64 v[32:33], v[38:39], v[32:33]
	v_add_f64 v[44:45], v[46:47], -v[44:45]
	v_ldexp_f64 v[46:47], v[38:39], 1
	v_mul_f64 v[32:33], v[32:33], v[42:43]
	v_add_f64 v[38:39], v[46:47], v[32:33]
	v_add_f64 v[42:43], v[38:39], -v[46:47]
	v_ldexp_f64 v[30:31], v[30:31], 1
	v_add_f64 v[32:33], v[32:33], -v[42:43]
	v_add_f64 v[30:31], v[30:31], v[32:33]
	v_add_f64 v[32:33], v[38:39], v[30:31]
	v_add_f64 v[38:39], v[32:33], -v[38:39]
	v_add_f64 v[30:31], v[30:31], -v[38:39]
	v_add_f64 v[38:39], v[40:41], v[32:33]
	v_add_f64 v[42:43], v[38:39], -v[40:41]
	v_add_f64 v[46:47], v[38:39], -v[42:43]
	;; [unrolled: 1-line block ×4, first 2 shown]
	v_add_f64 v[32:33], v[32:33], v[40:41]
	v_add_f64 v[40:41], v[44:45], v[30:31]
	v_add_f64 v[42:43], v[40:41], -v[44:45]
	v_add_f64 v[32:33], v[40:41], v[32:33]
	v_add_f64 v[46:47], v[40:41], -v[42:43]
	;; [unrolled: 2-line block ×3, first 2 shown]
	v_add_f64 v[30:31], v[30:31], -v[42:43]
	v_add_f64 v[38:39], v[40:41], -v[38:39]
	v_add_f64 v[30:31], v[30:31], v[44:45]
	v_add_f64 v[32:33], v[32:33], -v[38:39]
	s_mov_b32 s0, 0
	v_add_f64 v[30:31], v[30:31], v[32:33]
	s_mov_b32 s1, 0x7ff00000
	v_add_f64 v[30:31], v[40:41], v[30:31]
	v_cmp_eq_f64_e64 s[0:1], s[0:1], v[24:25]
	v_mov_b32_e32 v32, 0x7ff80000
	s_nop 0
	v_cndmask_b32_e64 v30, v30, v24, s[0:1]
	v_cndmask_b32_e64 v31, v31, v25, s[0:1]
	v_cmp_ngt_f64_e64 s[0:1], -1.0, v[24:25]
	s_nop 1
	v_cndmask_b32_e64 v31, v32, v31, s[0:1]
	v_cmp_nge_f64_e64 s[0:1], -1.0, v[24:25]
	v_mov_b32_e32 v32, 0xfff00000
	s_nop 0
	v_cndmask_b32_e64 v30, 0, v30, s[0:1]
	v_cmp_neq_f64_e64 s[0:1], -1.0, v[24:25]
	s_nop 1
	v_cndmask_b32_e64 v31, v32, v31, s[0:1]
	v_add_f64 v[24:25], v[28:29], v[30:31]
.LBB60_114:
	s_or_b64 exec, exec, s[30:31]
	v_max_f64 v[28:29], v[24:25], v[24:25]
	v_min_f64 v[30:31], v[28:29], v[48:49]
	v_cmp_u_f64_e64 s[0:1], v[24:25], v[24:25]
	v_max_f64 v[28:29], v[28:29], v[48:49]
	s_nop 0
	v_cndmask_b32_e64 v30, v30, v24, s[0:1]
	v_cndmask_b32_e64 v31, v31, v25, s[0:1]
	v_cndmask_b32_e64 v28, v28, v24, s[0:1]
	v_cndmask_b32_e64 v29, v29, v25, s[0:1]
	v_cndmask_b32_e64 v31, v31, v19, s[40:41]
	v_cndmask_b32_e64 v30, v30, v18, s[40:41]
	v_cndmask_b32_e64 v29, v29, v19, s[40:41]
	v_cndmask_b32_e64 v28, v28, v18, s[40:41]
	v_cmp_neq_f64_e64 s[0:1], v[30:31], v[28:29]
	v_cmp_class_f64_e64 s[28:29], v[30:31], s33
	s_or_b64 s[0:1], s[0:1], s[28:29]
	v_mov_b64_e32 v[18:19], v[24:25]
	s_and_saveexec_b64 s[30:31], s[0:1]
	s_cbranch_execz .LBB60_116
; %bb.115:
	s_mov_b32 s0, 0x652b82fe
	v_add_f64 v[18:19], v[30:31], -v[28:29]
	s_mov_b32 s1, 0x3ff71547
	v_mul_f64 v[30:31], v[18:19], s[0:1]
	v_rndne_f64_e32 v[30:31], v[30:31]
	s_mov_b32 s35, 0xbfe62e42
	s_mov_b32 s34, 0xfefa39ef
	v_fma_f64 v[32:33], s[34:35], v[30:31], v[18:19]
	s_mov_b32 s37, 0xbc7abc9e
	s_mov_b32 s36, 0x3b39803f
	;; [unrolled: 1-line block ×3, first 2 shown]
	v_fmac_f64_e32 v[32:33], s[36:37], v[30:31]
	v_mov_b32_e32 v38, 0xfca7ab0c
	v_mov_b32_e32 v39, 0x3e928af3
	s_mov_b32 s1, 0x3e5ade15
	v_fmac_f64_e32 v[38:39], s[0:1], v[32:33]
	v_mov_b32_e32 v40, 0x623fde64
	v_mov_b32_e32 v41, 0x3ec71dee
	v_fmac_f64_e32 v[40:41], v[32:33], v[38:39]
	v_mov_b32_e32 v38, 0x7c89e6b0
	v_mov_b32_e32 v39, 0x3efa0199
	;; [unrolled: 3-line block ×8, first 2 shown]
	v_fmac_f64_e32 v[38:39], v[32:33], v[40:41]
	v_fma_f64 v[38:39], v[32:33], v[38:39], 1.0
	s_mov_b32 s0, 0
	s_mov_b32 s28, 0
	v_fma_f64 v[32:33], v[32:33], v[38:39], 1.0
	v_cvt_i32_f64_e32 v30, v[30:31]
	s_mov_b32 s1, 0x40900000
	s_mov_b32 s29, 0xc090cc00
	v_ldexp_f64 v[30:31], v[32:33], v30
	v_mov_b32_e32 v32, 0x7ff00000
	v_cmp_nlt_f64_e64 s[0:1], s[0:1], v[18:19]
	v_cmp_ngt_f64_e64 s[28:29], s[28:29], v[18:19]
	s_mov_b32 s35, 0x3fe62e42
	v_cndmask_b32_e64 v31, v32, v31, s[0:1]
	s_and_b64 s[0:1], s[28:29], s[0:1]
	v_cndmask_b32_e64 v19, 0, v31, s[28:29]
	v_cndmask_b32_e64 v18, 0, v30, s[0:1]
	v_add_f64 v[30:31], v[18:19], 1.0
	v_add_f64 v[32:33], v[30:31], -1.0
	v_add_f64 v[38:39], v[32:33], -v[30:31]
	v_add_f64 v[38:39], v[38:39], 1.0
	v_add_f64 v[32:33], v[18:19], -v[32:33]
	s_mov_b32 s0, 0x55555555
	v_add_f64 v[32:33], v[32:33], v[38:39]
	v_frexp_mant_f64_e32 v[38:39], v[30:31]
	s_mov_b32 s1, 0x3fe55555
	v_frexp_exp_i32_f64_e32 v40, v[30:31]
	v_cmp_gt_f64_e64 s[0:1], s[0:1], v[38:39]
	s_mov_b32 s37, 0x3c7abc9e
	s_nop 0
	v_subbrev_co_u32_e64 v70, s[0:1], 0, v40, s[0:1]
	v_sub_u32_e32 v38, 0, v70
	v_ldexp_f64 v[30:31], v[30:31], v38
	v_ldexp_f64 v[32:33], v[32:33], v38
	v_add_f64 v[38:39], v[30:31], -1.0
	v_add_f64 v[44:45], v[30:31], 1.0
	v_add_f64 v[40:41], v[38:39], 1.0
	v_add_f64 v[46:47], v[44:45], -1.0
	v_add_f64 v[40:41], v[30:31], -v[40:41]
	v_add_f64 v[30:31], v[30:31], -v[46:47]
	v_add_f64 v[30:31], v[32:33], v[30:31]
	v_add_f64 v[40:41], v[32:33], v[40:41]
	;; [unrolled: 1-line block ×3, first 2 shown]
	v_rcp_f64_e32 v[46:47], v[32:33]
	v_add_f64 v[42:43], v[38:39], v[40:41]
	v_add_f64 v[38:39], v[42:43], -v[38:39]
	v_add_f64 v[38:39], v[40:41], -v[38:39]
	;; [unrolled: 1-line block ×4, first 2 shown]
	v_fma_f64 v[40:41], -v[32:33], v[46:47], 1.0
	v_fmac_f64_e32 v[46:47], v[40:41], v[46:47]
	v_fma_f64 v[40:41], -v[32:33], v[46:47], 1.0
	v_fmac_f64_e32 v[46:47], v[40:41], v[46:47]
	v_mul_f64 v[40:41], v[42:43], v[46:47]
	v_mul_f64 v[44:45], v[32:33], v[40:41]
	v_fma_f64 v[48:49], v[40:41], v[32:33], -v[44:45]
	v_fmac_f64_e32 v[48:49], v[40:41], v[30:31]
	v_add_f64 v[66:67], v[44:45], v[48:49]
	v_add_f64 v[68:69], v[42:43], -v[66:67]
	v_add_f64 v[42:43], v[42:43], -v[68:69]
	;; [unrolled: 1-line block ×4, first 2 shown]
	v_add_f64 v[38:39], v[38:39], v[42:43]
	v_add_f64 v[42:43], v[44:45], -v[48:49]
	v_add_f64 v[38:39], v[42:43], v[38:39]
	v_add_f64 v[42:43], v[68:69], v[38:39]
	v_add_f64 v[44:45], v[68:69], -v[42:43]
	v_add_f64 v[38:39], v[38:39], v[44:45]
	v_mul_f64 v[44:45], v[46:47], v[42:43]
	v_mul_f64 v[48:49], v[32:33], v[44:45]
	v_fma_f64 v[32:33], v[44:45], v[32:33], -v[48:49]
	v_fmac_f64_e32 v[32:33], v[44:45], v[30:31]
	v_add_f64 v[30:31], v[48:49], v[32:33]
	v_add_f64 v[66:67], v[42:43], -v[30:31]
	v_add_f64 v[42:43], v[42:43], -v[66:67]
	;; [unrolled: 1-line block ×4, first 2 shown]
	v_add_f64 v[30:31], v[38:39], v[30:31]
	v_add_f64 v[32:33], v[48:49], -v[32:33]
	v_add_f64 v[30:31], v[32:33], v[30:31]
	v_add_f64 v[32:33], v[40:41], v[44:45]
	;; [unrolled: 1-line block ×3, first 2 shown]
	v_add_f64 v[38:39], v[32:33], -v[40:41]
	v_mul_f64 v[30:31], v[46:47], v[30:31]
	v_add_f64 v[38:39], v[44:45], -v[38:39]
	v_add_f64 v[30:31], v[38:39], v[30:31]
	v_add_f64 v[38:39], v[32:33], v[30:31]
	v_add_f64 v[32:33], v[38:39], -v[32:33]
	s_mov_b32 s0, 0xbf559e2b
	v_add_f64 v[30:31], v[30:31], -v[32:33]
	v_mul_f64 v[32:33], v[38:39], v[38:39]
	v_mov_b32_e32 v40, 0x6b47b09a
	v_mov_b32_e32 v41, 0x3fc38538
	s_mov_b32 s1, 0x3fc3ab76
	v_fmac_f64_e32 v[40:41], s[0:1], v[32:33]
	v_mov_b32_e32 v42, 0xd7f4df2e
	v_mov_b32_e32 v43, 0x3fc7474d
	v_fmac_f64_e32 v[42:43], v[32:33], v[40:41]
	v_mov_b32_e32 v40, 0x16291751
	v_mov_b32_e32 v41, 0x3fcc71c0
	;; [unrolled: 3-line block ×5, first 2 shown]
	v_fmac_f64_e32 v[42:43], v[32:33], v[40:41]
	v_cvt_f64_i32_e32 v[40:41], v70
	v_mul_f64 v[44:45], v[40:41], s[34:35]
	v_fma_f64 v[46:47], v[40:41], s[34:35], -v[44:45]
	v_fmac_f64_e32 v[46:47], s[36:37], v[40:41]
	v_add_f64 v[40:41], v[44:45], v[46:47]
	v_add_f64 v[44:45], v[40:41], -v[44:45]
	v_mul_f64 v[32:33], v[38:39], v[32:33]
	v_add_f64 v[44:45], v[46:47], -v[44:45]
	v_ldexp_f64 v[46:47], v[38:39], 1
	v_mul_f64 v[32:33], v[32:33], v[42:43]
	v_add_f64 v[38:39], v[46:47], v[32:33]
	v_add_f64 v[42:43], v[38:39], -v[46:47]
	v_ldexp_f64 v[30:31], v[30:31], 1
	v_add_f64 v[32:33], v[32:33], -v[42:43]
	v_add_f64 v[30:31], v[30:31], v[32:33]
	v_add_f64 v[32:33], v[38:39], v[30:31]
	v_add_f64 v[38:39], v[32:33], -v[38:39]
	v_add_f64 v[30:31], v[30:31], -v[38:39]
	v_add_f64 v[38:39], v[40:41], v[32:33]
	v_add_f64 v[42:43], v[38:39], -v[40:41]
	v_add_f64 v[46:47], v[38:39], -v[42:43]
	;; [unrolled: 1-line block ×4, first 2 shown]
	v_add_f64 v[32:33], v[32:33], v[40:41]
	v_add_f64 v[40:41], v[44:45], v[30:31]
	v_add_f64 v[42:43], v[40:41], -v[44:45]
	v_add_f64 v[32:33], v[40:41], v[32:33]
	v_add_f64 v[46:47], v[40:41], -v[42:43]
	;; [unrolled: 2-line block ×3, first 2 shown]
	v_add_f64 v[30:31], v[30:31], -v[42:43]
	v_add_f64 v[38:39], v[40:41], -v[38:39]
	v_add_f64 v[30:31], v[30:31], v[44:45]
	v_add_f64 v[32:33], v[32:33], -v[38:39]
	s_mov_b32 s0, 0
	v_add_f64 v[30:31], v[30:31], v[32:33]
	s_mov_b32 s1, 0x7ff00000
	v_add_f64 v[30:31], v[40:41], v[30:31]
	v_cmp_eq_f64_e64 s[0:1], s[0:1], v[18:19]
	v_mov_b32_e32 v32, 0x7ff80000
	s_nop 0
	v_cndmask_b32_e64 v30, v30, v18, s[0:1]
	v_cndmask_b32_e64 v31, v31, v19, s[0:1]
	v_cmp_ngt_f64_e64 s[0:1], -1.0, v[18:19]
	s_nop 1
	v_cndmask_b32_e64 v31, v32, v31, s[0:1]
	v_cmp_nge_f64_e64 s[0:1], -1.0, v[18:19]
	v_mov_b32_e32 v32, 0xfff00000
	s_nop 0
	v_cndmask_b32_e64 v30, 0, v30, s[0:1]
	v_cmp_neq_f64_e64 s[0:1], -1.0, v[18:19]
	s_nop 1
	v_cndmask_b32_e64 v31, v32, v31, s[0:1]
	v_add_f64 v[18:19], v[28:29], v[30:31]
.LBB60_116:
	s_or_b64 exec, exec, s[30:31]
	v_max_f64 v[28:29], v[18:19], v[18:19]
	v_min_f64 v[30:31], v[28:29], v[50:51]
	v_cmp_u_f64_e64 s[0:1], v[18:19], v[18:19]
	v_max_f64 v[28:29], v[28:29], v[50:51]
	s_nop 0
	v_cndmask_b32_e64 v30, v30, v18, s[0:1]
	v_cndmask_b32_e64 v31, v31, v19, s[0:1]
	;; [unrolled: 1-line block ×8, first 2 shown]
	v_cmp_neq_f64_e64 s[0:1], v[30:31], v[28:29]
	v_cmp_class_f64_e64 s[28:29], v[30:31], s33
	s_or_b64 s[0:1], s[0:1], s[28:29]
	v_mov_b64_e32 v[20:21], v[18:19]
	s_and_saveexec_b64 s[30:31], s[0:1]
	s_cbranch_execz .LBB60_118
; %bb.117:
	s_mov_b32 s0, 0x652b82fe
	v_add_f64 v[20:21], v[30:31], -v[28:29]
	s_mov_b32 s1, 0x3ff71547
	v_mul_f64 v[30:31], v[20:21], s[0:1]
	v_rndne_f64_e32 v[30:31], v[30:31]
	s_mov_b32 s35, 0xbfe62e42
	s_mov_b32 s34, 0xfefa39ef
	v_fma_f64 v[32:33], s[34:35], v[30:31], v[20:21]
	s_mov_b32 s37, 0xbc7abc9e
	s_mov_b32 s36, 0x3b39803f
	;; [unrolled: 1-line block ×3, first 2 shown]
	v_fmac_f64_e32 v[32:33], s[36:37], v[30:31]
	v_mov_b32_e32 v38, 0xfca7ab0c
	v_mov_b32_e32 v39, 0x3e928af3
	s_mov_b32 s1, 0x3e5ade15
	v_fmac_f64_e32 v[38:39], s[0:1], v[32:33]
	v_mov_b32_e32 v40, 0x623fde64
	v_mov_b32_e32 v41, 0x3ec71dee
	v_fmac_f64_e32 v[40:41], v[32:33], v[38:39]
	v_mov_b32_e32 v38, 0x7c89e6b0
	v_mov_b32_e32 v39, 0x3efa0199
	;; [unrolled: 3-line block ×8, first 2 shown]
	v_fmac_f64_e32 v[38:39], v[32:33], v[40:41]
	v_fma_f64 v[38:39], v[32:33], v[38:39], 1.0
	s_mov_b32 s0, 0
	s_mov_b32 s28, 0
	v_fma_f64 v[32:33], v[32:33], v[38:39], 1.0
	v_cvt_i32_f64_e32 v30, v[30:31]
	s_mov_b32 s1, 0x40900000
	s_mov_b32 s29, 0xc090cc00
	v_ldexp_f64 v[30:31], v[32:33], v30
	v_mov_b32_e32 v32, 0x7ff00000
	v_cmp_nlt_f64_e64 s[0:1], s[0:1], v[20:21]
	v_cmp_ngt_f64_e64 s[28:29], s[28:29], v[20:21]
	s_mov_b32 s35, 0x3fe62e42
	v_cndmask_b32_e64 v31, v32, v31, s[0:1]
	s_and_b64 s[0:1], s[28:29], s[0:1]
	v_cndmask_b32_e64 v21, 0, v31, s[28:29]
	v_cndmask_b32_e64 v20, 0, v30, s[0:1]
	v_add_f64 v[30:31], v[20:21], 1.0
	v_add_f64 v[32:33], v[30:31], -1.0
	v_add_f64 v[38:39], v[32:33], -v[30:31]
	v_add_f64 v[38:39], v[38:39], 1.0
	v_add_f64 v[32:33], v[20:21], -v[32:33]
	s_mov_b32 s0, 0x55555555
	v_add_f64 v[32:33], v[32:33], v[38:39]
	v_frexp_mant_f64_e32 v[38:39], v[30:31]
	s_mov_b32 s1, 0x3fe55555
	v_frexp_exp_i32_f64_e32 v40, v[30:31]
	v_cmp_gt_f64_e64 s[0:1], s[0:1], v[38:39]
	s_mov_b32 s37, 0x3c7abc9e
	s_nop 0
	v_subbrev_co_u32_e64 v68, s[0:1], 0, v40, s[0:1]
	v_sub_u32_e32 v38, 0, v68
	v_ldexp_f64 v[30:31], v[30:31], v38
	v_ldexp_f64 v[32:33], v[32:33], v38
	v_add_f64 v[38:39], v[30:31], -1.0
	v_add_f64 v[44:45], v[30:31], 1.0
	v_add_f64 v[40:41], v[38:39], 1.0
	v_add_f64 v[46:47], v[44:45], -1.0
	v_add_f64 v[40:41], v[30:31], -v[40:41]
	v_add_f64 v[30:31], v[30:31], -v[46:47]
	v_add_f64 v[30:31], v[32:33], v[30:31]
	v_add_f64 v[40:41], v[32:33], v[40:41]
	;; [unrolled: 1-line block ×3, first 2 shown]
	v_rcp_f64_e32 v[46:47], v[32:33]
	v_add_f64 v[42:43], v[38:39], v[40:41]
	v_add_f64 v[38:39], v[42:43], -v[38:39]
	v_add_f64 v[38:39], v[40:41], -v[38:39]
	;; [unrolled: 1-line block ×4, first 2 shown]
	v_fma_f64 v[40:41], -v[32:33], v[46:47], 1.0
	v_fmac_f64_e32 v[46:47], v[40:41], v[46:47]
	v_fma_f64 v[40:41], -v[32:33], v[46:47], 1.0
	v_fmac_f64_e32 v[46:47], v[40:41], v[46:47]
	v_mul_f64 v[40:41], v[42:43], v[46:47]
	v_mul_f64 v[44:45], v[32:33], v[40:41]
	v_fma_f64 v[48:49], v[40:41], v[32:33], -v[44:45]
	v_fmac_f64_e32 v[48:49], v[40:41], v[30:31]
	v_add_f64 v[50:51], v[44:45], v[48:49]
	v_add_f64 v[66:67], v[42:43], -v[50:51]
	v_add_f64 v[42:43], v[42:43], -v[66:67]
	;; [unrolled: 1-line block ×4, first 2 shown]
	v_add_f64 v[38:39], v[38:39], v[42:43]
	v_add_f64 v[42:43], v[44:45], -v[48:49]
	v_add_f64 v[38:39], v[42:43], v[38:39]
	v_add_f64 v[42:43], v[66:67], v[38:39]
	v_add_f64 v[44:45], v[66:67], -v[42:43]
	v_add_f64 v[38:39], v[38:39], v[44:45]
	v_mul_f64 v[44:45], v[46:47], v[42:43]
	v_mul_f64 v[48:49], v[32:33], v[44:45]
	v_fma_f64 v[32:33], v[44:45], v[32:33], -v[48:49]
	v_fmac_f64_e32 v[32:33], v[44:45], v[30:31]
	v_add_f64 v[30:31], v[48:49], v[32:33]
	v_add_f64 v[50:51], v[42:43], -v[30:31]
	v_add_f64 v[42:43], v[42:43], -v[50:51]
	;; [unrolled: 1-line block ×4, first 2 shown]
	v_add_f64 v[30:31], v[38:39], v[30:31]
	v_add_f64 v[32:33], v[48:49], -v[32:33]
	v_add_f64 v[30:31], v[32:33], v[30:31]
	v_add_f64 v[32:33], v[40:41], v[44:45]
	;; [unrolled: 1-line block ×3, first 2 shown]
	v_add_f64 v[38:39], v[32:33], -v[40:41]
	v_mul_f64 v[30:31], v[46:47], v[30:31]
	v_add_f64 v[38:39], v[44:45], -v[38:39]
	v_add_f64 v[30:31], v[38:39], v[30:31]
	v_add_f64 v[38:39], v[32:33], v[30:31]
	v_add_f64 v[32:33], v[38:39], -v[32:33]
	s_mov_b32 s0, 0xbf559e2b
	v_add_f64 v[30:31], v[30:31], -v[32:33]
	v_mul_f64 v[32:33], v[38:39], v[38:39]
	v_mov_b32_e32 v40, 0x6b47b09a
	v_mov_b32_e32 v41, 0x3fc38538
	s_mov_b32 s1, 0x3fc3ab76
	v_fmac_f64_e32 v[40:41], s[0:1], v[32:33]
	v_mov_b32_e32 v42, 0xd7f4df2e
	v_mov_b32_e32 v43, 0x3fc7474d
	v_fmac_f64_e32 v[42:43], v[32:33], v[40:41]
	v_mov_b32_e32 v40, 0x16291751
	v_mov_b32_e32 v41, 0x3fcc71c0
	;; [unrolled: 3-line block ×5, first 2 shown]
	v_fmac_f64_e32 v[42:43], v[32:33], v[40:41]
	v_cvt_f64_i32_e32 v[40:41], v68
	v_mul_f64 v[44:45], v[40:41], s[34:35]
	v_fma_f64 v[46:47], v[40:41], s[34:35], -v[44:45]
	v_fmac_f64_e32 v[46:47], s[36:37], v[40:41]
	v_add_f64 v[40:41], v[44:45], v[46:47]
	v_add_f64 v[44:45], v[40:41], -v[44:45]
	v_mul_f64 v[32:33], v[38:39], v[32:33]
	v_add_f64 v[44:45], v[46:47], -v[44:45]
	v_ldexp_f64 v[46:47], v[38:39], 1
	v_mul_f64 v[32:33], v[32:33], v[42:43]
	v_add_f64 v[38:39], v[46:47], v[32:33]
	v_add_f64 v[42:43], v[38:39], -v[46:47]
	v_ldexp_f64 v[30:31], v[30:31], 1
	v_add_f64 v[32:33], v[32:33], -v[42:43]
	v_add_f64 v[30:31], v[30:31], v[32:33]
	v_add_f64 v[32:33], v[38:39], v[30:31]
	v_add_f64 v[38:39], v[32:33], -v[38:39]
	v_add_f64 v[30:31], v[30:31], -v[38:39]
	v_add_f64 v[38:39], v[40:41], v[32:33]
	v_add_f64 v[42:43], v[38:39], -v[40:41]
	v_add_f64 v[46:47], v[38:39], -v[42:43]
	;; [unrolled: 1-line block ×4, first 2 shown]
	v_add_f64 v[32:33], v[32:33], v[40:41]
	v_add_f64 v[40:41], v[44:45], v[30:31]
	v_add_f64 v[42:43], v[40:41], -v[44:45]
	v_add_f64 v[32:33], v[40:41], v[32:33]
	v_add_f64 v[46:47], v[40:41], -v[42:43]
	;; [unrolled: 2-line block ×3, first 2 shown]
	v_add_f64 v[30:31], v[30:31], -v[42:43]
	v_add_f64 v[38:39], v[40:41], -v[38:39]
	v_add_f64 v[30:31], v[30:31], v[44:45]
	v_add_f64 v[32:33], v[32:33], -v[38:39]
	s_mov_b32 s0, 0
	v_add_f64 v[30:31], v[30:31], v[32:33]
	s_mov_b32 s1, 0x7ff00000
	v_add_f64 v[30:31], v[40:41], v[30:31]
	v_cmp_eq_f64_e64 s[0:1], s[0:1], v[20:21]
	v_mov_b32_e32 v32, 0x7ff80000
	s_nop 0
	v_cndmask_b32_e64 v30, v30, v20, s[0:1]
	v_cndmask_b32_e64 v31, v31, v21, s[0:1]
	v_cmp_ngt_f64_e64 s[0:1], -1.0, v[20:21]
	s_nop 1
	v_cndmask_b32_e64 v31, v32, v31, s[0:1]
	v_cmp_nge_f64_e64 s[0:1], -1.0, v[20:21]
	v_mov_b32_e32 v32, 0xfff00000
	s_nop 0
	v_cndmask_b32_e64 v30, 0, v30, s[0:1]
	v_cmp_neq_f64_e64 s[0:1], -1.0, v[20:21]
	s_nop 1
	v_cndmask_b32_e64 v31, v32, v31, s[0:1]
	v_add_f64 v[20:21], v[28:29], v[30:31]
.LBB60_118:
	s_or_b64 exec, exec, s[30:31]
	v_max_f64 v[28:29], v[20:21], v[20:21]
	v_min_f64 v[30:31], v[28:29], v[52:53]
	v_cmp_u_f64_e64 s[0:1], v[20:21], v[20:21]
	v_max_f64 v[28:29], v[28:29], v[52:53]
	s_nop 0
	v_cndmask_b32_e64 v30, v30, v20, s[0:1]
	v_cndmask_b32_e64 v31, v31, v21, s[0:1]
	;; [unrolled: 1-line block ×8, first 2 shown]
	v_cmp_neq_f64_e64 s[0:1], v[30:31], v[28:29]
	v_cmp_class_f64_e64 s[28:29], v[30:31], s33
	s_or_b64 s[0:1], s[0:1], s[28:29]
	v_mov_b64_e32 v[14:15], v[20:21]
	s_and_saveexec_b64 s[30:31], s[0:1]
	s_cbranch_execz .LBB60_120
; %bb.119:
	s_mov_b32 s0, 0x652b82fe
	v_add_f64 v[14:15], v[30:31], -v[28:29]
	s_mov_b32 s1, 0x3ff71547
	v_mul_f64 v[30:31], v[14:15], s[0:1]
	v_rndne_f64_e32 v[30:31], v[30:31]
	s_mov_b32 s35, 0xbfe62e42
	s_mov_b32 s34, 0xfefa39ef
	v_fma_f64 v[32:33], s[34:35], v[30:31], v[14:15]
	s_mov_b32 s37, 0xbc7abc9e
	s_mov_b32 s36, 0x3b39803f
	;; [unrolled: 1-line block ×3, first 2 shown]
	v_fmac_f64_e32 v[32:33], s[36:37], v[30:31]
	v_mov_b32_e32 v38, 0xfca7ab0c
	v_mov_b32_e32 v39, 0x3e928af3
	s_mov_b32 s1, 0x3e5ade15
	v_fmac_f64_e32 v[38:39], s[0:1], v[32:33]
	v_mov_b32_e32 v40, 0x623fde64
	v_mov_b32_e32 v41, 0x3ec71dee
	v_fmac_f64_e32 v[40:41], v[32:33], v[38:39]
	v_mov_b32_e32 v38, 0x7c89e6b0
	v_mov_b32_e32 v39, 0x3efa0199
	;; [unrolled: 3-line block ×8, first 2 shown]
	v_fmac_f64_e32 v[38:39], v[32:33], v[40:41]
	v_fma_f64 v[38:39], v[32:33], v[38:39], 1.0
	s_mov_b32 s0, 0
	s_mov_b32 s28, 0
	v_fma_f64 v[32:33], v[32:33], v[38:39], 1.0
	v_cvt_i32_f64_e32 v30, v[30:31]
	s_mov_b32 s1, 0x40900000
	s_mov_b32 s29, 0xc090cc00
	v_ldexp_f64 v[30:31], v[32:33], v30
	v_mov_b32_e32 v32, 0x7ff00000
	v_cmp_nlt_f64_e64 s[0:1], s[0:1], v[14:15]
	v_cmp_ngt_f64_e64 s[28:29], s[28:29], v[14:15]
	s_mov_b32 s35, 0x3fe62e42
	v_cndmask_b32_e64 v31, v32, v31, s[0:1]
	s_and_b64 s[0:1], s[28:29], s[0:1]
	v_cndmask_b32_e64 v15, 0, v31, s[28:29]
	v_cndmask_b32_e64 v14, 0, v30, s[0:1]
	v_add_f64 v[30:31], v[14:15], 1.0
	v_add_f64 v[32:33], v[30:31], -1.0
	v_add_f64 v[38:39], v[32:33], -v[30:31]
	v_add_f64 v[38:39], v[38:39], 1.0
	v_add_f64 v[32:33], v[14:15], -v[32:33]
	s_mov_b32 s0, 0x55555555
	v_add_f64 v[32:33], v[32:33], v[38:39]
	v_frexp_mant_f64_e32 v[38:39], v[30:31]
	s_mov_b32 s1, 0x3fe55555
	v_frexp_exp_i32_f64_e32 v40, v[30:31]
	v_cmp_gt_f64_e64 s[0:1], s[0:1], v[38:39]
	s_mov_b32 s37, 0x3c7abc9e
	s_nop 0
	v_subbrev_co_u32_e64 v66, s[0:1], 0, v40, s[0:1]
	v_sub_u32_e32 v38, 0, v66
	v_ldexp_f64 v[30:31], v[30:31], v38
	v_ldexp_f64 v[32:33], v[32:33], v38
	v_add_f64 v[38:39], v[30:31], -1.0
	v_add_f64 v[44:45], v[30:31], 1.0
	v_add_f64 v[40:41], v[38:39], 1.0
	v_add_f64 v[46:47], v[44:45], -1.0
	v_add_f64 v[40:41], v[30:31], -v[40:41]
	v_add_f64 v[30:31], v[30:31], -v[46:47]
	v_add_f64 v[30:31], v[32:33], v[30:31]
	v_add_f64 v[40:41], v[32:33], v[40:41]
	;; [unrolled: 1-line block ×3, first 2 shown]
	v_rcp_f64_e32 v[46:47], v[32:33]
	v_add_f64 v[42:43], v[38:39], v[40:41]
	v_add_f64 v[38:39], v[42:43], -v[38:39]
	v_add_f64 v[38:39], v[40:41], -v[38:39]
	;; [unrolled: 1-line block ×4, first 2 shown]
	v_fma_f64 v[40:41], -v[32:33], v[46:47], 1.0
	v_fmac_f64_e32 v[46:47], v[40:41], v[46:47]
	v_fma_f64 v[40:41], -v[32:33], v[46:47], 1.0
	v_fmac_f64_e32 v[46:47], v[40:41], v[46:47]
	v_mul_f64 v[40:41], v[42:43], v[46:47]
	v_mul_f64 v[44:45], v[32:33], v[40:41]
	v_fma_f64 v[48:49], v[40:41], v[32:33], -v[44:45]
	v_fmac_f64_e32 v[48:49], v[40:41], v[30:31]
	v_add_f64 v[50:51], v[44:45], v[48:49]
	v_add_f64 v[52:53], v[42:43], -v[50:51]
	v_add_f64 v[42:43], v[42:43], -v[52:53]
	;; [unrolled: 1-line block ×4, first 2 shown]
	v_add_f64 v[38:39], v[38:39], v[42:43]
	v_add_f64 v[42:43], v[44:45], -v[48:49]
	v_add_f64 v[38:39], v[42:43], v[38:39]
	v_add_f64 v[42:43], v[52:53], v[38:39]
	v_add_f64 v[44:45], v[52:53], -v[42:43]
	v_add_f64 v[38:39], v[38:39], v[44:45]
	v_mul_f64 v[44:45], v[46:47], v[42:43]
	v_mul_f64 v[48:49], v[32:33], v[44:45]
	v_fma_f64 v[32:33], v[44:45], v[32:33], -v[48:49]
	v_fmac_f64_e32 v[32:33], v[44:45], v[30:31]
	v_add_f64 v[30:31], v[48:49], v[32:33]
	v_add_f64 v[50:51], v[42:43], -v[30:31]
	v_add_f64 v[42:43], v[42:43], -v[50:51]
	;; [unrolled: 1-line block ×4, first 2 shown]
	v_add_f64 v[30:31], v[38:39], v[30:31]
	v_add_f64 v[32:33], v[48:49], -v[32:33]
	v_add_f64 v[30:31], v[32:33], v[30:31]
	v_add_f64 v[32:33], v[40:41], v[44:45]
	;; [unrolled: 1-line block ×3, first 2 shown]
	v_add_f64 v[38:39], v[32:33], -v[40:41]
	v_mul_f64 v[30:31], v[46:47], v[30:31]
	v_add_f64 v[38:39], v[44:45], -v[38:39]
	v_add_f64 v[30:31], v[38:39], v[30:31]
	v_add_f64 v[38:39], v[32:33], v[30:31]
	v_add_f64 v[32:33], v[38:39], -v[32:33]
	s_mov_b32 s0, 0xbf559e2b
	v_add_f64 v[30:31], v[30:31], -v[32:33]
	v_mul_f64 v[32:33], v[38:39], v[38:39]
	v_mov_b32_e32 v40, 0x6b47b09a
	v_mov_b32_e32 v41, 0x3fc38538
	s_mov_b32 s1, 0x3fc3ab76
	v_fmac_f64_e32 v[40:41], s[0:1], v[32:33]
	v_mov_b32_e32 v42, 0xd7f4df2e
	v_mov_b32_e32 v43, 0x3fc7474d
	v_fmac_f64_e32 v[42:43], v[32:33], v[40:41]
	v_mov_b32_e32 v40, 0x16291751
	v_mov_b32_e32 v41, 0x3fcc71c0
	v_fmac_f64_e32 v[40:41], v[32:33], v[42:43]
	v_mov_b32_e32 v42, 0x9b27acf1
	v_mov_b32_e32 v43, 0x3fd24924
	v_fmac_f64_e32 v[42:43], v[32:33], v[40:41]
	v_mov_b32_e32 v40, 0x998ef7b6
	v_mov_b32_e32 v41, 0x3fd99999
	v_fmac_f64_e32 v[40:41], v[32:33], v[42:43]
	v_mov_b32_e32 v42, 0x55555780
	v_mov_b32_e32 v43, 0x3fe55555
	v_fmac_f64_e32 v[42:43], v[32:33], v[40:41]
	v_cvt_f64_i32_e32 v[40:41], v66
	v_mul_f64 v[44:45], v[40:41], s[34:35]
	v_fma_f64 v[46:47], v[40:41], s[34:35], -v[44:45]
	v_fmac_f64_e32 v[46:47], s[36:37], v[40:41]
	v_add_f64 v[40:41], v[44:45], v[46:47]
	v_add_f64 v[44:45], v[40:41], -v[44:45]
	v_mul_f64 v[32:33], v[38:39], v[32:33]
	v_add_f64 v[44:45], v[46:47], -v[44:45]
	v_ldexp_f64 v[46:47], v[38:39], 1
	v_mul_f64 v[32:33], v[32:33], v[42:43]
	v_add_f64 v[38:39], v[46:47], v[32:33]
	v_add_f64 v[42:43], v[38:39], -v[46:47]
	v_ldexp_f64 v[30:31], v[30:31], 1
	v_add_f64 v[32:33], v[32:33], -v[42:43]
	v_add_f64 v[30:31], v[30:31], v[32:33]
	v_add_f64 v[32:33], v[38:39], v[30:31]
	v_add_f64 v[38:39], v[32:33], -v[38:39]
	v_add_f64 v[30:31], v[30:31], -v[38:39]
	v_add_f64 v[38:39], v[40:41], v[32:33]
	v_add_f64 v[42:43], v[38:39], -v[40:41]
	v_add_f64 v[46:47], v[38:39], -v[42:43]
	;; [unrolled: 1-line block ×4, first 2 shown]
	v_add_f64 v[32:33], v[32:33], v[40:41]
	v_add_f64 v[40:41], v[44:45], v[30:31]
	v_add_f64 v[42:43], v[40:41], -v[44:45]
	v_add_f64 v[32:33], v[40:41], v[32:33]
	v_add_f64 v[46:47], v[40:41], -v[42:43]
	;; [unrolled: 2-line block ×3, first 2 shown]
	v_add_f64 v[30:31], v[30:31], -v[42:43]
	v_add_f64 v[38:39], v[40:41], -v[38:39]
	v_add_f64 v[30:31], v[30:31], v[44:45]
	v_add_f64 v[32:33], v[32:33], -v[38:39]
	s_mov_b32 s0, 0
	v_add_f64 v[30:31], v[30:31], v[32:33]
	s_mov_b32 s1, 0x7ff00000
	v_add_f64 v[30:31], v[40:41], v[30:31]
	v_cmp_eq_f64_e64 s[0:1], s[0:1], v[14:15]
	v_mov_b32_e32 v32, 0x7ff80000
	s_nop 0
	v_cndmask_b32_e64 v30, v30, v14, s[0:1]
	v_cndmask_b32_e64 v31, v31, v15, s[0:1]
	v_cmp_ngt_f64_e64 s[0:1], -1.0, v[14:15]
	s_nop 1
	v_cndmask_b32_e64 v31, v32, v31, s[0:1]
	v_cmp_nge_f64_e64 s[0:1], -1.0, v[14:15]
	v_mov_b32_e32 v32, 0xfff00000
	s_nop 0
	v_cndmask_b32_e64 v30, 0, v30, s[0:1]
	v_cmp_neq_f64_e64 s[0:1], -1.0, v[14:15]
	s_nop 1
	v_cndmask_b32_e64 v31, v32, v31, s[0:1]
	v_add_f64 v[14:15], v[28:29], v[30:31]
.LBB60_120:
	s_or_b64 exec, exec, s[30:31]
	v_max_f64 v[28:29], v[14:15], v[14:15]
	v_min_f64 v[30:31], v[28:29], v[54:55]
	v_cmp_u_f64_e64 s[0:1], v[14:15], v[14:15]
	v_max_f64 v[28:29], v[28:29], v[54:55]
	s_nop 0
	v_cndmask_b32_e64 v30, v30, v14, s[0:1]
	v_cndmask_b32_e64 v31, v31, v15, s[0:1]
	;; [unrolled: 1-line block ×8, first 2 shown]
	v_cmp_neq_f64_e64 s[0:1], v[30:31], v[28:29]
	v_cmp_class_f64_e64 s[28:29], v[30:31], s33
	s_or_b64 s[0:1], s[0:1], s[28:29]
	v_mov_b64_e32 v[16:17], v[14:15]
	s_and_saveexec_b64 s[30:31], s[0:1]
	s_cbranch_execz .LBB60_122
; %bb.121:
	s_mov_b32 s0, 0x652b82fe
	v_add_f64 v[16:17], v[30:31], -v[28:29]
	s_mov_b32 s1, 0x3ff71547
	v_mul_f64 v[30:31], v[16:17], s[0:1]
	v_rndne_f64_e32 v[30:31], v[30:31]
	s_mov_b32 s35, 0xbfe62e42
	s_mov_b32 s34, 0xfefa39ef
	v_fma_f64 v[32:33], s[34:35], v[30:31], v[16:17]
	s_mov_b32 s37, 0xbc7abc9e
	s_mov_b32 s36, 0x3b39803f
	;; [unrolled: 1-line block ×3, first 2 shown]
	v_fmac_f64_e32 v[32:33], s[36:37], v[30:31]
	v_mov_b32_e32 v38, 0xfca7ab0c
	v_mov_b32_e32 v39, 0x3e928af3
	s_mov_b32 s1, 0x3e5ade15
	v_fmac_f64_e32 v[38:39], s[0:1], v[32:33]
	v_mov_b32_e32 v40, 0x623fde64
	v_mov_b32_e32 v41, 0x3ec71dee
	v_fmac_f64_e32 v[40:41], v[32:33], v[38:39]
	v_mov_b32_e32 v38, 0x7c89e6b0
	v_mov_b32_e32 v39, 0x3efa0199
	;; [unrolled: 3-line block ×8, first 2 shown]
	v_fmac_f64_e32 v[38:39], v[32:33], v[40:41]
	v_fma_f64 v[38:39], v[32:33], v[38:39], 1.0
	s_mov_b32 s0, 0
	s_mov_b32 s28, 0
	v_fma_f64 v[32:33], v[32:33], v[38:39], 1.0
	v_cvt_i32_f64_e32 v30, v[30:31]
	s_mov_b32 s1, 0x40900000
	s_mov_b32 s29, 0xc090cc00
	v_ldexp_f64 v[30:31], v[32:33], v30
	v_mov_b32_e32 v32, 0x7ff00000
	v_cmp_nlt_f64_e64 s[0:1], s[0:1], v[16:17]
	v_cmp_ngt_f64_e64 s[28:29], s[28:29], v[16:17]
	s_mov_b32 s35, 0x3fe62e42
	v_cndmask_b32_e64 v31, v32, v31, s[0:1]
	s_and_b64 s[0:1], s[28:29], s[0:1]
	v_cndmask_b32_e64 v17, 0, v31, s[28:29]
	v_cndmask_b32_e64 v16, 0, v30, s[0:1]
	v_add_f64 v[30:31], v[16:17], 1.0
	v_add_f64 v[32:33], v[30:31], -1.0
	v_add_f64 v[38:39], v[32:33], -v[30:31]
	v_add_f64 v[38:39], v[38:39], 1.0
	v_add_f64 v[32:33], v[16:17], -v[32:33]
	s_mov_b32 s0, 0x55555555
	v_add_f64 v[32:33], v[32:33], v[38:39]
	v_frexp_mant_f64_e32 v[38:39], v[30:31]
	s_mov_b32 s1, 0x3fe55555
	v_frexp_exp_i32_f64_e32 v40, v[30:31]
	v_cmp_gt_f64_e64 s[0:1], s[0:1], v[38:39]
	s_mov_b32 s37, 0x3c7abc9e
	s_nop 0
	v_subbrev_co_u32_e64 v54, s[0:1], 0, v40, s[0:1]
	v_sub_u32_e32 v38, 0, v54
	v_ldexp_f64 v[30:31], v[30:31], v38
	v_ldexp_f64 v[32:33], v[32:33], v38
	v_add_f64 v[38:39], v[30:31], -1.0
	v_add_f64 v[44:45], v[30:31], 1.0
	v_add_f64 v[40:41], v[38:39], 1.0
	v_add_f64 v[46:47], v[44:45], -1.0
	v_add_f64 v[40:41], v[30:31], -v[40:41]
	v_add_f64 v[30:31], v[30:31], -v[46:47]
	v_add_f64 v[30:31], v[32:33], v[30:31]
	v_add_f64 v[40:41], v[32:33], v[40:41]
	;; [unrolled: 1-line block ×3, first 2 shown]
	v_rcp_f64_e32 v[46:47], v[32:33]
	v_add_f64 v[42:43], v[38:39], v[40:41]
	v_add_f64 v[38:39], v[42:43], -v[38:39]
	v_add_f64 v[38:39], v[40:41], -v[38:39]
	v_add_f64 v[40:41], v[32:33], -v[44:45]
	v_add_f64 v[30:31], v[30:31], -v[40:41]
	v_fma_f64 v[40:41], -v[32:33], v[46:47], 1.0
	v_fmac_f64_e32 v[46:47], v[40:41], v[46:47]
	v_fma_f64 v[40:41], -v[32:33], v[46:47], 1.0
	v_fmac_f64_e32 v[46:47], v[40:41], v[46:47]
	v_mul_f64 v[40:41], v[42:43], v[46:47]
	v_mul_f64 v[44:45], v[32:33], v[40:41]
	v_fma_f64 v[48:49], v[40:41], v[32:33], -v[44:45]
	v_fmac_f64_e32 v[48:49], v[40:41], v[30:31]
	v_add_f64 v[50:51], v[44:45], v[48:49]
	v_add_f64 v[52:53], v[42:43], -v[50:51]
	v_add_f64 v[42:43], v[42:43], -v[52:53]
	;; [unrolled: 1-line block ×4, first 2 shown]
	v_add_f64 v[38:39], v[38:39], v[42:43]
	v_add_f64 v[42:43], v[44:45], -v[48:49]
	v_add_f64 v[38:39], v[42:43], v[38:39]
	v_add_f64 v[42:43], v[52:53], v[38:39]
	v_add_f64 v[44:45], v[52:53], -v[42:43]
	v_add_f64 v[38:39], v[38:39], v[44:45]
	v_mul_f64 v[44:45], v[46:47], v[42:43]
	v_mul_f64 v[48:49], v[32:33], v[44:45]
	v_fma_f64 v[32:33], v[44:45], v[32:33], -v[48:49]
	v_fmac_f64_e32 v[32:33], v[44:45], v[30:31]
	v_add_f64 v[30:31], v[48:49], v[32:33]
	v_add_f64 v[50:51], v[42:43], -v[30:31]
	v_add_f64 v[42:43], v[42:43], -v[50:51]
	;; [unrolled: 1-line block ×4, first 2 shown]
	v_add_f64 v[30:31], v[38:39], v[30:31]
	v_add_f64 v[32:33], v[48:49], -v[32:33]
	v_add_f64 v[30:31], v[32:33], v[30:31]
	v_add_f64 v[32:33], v[40:41], v[44:45]
	;; [unrolled: 1-line block ×3, first 2 shown]
	v_add_f64 v[38:39], v[32:33], -v[40:41]
	v_mul_f64 v[30:31], v[46:47], v[30:31]
	v_add_f64 v[38:39], v[44:45], -v[38:39]
	v_add_f64 v[30:31], v[38:39], v[30:31]
	v_add_f64 v[38:39], v[32:33], v[30:31]
	v_add_f64 v[32:33], v[38:39], -v[32:33]
	s_mov_b32 s0, 0xbf559e2b
	v_add_f64 v[30:31], v[30:31], -v[32:33]
	v_mul_f64 v[32:33], v[38:39], v[38:39]
	v_mov_b32_e32 v40, 0x6b47b09a
	v_mov_b32_e32 v41, 0x3fc38538
	s_mov_b32 s1, 0x3fc3ab76
	v_fmac_f64_e32 v[40:41], s[0:1], v[32:33]
	v_mov_b32_e32 v42, 0xd7f4df2e
	v_mov_b32_e32 v43, 0x3fc7474d
	v_fmac_f64_e32 v[42:43], v[32:33], v[40:41]
	v_mov_b32_e32 v40, 0x16291751
	v_mov_b32_e32 v41, 0x3fcc71c0
	;; [unrolled: 3-line block ×5, first 2 shown]
	v_fmac_f64_e32 v[42:43], v[32:33], v[40:41]
	v_cvt_f64_i32_e32 v[40:41], v54
	v_mul_f64 v[44:45], v[40:41], s[34:35]
	v_fma_f64 v[46:47], v[40:41], s[34:35], -v[44:45]
	v_fmac_f64_e32 v[46:47], s[36:37], v[40:41]
	v_add_f64 v[40:41], v[44:45], v[46:47]
	v_add_f64 v[44:45], v[40:41], -v[44:45]
	v_mul_f64 v[32:33], v[38:39], v[32:33]
	v_add_f64 v[44:45], v[46:47], -v[44:45]
	v_ldexp_f64 v[46:47], v[38:39], 1
	v_mul_f64 v[32:33], v[32:33], v[42:43]
	v_add_f64 v[38:39], v[46:47], v[32:33]
	v_add_f64 v[42:43], v[38:39], -v[46:47]
	v_ldexp_f64 v[30:31], v[30:31], 1
	v_add_f64 v[32:33], v[32:33], -v[42:43]
	v_add_f64 v[30:31], v[30:31], v[32:33]
	v_add_f64 v[32:33], v[38:39], v[30:31]
	v_add_f64 v[38:39], v[32:33], -v[38:39]
	v_add_f64 v[30:31], v[30:31], -v[38:39]
	v_add_f64 v[38:39], v[40:41], v[32:33]
	v_add_f64 v[42:43], v[38:39], -v[40:41]
	v_add_f64 v[46:47], v[38:39], -v[42:43]
	;; [unrolled: 1-line block ×4, first 2 shown]
	v_add_f64 v[32:33], v[32:33], v[40:41]
	v_add_f64 v[40:41], v[44:45], v[30:31]
	v_add_f64 v[42:43], v[40:41], -v[44:45]
	v_add_f64 v[32:33], v[40:41], v[32:33]
	v_add_f64 v[46:47], v[40:41], -v[42:43]
	;; [unrolled: 2-line block ×3, first 2 shown]
	v_add_f64 v[30:31], v[30:31], -v[42:43]
	v_add_f64 v[38:39], v[40:41], -v[38:39]
	v_add_f64 v[30:31], v[30:31], v[44:45]
	v_add_f64 v[32:33], v[32:33], -v[38:39]
	s_mov_b32 s0, 0
	v_add_f64 v[30:31], v[30:31], v[32:33]
	s_mov_b32 s1, 0x7ff00000
	v_add_f64 v[30:31], v[40:41], v[30:31]
	v_cmp_eq_f64_e64 s[0:1], s[0:1], v[16:17]
	v_mov_b32_e32 v32, 0x7ff80000
	s_nop 0
	v_cndmask_b32_e64 v30, v30, v16, s[0:1]
	v_cndmask_b32_e64 v31, v31, v17, s[0:1]
	v_cmp_ngt_f64_e64 s[0:1], -1.0, v[16:17]
	s_nop 1
	v_cndmask_b32_e64 v31, v32, v31, s[0:1]
	v_cmp_nge_f64_e64 s[0:1], -1.0, v[16:17]
	v_mov_b32_e32 v32, 0xfff00000
	s_nop 0
	v_cndmask_b32_e64 v30, 0, v30, s[0:1]
	v_cmp_neq_f64_e64 s[0:1], -1.0, v[16:17]
	s_nop 1
	v_cndmask_b32_e64 v31, v32, v31, s[0:1]
	v_add_f64 v[16:17], v[28:29], v[30:31]
.LBB60_122:
	s_or_b64 exec, exec, s[30:31]
	v_max_f64 v[28:29], v[16:17], v[16:17]
	v_min_f64 v[30:31], v[28:29], v[56:57]
	v_cmp_u_f64_e64 s[0:1], v[16:17], v[16:17]
	v_max_f64 v[28:29], v[28:29], v[56:57]
	s_nop 0
	v_cndmask_b32_e64 v30, v30, v16, s[0:1]
	v_cndmask_b32_e64 v31, v31, v17, s[0:1]
	;; [unrolled: 1-line block ×8, first 2 shown]
	v_cmp_neq_f64_e64 s[0:1], v[30:31], v[28:29]
	v_cmp_class_f64_e64 s[28:29], v[30:31], s33
	s_or_b64 s[0:1], s[0:1], s[28:29]
	v_mov_b64_e32 v[10:11], v[16:17]
	s_and_saveexec_b64 s[30:31], s[0:1]
	s_cbranch_execz .LBB60_124
; %bb.123:
	s_mov_b32 s0, 0x652b82fe
	v_add_f64 v[10:11], v[30:31], -v[28:29]
	s_mov_b32 s1, 0x3ff71547
	v_mul_f64 v[30:31], v[10:11], s[0:1]
	v_rndne_f64_e32 v[30:31], v[30:31]
	s_mov_b32 s35, 0xbfe62e42
	s_mov_b32 s34, 0xfefa39ef
	v_fma_f64 v[32:33], s[34:35], v[30:31], v[10:11]
	s_mov_b32 s37, 0xbc7abc9e
	s_mov_b32 s36, 0x3b39803f
	;; [unrolled: 1-line block ×3, first 2 shown]
	v_fmac_f64_e32 v[32:33], s[36:37], v[30:31]
	v_mov_b32_e32 v38, 0xfca7ab0c
	v_mov_b32_e32 v39, 0x3e928af3
	s_mov_b32 s1, 0x3e5ade15
	v_fmac_f64_e32 v[38:39], s[0:1], v[32:33]
	v_mov_b32_e32 v40, 0x623fde64
	v_mov_b32_e32 v41, 0x3ec71dee
	v_fmac_f64_e32 v[40:41], v[32:33], v[38:39]
	v_mov_b32_e32 v38, 0x7c89e6b0
	v_mov_b32_e32 v39, 0x3efa0199
	v_fmac_f64_e32 v[38:39], v[32:33], v[40:41]
	v_mov_b32_e32 v40, 0x14761f6e
	v_mov_b32_e32 v41, 0x3f2a01a0
	v_fmac_f64_e32 v[40:41], v[32:33], v[38:39]
	v_mov_b32_e32 v38, 0x1852b7b0
	v_mov_b32_e32 v39, 0x3f56c16c
	v_fmac_f64_e32 v[38:39], v[32:33], v[40:41]
	v_mov_b32_e32 v40, 0x11122322
	v_mov_b32_e32 v41, 0x3f811111
	v_fmac_f64_e32 v[40:41], v[32:33], v[38:39]
	v_mov_b32_e32 v38, 0x555502a1
	v_mov_b32_e32 v39, 0x3fa55555
	v_fmac_f64_e32 v[38:39], v[32:33], v[40:41]
	v_mov_b32_e32 v40, 0x55555511
	v_mov_b32_e32 v41, 0x3fc55555
	v_fmac_f64_e32 v[40:41], v[32:33], v[38:39]
	v_mov_b32_e32 v38, 11
	v_mov_b32_e32 v39, 0x3fe00000
	v_fmac_f64_e32 v[38:39], v[32:33], v[40:41]
	v_fma_f64 v[38:39], v[32:33], v[38:39], 1.0
	s_mov_b32 s0, 0
	s_mov_b32 s28, 0
	v_fma_f64 v[32:33], v[32:33], v[38:39], 1.0
	v_cvt_i32_f64_e32 v30, v[30:31]
	s_mov_b32 s1, 0x40900000
	s_mov_b32 s29, 0xc090cc00
	v_ldexp_f64 v[30:31], v[32:33], v30
	v_mov_b32_e32 v32, 0x7ff00000
	v_cmp_nlt_f64_e64 s[0:1], s[0:1], v[10:11]
	v_cmp_ngt_f64_e64 s[28:29], s[28:29], v[10:11]
	s_mov_b32 s35, 0x3fe62e42
	v_cndmask_b32_e64 v31, v32, v31, s[0:1]
	s_and_b64 s[0:1], s[28:29], s[0:1]
	v_cndmask_b32_e64 v11, 0, v31, s[28:29]
	v_cndmask_b32_e64 v10, 0, v30, s[0:1]
	v_add_f64 v[30:31], v[10:11], 1.0
	v_add_f64 v[32:33], v[30:31], -1.0
	v_add_f64 v[38:39], v[32:33], -v[30:31]
	v_add_f64 v[38:39], v[38:39], 1.0
	v_add_f64 v[32:33], v[10:11], -v[32:33]
	s_mov_b32 s0, 0x55555555
	v_add_f64 v[32:33], v[32:33], v[38:39]
	v_frexp_mant_f64_e32 v[38:39], v[30:31]
	s_mov_b32 s1, 0x3fe55555
	v_frexp_exp_i32_f64_e32 v40, v[30:31]
	v_cmp_gt_f64_e64 s[0:1], s[0:1], v[38:39]
	s_mov_b32 s37, 0x3c7abc9e
	s_nop 0
	v_subbrev_co_u32_e64 v54, s[0:1], 0, v40, s[0:1]
	v_sub_u32_e32 v38, 0, v54
	v_ldexp_f64 v[30:31], v[30:31], v38
	v_ldexp_f64 v[32:33], v[32:33], v38
	v_add_f64 v[38:39], v[30:31], -1.0
	v_add_f64 v[44:45], v[30:31], 1.0
	v_add_f64 v[40:41], v[38:39], 1.0
	v_add_f64 v[46:47], v[44:45], -1.0
	v_add_f64 v[40:41], v[30:31], -v[40:41]
	v_add_f64 v[30:31], v[30:31], -v[46:47]
	v_add_f64 v[30:31], v[32:33], v[30:31]
	v_add_f64 v[40:41], v[32:33], v[40:41]
	;; [unrolled: 1-line block ×3, first 2 shown]
	v_rcp_f64_e32 v[46:47], v[32:33]
	v_add_f64 v[42:43], v[38:39], v[40:41]
	v_add_f64 v[38:39], v[42:43], -v[38:39]
	v_add_f64 v[38:39], v[40:41], -v[38:39]
	;; [unrolled: 1-line block ×4, first 2 shown]
	v_fma_f64 v[40:41], -v[32:33], v[46:47], 1.0
	v_fmac_f64_e32 v[46:47], v[40:41], v[46:47]
	v_fma_f64 v[40:41], -v[32:33], v[46:47], 1.0
	v_fmac_f64_e32 v[46:47], v[40:41], v[46:47]
	v_mul_f64 v[40:41], v[42:43], v[46:47]
	v_mul_f64 v[44:45], v[32:33], v[40:41]
	v_fma_f64 v[48:49], v[40:41], v[32:33], -v[44:45]
	v_fmac_f64_e32 v[48:49], v[40:41], v[30:31]
	v_add_f64 v[50:51], v[44:45], v[48:49]
	v_add_f64 v[52:53], v[42:43], -v[50:51]
	v_add_f64 v[42:43], v[42:43], -v[52:53]
	;; [unrolled: 1-line block ×4, first 2 shown]
	v_add_f64 v[38:39], v[38:39], v[42:43]
	v_add_f64 v[42:43], v[44:45], -v[48:49]
	v_add_f64 v[38:39], v[42:43], v[38:39]
	v_add_f64 v[42:43], v[52:53], v[38:39]
	v_add_f64 v[44:45], v[52:53], -v[42:43]
	v_add_f64 v[38:39], v[38:39], v[44:45]
	v_mul_f64 v[44:45], v[46:47], v[42:43]
	v_mul_f64 v[48:49], v[32:33], v[44:45]
	v_fma_f64 v[32:33], v[44:45], v[32:33], -v[48:49]
	v_fmac_f64_e32 v[32:33], v[44:45], v[30:31]
	v_add_f64 v[30:31], v[48:49], v[32:33]
	v_add_f64 v[50:51], v[42:43], -v[30:31]
	v_add_f64 v[42:43], v[42:43], -v[50:51]
	v_add_f64 v[48:49], v[30:31], -v[48:49]
	v_add_f64 v[30:31], v[42:43], -v[30:31]
	v_add_f64 v[30:31], v[38:39], v[30:31]
	v_add_f64 v[32:33], v[48:49], -v[32:33]
	v_add_f64 v[30:31], v[32:33], v[30:31]
	v_add_f64 v[32:33], v[40:41], v[44:45]
	;; [unrolled: 1-line block ×3, first 2 shown]
	v_add_f64 v[38:39], v[32:33], -v[40:41]
	v_mul_f64 v[30:31], v[46:47], v[30:31]
	v_add_f64 v[38:39], v[44:45], -v[38:39]
	v_add_f64 v[30:31], v[38:39], v[30:31]
	v_add_f64 v[38:39], v[32:33], v[30:31]
	v_add_f64 v[32:33], v[38:39], -v[32:33]
	s_mov_b32 s0, 0xbf559e2b
	v_add_f64 v[30:31], v[30:31], -v[32:33]
	v_mul_f64 v[32:33], v[38:39], v[38:39]
	v_mov_b32_e32 v40, 0x6b47b09a
	v_mov_b32_e32 v41, 0x3fc38538
	s_mov_b32 s1, 0x3fc3ab76
	v_fmac_f64_e32 v[40:41], s[0:1], v[32:33]
	v_mov_b32_e32 v42, 0xd7f4df2e
	v_mov_b32_e32 v43, 0x3fc7474d
	v_fmac_f64_e32 v[42:43], v[32:33], v[40:41]
	v_mov_b32_e32 v40, 0x16291751
	v_mov_b32_e32 v41, 0x3fcc71c0
	;; [unrolled: 3-line block ×5, first 2 shown]
	v_fmac_f64_e32 v[42:43], v[32:33], v[40:41]
	v_cvt_f64_i32_e32 v[40:41], v54
	v_mul_f64 v[44:45], v[40:41], s[34:35]
	v_fma_f64 v[46:47], v[40:41], s[34:35], -v[44:45]
	v_fmac_f64_e32 v[46:47], s[36:37], v[40:41]
	v_add_f64 v[40:41], v[44:45], v[46:47]
	v_add_f64 v[44:45], v[40:41], -v[44:45]
	v_mul_f64 v[32:33], v[38:39], v[32:33]
	v_add_f64 v[44:45], v[46:47], -v[44:45]
	v_ldexp_f64 v[46:47], v[38:39], 1
	v_mul_f64 v[32:33], v[32:33], v[42:43]
	v_add_f64 v[38:39], v[46:47], v[32:33]
	v_add_f64 v[42:43], v[38:39], -v[46:47]
	v_ldexp_f64 v[30:31], v[30:31], 1
	v_add_f64 v[32:33], v[32:33], -v[42:43]
	v_add_f64 v[30:31], v[30:31], v[32:33]
	v_add_f64 v[32:33], v[38:39], v[30:31]
	v_add_f64 v[38:39], v[32:33], -v[38:39]
	v_add_f64 v[30:31], v[30:31], -v[38:39]
	v_add_f64 v[38:39], v[40:41], v[32:33]
	v_add_f64 v[42:43], v[38:39], -v[40:41]
	v_add_f64 v[46:47], v[38:39], -v[42:43]
	;; [unrolled: 1-line block ×4, first 2 shown]
	v_add_f64 v[32:33], v[32:33], v[40:41]
	v_add_f64 v[40:41], v[44:45], v[30:31]
	v_add_f64 v[42:43], v[40:41], -v[44:45]
	v_add_f64 v[32:33], v[40:41], v[32:33]
	v_add_f64 v[46:47], v[40:41], -v[42:43]
	;; [unrolled: 2-line block ×3, first 2 shown]
	v_add_f64 v[30:31], v[30:31], -v[42:43]
	v_add_f64 v[38:39], v[40:41], -v[38:39]
	v_add_f64 v[30:31], v[30:31], v[44:45]
	v_add_f64 v[32:33], v[32:33], -v[38:39]
	s_mov_b32 s0, 0
	v_add_f64 v[30:31], v[30:31], v[32:33]
	s_mov_b32 s1, 0x7ff00000
	v_add_f64 v[30:31], v[40:41], v[30:31]
	v_cmp_eq_f64_e64 s[0:1], s[0:1], v[10:11]
	v_mov_b32_e32 v32, 0x7ff80000
	s_nop 0
	v_cndmask_b32_e64 v30, v30, v10, s[0:1]
	v_cndmask_b32_e64 v31, v31, v11, s[0:1]
	v_cmp_ngt_f64_e64 s[0:1], -1.0, v[10:11]
	s_nop 1
	v_cndmask_b32_e64 v31, v32, v31, s[0:1]
	v_cmp_nge_f64_e64 s[0:1], -1.0, v[10:11]
	v_mov_b32_e32 v32, 0xfff00000
	s_nop 0
	v_cndmask_b32_e64 v30, 0, v30, s[0:1]
	v_cmp_neq_f64_e64 s[0:1], -1.0, v[10:11]
	s_nop 1
	v_cndmask_b32_e64 v31, v32, v31, s[0:1]
	v_add_f64 v[10:11], v[28:29], v[30:31]
.LBB60_124:
	s_or_b64 exec, exec, s[30:31]
	v_max_f64 v[28:29], v[10:11], v[10:11]
	v_min_f64 v[30:31], v[28:29], v[58:59]
	v_cmp_u_f64_e64 s[0:1], v[10:11], v[10:11]
	v_max_f64 v[28:29], v[28:29], v[58:59]
	s_nop 0
	v_cndmask_b32_e64 v30, v30, v10, s[0:1]
	v_cndmask_b32_e64 v31, v31, v11, s[0:1]
	;; [unrolled: 1-line block ×8, first 2 shown]
	v_cmp_neq_f64_e64 s[0:1], v[30:31], v[28:29]
	v_cmp_class_f64_e64 s[28:29], v[30:31], s33
	s_or_b64 s[0:1], s[0:1], s[28:29]
	v_mov_b64_e32 v[12:13], v[10:11]
	s_and_saveexec_b64 s[30:31], s[0:1]
	s_cbranch_execz .LBB60_126
; %bb.125:
	s_mov_b32 s0, 0x652b82fe
	v_add_f64 v[12:13], v[30:31], -v[28:29]
	s_mov_b32 s1, 0x3ff71547
	v_mul_f64 v[30:31], v[12:13], s[0:1]
	v_rndne_f64_e32 v[30:31], v[30:31]
	s_mov_b32 s35, 0xbfe62e42
	s_mov_b32 s34, 0xfefa39ef
	v_fma_f64 v[32:33], s[34:35], v[30:31], v[12:13]
	s_mov_b32 s37, 0xbc7abc9e
	s_mov_b32 s36, 0x3b39803f
	;; [unrolled: 1-line block ×3, first 2 shown]
	v_fmac_f64_e32 v[32:33], s[36:37], v[30:31]
	v_mov_b32_e32 v38, 0xfca7ab0c
	v_mov_b32_e32 v39, 0x3e928af3
	s_mov_b32 s1, 0x3e5ade15
	v_fmac_f64_e32 v[38:39], s[0:1], v[32:33]
	v_mov_b32_e32 v40, 0x623fde64
	v_mov_b32_e32 v41, 0x3ec71dee
	v_fmac_f64_e32 v[40:41], v[32:33], v[38:39]
	v_mov_b32_e32 v38, 0x7c89e6b0
	v_mov_b32_e32 v39, 0x3efa0199
	;; [unrolled: 3-line block ×8, first 2 shown]
	v_fmac_f64_e32 v[38:39], v[32:33], v[40:41]
	v_fma_f64 v[38:39], v[32:33], v[38:39], 1.0
	s_mov_b32 s0, 0
	s_mov_b32 s28, 0
	v_fma_f64 v[32:33], v[32:33], v[38:39], 1.0
	v_cvt_i32_f64_e32 v30, v[30:31]
	s_mov_b32 s1, 0x40900000
	s_mov_b32 s29, 0xc090cc00
	v_ldexp_f64 v[30:31], v[32:33], v30
	v_mov_b32_e32 v32, 0x7ff00000
	v_cmp_nlt_f64_e64 s[0:1], s[0:1], v[12:13]
	v_cmp_ngt_f64_e64 s[28:29], s[28:29], v[12:13]
	s_mov_b32 s35, 0x3fe62e42
	v_cndmask_b32_e64 v31, v32, v31, s[0:1]
	s_and_b64 s[0:1], s[28:29], s[0:1]
	v_cndmask_b32_e64 v13, 0, v31, s[28:29]
	v_cndmask_b32_e64 v12, 0, v30, s[0:1]
	v_add_f64 v[30:31], v[12:13], 1.0
	v_add_f64 v[32:33], v[30:31], -1.0
	v_add_f64 v[38:39], v[32:33], -v[30:31]
	v_add_f64 v[38:39], v[38:39], 1.0
	v_add_f64 v[32:33], v[12:13], -v[32:33]
	s_mov_b32 s0, 0x55555555
	v_add_f64 v[32:33], v[32:33], v[38:39]
	v_frexp_mant_f64_e32 v[38:39], v[30:31]
	s_mov_b32 s1, 0x3fe55555
	v_frexp_exp_i32_f64_e32 v40, v[30:31]
	v_cmp_gt_f64_e64 s[0:1], s[0:1], v[38:39]
	s_mov_b32 s37, 0x3c7abc9e
	s_nop 0
	v_subbrev_co_u32_e64 v54, s[0:1], 0, v40, s[0:1]
	v_sub_u32_e32 v38, 0, v54
	v_ldexp_f64 v[30:31], v[30:31], v38
	v_ldexp_f64 v[32:33], v[32:33], v38
	v_add_f64 v[38:39], v[30:31], -1.0
	v_add_f64 v[44:45], v[30:31], 1.0
	v_add_f64 v[40:41], v[38:39], 1.0
	v_add_f64 v[46:47], v[44:45], -1.0
	v_add_f64 v[40:41], v[30:31], -v[40:41]
	v_add_f64 v[30:31], v[30:31], -v[46:47]
	v_add_f64 v[30:31], v[32:33], v[30:31]
	v_add_f64 v[40:41], v[32:33], v[40:41]
	;; [unrolled: 1-line block ×3, first 2 shown]
	v_rcp_f64_e32 v[46:47], v[32:33]
	v_add_f64 v[42:43], v[38:39], v[40:41]
	v_add_f64 v[38:39], v[42:43], -v[38:39]
	v_add_f64 v[38:39], v[40:41], -v[38:39]
	;; [unrolled: 1-line block ×4, first 2 shown]
	v_fma_f64 v[40:41], -v[32:33], v[46:47], 1.0
	v_fmac_f64_e32 v[46:47], v[40:41], v[46:47]
	v_fma_f64 v[40:41], -v[32:33], v[46:47], 1.0
	v_fmac_f64_e32 v[46:47], v[40:41], v[46:47]
	v_mul_f64 v[40:41], v[42:43], v[46:47]
	v_mul_f64 v[44:45], v[32:33], v[40:41]
	v_fma_f64 v[48:49], v[40:41], v[32:33], -v[44:45]
	v_fmac_f64_e32 v[48:49], v[40:41], v[30:31]
	v_add_f64 v[50:51], v[44:45], v[48:49]
	v_add_f64 v[52:53], v[42:43], -v[50:51]
	v_add_f64 v[42:43], v[42:43], -v[52:53]
	;; [unrolled: 1-line block ×4, first 2 shown]
	v_add_f64 v[38:39], v[38:39], v[42:43]
	v_add_f64 v[42:43], v[44:45], -v[48:49]
	v_add_f64 v[38:39], v[42:43], v[38:39]
	v_add_f64 v[42:43], v[52:53], v[38:39]
	v_add_f64 v[44:45], v[52:53], -v[42:43]
	v_add_f64 v[38:39], v[38:39], v[44:45]
	v_mul_f64 v[44:45], v[46:47], v[42:43]
	v_mul_f64 v[48:49], v[32:33], v[44:45]
	v_fma_f64 v[32:33], v[44:45], v[32:33], -v[48:49]
	v_fmac_f64_e32 v[32:33], v[44:45], v[30:31]
	v_add_f64 v[30:31], v[48:49], v[32:33]
	v_add_f64 v[50:51], v[42:43], -v[30:31]
	v_add_f64 v[42:43], v[42:43], -v[50:51]
	;; [unrolled: 1-line block ×4, first 2 shown]
	v_add_f64 v[30:31], v[38:39], v[30:31]
	v_add_f64 v[32:33], v[48:49], -v[32:33]
	v_add_f64 v[30:31], v[32:33], v[30:31]
	v_add_f64 v[32:33], v[40:41], v[44:45]
	;; [unrolled: 1-line block ×3, first 2 shown]
	v_add_f64 v[38:39], v[32:33], -v[40:41]
	v_mul_f64 v[30:31], v[46:47], v[30:31]
	v_add_f64 v[38:39], v[44:45], -v[38:39]
	v_add_f64 v[30:31], v[38:39], v[30:31]
	v_add_f64 v[38:39], v[32:33], v[30:31]
	v_add_f64 v[32:33], v[38:39], -v[32:33]
	s_mov_b32 s0, 0xbf559e2b
	v_add_f64 v[30:31], v[30:31], -v[32:33]
	v_mul_f64 v[32:33], v[38:39], v[38:39]
	v_mov_b32_e32 v40, 0x6b47b09a
	v_mov_b32_e32 v41, 0x3fc38538
	s_mov_b32 s1, 0x3fc3ab76
	v_fmac_f64_e32 v[40:41], s[0:1], v[32:33]
	v_mov_b32_e32 v42, 0xd7f4df2e
	v_mov_b32_e32 v43, 0x3fc7474d
	v_fmac_f64_e32 v[42:43], v[32:33], v[40:41]
	v_mov_b32_e32 v40, 0x16291751
	v_mov_b32_e32 v41, 0x3fcc71c0
	;; [unrolled: 3-line block ×5, first 2 shown]
	v_fmac_f64_e32 v[42:43], v[32:33], v[40:41]
	v_cvt_f64_i32_e32 v[40:41], v54
	v_mul_f64 v[44:45], v[40:41], s[34:35]
	v_fma_f64 v[46:47], v[40:41], s[34:35], -v[44:45]
	v_fmac_f64_e32 v[46:47], s[36:37], v[40:41]
	v_add_f64 v[40:41], v[44:45], v[46:47]
	v_add_f64 v[44:45], v[40:41], -v[44:45]
	v_mul_f64 v[32:33], v[38:39], v[32:33]
	v_add_f64 v[44:45], v[46:47], -v[44:45]
	v_ldexp_f64 v[46:47], v[38:39], 1
	v_mul_f64 v[32:33], v[32:33], v[42:43]
	v_add_f64 v[38:39], v[46:47], v[32:33]
	v_add_f64 v[42:43], v[38:39], -v[46:47]
	v_ldexp_f64 v[30:31], v[30:31], 1
	v_add_f64 v[32:33], v[32:33], -v[42:43]
	v_add_f64 v[30:31], v[30:31], v[32:33]
	v_add_f64 v[32:33], v[38:39], v[30:31]
	v_add_f64 v[38:39], v[32:33], -v[38:39]
	v_add_f64 v[30:31], v[30:31], -v[38:39]
	v_add_f64 v[38:39], v[40:41], v[32:33]
	v_add_f64 v[42:43], v[38:39], -v[40:41]
	v_add_f64 v[46:47], v[38:39], -v[42:43]
	;; [unrolled: 1-line block ×4, first 2 shown]
	v_add_f64 v[32:33], v[32:33], v[40:41]
	v_add_f64 v[40:41], v[44:45], v[30:31]
	v_add_f64 v[42:43], v[40:41], -v[44:45]
	v_add_f64 v[32:33], v[40:41], v[32:33]
	v_add_f64 v[46:47], v[40:41], -v[42:43]
	;; [unrolled: 2-line block ×3, first 2 shown]
	v_add_f64 v[30:31], v[30:31], -v[42:43]
	v_add_f64 v[38:39], v[40:41], -v[38:39]
	v_add_f64 v[30:31], v[30:31], v[44:45]
	v_add_f64 v[32:33], v[32:33], -v[38:39]
	s_mov_b32 s0, 0
	v_add_f64 v[30:31], v[30:31], v[32:33]
	s_mov_b32 s1, 0x7ff00000
	v_add_f64 v[30:31], v[40:41], v[30:31]
	v_cmp_eq_f64_e64 s[0:1], s[0:1], v[12:13]
	v_mov_b32_e32 v32, 0x7ff80000
	s_nop 0
	v_cndmask_b32_e64 v30, v30, v12, s[0:1]
	v_cndmask_b32_e64 v31, v31, v13, s[0:1]
	v_cmp_ngt_f64_e64 s[0:1], -1.0, v[12:13]
	s_nop 1
	v_cndmask_b32_e64 v31, v32, v31, s[0:1]
	v_cmp_nge_f64_e64 s[0:1], -1.0, v[12:13]
	v_mov_b32_e32 v32, 0xfff00000
	s_nop 0
	v_cndmask_b32_e64 v30, 0, v30, s[0:1]
	v_cmp_neq_f64_e64 s[0:1], -1.0, v[12:13]
	s_nop 1
	v_cndmask_b32_e64 v31, v32, v31, s[0:1]
	v_add_f64 v[12:13], v[28:29], v[30:31]
.LBB60_126:
	s_or_b64 exec, exec, s[30:31]
	v_max_f64 v[28:29], v[12:13], v[12:13]
	v_min_f64 v[30:31], v[28:29], v[60:61]
	v_cmp_u_f64_e64 s[0:1], v[12:13], v[12:13]
	v_max_f64 v[28:29], v[28:29], v[60:61]
	s_nop 0
	v_cndmask_b32_e64 v30, v30, v12, s[0:1]
	v_cndmask_b32_e64 v31, v31, v13, s[0:1]
	v_cndmask_b32_e64 v28, v28, v12, s[0:1]
	v_cndmask_b32_e64 v29, v29, v13, s[0:1]
	v_cndmask_b32_e64 v31, v31, v7, s[52:53]
	v_cndmask_b32_e64 v30, v30, v6, s[52:53]
	v_cndmask_b32_e64 v29, v29, v7, s[52:53]
	v_cndmask_b32_e64 v28, v28, v6, s[52:53]
	v_cmp_neq_f64_e64 s[0:1], v[30:31], v[28:29]
	v_cmp_class_f64_e64 s[28:29], v[30:31], s33
	s_or_b64 s[0:1], s[0:1], s[28:29]
	v_mov_b64_e32 v[6:7], v[12:13]
	s_and_saveexec_b64 s[30:31], s[0:1]
	s_cbranch_execz .LBB60_128
; %bb.127:
	s_mov_b32 s0, 0x652b82fe
	v_add_f64 v[6:7], v[30:31], -v[28:29]
	s_mov_b32 s1, 0x3ff71547
	v_mul_f64 v[30:31], v[6:7], s[0:1]
	v_rndne_f64_e32 v[30:31], v[30:31]
	s_mov_b32 s35, 0xbfe62e42
	s_mov_b32 s34, 0xfefa39ef
	v_fma_f64 v[32:33], s[34:35], v[30:31], v[6:7]
	s_mov_b32 s37, 0xbc7abc9e
	s_mov_b32 s36, 0x3b39803f
	;; [unrolled: 1-line block ×3, first 2 shown]
	v_fmac_f64_e32 v[32:33], s[36:37], v[30:31]
	v_mov_b32_e32 v38, 0xfca7ab0c
	v_mov_b32_e32 v39, 0x3e928af3
	s_mov_b32 s1, 0x3e5ade15
	v_fmac_f64_e32 v[38:39], s[0:1], v[32:33]
	v_mov_b32_e32 v40, 0x623fde64
	v_mov_b32_e32 v41, 0x3ec71dee
	v_fmac_f64_e32 v[40:41], v[32:33], v[38:39]
	v_mov_b32_e32 v38, 0x7c89e6b0
	v_mov_b32_e32 v39, 0x3efa0199
	v_fmac_f64_e32 v[38:39], v[32:33], v[40:41]
	v_mov_b32_e32 v40, 0x14761f6e
	v_mov_b32_e32 v41, 0x3f2a01a0
	v_fmac_f64_e32 v[40:41], v[32:33], v[38:39]
	v_mov_b32_e32 v38, 0x1852b7b0
	v_mov_b32_e32 v39, 0x3f56c16c
	v_fmac_f64_e32 v[38:39], v[32:33], v[40:41]
	v_mov_b32_e32 v40, 0x11122322
	v_mov_b32_e32 v41, 0x3f811111
	v_fmac_f64_e32 v[40:41], v[32:33], v[38:39]
	v_mov_b32_e32 v38, 0x555502a1
	v_mov_b32_e32 v39, 0x3fa55555
	v_fmac_f64_e32 v[38:39], v[32:33], v[40:41]
	v_mov_b32_e32 v40, 0x55555511
	v_mov_b32_e32 v41, 0x3fc55555
	v_fmac_f64_e32 v[40:41], v[32:33], v[38:39]
	v_mov_b32_e32 v38, 11
	v_mov_b32_e32 v39, 0x3fe00000
	v_fmac_f64_e32 v[38:39], v[32:33], v[40:41]
	v_fma_f64 v[38:39], v[32:33], v[38:39], 1.0
	s_mov_b32 s0, 0
	s_mov_b32 s28, 0
	v_fma_f64 v[32:33], v[32:33], v[38:39], 1.0
	v_cvt_i32_f64_e32 v30, v[30:31]
	s_mov_b32 s1, 0x40900000
	s_mov_b32 s29, 0xc090cc00
	v_ldexp_f64 v[30:31], v[32:33], v30
	v_mov_b32_e32 v32, 0x7ff00000
	v_cmp_nlt_f64_e64 s[0:1], s[0:1], v[6:7]
	v_cmp_ngt_f64_e64 s[28:29], s[28:29], v[6:7]
	s_mov_b32 s35, 0x3fe62e42
	v_cndmask_b32_e64 v31, v32, v31, s[0:1]
	s_and_b64 s[0:1], s[28:29], s[0:1]
	v_cndmask_b32_e64 v7, 0, v31, s[28:29]
	v_cndmask_b32_e64 v6, 0, v30, s[0:1]
	v_add_f64 v[30:31], v[6:7], 1.0
	v_add_f64 v[32:33], v[30:31], -1.0
	v_add_f64 v[38:39], v[32:33], -v[30:31]
	v_add_f64 v[38:39], v[38:39], 1.0
	v_add_f64 v[32:33], v[6:7], -v[32:33]
	s_mov_b32 s0, 0x55555555
	v_add_f64 v[32:33], v[32:33], v[38:39]
	v_frexp_mant_f64_e32 v[38:39], v[30:31]
	s_mov_b32 s1, 0x3fe55555
	v_frexp_exp_i32_f64_e32 v40, v[30:31]
	v_cmp_gt_f64_e64 s[0:1], s[0:1], v[38:39]
	s_mov_b32 s37, 0x3c7abc9e
	s_nop 0
	v_subbrev_co_u32_e64 v54, s[0:1], 0, v40, s[0:1]
	v_sub_u32_e32 v38, 0, v54
	v_ldexp_f64 v[30:31], v[30:31], v38
	v_ldexp_f64 v[32:33], v[32:33], v38
	v_add_f64 v[38:39], v[30:31], -1.0
	v_add_f64 v[44:45], v[30:31], 1.0
	v_add_f64 v[40:41], v[38:39], 1.0
	v_add_f64 v[46:47], v[44:45], -1.0
	v_add_f64 v[40:41], v[30:31], -v[40:41]
	v_add_f64 v[30:31], v[30:31], -v[46:47]
	v_add_f64 v[30:31], v[32:33], v[30:31]
	v_add_f64 v[40:41], v[32:33], v[40:41]
	;; [unrolled: 1-line block ×3, first 2 shown]
	v_rcp_f64_e32 v[46:47], v[32:33]
	v_add_f64 v[42:43], v[38:39], v[40:41]
	v_add_f64 v[38:39], v[42:43], -v[38:39]
	v_add_f64 v[38:39], v[40:41], -v[38:39]
	;; [unrolled: 1-line block ×4, first 2 shown]
	v_fma_f64 v[40:41], -v[32:33], v[46:47], 1.0
	v_fmac_f64_e32 v[46:47], v[40:41], v[46:47]
	v_fma_f64 v[40:41], -v[32:33], v[46:47], 1.0
	v_fmac_f64_e32 v[46:47], v[40:41], v[46:47]
	v_mul_f64 v[40:41], v[42:43], v[46:47]
	v_mul_f64 v[44:45], v[32:33], v[40:41]
	v_fma_f64 v[48:49], v[40:41], v[32:33], -v[44:45]
	v_fmac_f64_e32 v[48:49], v[40:41], v[30:31]
	v_add_f64 v[50:51], v[44:45], v[48:49]
	v_add_f64 v[52:53], v[42:43], -v[50:51]
	v_add_f64 v[42:43], v[42:43], -v[52:53]
	v_add_f64 v[44:45], v[50:51], -v[44:45]
	v_add_f64 v[42:43], v[42:43], -v[50:51]
	v_add_f64 v[38:39], v[38:39], v[42:43]
	v_add_f64 v[42:43], v[44:45], -v[48:49]
	v_add_f64 v[38:39], v[42:43], v[38:39]
	v_add_f64 v[42:43], v[52:53], v[38:39]
	v_add_f64 v[44:45], v[52:53], -v[42:43]
	v_add_f64 v[38:39], v[38:39], v[44:45]
	v_mul_f64 v[44:45], v[46:47], v[42:43]
	v_mul_f64 v[48:49], v[32:33], v[44:45]
	v_fma_f64 v[32:33], v[44:45], v[32:33], -v[48:49]
	v_fmac_f64_e32 v[32:33], v[44:45], v[30:31]
	v_add_f64 v[30:31], v[48:49], v[32:33]
	v_add_f64 v[50:51], v[42:43], -v[30:31]
	v_add_f64 v[42:43], v[42:43], -v[50:51]
	;; [unrolled: 1-line block ×4, first 2 shown]
	v_add_f64 v[30:31], v[38:39], v[30:31]
	v_add_f64 v[32:33], v[48:49], -v[32:33]
	v_add_f64 v[30:31], v[32:33], v[30:31]
	v_add_f64 v[32:33], v[40:41], v[44:45]
	;; [unrolled: 1-line block ×3, first 2 shown]
	v_add_f64 v[38:39], v[32:33], -v[40:41]
	v_mul_f64 v[30:31], v[46:47], v[30:31]
	v_add_f64 v[38:39], v[44:45], -v[38:39]
	v_add_f64 v[30:31], v[38:39], v[30:31]
	v_add_f64 v[38:39], v[32:33], v[30:31]
	v_add_f64 v[32:33], v[38:39], -v[32:33]
	s_mov_b32 s0, 0xbf559e2b
	v_add_f64 v[30:31], v[30:31], -v[32:33]
	v_mul_f64 v[32:33], v[38:39], v[38:39]
	v_mov_b32_e32 v40, 0x6b47b09a
	v_mov_b32_e32 v41, 0x3fc38538
	s_mov_b32 s1, 0x3fc3ab76
	v_fmac_f64_e32 v[40:41], s[0:1], v[32:33]
	v_mov_b32_e32 v42, 0xd7f4df2e
	v_mov_b32_e32 v43, 0x3fc7474d
	v_fmac_f64_e32 v[42:43], v[32:33], v[40:41]
	v_mov_b32_e32 v40, 0x16291751
	v_mov_b32_e32 v41, 0x3fcc71c0
	;; [unrolled: 3-line block ×5, first 2 shown]
	v_fmac_f64_e32 v[42:43], v[32:33], v[40:41]
	v_cvt_f64_i32_e32 v[40:41], v54
	v_mul_f64 v[44:45], v[40:41], s[34:35]
	v_fma_f64 v[46:47], v[40:41], s[34:35], -v[44:45]
	v_fmac_f64_e32 v[46:47], s[36:37], v[40:41]
	v_add_f64 v[40:41], v[44:45], v[46:47]
	v_add_f64 v[44:45], v[40:41], -v[44:45]
	v_mul_f64 v[32:33], v[38:39], v[32:33]
	v_add_f64 v[44:45], v[46:47], -v[44:45]
	v_ldexp_f64 v[46:47], v[38:39], 1
	v_mul_f64 v[32:33], v[32:33], v[42:43]
	v_add_f64 v[38:39], v[46:47], v[32:33]
	v_add_f64 v[42:43], v[38:39], -v[46:47]
	v_ldexp_f64 v[30:31], v[30:31], 1
	v_add_f64 v[32:33], v[32:33], -v[42:43]
	v_add_f64 v[30:31], v[30:31], v[32:33]
	v_add_f64 v[32:33], v[38:39], v[30:31]
	v_add_f64 v[38:39], v[32:33], -v[38:39]
	v_add_f64 v[30:31], v[30:31], -v[38:39]
	v_add_f64 v[38:39], v[40:41], v[32:33]
	v_add_f64 v[42:43], v[38:39], -v[40:41]
	v_add_f64 v[46:47], v[38:39], -v[42:43]
	;; [unrolled: 1-line block ×4, first 2 shown]
	v_add_f64 v[32:33], v[32:33], v[40:41]
	v_add_f64 v[40:41], v[44:45], v[30:31]
	v_add_f64 v[42:43], v[40:41], -v[44:45]
	v_add_f64 v[32:33], v[40:41], v[32:33]
	v_add_f64 v[46:47], v[40:41], -v[42:43]
	;; [unrolled: 2-line block ×3, first 2 shown]
	v_add_f64 v[30:31], v[30:31], -v[42:43]
	v_add_f64 v[38:39], v[40:41], -v[38:39]
	v_add_f64 v[30:31], v[30:31], v[44:45]
	v_add_f64 v[32:33], v[32:33], -v[38:39]
	s_mov_b32 s0, 0
	v_add_f64 v[30:31], v[30:31], v[32:33]
	s_mov_b32 s1, 0x7ff00000
	v_add_f64 v[30:31], v[40:41], v[30:31]
	v_cmp_eq_f64_e64 s[0:1], s[0:1], v[6:7]
	v_mov_b32_e32 v32, 0x7ff80000
	s_nop 0
	v_cndmask_b32_e64 v30, v30, v6, s[0:1]
	v_cndmask_b32_e64 v31, v31, v7, s[0:1]
	v_cmp_ngt_f64_e64 s[0:1], -1.0, v[6:7]
	s_nop 1
	v_cndmask_b32_e64 v31, v32, v31, s[0:1]
	v_cmp_nge_f64_e64 s[0:1], -1.0, v[6:7]
	v_mov_b32_e32 v32, 0xfff00000
	s_nop 0
	v_cndmask_b32_e64 v30, 0, v30, s[0:1]
	v_cmp_neq_f64_e64 s[0:1], -1.0, v[6:7]
	s_nop 1
	v_cndmask_b32_e64 v31, v32, v31, s[0:1]
	v_add_f64 v[6:7], v[28:29], v[30:31]
.LBB60_128:
	s_or_b64 exec, exec, s[30:31]
	v_max_f64 v[28:29], v[6:7], v[6:7]
	v_min_f64 v[30:31], v[28:29], v[62:63]
	v_cmp_u_f64_e64 s[0:1], v[6:7], v[6:7]
	v_max_f64 v[28:29], v[28:29], v[62:63]
	s_nop 0
	v_cndmask_b32_e64 v30, v30, v6, s[0:1]
	v_cndmask_b32_e64 v31, v31, v7, s[0:1]
	;; [unrolled: 1-line block ×8, first 2 shown]
	v_cmp_neq_f64_e64 s[0:1], v[30:31], v[28:29]
	v_cmp_class_f64_e64 s[28:29], v[30:31], s33
	s_or_b64 s[0:1], s[0:1], s[28:29]
	v_mov_b64_e32 v[8:9], v[6:7]
	s_and_saveexec_b64 s[30:31], s[0:1]
	s_cbranch_execz .LBB60_130
; %bb.129:
	s_mov_b32 s0, 0x652b82fe
	v_add_f64 v[8:9], v[30:31], -v[28:29]
	s_mov_b32 s1, 0x3ff71547
	v_mul_f64 v[30:31], v[8:9], s[0:1]
	v_rndne_f64_e32 v[30:31], v[30:31]
	s_mov_b32 s35, 0xbfe62e42
	s_mov_b32 s34, 0xfefa39ef
	v_fma_f64 v[32:33], s[34:35], v[30:31], v[8:9]
	s_mov_b32 s37, 0xbc7abc9e
	s_mov_b32 s36, 0x3b39803f
	;; [unrolled: 1-line block ×3, first 2 shown]
	v_fmac_f64_e32 v[32:33], s[36:37], v[30:31]
	v_mov_b32_e32 v38, 0xfca7ab0c
	v_mov_b32_e32 v39, 0x3e928af3
	s_mov_b32 s1, 0x3e5ade15
	v_fmac_f64_e32 v[38:39], s[0:1], v[32:33]
	v_mov_b32_e32 v40, 0x623fde64
	v_mov_b32_e32 v41, 0x3ec71dee
	v_fmac_f64_e32 v[40:41], v[32:33], v[38:39]
	v_mov_b32_e32 v38, 0x7c89e6b0
	v_mov_b32_e32 v39, 0x3efa0199
	;; [unrolled: 3-line block ×8, first 2 shown]
	v_fmac_f64_e32 v[38:39], v[32:33], v[40:41]
	v_fma_f64 v[38:39], v[32:33], v[38:39], 1.0
	s_mov_b32 s0, 0
	s_mov_b32 s28, 0
	v_fma_f64 v[32:33], v[32:33], v[38:39], 1.0
	v_cvt_i32_f64_e32 v30, v[30:31]
	s_mov_b32 s1, 0x40900000
	s_mov_b32 s29, 0xc090cc00
	v_ldexp_f64 v[30:31], v[32:33], v30
	v_mov_b32_e32 v32, 0x7ff00000
	v_cmp_nlt_f64_e64 s[0:1], s[0:1], v[8:9]
	v_cmp_ngt_f64_e64 s[28:29], s[28:29], v[8:9]
	s_mov_b32 s35, 0x3fe62e42
	v_cndmask_b32_e64 v31, v32, v31, s[0:1]
	s_and_b64 s[0:1], s[28:29], s[0:1]
	v_cndmask_b32_e64 v9, 0, v31, s[28:29]
	v_cndmask_b32_e64 v8, 0, v30, s[0:1]
	v_add_f64 v[30:31], v[8:9], 1.0
	v_add_f64 v[32:33], v[30:31], -1.0
	v_add_f64 v[38:39], v[32:33], -v[30:31]
	v_add_f64 v[38:39], v[38:39], 1.0
	v_add_f64 v[32:33], v[8:9], -v[32:33]
	s_mov_b32 s0, 0x55555555
	v_add_f64 v[32:33], v[32:33], v[38:39]
	v_frexp_mant_f64_e32 v[38:39], v[30:31]
	s_mov_b32 s1, 0x3fe55555
	v_frexp_exp_i32_f64_e32 v40, v[30:31]
	v_cmp_gt_f64_e64 s[0:1], s[0:1], v[38:39]
	s_mov_b32 s37, 0x3c7abc9e
	s_nop 0
	v_subbrev_co_u32_e64 v54, s[0:1], 0, v40, s[0:1]
	v_sub_u32_e32 v38, 0, v54
	v_ldexp_f64 v[30:31], v[30:31], v38
	v_ldexp_f64 v[32:33], v[32:33], v38
	v_add_f64 v[38:39], v[30:31], -1.0
	v_add_f64 v[44:45], v[30:31], 1.0
	v_add_f64 v[40:41], v[38:39], 1.0
	v_add_f64 v[46:47], v[44:45], -1.0
	v_add_f64 v[40:41], v[30:31], -v[40:41]
	v_add_f64 v[30:31], v[30:31], -v[46:47]
	v_add_f64 v[30:31], v[32:33], v[30:31]
	v_add_f64 v[40:41], v[32:33], v[40:41]
	;; [unrolled: 1-line block ×3, first 2 shown]
	v_rcp_f64_e32 v[46:47], v[32:33]
	v_add_f64 v[42:43], v[38:39], v[40:41]
	v_add_f64 v[38:39], v[42:43], -v[38:39]
	v_add_f64 v[38:39], v[40:41], -v[38:39]
	;; [unrolled: 1-line block ×4, first 2 shown]
	v_fma_f64 v[40:41], -v[32:33], v[46:47], 1.0
	v_fmac_f64_e32 v[46:47], v[40:41], v[46:47]
	v_fma_f64 v[40:41], -v[32:33], v[46:47], 1.0
	v_fmac_f64_e32 v[46:47], v[40:41], v[46:47]
	v_mul_f64 v[40:41], v[42:43], v[46:47]
	v_mul_f64 v[44:45], v[32:33], v[40:41]
	v_fma_f64 v[48:49], v[40:41], v[32:33], -v[44:45]
	v_fmac_f64_e32 v[48:49], v[40:41], v[30:31]
	v_add_f64 v[50:51], v[44:45], v[48:49]
	v_add_f64 v[52:53], v[42:43], -v[50:51]
	v_add_f64 v[42:43], v[42:43], -v[52:53]
	;; [unrolled: 1-line block ×4, first 2 shown]
	v_add_f64 v[38:39], v[38:39], v[42:43]
	v_add_f64 v[42:43], v[44:45], -v[48:49]
	v_add_f64 v[38:39], v[42:43], v[38:39]
	v_add_f64 v[42:43], v[52:53], v[38:39]
	v_add_f64 v[44:45], v[52:53], -v[42:43]
	v_add_f64 v[38:39], v[38:39], v[44:45]
	v_mul_f64 v[44:45], v[46:47], v[42:43]
	v_mul_f64 v[48:49], v[32:33], v[44:45]
	v_fma_f64 v[32:33], v[44:45], v[32:33], -v[48:49]
	v_fmac_f64_e32 v[32:33], v[44:45], v[30:31]
	v_add_f64 v[30:31], v[48:49], v[32:33]
	v_add_f64 v[50:51], v[42:43], -v[30:31]
	v_add_f64 v[42:43], v[42:43], -v[50:51]
	;; [unrolled: 1-line block ×4, first 2 shown]
	v_add_f64 v[30:31], v[38:39], v[30:31]
	v_add_f64 v[32:33], v[48:49], -v[32:33]
	v_add_f64 v[30:31], v[32:33], v[30:31]
	v_add_f64 v[32:33], v[40:41], v[44:45]
	;; [unrolled: 1-line block ×3, first 2 shown]
	v_add_f64 v[38:39], v[32:33], -v[40:41]
	v_mul_f64 v[30:31], v[46:47], v[30:31]
	v_add_f64 v[38:39], v[44:45], -v[38:39]
	v_add_f64 v[30:31], v[38:39], v[30:31]
	v_add_f64 v[38:39], v[32:33], v[30:31]
	v_add_f64 v[32:33], v[38:39], -v[32:33]
	s_mov_b32 s0, 0xbf559e2b
	v_add_f64 v[30:31], v[30:31], -v[32:33]
	v_mul_f64 v[32:33], v[38:39], v[38:39]
	v_mov_b32_e32 v40, 0x6b47b09a
	v_mov_b32_e32 v41, 0x3fc38538
	s_mov_b32 s1, 0x3fc3ab76
	v_fmac_f64_e32 v[40:41], s[0:1], v[32:33]
	v_mov_b32_e32 v42, 0xd7f4df2e
	v_mov_b32_e32 v43, 0x3fc7474d
	v_fmac_f64_e32 v[42:43], v[32:33], v[40:41]
	v_mov_b32_e32 v40, 0x16291751
	v_mov_b32_e32 v41, 0x3fcc71c0
	;; [unrolled: 3-line block ×5, first 2 shown]
	v_fmac_f64_e32 v[42:43], v[32:33], v[40:41]
	v_cvt_f64_i32_e32 v[40:41], v54
	v_mul_f64 v[44:45], v[40:41], s[34:35]
	v_fma_f64 v[46:47], v[40:41], s[34:35], -v[44:45]
	v_fmac_f64_e32 v[46:47], s[36:37], v[40:41]
	v_add_f64 v[40:41], v[44:45], v[46:47]
	v_add_f64 v[44:45], v[40:41], -v[44:45]
	v_mul_f64 v[32:33], v[38:39], v[32:33]
	v_add_f64 v[44:45], v[46:47], -v[44:45]
	v_ldexp_f64 v[46:47], v[38:39], 1
	v_mul_f64 v[32:33], v[32:33], v[42:43]
	v_add_f64 v[38:39], v[46:47], v[32:33]
	v_add_f64 v[42:43], v[38:39], -v[46:47]
	v_ldexp_f64 v[30:31], v[30:31], 1
	v_add_f64 v[32:33], v[32:33], -v[42:43]
	v_add_f64 v[30:31], v[30:31], v[32:33]
	v_add_f64 v[32:33], v[38:39], v[30:31]
	v_add_f64 v[38:39], v[32:33], -v[38:39]
	v_add_f64 v[30:31], v[30:31], -v[38:39]
	v_add_f64 v[38:39], v[40:41], v[32:33]
	v_add_f64 v[42:43], v[38:39], -v[40:41]
	v_add_f64 v[46:47], v[38:39], -v[42:43]
	;; [unrolled: 1-line block ×4, first 2 shown]
	v_add_f64 v[32:33], v[32:33], v[40:41]
	v_add_f64 v[40:41], v[44:45], v[30:31]
	v_add_f64 v[42:43], v[40:41], -v[44:45]
	v_add_f64 v[32:33], v[40:41], v[32:33]
	v_add_f64 v[46:47], v[40:41], -v[42:43]
	v_add_f64 v[40:41], v[38:39], v[32:33]
	v_add_f64 v[44:45], v[44:45], -v[46:47]
	v_add_f64 v[30:31], v[30:31], -v[42:43]
	v_add_f64 v[38:39], v[40:41], -v[38:39]
	v_add_f64 v[30:31], v[30:31], v[44:45]
	v_add_f64 v[32:33], v[32:33], -v[38:39]
	s_mov_b32 s0, 0
	v_add_f64 v[30:31], v[30:31], v[32:33]
	s_mov_b32 s1, 0x7ff00000
	v_add_f64 v[30:31], v[40:41], v[30:31]
	v_cmp_eq_f64_e64 s[0:1], s[0:1], v[8:9]
	v_mov_b32_e32 v32, 0x7ff80000
	s_nop 0
	v_cndmask_b32_e64 v30, v30, v8, s[0:1]
	v_cndmask_b32_e64 v31, v31, v9, s[0:1]
	v_cmp_ngt_f64_e64 s[0:1], -1.0, v[8:9]
	s_nop 1
	v_cndmask_b32_e64 v31, v32, v31, s[0:1]
	v_cmp_nge_f64_e64 s[0:1], -1.0, v[8:9]
	v_mov_b32_e32 v32, 0xfff00000
	s_nop 0
	v_cndmask_b32_e64 v30, 0, v30, s[0:1]
	v_cmp_neq_f64_e64 s[0:1], -1.0, v[8:9]
	s_nop 1
	v_cndmask_b32_e64 v31, v32, v31, s[0:1]
	v_add_f64 v[8:9], v[28:29], v[30:31]
.LBB60_130:
	s_or_b64 exec, exec, s[30:31]
	v_max_f64 v[28:29], v[8:9], v[8:9]
	v_min_f64 v[30:31], v[28:29], v[64:65]
	v_cmp_u_f64_e64 s[0:1], v[8:9], v[8:9]
	v_max_f64 v[28:29], v[28:29], v[64:65]
	s_nop 0
	v_cndmask_b32_e64 v30, v30, v8, s[0:1]
	v_cndmask_b32_e64 v31, v31, v9, s[0:1]
	;; [unrolled: 1-line block ×8, first 2 shown]
	v_cmp_neq_f64_e64 s[0:1], v[32:33], v[28:29]
	v_cmp_class_f64_e64 s[28:29], v[32:33], s33
	s_or_b64 s[0:1], s[0:1], s[28:29]
	v_mov_b64_e32 v[30:31], v[8:9]
	s_and_saveexec_b64 s[30:31], s[0:1]
	s_cbranch_execz .LBB60_132
; %bb.131:
	s_mov_b32 s0, 0x652b82fe
	v_add_f64 v[30:31], v[32:33], -v[28:29]
	s_mov_b32 s1, 0x3ff71547
	v_mul_f64 v[32:33], v[30:31], s[0:1]
	v_rndne_f64_e32 v[32:33], v[32:33]
	s_mov_b32 s35, 0xbfe62e42
	s_mov_b32 s34, 0xfefa39ef
	v_fma_f64 v[36:37], s[34:35], v[32:33], v[30:31]
	s_mov_b32 s37, 0xbc7abc9e
	s_mov_b32 s36, 0x3b39803f
	;; [unrolled: 1-line block ×3, first 2 shown]
	v_fmac_f64_e32 v[36:37], s[36:37], v[32:33]
	v_mov_b32_e32 v38, 0xfca7ab0c
	v_mov_b32_e32 v39, 0x3e928af3
	s_mov_b32 s1, 0x3e5ade15
	v_fmac_f64_e32 v[38:39], s[0:1], v[36:37]
	v_mov_b32_e32 v40, 0x623fde64
	v_mov_b32_e32 v41, 0x3ec71dee
	v_fmac_f64_e32 v[40:41], v[36:37], v[38:39]
	v_mov_b32_e32 v38, 0x7c89e6b0
	v_mov_b32_e32 v39, 0x3efa0199
	;; [unrolled: 3-line block ×8, first 2 shown]
	v_fmac_f64_e32 v[38:39], v[36:37], v[40:41]
	v_fma_f64 v[38:39], v[36:37], v[38:39], 1.0
	s_mov_b32 s0, 0
	s_mov_b32 s28, 0
	v_fma_f64 v[36:37], v[36:37], v[38:39], 1.0
	v_cvt_i32_f64_e32 v32, v[32:33]
	s_mov_b32 s1, 0x40900000
	s_mov_b32 s29, 0xc090cc00
	v_ldexp_f64 v[32:33], v[36:37], v32
	v_mov_b32_e32 v36, 0x7ff00000
	v_cmp_nlt_f64_e64 s[0:1], s[0:1], v[30:31]
	v_cmp_ngt_f64_e64 s[28:29], s[28:29], v[30:31]
	s_mov_b32 s35, 0x3fe62e42
	v_cndmask_b32_e64 v33, v36, v33, s[0:1]
	s_and_b64 s[0:1], s[28:29], s[0:1]
	v_cndmask_b32_e64 v31, 0, v33, s[28:29]
	v_cndmask_b32_e64 v30, 0, v32, s[0:1]
	v_add_f64 v[32:33], v[30:31], 1.0
	v_add_f64 v[36:37], v[32:33], -1.0
	v_add_f64 v[38:39], v[36:37], -v[32:33]
	v_add_f64 v[38:39], v[38:39], 1.0
	v_add_f64 v[36:37], v[30:31], -v[36:37]
	s_mov_b32 s0, 0x55555555
	v_add_f64 v[36:37], v[36:37], v[38:39]
	v_frexp_mant_f64_e32 v[38:39], v[32:33]
	s_mov_b32 s1, 0x3fe55555
	v_frexp_exp_i32_f64_e32 v40, v[32:33]
	v_cmp_gt_f64_e64 s[0:1], s[0:1], v[38:39]
	s_mov_b32 s37, 0x3c7abc9e
	s_nop 0
	v_subbrev_co_u32_e64 v54, s[0:1], 0, v40, s[0:1]
	v_sub_u32_e32 v38, 0, v54
	v_ldexp_f64 v[32:33], v[32:33], v38
	v_ldexp_f64 v[36:37], v[36:37], v38
	v_add_f64 v[38:39], v[32:33], -1.0
	v_add_f64 v[44:45], v[32:33], 1.0
	v_add_f64 v[40:41], v[38:39], 1.0
	v_add_f64 v[46:47], v[44:45], -1.0
	v_add_f64 v[40:41], v[32:33], -v[40:41]
	v_add_f64 v[32:33], v[32:33], -v[46:47]
	v_add_f64 v[32:33], v[36:37], v[32:33]
	v_add_f64 v[40:41], v[36:37], v[40:41]
	v_add_f64 v[36:37], v[44:45], v[32:33]
	v_rcp_f64_e32 v[46:47], v[36:37]
	v_add_f64 v[42:43], v[38:39], v[40:41]
	v_add_f64 v[38:39], v[42:43], -v[38:39]
	v_add_f64 v[38:39], v[40:41], -v[38:39]
	v_add_f64 v[40:41], v[36:37], -v[44:45]
	v_add_f64 v[32:33], v[32:33], -v[40:41]
	v_fma_f64 v[40:41], -v[36:37], v[46:47], 1.0
	v_fmac_f64_e32 v[46:47], v[40:41], v[46:47]
	v_fma_f64 v[40:41], -v[36:37], v[46:47], 1.0
	v_fmac_f64_e32 v[46:47], v[40:41], v[46:47]
	v_mul_f64 v[40:41], v[42:43], v[46:47]
	v_mul_f64 v[44:45], v[36:37], v[40:41]
	v_fma_f64 v[48:49], v[40:41], v[36:37], -v[44:45]
	v_fmac_f64_e32 v[48:49], v[40:41], v[32:33]
	v_add_f64 v[50:51], v[44:45], v[48:49]
	v_add_f64 v[52:53], v[42:43], -v[50:51]
	v_add_f64 v[42:43], v[42:43], -v[52:53]
	;; [unrolled: 1-line block ×4, first 2 shown]
	v_add_f64 v[38:39], v[38:39], v[42:43]
	v_add_f64 v[42:43], v[44:45], -v[48:49]
	v_add_f64 v[38:39], v[42:43], v[38:39]
	v_add_f64 v[42:43], v[52:53], v[38:39]
	v_add_f64 v[44:45], v[52:53], -v[42:43]
	v_add_f64 v[38:39], v[38:39], v[44:45]
	v_mul_f64 v[44:45], v[46:47], v[42:43]
	v_mul_f64 v[48:49], v[36:37], v[44:45]
	v_fma_f64 v[36:37], v[44:45], v[36:37], -v[48:49]
	v_fmac_f64_e32 v[36:37], v[44:45], v[32:33]
	v_add_f64 v[32:33], v[48:49], v[36:37]
	v_add_f64 v[50:51], v[42:43], -v[32:33]
	v_add_f64 v[42:43], v[42:43], -v[50:51]
	v_add_f64 v[48:49], v[32:33], -v[48:49]
	v_add_f64 v[32:33], v[42:43], -v[32:33]
	v_add_f64 v[32:33], v[38:39], v[32:33]
	v_add_f64 v[36:37], v[48:49], -v[36:37]
	v_add_f64 v[32:33], v[36:37], v[32:33]
	v_add_f64 v[36:37], v[40:41], v[44:45]
	;; [unrolled: 1-line block ×3, first 2 shown]
	v_add_f64 v[38:39], v[36:37], -v[40:41]
	v_mul_f64 v[32:33], v[46:47], v[32:33]
	v_add_f64 v[38:39], v[44:45], -v[38:39]
	v_add_f64 v[32:33], v[38:39], v[32:33]
	v_add_f64 v[38:39], v[36:37], v[32:33]
	v_add_f64 v[36:37], v[38:39], -v[36:37]
	s_mov_b32 s0, 0xbf559e2b
	v_add_f64 v[32:33], v[32:33], -v[36:37]
	v_mul_f64 v[36:37], v[38:39], v[38:39]
	v_mov_b32_e32 v40, 0x6b47b09a
	v_mov_b32_e32 v41, 0x3fc38538
	s_mov_b32 s1, 0x3fc3ab76
	v_fmac_f64_e32 v[40:41], s[0:1], v[36:37]
	v_mov_b32_e32 v42, 0xd7f4df2e
	v_mov_b32_e32 v43, 0x3fc7474d
	v_fmac_f64_e32 v[42:43], v[36:37], v[40:41]
	v_mov_b32_e32 v40, 0x16291751
	v_mov_b32_e32 v41, 0x3fcc71c0
	;; [unrolled: 3-line block ×5, first 2 shown]
	v_fmac_f64_e32 v[42:43], v[36:37], v[40:41]
	v_cvt_f64_i32_e32 v[40:41], v54
	v_mul_f64 v[44:45], v[40:41], s[34:35]
	v_fma_f64 v[46:47], v[40:41], s[34:35], -v[44:45]
	v_fmac_f64_e32 v[46:47], s[36:37], v[40:41]
	v_add_f64 v[40:41], v[44:45], v[46:47]
	v_add_f64 v[44:45], v[40:41], -v[44:45]
	v_mul_f64 v[36:37], v[38:39], v[36:37]
	v_add_f64 v[44:45], v[46:47], -v[44:45]
	v_ldexp_f64 v[46:47], v[38:39], 1
	v_mul_f64 v[36:37], v[36:37], v[42:43]
	v_add_f64 v[38:39], v[46:47], v[36:37]
	v_add_f64 v[42:43], v[38:39], -v[46:47]
	v_ldexp_f64 v[32:33], v[32:33], 1
	v_add_f64 v[36:37], v[36:37], -v[42:43]
	v_add_f64 v[32:33], v[32:33], v[36:37]
	v_add_f64 v[36:37], v[38:39], v[32:33]
	v_add_f64 v[38:39], v[36:37], -v[38:39]
	v_add_f64 v[32:33], v[32:33], -v[38:39]
	v_add_f64 v[38:39], v[40:41], v[36:37]
	v_add_f64 v[42:43], v[38:39], -v[40:41]
	v_add_f64 v[46:47], v[38:39], -v[42:43]
	;; [unrolled: 1-line block ×4, first 2 shown]
	v_add_f64 v[36:37], v[36:37], v[40:41]
	v_add_f64 v[40:41], v[44:45], v[32:33]
	v_add_f64 v[42:43], v[40:41], -v[44:45]
	v_add_f64 v[36:37], v[40:41], v[36:37]
	v_add_f64 v[46:47], v[40:41], -v[42:43]
	v_add_f64 v[40:41], v[38:39], v[36:37]
	v_add_f64 v[44:45], v[44:45], -v[46:47]
	v_add_f64 v[32:33], v[32:33], -v[42:43]
	v_add_f64 v[38:39], v[40:41], -v[38:39]
	v_add_f64 v[32:33], v[32:33], v[44:45]
	v_add_f64 v[36:37], v[36:37], -v[38:39]
	s_mov_b32 s0, 0
	v_add_f64 v[32:33], v[32:33], v[36:37]
	s_mov_b32 s1, 0x7ff00000
	v_add_f64 v[32:33], v[40:41], v[32:33]
	v_cmp_eq_f64_e64 s[0:1], s[0:1], v[30:31]
	v_mov_b32_e32 v36, 0x7ff80000
	s_nop 0
	v_cndmask_b32_e64 v32, v32, v30, s[0:1]
	v_cndmask_b32_e64 v33, v33, v31, s[0:1]
	v_cmp_ngt_f64_e64 s[0:1], -1.0, v[30:31]
	s_nop 1
	v_cndmask_b32_e64 v33, v36, v33, s[0:1]
	v_cmp_nge_f64_e64 s[0:1], -1.0, v[30:31]
	v_mov_b32_e32 v36, 0xfff00000
	s_nop 0
	v_cndmask_b32_e64 v32, 0, v32, s[0:1]
	v_cmp_neq_f64_e64 s[0:1], -1.0, v[30:31]
	s_nop 1
	v_cndmask_b32_e64 v33, v36, v33, s[0:1]
	v_add_f64 v[30:31], v[28:29], v[32:33]
.LBB60_132:
	s_or_b64 exec, exec, s[30:31]
	v_add_u32_e32 v28, v34, v35
	s_waitcnt lgkmcnt(0)
	s_barrier
	ds_write2_b64 v28, v[2:3], v[0:1] offset1:1
	ds_write2_b64 v28, v[4:5], v[26:27] offset0:2 offset1:3
	ds_write2_b64 v28, v[22:23], v[24:25] offset0:4 offset1:5
	;; [unrolled: 1-line block ×6, first 2 shown]
	ds_write_b64 v28, v[30:31] offset:112
	s_waitcnt lgkmcnt(0)
	s_barrier
	ds_read2st64_b64 v[24:27], v34 offset0:4 offset1:8
	ds_read2st64_b64 v[20:23], v34 offset0:12 offset1:16
	;; [unrolled: 1-line block ×7, first 2 shown]
	v_mov_b32_e32 v35, 0
	v_lshl_add_u64 v[28:29], s[62:63], 0, v[34:35]
	s_and_saveexec_b64 s[0:1], vcc
	s_cbranch_execnz .LBB60_148
; %bb.133:
	s_or_b64 exec, exec, s[0:1]
	s_and_saveexec_b64 s[0:1], s[58:59]
	s_cbranch_execnz .LBB60_149
.LBB60_134:
	s_or_b64 exec, exec, s[0:1]
	s_and_saveexec_b64 s[0:1], s[2:3]
	s_cbranch_execnz .LBB60_150
.LBB60_135:
	s_or_b64 exec, exec, s[0:1]
	s_and_saveexec_b64 s[0:1], s[4:5]
	s_cbranch_execnz .LBB60_151
.LBB60_136:
	s_or_b64 exec, exec, s[0:1]
	s_and_saveexec_b64 s[0:1], s[6:7]
	s_cbranch_execnz .LBB60_152
.LBB60_137:
	s_or_b64 exec, exec, s[0:1]
	s_and_saveexec_b64 s[0:1], s[8:9]
	s_cbranch_execnz .LBB60_153
.LBB60_138:
	s_or_b64 exec, exec, s[0:1]
	s_and_saveexec_b64 s[0:1], s[10:11]
	s_cbranch_execnz .LBB60_154
.LBB60_139:
	s_or_b64 exec, exec, s[0:1]
	s_and_saveexec_b64 s[0:1], s[12:13]
	s_cbranch_execnz .LBB60_155
.LBB60_140:
	s_or_b64 exec, exec, s[0:1]
	s_and_saveexec_b64 s[0:1], s[14:15]
	s_cbranch_execnz .LBB60_156
.LBB60_141:
	s_or_b64 exec, exec, s[0:1]
	s_and_saveexec_b64 s[0:1], s[16:17]
	s_cbranch_execnz .LBB60_157
.LBB60_142:
	s_or_b64 exec, exec, s[0:1]
	s_and_saveexec_b64 s[0:1], s[18:19]
	s_cbranch_execnz .LBB60_158
.LBB60_143:
	s_or_b64 exec, exec, s[0:1]
	s_and_saveexec_b64 s[0:1], s[20:21]
	s_cbranch_execnz .LBB60_159
.LBB60_144:
	s_or_b64 exec, exec, s[0:1]
	s_and_saveexec_b64 s[0:1], s[22:23]
	s_cbranch_execnz .LBB60_160
.LBB60_145:
	s_or_b64 exec, exec, s[0:1]
	s_and_saveexec_b64 s[0:1], s[24:25]
	s_cbranch_execnz .LBB60_161
.LBB60_146:
	s_or_b64 exec, exec, s[0:1]
	s_and_saveexec_b64 s[0:1], s[26:27]
	s_cbranch_execnz .LBB60_162
.LBB60_147:
	s_endpgm
.LBB60_148:
	ds_read_b64 v[30:31], v34
	s_waitcnt lgkmcnt(0)
	global_store_dwordx2 v[28:29], v[30:31], off
	s_or_b64 exec, exec, s[0:1]
	s_and_saveexec_b64 s[0:1], s[58:59]
	s_cbranch_execz .LBB60_134
.LBB60_149:
	s_waitcnt lgkmcnt(6)
	global_store_dwordx2 v[28:29], v[24:25], off offset:2048
	s_or_b64 exec, exec, s[0:1]
	s_and_saveexec_b64 s[0:1], s[2:3]
	s_cbranch_execz .LBB60_135
.LBB60_150:
	s_waitcnt lgkmcnt(6)
	v_add_co_u32_e32 v24, vcc, 0x1000, v28
	s_nop 1
	v_addc_co_u32_e32 v25, vcc, 0, v29, vcc
	global_store_dwordx2 v[24:25], v[26:27], off
	s_or_b64 exec, exec, s[0:1]
	s_and_saveexec_b64 s[0:1], s[4:5]
	s_cbranch_execz .LBB60_136
.LBB60_151:
	s_waitcnt lgkmcnt(6)
	v_add_co_u32_e32 v24, vcc, 0x1000, v28
	s_nop 1
	v_addc_co_u32_e32 v25, vcc, 0, v29, vcc
	s_waitcnt lgkmcnt(5)
	global_store_dwordx2 v[24:25], v[20:21], off offset:2048
	s_or_b64 exec, exec, s[0:1]
	s_and_saveexec_b64 s[0:1], s[6:7]
	s_cbranch_execz .LBB60_137
.LBB60_152:
	s_waitcnt lgkmcnt(5)
	v_add_co_u32_e32 v20, vcc, 0x2000, v28
	s_nop 1
	v_addc_co_u32_e32 v21, vcc, 0, v29, vcc
	global_store_dwordx2 v[20:21], v[22:23], off
	s_or_b64 exec, exec, s[0:1]
	s_and_saveexec_b64 s[0:1], s[8:9]
	s_cbranch_execz .LBB60_138
.LBB60_153:
	s_waitcnt lgkmcnt(5)
	v_add_co_u32_e32 v20, vcc, 0x2000, v28
	s_nop 1
	v_addc_co_u32_e32 v21, vcc, 0, v29, vcc
	s_waitcnt lgkmcnt(4)
	global_store_dwordx2 v[20:21], v[16:17], off offset:2048
	s_or_b64 exec, exec, s[0:1]
	s_and_saveexec_b64 s[0:1], s[10:11]
	s_cbranch_execz .LBB60_139
.LBB60_154:
	s_waitcnt lgkmcnt(4)
	v_add_co_u32_e32 v16, vcc, 0x3000, v28
	s_nop 1
	v_addc_co_u32_e32 v17, vcc, 0, v29, vcc
	global_store_dwordx2 v[16:17], v[18:19], off
	s_or_b64 exec, exec, s[0:1]
	s_and_saveexec_b64 s[0:1], s[12:13]
	s_cbranch_execz .LBB60_140
.LBB60_155:
	s_waitcnt lgkmcnt(4)
	v_add_co_u32_e32 v16, vcc, 0x3000, v28
	s_nop 1
	v_addc_co_u32_e32 v17, vcc, 0, v29, vcc
	s_waitcnt lgkmcnt(3)
	global_store_dwordx2 v[16:17], v[12:13], off offset:2048
	s_or_b64 exec, exec, s[0:1]
	s_and_saveexec_b64 s[0:1], s[14:15]
	s_cbranch_execz .LBB60_141
.LBB60_156:
	s_waitcnt lgkmcnt(3)
	v_add_co_u32_e32 v12, vcc, 0x4000, v28
	s_nop 1
	v_addc_co_u32_e32 v13, vcc, 0, v29, vcc
	global_store_dwordx2 v[12:13], v[14:15], off
	s_or_b64 exec, exec, s[0:1]
	s_and_saveexec_b64 s[0:1], s[16:17]
	s_cbranch_execz .LBB60_142
.LBB60_157:
	s_waitcnt lgkmcnt(3)
	v_add_co_u32_e32 v12, vcc, 0x4000, v28
	s_nop 1
	v_addc_co_u32_e32 v13, vcc, 0, v29, vcc
	s_waitcnt lgkmcnt(2)
	global_store_dwordx2 v[12:13], v[8:9], off offset:2048
	s_or_b64 exec, exec, s[0:1]
	s_and_saveexec_b64 s[0:1], s[18:19]
	s_cbranch_execz .LBB60_143
.LBB60_158:
	s_waitcnt lgkmcnt(2)
	v_add_co_u32_e32 v8, vcc, 0x5000, v28
	s_nop 1
	v_addc_co_u32_e32 v9, vcc, 0, v29, vcc
	global_store_dwordx2 v[8:9], v[10:11], off
	s_or_b64 exec, exec, s[0:1]
	s_and_saveexec_b64 s[0:1], s[20:21]
	s_cbranch_execz .LBB60_144
.LBB60_159:
	s_waitcnt lgkmcnt(2)
	v_add_co_u32_e32 v8, vcc, 0x5000, v28
	s_nop 1
	v_addc_co_u32_e32 v9, vcc, 0, v29, vcc
	s_waitcnt lgkmcnt(1)
	global_store_dwordx2 v[8:9], v[4:5], off offset:2048
	s_or_b64 exec, exec, s[0:1]
	s_and_saveexec_b64 s[0:1], s[22:23]
	s_cbranch_execz .LBB60_145
.LBB60_160:
	s_waitcnt lgkmcnt(1)
	v_add_co_u32_e32 v4, vcc, 0x6000, v28
	s_nop 1
	v_addc_co_u32_e32 v5, vcc, 0, v29, vcc
	global_store_dwordx2 v[4:5], v[6:7], off
	s_or_b64 exec, exec, s[0:1]
	s_and_saveexec_b64 s[0:1], s[24:25]
	s_cbranch_execz .LBB60_146
.LBB60_161:
	s_waitcnt lgkmcnt(1)
	v_add_co_u32_e32 v4, vcc, 0x6000, v28
	s_nop 1
	v_addc_co_u32_e32 v5, vcc, 0, v29, vcc
	s_waitcnt lgkmcnt(0)
	global_store_dwordx2 v[4:5], v[0:1], off offset:2048
	s_or_b64 exec, exec, s[0:1]
	s_and_saveexec_b64 s[0:1], s[26:27]
	s_cbranch_execz .LBB60_147
.LBB60_162:
	s_waitcnt lgkmcnt(0)
	v_add_co_u32_e32 v0, vcc, 0x7000, v28
	s_nop 1
	v_addc_co_u32_e32 v1, vcc, 0, v29, vcc
	global_store_dwordx2 v[0:1], v[2:3], off
	s_endpgm
	.section	.rodata,"a",@progbits
	.p2align	6, 0x0
	.amdhsa_kernel _ZN7rocprim17ROCPRIM_400000_NS6detail17trampoline_kernelINS0_14default_configENS1_20scan_config_selectorIdEEZZNS1_9scan_implILNS1_25lookback_scan_determinismE0ELb0ELb0ES3_PKdPddZZZN2at6native31launch_logcumsumexp_cuda_kernelERKNSB_10TensorBaseESF_lENKUlvE_clEvENKUlvE_clEvEUlddE_dEEDaPvRmT3_T4_T5_mT6_P12ihipStream_tbENKUlT_T0_E_clISt17integral_constantIbLb1EESV_IbLb0EEEEDaSR_SS_EUlSR_E0_NS1_11comp_targetILNS1_3genE5ELNS1_11target_archE942ELNS1_3gpuE9ELNS1_3repE0EEENS1_30default_config_static_selectorELNS0_4arch9wavefront6targetE1EEEvT1_
		.amdhsa_group_segment_fixed_size 30720
		.amdhsa_private_segment_fixed_size 0
		.amdhsa_kernarg_size 40
		.amdhsa_user_sgpr_count 2
		.amdhsa_user_sgpr_dispatch_ptr 0
		.amdhsa_user_sgpr_queue_ptr 0
		.amdhsa_user_sgpr_kernarg_segment_ptr 1
		.amdhsa_user_sgpr_dispatch_id 0
		.amdhsa_user_sgpr_kernarg_preload_length 0
		.amdhsa_user_sgpr_kernarg_preload_offset 0
		.amdhsa_user_sgpr_private_segment_size 0
		.amdhsa_uses_dynamic_stack 0
		.amdhsa_enable_private_segment 0
		.amdhsa_system_sgpr_workgroup_id_x 1
		.amdhsa_system_sgpr_workgroup_id_y 0
		.amdhsa_system_sgpr_workgroup_id_z 0
		.amdhsa_system_sgpr_workgroup_info 0
		.amdhsa_system_vgpr_workitem_id 0
		.amdhsa_next_free_vgpr 100
		.amdhsa_next_free_sgpr 78
		.amdhsa_accum_offset 100
		.amdhsa_reserve_vcc 1
		.amdhsa_float_round_mode_32 0
		.amdhsa_float_round_mode_16_64 0
		.amdhsa_float_denorm_mode_32 3
		.amdhsa_float_denorm_mode_16_64 3
		.amdhsa_dx10_clamp 1
		.amdhsa_ieee_mode 1
		.amdhsa_fp16_overflow 0
		.amdhsa_tg_split 0
		.amdhsa_exception_fp_ieee_invalid_op 0
		.amdhsa_exception_fp_denorm_src 0
		.amdhsa_exception_fp_ieee_div_zero 0
		.amdhsa_exception_fp_ieee_overflow 0
		.amdhsa_exception_fp_ieee_underflow 0
		.amdhsa_exception_fp_ieee_inexact 0
		.amdhsa_exception_int_div_zero 0
	.end_amdhsa_kernel
	.section	.text._ZN7rocprim17ROCPRIM_400000_NS6detail17trampoline_kernelINS0_14default_configENS1_20scan_config_selectorIdEEZZNS1_9scan_implILNS1_25lookback_scan_determinismE0ELb0ELb0ES3_PKdPddZZZN2at6native31launch_logcumsumexp_cuda_kernelERKNSB_10TensorBaseESF_lENKUlvE_clEvENKUlvE_clEvEUlddE_dEEDaPvRmT3_T4_T5_mT6_P12ihipStream_tbENKUlT_T0_E_clISt17integral_constantIbLb1EESV_IbLb0EEEEDaSR_SS_EUlSR_E0_NS1_11comp_targetILNS1_3genE5ELNS1_11target_archE942ELNS1_3gpuE9ELNS1_3repE0EEENS1_30default_config_static_selectorELNS0_4arch9wavefront6targetE1EEEvT1_,"axG",@progbits,_ZN7rocprim17ROCPRIM_400000_NS6detail17trampoline_kernelINS0_14default_configENS1_20scan_config_selectorIdEEZZNS1_9scan_implILNS1_25lookback_scan_determinismE0ELb0ELb0ES3_PKdPddZZZN2at6native31launch_logcumsumexp_cuda_kernelERKNSB_10TensorBaseESF_lENKUlvE_clEvENKUlvE_clEvEUlddE_dEEDaPvRmT3_T4_T5_mT6_P12ihipStream_tbENKUlT_T0_E_clISt17integral_constantIbLb1EESV_IbLb0EEEEDaSR_SS_EUlSR_E0_NS1_11comp_targetILNS1_3genE5ELNS1_11target_archE942ELNS1_3gpuE9ELNS1_3repE0EEENS1_30default_config_static_selectorELNS0_4arch9wavefront6targetE1EEEvT1_,comdat
.Lfunc_end60:
	.size	_ZN7rocprim17ROCPRIM_400000_NS6detail17trampoline_kernelINS0_14default_configENS1_20scan_config_selectorIdEEZZNS1_9scan_implILNS1_25lookback_scan_determinismE0ELb0ELb0ES3_PKdPddZZZN2at6native31launch_logcumsumexp_cuda_kernelERKNSB_10TensorBaseESF_lENKUlvE_clEvENKUlvE_clEvEUlddE_dEEDaPvRmT3_T4_T5_mT6_P12ihipStream_tbENKUlT_T0_E_clISt17integral_constantIbLb1EESV_IbLb0EEEEDaSR_SS_EUlSR_E0_NS1_11comp_targetILNS1_3genE5ELNS1_11target_archE942ELNS1_3gpuE9ELNS1_3repE0EEENS1_30default_config_static_selectorELNS0_4arch9wavefront6targetE1EEEvT1_, .Lfunc_end60-_ZN7rocprim17ROCPRIM_400000_NS6detail17trampoline_kernelINS0_14default_configENS1_20scan_config_selectorIdEEZZNS1_9scan_implILNS1_25lookback_scan_determinismE0ELb0ELb0ES3_PKdPddZZZN2at6native31launch_logcumsumexp_cuda_kernelERKNSB_10TensorBaseESF_lENKUlvE_clEvENKUlvE_clEvEUlddE_dEEDaPvRmT3_T4_T5_mT6_P12ihipStream_tbENKUlT_T0_E_clISt17integral_constantIbLb1EESV_IbLb0EEEEDaSR_SS_EUlSR_E0_NS1_11comp_targetILNS1_3genE5ELNS1_11target_archE942ELNS1_3gpuE9ELNS1_3repE0EEENS1_30default_config_static_selectorELNS0_4arch9wavefront6targetE1EEEvT1_
                                        ; -- End function
	.section	.AMDGPU.csdata,"",@progbits
; Kernel info:
; codeLenInByte = 70192
; NumSgprs: 84
; NumVgprs: 100
; NumAgprs: 0
; TotalNumVgprs: 100
; ScratchSize: 0
; MemoryBound: 0
; FloatMode: 240
; IeeeMode: 1
; LDSByteSize: 30720 bytes/workgroup (compile time only)
; SGPRBlocks: 10
; VGPRBlocks: 12
; NumSGPRsForWavesPerEU: 84
; NumVGPRsForWavesPerEU: 100
; AccumOffset: 100
; Occupancy: 2
; WaveLimiterHint : 0
; COMPUTE_PGM_RSRC2:SCRATCH_EN: 0
; COMPUTE_PGM_RSRC2:USER_SGPR: 2
; COMPUTE_PGM_RSRC2:TRAP_HANDLER: 0
; COMPUTE_PGM_RSRC2:TGID_X_EN: 1
; COMPUTE_PGM_RSRC2:TGID_Y_EN: 0
; COMPUTE_PGM_RSRC2:TGID_Z_EN: 0
; COMPUTE_PGM_RSRC2:TIDIG_COMP_CNT: 0
; COMPUTE_PGM_RSRC3_GFX90A:ACCUM_OFFSET: 24
; COMPUTE_PGM_RSRC3_GFX90A:TG_SPLIT: 0
	.section	.text._ZN7rocprim17ROCPRIM_400000_NS6detail17trampoline_kernelINS0_14default_configENS1_20scan_config_selectorIdEEZZNS1_9scan_implILNS1_25lookback_scan_determinismE0ELb0ELb0ES3_PKdPddZZZN2at6native31launch_logcumsumexp_cuda_kernelERKNSB_10TensorBaseESF_lENKUlvE_clEvENKUlvE_clEvEUlddE_dEEDaPvRmT3_T4_T5_mT6_P12ihipStream_tbENKUlT_T0_E_clISt17integral_constantIbLb1EESV_IbLb0EEEEDaSR_SS_EUlSR_E0_NS1_11comp_targetILNS1_3genE4ELNS1_11target_archE910ELNS1_3gpuE8ELNS1_3repE0EEENS1_30default_config_static_selectorELNS0_4arch9wavefront6targetE1EEEvT1_,"axG",@progbits,_ZN7rocprim17ROCPRIM_400000_NS6detail17trampoline_kernelINS0_14default_configENS1_20scan_config_selectorIdEEZZNS1_9scan_implILNS1_25lookback_scan_determinismE0ELb0ELb0ES3_PKdPddZZZN2at6native31launch_logcumsumexp_cuda_kernelERKNSB_10TensorBaseESF_lENKUlvE_clEvENKUlvE_clEvEUlddE_dEEDaPvRmT3_T4_T5_mT6_P12ihipStream_tbENKUlT_T0_E_clISt17integral_constantIbLb1EESV_IbLb0EEEEDaSR_SS_EUlSR_E0_NS1_11comp_targetILNS1_3genE4ELNS1_11target_archE910ELNS1_3gpuE8ELNS1_3repE0EEENS1_30default_config_static_selectorELNS0_4arch9wavefront6targetE1EEEvT1_,comdat
	.globl	_ZN7rocprim17ROCPRIM_400000_NS6detail17trampoline_kernelINS0_14default_configENS1_20scan_config_selectorIdEEZZNS1_9scan_implILNS1_25lookback_scan_determinismE0ELb0ELb0ES3_PKdPddZZZN2at6native31launch_logcumsumexp_cuda_kernelERKNSB_10TensorBaseESF_lENKUlvE_clEvENKUlvE_clEvEUlddE_dEEDaPvRmT3_T4_T5_mT6_P12ihipStream_tbENKUlT_T0_E_clISt17integral_constantIbLb1EESV_IbLb0EEEEDaSR_SS_EUlSR_E0_NS1_11comp_targetILNS1_3genE4ELNS1_11target_archE910ELNS1_3gpuE8ELNS1_3repE0EEENS1_30default_config_static_selectorELNS0_4arch9wavefront6targetE1EEEvT1_ ; -- Begin function _ZN7rocprim17ROCPRIM_400000_NS6detail17trampoline_kernelINS0_14default_configENS1_20scan_config_selectorIdEEZZNS1_9scan_implILNS1_25lookback_scan_determinismE0ELb0ELb0ES3_PKdPddZZZN2at6native31launch_logcumsumexp_cuda_kernelERKNSB_10TensorBaseESF_lENKUlvE_clEvENKUlvE_clEvEUlddE_dEEDaPvRmT3_T4_T5_mT6_P12ihipStream_tbENKUlT_T0_E_clISt17integral_constantIbLb1EESV_IbLb0EEEEDaSR_SS_EUlSR_E0_NS1_11comp_targetILNS1_3genE4ELNS1_11target_archE910ELNS1_3gpuE8ELNS1_3repE0EEENS1_30default_config_static_selectorELNS0_4arch9wavefront6targetE1EEEvT1_
	.p2align	8
	.type	_ZN7rocprim17ROCPRIM_400000_NS6detail17trampoline_kernelINS0_14default_configENS1_20scan_config_selectorIdEEZZNS1_9scan_implILNS1_25lookback_scan_determinismE0ELb0ELb0ES3_PKdPddZZZN2at6native31launch_logcumsumexp_cuda_kernelERKNSB_10TensorBaseESF_lENKUlvE_clEvENKUlvE_clEvEUlddE_dEEDaPvRmT3_T4_T5_mT6_P12ihipStream_tbENKUlT_T0_E_clISt17integral_constantIbLb1EESV_IbLb0EEEEDaSR_SS_EUlSR_E0_NS1_11comp_targetILNS1_3genE4ELNS1_11target_archE910ELNS1_3gpuE8ELNS1_3repE0EEENS1_30default_config_static_selectorELNS0_4arch9wavefront6targetE1EEEvT1_,@function
_ZN7rocprim17ROCPRIM_400000_NS6detail17trampoline_kernelINS0_14default_configENS1_20scan_config_selectorIdEEZZNS1_9scan_implILNS1_25lookback_scan_determinismE0ELb0ELb0ES3_PKdPddZZZN2at6native31launch_logcumsumexp_cuda_kernelERKNSB_10TensorBaseESF_lENKUlvE_clEvENKUlvE_clEvEUlddE_dEEDaPvRmT3_T4_T5_mT6_P12ihipStream_tbENKUlT_T0_E_clISt17integral_constantIbLb1EESV_IbLb0EEEEDaSR_SS_EUlSR_E0_NS1_11comp_targetILNS1_3genE4ELNS1_11target_archE910ELNS1_3gpuE8ELNS1_3repE0EEENS1_30default_config_static_selectorELNS0_4arch9wavefront6targetE1EEEvT1_: ; @_ZN7rocprim17ROCPRIM_400000_NS6detail17trampoline_kernelINS0_14default_configENS1_20scan_config_selectorIdEEZZNS1_9scan_implILNS1_25lookback_scan_determinismE0ELb0ELb0ES3_PKdPddZZZN2at6native31launch_logcumsumexp_cuda_kernelERKNSB_10TensorBaseESF_lENKUlvE_clEvENKUlvE_clEvEUlddE_dEEDaPvRmT3_T4_T5_mT6_P12ihipStream_tbENKUlT_T0_E_clISt17integral_constantIbLb1EESV_IbLb0EEEEDaSR_SS_EUlSR_E0_NS1_11comp_targetILNS1_3genE4ELNS1_11target_archE910ELNS1_3gpuE8ELNS1_3repE0EEENS1_30default_config_static_selectorELNS0_4arch9wavefront6targetE1EEEvT1_
; %bb.0:
	.section	.rodata,"a",@progbits
	.p2align	6, 0x0
	.amdhsa_kernel _ZN7rocprim17ROCPRIM_400000_NS6detail17trampoline_kernelINS0_14default_configENS1_20scan_config_selectorIdEEZZNS1_9scan_implILNS1_25lookback_scan_determinismE0ELb0ELb0ES3_PKdPddZZZN2at6native31launch_logcumsumexp_cuda_kernelERKNSB_10TensorBaseESF_lENKUlvE_clEvENKUlvE_clEvEUlddE_dEEDaPvRmT3_T4_T5_mT6_P12ihipStream_tbENKUlT_T0_E_clISt17integral_constantIbLb1EESV_IbLb0EEEEDaSR_SS_EUlSR_E0_NS1_11comp_targetILNS1_3genE4ELNS1_11target_archE910ELNS1_3gpuE8ELNS1_3repE0EEENS1_30default_config_static_selectorELNS0_4arch9wavefront6targetE1EEEvT1_
		.amdhsa_group_segment_fixed_size 0
		.amdhsa_private_segment_fixed_size 0
		.amdhsa_kernarg_size 40
		.amdhsa_user_sgpr_count 2
		.amdhsa_user_sgpr_dispatch_ptr 0
		.amdhsa_user_sgpr_queue_ptr 0
		.amdhsa_user_sgpr_kernarg_segment_ptr 1
		.amdhsa_user_sgpr_dispatch_id 0
		.amdhsa_user_sgpr_kernarg_preload_length 0
		.amdhsa_user_sgpr_kernarg_preload_offset 0
		.amdhsa_user_sgpr_private_segment_size 0
		.amdhsa_uses_dynamic_stack 0
		.amdhsa_enable_private_segment 0
		.amdhsa_system_sgpr_workgroup_id_x 1
		.amdhsa_system_sgpr_workgroup_id_y 0
		.amdhsa_system_sgpr_workgroup_id_z 0
		.amdhsa_system_sgpr_workgroup_info 0
		.amdhsa_system_vgpr_workitem_id 0
		.amdhsa_next_free_vgpr 1
		.amdhsa_next_free_sgpr 0
		.amdhsa_accum_offset 4
		.amdhsa_reserve_vcc 0
		.amdhsa_float_round_mode_32 0
		.amdhsa_float_round_mode_16_64 0
		.amdhsa_float_denorm_mode_32 3
		.amdhsa_float_denorm_mode_16_64 3
		.amdhsa_dx10_clamp 1
		.amdhsa_ieee_mode 1
		.amdhsa_fp16_overflow 0
		.amdhsa_tg_split 0
		.amdhsa_exception_fp_ieee_invalid_op 0
		.amdhsa_exception_fp_denorm_src 0
		.amdhsa_exception_fp_ieee_div_zero 0
		.amdhsa_exception_fp_ieee_overflow 0
		.amdhsa_exception_fp_ieee_underflow 0
		.amdhsa_exception_fp_ieee_inexact 0
		.amdhsa_exception_int_div_zero 0
	.end_amdhsa_kernel
	.section	.text._ZN7rocprim17ROCPRIM_400000_NS6detail17trampoline_kernelINS0_14default_configENS1_20scan_config_selectorIdEEZZNS1_9scan_implILNS1_25lookback_scan_determinismE0ELb0ELb0ES3_PKdPddZZZN2at6native31launch_logcumsumexp_cuda_kernelERKNSB_10TensorBaseESF_lENKUlvE_clEvENKUlvE_clEvEUlddE_dEEDaPvRmT3_T4_T5_mT6_P12ihipStream_tbENKUlT_T0_E_clISt17integral_constantIbLb1EESV_IbLb0EEEEDaSR_SS_EUlSR_E0_NS1_11comp_targetILNS1_3genE4ELNS1_11target_archE910ELNS1_3gpuE8ELNS1_3repE0EEENS1_30default_config_static_selectorELNS0_4arch9wavefront6targetE1EEEvT1_,"axG",@progbits,_ZN7rocprim17ROCPRIM_400000_NS6detail17trampoline_kernelINS0_14default_configENS1_20scan_config_selectorIdEEZZNS1_9scan_implILNS1_25lookback_scan_determinismE0ELb0ELb0ES3_PKdPddZZZN2at6native31launch_logcumsumexp_cuda_kernelERKNSB_10TensorBaseESF_lENKUlvE_clEvENKUlvE_clEvEUlddE_dEEDaPvRmT3_T4_T5_mT6_P12ihipStream_tbENKUlT_T0_E_clISt17integral_constantIbLb1EESV_IbLb0EEEEDaSR_SS_EUlSR_E0_NS1_11comp_targetILNS1_3genE4ELNS1_11target_archE910ELNS1_3gpuE8ELNS1_3repE0EEENS1_30default_config_static_selectorELNS0_4arch9wavefront6targetE1EEEvT1_,comdat
.Lfunc_end61:
	.size	_ZN7rocprim17ROCPRIM_400000_NS6detail17trampoline_kernelINS0_14default_configENS1_20scan_config_selectorIdEEZZNS1_9scan_implILNS1_25lookback_scan_determinismE0ELb0ELb0ES3_PKdPddZZZN2at6native31launch_logcumsumexp_cuda_kernelERKNSB_10TensorBaseESF_lENKUlvE_clEvENKUlvE_clEvEUlddE_dEEDaPvRmT3_T4_T5_mT6_P12ihipStream_tbENKUlT_T0_E_clISt17integral_constantIbLb1EESV_IbLb0EEEEDaSR_SS_EUlSR_E0_NS1_11comp_targetILNS1_3genE4ELNS1_11target_archE910ELNS1_3gpuE8ELNS1_3repE0EEENS1_30default_config_static_selectorELNS0_4arch9wavefront6targetE1EEEvT1_, .Lfunc_end61-_ZN7rocprim17ROCPRIM_400000_NS6detail17trampoline_kernelINS0_14default_configENS1_20scan_config_selectorIdEEZZNS1_9scan_implILNS1_25lookback_scan_determinismE0ELb0ELb0ES3_PKdPddZZZN2at6native31launch_logcumsumexp_cuda_kernelERKNSB_10TensorBaseESF_lENKUlvE_clEvENKUlvE_clEvEUlddE_dEEDaPvRmT3_T4_T5_mT6_P12ihipStream_tbENKUlT_T0_E_clISt17integral_constantIbLb1EESV_IbLb0EEEEDaSR_SS_EUlSR_E0_NS1_11comp_targetILNS1_3genE4ELNS1_11target_archE910ELNS1_3gpuE8ELNS1_3repE0EEENS1_30default_config_static_selectorELNS0_4arch9wavefront6targetE1EEEvT1_
                                        ; -- End function
	.section	.AMDGPU.csdata,"",@progbits
; Kernel info:
; codeLenInByte = 0
; NumSgprs: 6
; NumVgprs: 0
; NumAgprs: 0
; TotalNumVgprs: 0
; ScratchSize: 0
; MemoryBound: 0
; FloatMode: 240
; IeeeMode: 1
; LDSByteSize: 0 bytes/workgroup (compile time only)
; SGPRBlocks: 0
; VGPRBlocks: 0
; NumSGPRsForWavesPerEU: 6
; NumVGPRsForWavesPerEU: 1
; AccumOffset: 4
; Occupancy: 8
; WaveLimiterHint : 0
; COMPUTE_PGM_RSRC2:SCRATCH_EN: 0
; COMPUTE_PGM_RSRC2:USER_SGPR: 2
; COMPUTE_PGM_RSRC2:TRAP_HANDLER: 0
; COMPUTE_PGM_RSRC2:TGID_X_EN: 1
; COMPUTE_PGM_RSRC2:TGID_Y_EN: 0
; COMPUTE_PGM_RSRC2:TGID_Z_EN: 0
; COMPUTE_PGM_RSRC2:TIDIG_COMP_CNT: 0
; COMPUTE_PGM_RSRC3_GFX90A:ACCUM_OFFSET: 0
; COMPUTE_PGM_RSRC3_GFX90A:TG_SPLIT: 0
	.section	.text._ZN7rocprim17ROCPRIM_400000_NS6detail17trampoline_kernelINS0_14default_configENS1_20scan_config_selectorIdEEZZNS1_9scan_implILNS1_25lookback_scan_determinismE0ELb0ELb0ES3_PKdPddZZZN2at6native31launch_logcumsumexp_cuda_kernelERKNSB_10TensorBaseESF_lENKUlvE_clEvENKUlvE_clEvEUlddE_dEEDaPvRmT3_T4_T5_mT6_P12ihipStream_tbENKUlT_T0_E_clISt17integral_constantIbLb1EESV_IbLb0EEEEDaSR_SS_EUlSR_E0_NS1_11comp_targetILNS1_3genE3ELNS1_11target_archE908ELNS1_3gpuE7ELNS1_3repE0EEENS1_30default_config_static_selectorELNS0_4arch9wavefront6targetE1EEEvT1_,"axG",@progbits,_ZN7rocprim17ROCPRIM_400000_NS6detail17trampoline_kernelINS0_14default_configENS1_20scan_config_selectorIdEEZZNS1_9scan_implILNS1_25lookback_scan_determinismE0ELb0ELb0ES3_PKdPddZZZN2at6native31launch_logcumsumexp_cuda_kernelERKNSB_10TensorBaseESF_lENKUlvE_clEvENKUlvE_clEvEUlddE_dEEDaPvRmT3_T4_T5_mT6_P12ihipStream_tbENKUlT_T0_E_clISt17integral_constantIbLb1EESV_IbLb0EEEEDaSR_SS_EUlSR_E0_NS1_11comp_targetILNS1_3genE3ELNS1_11target_archE908ELNS1_3gpuE7ELNS1_3repE0EEENS1_30default_config_static_selectorELNS0_4arch9wavefront6targetE1EEEvT1_,comdat
	.globl	_ZN7rocprim17ROCPRIM_400000_NS6detail17trampoline_kernelINS0_14default_configENS1_20scan_config_selectorIdEEZZNS1_9scan_implILNS1_25lookback_scan_determinismE0ELb0ELb0ES3_PKdPddZZZN2at6native31launch_logcumsumexp_cuda_kernelERKNSB_10TensorBaseESF_lENKUlvE_clEvENKUlvE_clEvEUlddE_dEEDaPvRmT3_T4_T5_mT6_P12ihipStream_tbENKUlT_T0_E_clISt17integral_constantIbLb1EESV_IbLb0EEEEDaSR_SS_EUlSR_E0_NS1_11comp_targetILNS1_3genE3ELNS1_11target_archE908ELNS1_3gpuE7ELNS1_3repE0EEENS1_30default_config_static_selectorELNS0_4arch9wavefront6targetE1EEEvT1_ ; -- Begin function _ZN7rocprim17ROCPRIM_400000_NS6detail17trampoline_kernelINS0_14default_configENS1_20scan_config_selectorIdEEZZNS1_9scan_implILNS1_25lookback_scan_determinismE0ELb0ELb0ES3_PKdPddZZZN2at6native31launch_logcumsumexp_cuda_kernelERKNSB_10TensorBaseESF_lENKUlvE_clEvENKUlvE_clEvEUlddE_dEEDaPvRmT3_T4_T5_mT6_P12ihipStream_tbENKUlT_T0_E_clISt17integral_constantIbLb1EESV_IbLb0EEEEDaSR_SS_EUlSR_E0_NS1_11comp_targetILNS1_3genE3ELNS1_11target_archE908ELNS1_3gpuE7ELNS1_3repE0EEENS1_30default_config_static_selectorELNS0_4arch9wavefront6targetE1EEEvT1_
	.p2align	8
	.type	_ZN7rocprim17ROCPRIM_400000_NS6detail17trampoline_kernelINS0_14default_configENS1_20scan_config_selectorIdEEZZNS1_9scan_implILNS1_25lookback_scan_determinismE0ELb0ELb0ES3_PKdPddZZZN2at6native31launch_logcumsumexp_cuda_kernelERKNSB_10TensorBaseESF_lENKUlvE_clEvENKUlvE_clEvEUlddE_dEEDaPvRmT3_T4_T5_mT6_P12ihipStream_tbENKUlT_T0_E_clISt17integral_constantIbLb1EESV_IbLb0EEEEDaSR_SS_EUlSR_E0_NS1_11comp_targetILNS1_3genE3ELNS1_11target_archE908ELNS1_3gpuE7ELNS1_3repE0EEENS1_30default_config_static_selectorELNS0_4arch9wavefront6targetE1EEEvT1_,@function
_ZN7rocprim17ROCPRIM_400000_NS6detail17trampoline_kernelINS0_14default_configENS1_20scan_config_selectorIdEEZZNS1_9scan_implILNS1_25lookback_scan_determinismE0ELb0ELb0ES3_PKdPddZZZN2at6native31launch_logcumsumexp_cuda_kernelERKNSB_10TensorBaseESF_lENKUlvE_clEvENKUlvE_clEvEUlddE_dEEDaPvRmT3_T4_T5_mT6_P12ihipStream_tbENKUlT_T0_E_clISt17integral_constantIbLb1EESV_IbLb0EEEEDaSR_SS_EUlSR_E0_NS1_11comp_targetILNS1_3genE3ELNS1_11target_archE908ELNS1_3gpuE7ELNS1_3repE0EEENS1_30default_config_static_selectorELNS0_4arch9wavefront6targetE1EEEvT1_: ; @_ZN7rocprim17ROCPRIM_400000_NS6detail17trampoline_kernelINS0_14default_configENS1_20scan_config_selectorIdEEZZNS1_9scan_implILNS1_25lookback_scan_determinismE0ELb0ELb0ES3_PKdPddZZZN2at6native31launch_logcumsumexp_cuda_kernelERKNSB_10TensorBaseESF_lENKUlvE_clEvENKUlvE_clEvEUlddE_dEEDaPvRmT3_T4_T5_mT6_P12ihipStream_tbENKUlT_T0_E_clISt17integral_constantIbLb1EESV_IbLb0EEEEDaSR_SS_EUlSR_E0_NS1_11comp_targetILNS1_3genE3ELNS1_11target_archE908ELNS1_3gpuE7ELNS1_3repE0EEENS1_30default_config_static_selectorELNS0_4arch9wavefront6targetE1EEEvT1_
; %bb.0:
	.section	.rodata,"a",@progbits
	.p2align	6, 0x0
	.amdhsa_kernel _ZN7rocprim17ROCPRIM_400000_NS6detail17trampoline_kernelINS0_14default_configENS1_20scan_config_selectorIdEEZZNS1_9scan_implILNS1_25lookback_scan_determinismE0ELb0ELb0ES3_PKdPddZZZN2at6native31launch_logcumsumexp_cuda_kernelERKNSB_10TensorBaseESF_lENKUlvE_clEvENKUlvE_clEvEUlddE_dEEDaPvRmT3_T4_T5_mT6_P12ihipStream_tbENKUlT_T0_E_clISt17integral_constantIbLb1EESV_IbLb0EEEEDaSR_SS_EUlSR_E0_NS1_11comp_targetILNS1_3genE3ELNS1_11target_archE908ELNS1_3gpuE7ELNS1_3repE0EEENS1_30default_config_static_selectorELNS0_4arch9wavefront6targetE1EEEvT1_
		.amdhsa_group_segment_fixed_size 0
		.amdhsa_private_segment_fixed_size 0
		.amdhsa_kernarg_size 40
		.amdhsa_user_sgpr_count 2
		.amdhsa_user_sgpr_dispatch_ptr 0
		.amdhsa_user_sgpr_queue_ptr 0
		.amdhsa_user_sgpr_kernarg_segment_ptr 1
		.amdhsa_user_sgpr_dispatch_id 0
		.amdhsa_user_sgpr_kernarg_preload_length 0
		.amdhsa_user_sgpr_kernarg_preload_offset 0
		.amdhsa_user_sgpr_private_segment_size 0
		.amdhsa_uses_dynamic_stack 0
		.amdhsa_enable_private_segment 0
		.amdhsa_system_sgpr_workgroup_id_x 1
		.amdhsa_system_sgpr_workgroup_id_y 0
		.amdhsa_system_sgpr_workgroup_id_z 0
		.amdhsa_system_sgpr_workgroup_info 0
		.amdhsa_system_vgpr_workitem_id 0
		.amdhsa_next_free_vgpr 1
		.amdhsa_next_free_sgpr 0
		.amdhsa_accum_offset 4
		.amdhsa_reserve_vcc 0
		.amdhsa_float_round_mode_32 0
		.amdhsa_float_round_mode_16_64 0
		.amdhsa_float_denorm_mode_32 3
		.amdhsa_float_denorm_mode_16_64 3
		.amdhsa_dx10_clamp 1
		.amdhsa_ieee_mode 1
		.amdhsa_fp16_overflow 0
		.amdhsa_tg_split 0
		.amdhsa_exception_fp_ieee_invalid_op 0
		.amdhsa_exception_fp_denorm_src 0
		.amdhsa_exception_fp_ieee_div_zero 0
		.amdhsa_exception_fp_ieee_overflow 0
		.amdhsa_exception_fp_ieee_underflow 0
		.amdhsa_exception_fp_ieee_inexact 0
		.amdhsa_exception_int_div_zero 0
	.end_amdhsa_kernel
	.section	.text._ZN7rocprim17ROCPRIM_400000_NS6detail17trampoline_kernelINS0_14default_configENS1_20scan_config_selectorIdEEZZNS1_9scan_implILNS1_25lookback_scan_determinismE0ELb0ELb0ES3_PKdPddZZZN2at6native31launch_logcumsumexp_cuda_kernelERKNSB_10TensorBaseESF_lENKUlvE_clEvENKUlvE_clEvEUlddE_dEEDaPvRmT3_T4_T5_mT6_P12ihipStream_tbENKUlT_T0_E_clISt17integral_constantIbLb1EESV_IbLb0EEEEDaSR_SS_EUlSR_E0_NS1_11comp_targetILNS1_3genE3ELNS1_11target_archE908ELNS1_3gpuE7ELNS1_3repE0EEENS1_30default_config_static_selectorELNS0_4arch9wavefront6targetE1EEEvT1_,"axG",@progbits,_ZN7rocprim17ROCPRIM_400000_NS6detail17trampoline_kernelINS0_14default_configENS1_20scan_config_selectorIdEEZZNS1_9scan_implILNS1_25lookback_scan_determinismE0ELb0ELb0ES3_PKdPddZZZN2at6native31launch_logcumsumexp_cuda_kernelERKNSB_10TensorBaseESF_lENKUlvE_clEvENKUlvE_clEvEUlddE_dEEDaPvRmT3_T4_T5_mT6_P12ihipStream_tbENKUlT_T0_E_clISt17integral_constantIbLb1EESV_IbLb0EEEEDaSR_SS_EUlSR_E0_NS1_11comp_targetILNS1_3genE3ELNS1_11target_archE908ELNS1_3gpuE7ELNS1_3repE0EEENS1_30default_config_static_selectorELNS0_4arch9wavefront6targetE1EEEvT1_,comdat
.Lfunc_end62:
	.size	_ZN7rocprim17ROCPRIM_400000_NS6detail17trampoline_kernelINS0_14default_configENS1_20scan_config_selectorIdEEZZNS1_9scan_implILNS1_25lookback_scan_determinismE0ELb0ELb0ES3_PKdPddZZZN2at6native31launch_logcumsumexp_cuda_kernelERKNSB_10TensorBaseESF_lENKUlvE_clEvENKUlvE_clEvEUlddE_dEEDaPvRmT3_T4_T5_mT6_P12ihipStream_tbENKUlT_T0_E_clISt17integral_constantIbLb1EESV_IbLb0EEEEDaSR_SS_EUlSR_E0_NS1_11comp_targetILNS1_3genE3ELNS1_11target_archE908ELNS1_3gpuE7ELNS1_3repE0EEENS1_30default_config_static_selectorELNS0_4arch9wavefront6targetE1EEEvT1_, .Lfunc_end62-_ZN7rocprim17ROCPRIM_400000_NS6detail17trampoline_kernelINS0_14default_configENS1_20scan_config_selectorIdEEZZNS1_9scan_implILNS1_25lookback_scan_determinismE0ELb0ELb0ES3_PKdPddZZZN2at6native31launch_logcumsumexp_cuda_kernelERKNSB_10TensorBaseESF_lENKUlvE_clEvENKUlvE_clEvEUlddE_dEEDaPvRmT3_T4_T5_mT6_P12ihipStream_tbENKUlT_T0_E_clISt17integral_constantIbLb1EESV_IbLb0EEEEDaSR_SS_EUlSR_E0_NS1_11comp_targetILNS1_3genE3ELNS1_11target_archE908ELNS1_3gpuE7ELNS1_3repE0EEENS1_30default_config_static_selectorELNS0_4arch9wavefront6targetE1EEEvT1_
                                        ; -- End function
	.section	.AMDGPU.csdata,"",@progbits
; Kernel info:
; codeLenInByte = 0
; NumSgprs: 6
; NumVgprs: 0
; NumAgprs: 0
; TotalNumVgprs: 0
; ScratchSize: 0
; MemoryBound: 0
; FloatMode: 240
; IeeeMode: 1
; LDSByteSize: 0 bytes/workgroup (compile time only)
; SGPRBlocks: 0
; VGPRBlocks: 0
; NumSGPRsForWavesPerEU: 6
; NumVGPRsForWavesPerEU: 1
; AccumOffset: 4
; Occupancy: 8
; WaveLimiterHint : 0
; COMPUTE_PGM_RSRC2:SCRATCH_EN: 0
; COMPUTE_PGM_RSRC2:USER_SGPR: 2
; COMPUTE_PGM_RSRC2:TRAP_HANDLER: 0
; COMPUTE_PGM_RSRC2:TGID_X_EN: 1
; COMPUTE_PGM_RSRC2:TGID_Y_EN: 0
; COMPUTE_PGM_RSRC2:TGID_Z_EN: 0
; COMPUTE_PGM_RSRC2:TIDIG_COMP_CNT: 0
; COMPUTE_PGM_RSRC3_GFX90A:ACCUM_OFFSET: 0
; COMPUTE_PGM_RSRC3_GFX90A:TG_SPLIT: 0
	.section	.text._ZN7rocprim17ROCPRIM_400000_NS6detail17trampoline_kernelINS0_14default_configENS1_20scan_config_selectorIdEEZZNS1_9scan_implILNS1_25lookback_scan_determinismE0ELb0ELb0ES3_PKdPddZZZN2at6native31launch_logcumsumexp_cuda_kernelERKNSB_10TensorBaseESF_lENKUlvE_clEvENKUlvE_clEvEUlddE_dEEDaPvRmT3_T4_T5_mT6_P12ihipStream_tbENKUlT_T0_E_clISt17integral_constantIbLb1EESV_IbLb0EEEEDaSR_SS_EUlSR_E0_NS1_11comp_targetILNS1_3genE2ELNS1_11target_archE906ELNS1_3gpuE6ELNS1_3repE0EEENS1_30default_config_static_selectorELNS0_4arch9wavefront6targetE1EEEvT1_,"axG",@progbits,_ZN7rocprim17ROCPRIM_400000_NS6detail17trampoline_kernelINS0_14default_configENS1_20scan_config_selectorIdEEZZNS1_9scan_implILNS1_25lookback_scan_determinismE0ELb0ELb0ES3_PKdPddZZZN2at6native31launch_logcumsumexp_cuda_kernelERKNSB_10TensorBaseESF_lENKUlvE_clEvENKUlvE_clEvEUlddE_dEEDaPvRmT3_T4_T5_mT6_P12ihipStream_tbENKUlT_T0_E_clISt17integral_constantIbLb1EESV_IbLb0EEEEDaSR_SS_EUlSR_E0_NS1_11comp_targetILNS1_3genE2ELNS1_11target_archE906ELNS1_3gpuE6ELNS1_3repE0EEENS1_30default_config_static_selectorELNS0_4arch9wavefront6targetE1EEEvT1_,comdat
	.globl	_ZN7rocprim17ROCPRIM_400000_NS6detail17trampoline_kernelINS0_14default_configENS1_20scan_config_selectorIdEEZZNS1_9scan_implILNS1_25lookback_scan_determinismE0ELb0ELb0ES3_PKdPddZZZN2at6native31launch_logcumsumexp_cuda_kernelERKNSB_10TensorBaseESF_lENKUlvE_clEvENKUlvE_clEvEUlddE_dEEDaPvRmT3_T4_T5_mT6_P12ihipStream_tbENKUlT_T0_E_clISt17integral_constantIbLb1EESV_IbLb0EEEEDaSR_SS_EUlSR_E0_NS1_11comp_targetILNS1_3genE2ELNS1_11target_archE906ELNS1_3gpuE6ELNS1_3repE0EEENS1_30default_config_static_selectorELNS0_4arch9wavefront6targetE1EEEvT1_ ; -- Begin function _ZN7rocprim17ROCPRIM_400000_NS6detail17trampoline_kernelINS0_14default_configENS1_20scan_config_selectorIdEEZZNS1_9scan_implILNS1_25lookback_scan_determinismE0ELb0ELb0ES3_PKdPddZZZN2at6native31launch_logcumsumexp_cuda_kernelERKNSB_10TensorBaseESF_lENKUlvE_clEvENKUlvE_clEvEUlddE_dEEDaPvRmT3_T4_T5_mT6_P12ihipStream_tbENKUlT_T0_E_clISt17integral_constantIbLb1EESV_IbLb0EEEEDaSR_SS_EUlSR_E0_NS1_11comp_targetILNS1_3genE2ELNS1_11target_archE906ELNS1_3gpuE6ELNS1_3repE0EEENS1_30default_config_static_selectorELNS0_4arch9wavefront6targetE1EEEvT1_
	.p2align	8
	.type	_ZN7rocprim17ROCPRIM_400000_NS6detail17trampoline_kernelINS0_14default_configENS1_20scan_config_selectorIdEEZZNS1_9scan_implILNS1_25lookback_scan_determinismE0ELb0ELb0ES3_PKdPddZZZN2at6native31launch_logcumsumexp_cuda_kernelERKNSB_10TensorBaseESF_lENKUlvE_clEvENKUlvE_clEvEUlddE_dEEDaPvRmT3_T4_T5_mT6_P12ihipStream_tbENKUlT_T0_E_clISt17integral_constantIbLb1EESV_IbLb0EEEEDaSR_SS_EUlSR_E0_NS1_11comp_targetILNS1_3genE2ELNS1_11target_archE906ELNS1_3gpuE6ELNS1_3repE0EEENS1_30default_config_static_selectorELNS0_4arch9wavefront6targetE1EEEvT1_,@function
_ZN7rocprim17ROCPRIM_400000_NS6detail17trampoline_kernelINS0_14default_configENS1_20scan_config_selectorIdEEZZNS1_9scan_implILNS1_25lookback_scan_determinismE0ELb0ELb0ES3_PKdPddZZZN2at6native31launch_logcumsumexp_cuda_kernelERKNSB_10TensorBaseESF_lENKUlvE_clEvENKUlvE_clEvEUlddE_dEEDaPvRmT3_T4_T5_mT6_P12ihipStream_tbENKUlT_T0_E_clISt17integral_constantIbLb1EESV_IbLb0EEEEDaSR_SS_EUlSR_E0_NS1_11comp_targetILNS1_3genE2ELNS1_11target_archE906ELNS1_3gpuE6ELNS1_3repE0EEENS1_30default_config_static_selectorELNS0_4arch9wavefront6targetE1EEEvT1_: ; @_ZN7rocprim17ROCPRIM_400000_NS6detail17trampoline_kernelINS0_14default_configENS1_20scan_config_selectorIdEEZZNS1_9scan_implILNS1_25lookback_scan_determinismE0ELb0ELb0ES3_PKdPddZZZN2at6native31launch_logcumsumexp_cuda_kernelERKNSB_10TensorBaseESF_lENKUlvE_clEvENKUlvE_clEvEUlddE_dEEDaPvRmT3_T4_T5_mT6_P12ihipStream_tbENKUlT_T0_E_clISt17integral_constantIbLb1EESV_IbLb0EEEEDaSR_SS_EUlSR_E0_NS1_11comp_targetILNS1_3genE2ELNS1_11target_archE906ELNS1_3gpuE6ELNS1_3repE0EEENS1_30default_config_static_selectorELNS0_4arch9wavefront6targetE1EEEvT1_
; %bb.0:
	.section	.rodata,"a",@progbits
	.p2align	6, 0x0
	.amdhsa_kernel _ZN7rocprim17ROCPRIM_400000_NS6detail17trampoline_kernelINS0_14default_configENS1_20scan_config_selectorIdEEZZNS1_9scan_implILNS1_25lookback_scan_determinismE0ELb0ELb0ES3_PKdPddZZZN2at6native31launch_logcumsumexp_cuda_kernelERKNSB_10TensorBaseESF_lENKUlvE_clEvENKUlvE_clEvEUlddE_dEEDaPvRmT3_T4_T5_mT6_P12ihipStream_tbENKUlT_T0_E_clISt17integral_constantIbLb1EESV_IbLb0EEEEDaSR_SS_EUlSR_E0_NS1_11comp_targetILNS1_3genE2ELNS1_11target_archE906ELNS1_3gpuE6ELNS1_3repE0EEENS1_30default_config_static_selectorELNS0_4arch9wavefront6targetE1EEEvT1_
		.amdhsa_group_segment_fixed_size 0
		.amdhsa_private_segment_fixed_size 0
		.amdhsa_kernarg_size 40
		.amdhsa_user_sgpr_count 2
		.amdhsa_user_sgpr_dispatch_ptr 0
		.amdhsa_user_sgpr_queue_ptr 0
		.amdhsa_user_sgpr_kernarg_segment_ptr 1
		.amdhsa_user_sgpr_dispatch_id 0
		.amdhsa_user_sgpr_kernarg_preload_length 0
		.amdhsa_user_sgpr_kernarg_preload_offset 0
		.amdhsa_user_sgpr_private_segment_size 0
		.amdhsa_uses_dynamic_stack 0
		.amdhsa_enable_private_segment 0
		.amdhsa_system_sgpr_workgroup_id_x 1
		.amdhsa_system_sgpr_workgroup_id_y 0
		.amdhsa_system_sgpr_workgroup_id_z 0
		.amdhsa_system_sgpr_workgroup_info 0
		.amdhsa_system_vgpr_workitem_id 0
		.amdhsa_next_free_vgpr 1
		.amdhsa_next_free_sgpr 0
		.amdhsa_accum_offset 4
		.amdhsa_reserve_vcc 0
		.amdhsa_float_round_mode_32 0
		.amdhsa_float_round_mode_16_64 0
		.amdhsa_float_denorm_mode_32 3
		.amdhsa_float_denorm_mode_16_64 3
		.amdhsa_dx10_clamp 1
		.amdhsa_ieee_mode 1
		.amdhsa_fp16_overflow 0
		.amdhsa_tg_split 0
		.amdhsa_exception_fp_ieee_invalid_op 0
		.amdhsa_exception_fp_denorm_src 0
		.amdhsa_exception_fp_ieee_div_zero 0
		.amdhsa_exception_fp_ieee_overflow 0
		.amdhsa_exception_fp_ieee_underflow 0
		.amdhsa_exception_fp_ieee_inexact 0
		.amdhsa_exception_int_div_zero 0
	.end_amdhsa_kernel
	.section	.text._ZN7rocprim17ROCPRIM_400000_NS6detail17trampoline_kernelINS0_14default_configENS1_20scan_config_selectorIdEEZZNS1_9scan_implILNS1_25lookback_scan_determinismE0ELb0ELb0ES3_PKdPddZZZN2at6native31launch_logcumsumexp_cuda_kernelERKNSB_10TensorBaseESF_lENKUlvE_clEvENKUlvE_clEvEUlddE_dEEDaPvRmT3_T4_T5_mT6_P12ihipStream_tbENKUlT_T0_E_clISt17integral_constantIbLb1EESV_IbLb0EEEEDaSR_SS_EUlSR_E0_NS1_11comp_targetILNS1_3genE2ELNS1_11target_archE906ELNS1_3gpuE6ELNS1_3repE0EEENS1_30default_config_static_selectorELNS0_4arch9wavefront6targetE1EEEvT1_,"axG",@progbits,_ZN7rocprim17ROCPRIM_400000_NS6detail17trampoline_kernelINS0_14default_configENS1_20scan_config_selectorIdEEZZNS1_9scan_implILNS1_25lookback_scan_determinismE0ELb0ELb0ES3_PKdPddZZZN2at6native31launch_logcumsumexp_cuda_kernelERKNSB_10TensorBaseESF_lENKUlvE_clEvENKUlvE_clEvEUlddE_dEEDaPvRmT3_T4_T5_mT6_P12ihipStream_tbENKUlT_T0_E_clISt17integral_constantIbLb1EESV_IbLb0EEEEDaSR_SS_EUlSR_E0_NS1_11comp_targetILNS1_3genE2ELNS1_11target_archE906ELNS1_3gpuE6ELNS1_3repE0EEENS1_30default_config_static_selectorELNS0_4arch9wavefront6targetE1EEEvT1_,comdat
.Lfunc_end63:
	.size	_ZN7rocprim17ROCPRIM_400000_NS6detail17trampoline_kernelINS0_14default_configENS1_20scan_config_selectorIdEEZZNS1_9scan_implILNS1_25lookback_scan_determinismE0ELb0ELb0ES3_PKdPddZZZN2at6native31launch_logcumsumexp_cuda_kernelERKNSB_10TensorBaseESF_lENKUlvE_clEvENKUlvE_clEvEUlddE_dEEDaPvRmT3_T4_T5_mT6_P12ihipStream_tbENKUlT_T0_E_clISt17integral_constantIbLb1EESV_IbLb0EEEEDaSR_SS_EUlSR_E0_NS1_11comp_targetILNS1_3genE2ELNS1_11target_archE906ELNS1_3gpuE6ELNS1_3repE0EEENS1_30default_config_static_selectorELNS0_4arch9wavefront6targetE1EEEvT1_, .Lfunc_end63-_ZN7rocprim17ROCPRIM_400000_NS6detail17trampoline_kernelINS0_14default_configENS1_20scan_config_selectorIdEEZZNS1_9scan_implILNS1_25lookback_scan_determinismE0ELb0ELb0ES3_PKdPddZZZN2at6native31launch_logcumsumexp_cuda_kernelERKNSB_10TensorBaseESF_lENKUlvE_clEvENKUlvE_clEvEUlddE_dEEDaPvRmT3_T4_T5_mT6_P12ihipStream_tbENKUlT_T0_E_clISt17integral_constantIbLb1EESV_IbLb0EEEEDaSR_SS_EUlSR_E0_NS1_11comp_targetILNS1_3genE2ELNS1_11target_archE906ELNS1_3gpuE6ELNS1_3repE0EEENS1_30default_config_static_selectorELNS0_4arch9wavefront6targetE1EEEvT1_
                                        ; -- End function
	.section	.AMDGPU.csdata,"",@progbits
; Kernel info:
; codeLenInByte = 0
; NumSgprs: 6
; NumVgprs: 0
; NumAgprs: 0
; TotalNumVgprs: 0
; ScratchSize: 0
; MemoryBound: 0
; FloatMode: 240
; IeeeMode: 1
; LDSByteSize: 0 bytes/workgroup (compile time only)
; SGPRBlocks: 0
; VGPRBlocks: 0
; NumSGPRsForWavesPerEU: 6
; NumVGPRsForWavesPerEU: 1
; AccumOffset: 4
; Occupancy: 8
; WaveLimiterHint : 0
; COMPUTE_PGM_RSRC2:SCRATCH_EN: 0
; COMPUTE_PGM_RSRC2:USER_SGPR: 2
; COMPUTE_PGM_RSRC2:TRAP_HANDLER: 0
; COMPUTE_PGM_RSRC2:TGID_X_EN: 1
; COMPUTE_PGM_RSRC2:TGID_Y_EN: 0
; COMPUTE_PGM_RSRC2:TGID_Z_EN: 0
; COMPUTE_PGM_RSRC2:TIDIG_COMP_CNT: 0
; COMPUTE_PGM_RSRC3_GFX90A:ACCUM_OFFSET: 0
; COMPUTE_PGM_RSRC3_GFX90A:TG_SPLIT: 0
	.section	.text._ZN7rocprim17ROCPRIM_400000_NS6detail17trampoline_kernelINS0_14default_configENS1_20scan_config_selectorIdEEZZNS1_9scan_implILNS1_25lookback_scan_determinismE0ELb0ELb0ES3_PKdPddZZZN2at6native31launch_logcumsumexp_cuda_kernelERKNSB_10TensorBaseESF_lENKUlvE_clEvENKUlvE_clEvEUlddE_dEEDaPvRmT3_T4_T5_mT6_P12ihipStream_tbENKUlT_T0_E_clISt17integral_constantIbLb1EESV_IbLb0EEEEDaSR_SS_EUlSR_E0_NS1_11comp_targetILNS1_3genE10ELNS1_11target_archE1201ELNS1_3gpuE5ELNS1_3repE0EEENS1_30default_config_static_selectorELNS0_4arch9wavefront6targetE1EEEvT1_,"axG",@progbits,_ZN7rocprim17ROCPRIM_400000_NS6detail17trampoline_kernelINS0_14default_configENS1_20scan_config_selectorIdEEZZNS1_9scan_implILNS1_25lookback_scan_determinismE0ELb0ELb0ES3_PKdPddZZZN2at6native31launch_logcumsumexp_cuda_kernelERKNSB_10TensorBaseESF_lENKUlvE_clEvENKUlvE_clEvEUlddE_dEEDaPvRmT3_T4_T5_mT6_P12ihipStream_tbENKUlT_T0_E_clISt17integral_constantIbLb1EESV_IbLb0EEEEDaSR_SS_EUlSR_E0_NS1_11comp_targetILNS1_3genE10ELNS1_11target_archE1201ELNS1_3gpuE5ELNS1_3repE0EEENS1_30default_config_static_selectorELNS0_4arch9wavefront6targetE1EEEvT1_,comdat
	.globl	_ZN7rocprim17ROCPRIM_400000_NS6detail17trampoline_kernelINS0_14default_configENS1_20scan_config_selectorIdEEZZNS1_9scan_implILNS1_25lookback_scan_determinismE0ELb0ELb0ES3_PKdPddZZZN2at6native31launch_logcumsumexp_cuda_kernelERKNSB_10TensorBaseESF_lENKUlvE_clEvENKUlvE_clEvEUlddE_dEEDaPvRmT3_T4_T5_mT6_P12ihipStream_tbENKUlT_T0_E_clISt17integral_constantIbLb1EESV_IbLb0EEEEDaSR_SS_EUlSR_E0_NS1_11comp_targetILNS1_3genE10ELNS1_11target_archE1201ELNS1_3gpuE5ELNS1_3repE0EEENS1_30default_config_static_selectorELNS0_4arch9wavefront6targetE1EEEvT1_ ; -- Begin function _ZN7rocprim17ROCPRIM_400000_NS6detail17trampoline_kernelINS0_14default_configENS1_20scan_config_selectorIdEEZZNS1_9scan_implILNS1_25lookback_scan_determinismE0ELb0ELb0ES3_PKdPddZZZN2at6native31launch_logcumsumexp_cuda_kernelERKNSB_10TensorBaseESF_lENKUlvE_clEvENKUlvE_clEvEUlddE_dEEDaPvRmT3_T4_T5_mT6_P12ihipStream_tbENKUlT_T0_E_clISt17integral_constantIbLb1EESV_IbLb0EEEEDaSR_SS_EUlSR_E0_NS1_11comp_targetILNS1_3genE10ELNS1_11target_archE1201ELNS1_3gpuE5ELNS1_3repE0EEENS1_30default_config_static_selectorELNS0_4arch9wavefront6targetE1EEEvT1_
	.p2align	8
	.type	_ZN7rocprim17ROCPRIM_400000_NS6detail17trampoline_kernelINS0_14default_configENS1_20scan_config_selectorIdEEZZNS1_9scan_implILNS1_25lookback_scan_determinismE0ELb0ELb0ES3_PKdPddZZZN2at6native31launch_logcumsumexp_cuda_kernelERKNSB_10TensorBaseESF_lENKUlvE_clEvENKUlvE_clEvEUlddE_dEEDaPvRmT3_T4_T5_mT6_P12ihipStream_tbENKUlT_T0_E_clISt17integral_constantIbLb1EESV_IbLb0EEEEDaSR_SS_EUlSR_E0_NS1_11comp_targetILNS1_3genE10ELNS1_11target_archE1201ELNS1_3gpuE5ELNS1_3repE0EEENS1_30default_config_static_selectorELNS0_4arch9wavefront6targetE1EEEvT1_,@function
_ZN7rocprim17ROCPRIM_400000_NS6detail17trampoline_kernelINS0_14default_configENS1_20scan_config_selectorIdEEZZNS1_9scan_implILNS1_25lookback_scan_determinismE0ELb0ELb0ES3_PKdPddZZZN2at6native31launch_logcumsumexp_cuda_kernelERKNSB_10TensorBaseESF_lENKUlvE_clEvENKUlvE_clEvEUlddE_dEEDaPvRmT3_T4_T5_mT6_P12ihipStream_tbENKUlT_T0_E_clISt17integral_constantIbLb1EESV_IbLb0EEEEDaSR_SS_EUlSR_E0_NS1_11comp_targetILNS1_3genE10ELNS1_11target_archE1201ELNS1_3gpuE5ELNS1_3repE0EEENS1_30default_config_static_selectorELNS0_4arch9wavefront6targetE1EEEvT1_: ; @_ZN7rocprim17ROCPRIM_400000_NS6detail17trampoline_kernelINS0_14default_configENS1_20scan_config_selectorIdEEZZNS1_9scan_implILNS1_25lookback_scan_determinismE0ELb0ELb0ES3_PKdPddZZZN2at6native31launch_logcumsumexp_cuda_kernelERKNSB_10TensorBaseESF_lENKUlvE_clEvENKUlvE_clEvEUlddE_dEEDaPvRmT3_T4_T5_mT6_P12ihipStream_tbENKUlT_T0_E_clISt17integral_constantIbLb1EESV_IbLb0EEEEDaSR_SS_EUlSR_E0_NS1_11comp_targetILNS1_3genE10ELNS1_11target_archE1201ELNS1_3gpuE5ELNS1_3repE0EEENS1_30default_config_static_selectorELNS0_4arch9wavefront6targetE1EEEvT1_
; %bb.0:
	.section	.rodata,"a",@progbits
	.p2align	6, 0x0
	.amdhsa_kernel _ZN7rocprim17ROCPRIM_400000_NS6detail17trampoline_kernelINS0_14default_configENS1_20scan_config_selectorIdEEZZNS1_9scan_implILNS1_25lookback_scan_determinismE0ELb0ELb0ES3_PKdPddZZZN2at6native31launch_logcumsumexp_cuda_kernelERKNSB_10TensorBaseESF_lENKUlvE_clEvENKUlvE_clEvEUlddE_dEEDaPvRmT3_T4_T5_mT6_P12ihipStream_tbENKUlT_T0_E_clISt17integral_constantIbLb1EESV_IbLb0EEEEDaSR_SS_EUlSR_E0_NS1_11comp_targetILNS1_3genE10ELNS1_11target_archE1201ELNS1_3gpuE5ELNS1_3repE0EEENS1_30default_config_static_selectorELNS0_4arch9wavefront6targetE1EEEvT1_
		.amdhsa_group_segment_fixed_size 0
		.amdhsa_private_segment_fixed_size 0
		.amdhsa_kernarg_size 40
		.amdhsa_user_sgpr_count 2
		.amdhsa_user_sgpr_dispatch_ptr 0
		.amdhsa_user_sgpr_queue_ptr 0
		.amdhsa_user_sgpr_kernarg_segment_ptr 1
		.amdhsa_user_sgpr_dispatch_id 0
		.amdhsa_user_sgpr_kernarg_preload_length 0
		.amdhsa_user_sgpr_kernarg_preload_offset 0
		.amdhsa_user_sgpr_private_segment_size 0
		.amdhsa_uses_dynamic_stack 0
		.amdhsa_enable_private_segment 0
		.amdhsa_system_sgpr_workgroup_id_x 1
		.amdhsa_system_sgpr_workgroup_id_y 0
		.amdhsa_system_sgpr_workgroup_id_z 0
		.amdhsa_system_sgpr_workgroup_info 0
		.amdhsa_system_vgpr_workitem_id 0
		.amdhsa_next_free_vgpr 1
		.amdhsa_next_free_sgpr 0
		.amdhsa_accum_offset 4
		.amdhsa_reserve_vcc 0
		.amdhsa_float_round_mode_32 0
		.amdhsa_float_round_mode_16_64 0
		.amdhsa_float_denorm_mode_32 3
		.amdhsa_float_denorm_mode_16_64 3
		.amdhsa_dx10_clamp 1
		.amdhsa_ieee_mode 1
		.amdhsa_fp16_overflow 0
		.amdhsa_tg_split 0
		.amdhsa_exception_fp_ieee_invalid_op 0
		.amdhsa_exception_fp_denorm_src 0
		.amdhsa_exception_fp_ieee_div_zero 0
		.amdhsa_exception_fp_ieee_overflow 0
		.amdhsa_exception_fp_ieee_underflow 0
		.amdhsa_exception_fp_ieee_inexact 0
		.amdhsa_exception_int_div_zero 0
	.end_amdhsa_kernel
	.section	.text._ZN7rocprim17ROCPRIM_400000_NS6detail17trampoline_kernelINS0_14default_configENS1_20scan_config_selectorIdEEZZNS1_9scan_implILNS1_25lookback_scan_determinismE0ELb0ELb0ES3_PKdPddZZZN2at6native31launch_logcumsumexp_cuda_kernelERKNSB_10TensorBaseESF_lENKUlvE_clEvENKUlvE_clEvEUlddE_dEEDaPvRmT3_T4_T5_mT6_P12ihipStream_tbENKUlT_T0_E_clISt17integral_constantIbLb1EESV_IbLb0EEEEDaSR_SS_EUlSR_E0_NS1_11comp_targetILNS1_3genE10ELNS1_11target_archE1201ELNS1_3gpuE5ELNS1_3repE0EEENS1_30default_config_static_selectorELNS0_4arch9wavefront6targetE1EEEvT1_,"axG",@progbits,_ZN7rocprim17ROCPRIM_400000_NS6detail17trampoline_kernelINS0_14default_configENS1_20scan_config_selectorIdEEZZNS1_9scan_implILNS1_25lookback_scan_determinismE0ELb0ELb0ES3_PKdPddZZZN2at6native31launch_logcumsumexp_cuda_kernelERKNSB_10TensorBaseESF_lENKUlvE_clEvENKUlvE_clEvEUlddE_dEEDaPvRmT3_T4_T5_mT6_P12ihipStream_tbENKUlT_T0_E_clISt17integral_constantIbLb1EESV_IbLb0EEEEDaSR_SS_EUlSR_E0_NS1_11comp_targetILNS1_3genE10ELNS1_11target_archE1201ELNS1_3gpuE5ELNS1_3repE0EEENS1_30default_config_static_selectorELNS0_4arch9wavefront6targetE1EEEvT1_,comdat
.Lfunc_end64:
	.size	_ZN7rocprim17ROCPRIM_400000_NS6detail17trampoline_kernelINS0_14default_configENS1_20scan_config_selectorIdEEZZNS1_9scan_implILNS1_25lookback_scan_determinismE0ELb0ELb0ES3_PKdPddZZZN2at6native31launch_logcumsumexp_cuda_kernelERKNSB_10TensorBaseESF_lENKUlvE_clEvENKUlvE_clEvEUlddE_dEEDaPvRmT3_T4_T5_mT6_P12ihipStream_tbENKUlT_T0_E_clISt17integral_constantIbLb1EESV_IbLb0EEEEDaSR_SS_EUlSR_E0_NS1_11comp_targetILNS1_3genE10ELNS1_11target_archE1201ELNS1_3gpuE5ELNS1_3repE0EEENS1_30default_config_static_selectorELNS0_4arch9wavefront6targetE1EEEvT1_, .Lfunc_end64-_ZN7rocprim17ROCPRIM_400000_NS6detail17trampoline_kernelINS0_14default_configENS1_20scan_config_selectorIdEEZZNS1_9scan_implILNS1_25lookback_scan_determinismE0ELb0ELb0ES3_PKdPddZZZN2at6native31launch_logcumsumexp_cuda_kernelERKNSB_10TensorBaseESF_lENKUlvE_clEvENKUlvE_clEvEUlddE_dEEDaPvRmT3_T4_T5_mT6_P12ihipStream_tbENKUlT_T0_E_clISt17integral_constantIbLb1EESV_IbLb0EEEEDaSR_SS_EUlSR_E0_NS1_11comp_targetILNS1_3genE10ELNS1_11target_archE1201ELNS1_3gpuE5ELNS1_3repE0EEENS1_30default_config_static_selectorELNS0_4arch9wavefront6targetE1EEEvT1_
                                        ; -- End function
	.section	.AMDGPU.csdata,"",@progbits
; Kernel info:
; codeLenInByte = 0
; NumSgprs: 6
; NumVgprs: 0
; NumAgprs: 0
; TotalNumVgprs: 0
; ScratchSize: 0
; MemoryBound: 0
; FloatMode: 240
; IeeeMode: 1
; LDSByteSize: 0 bytes/workgroup (compile time only)
; SGPRBlocks: 0
; VGPRBlocks: 0
; NumSGPRsForWavesPerEU: 6
; NumVGPRsForWavesPerEU: 1
; AccumOffset: 4
; Occupancy: 8
; WaveLimiterHint : 0
; COMPUTE_PGM_RSRC2:SCRATCH_EN: 0
; COMPUTE_PGM_RSRC2:USER_SGPR: 2
; COMPUTE_PGM_RSRC2:TRAP_HANDLER: 0
; COMPUTE_PGM_RSRC2:TGID_X_EN: 1
; COMPUTE_PGM_RSRC2:TGID_Y_EN: 0
; COMPUTE_PGM_RSRC2:TGID_Z_EN: 0
; COMPUTE_PGM_RSRC2:TIDIG_COMP_CNT: 0
; COMPUTE_PGM_RSRC3_GFX90A:ACCUM_OFFSET: 0
; COMPUTE_PGM_RSRC3_GFX90A:TG_SPLIT: 0
	.section	.text._ZN7rocprim17ROCPRIM_400000_NS6detail17trampoline_kernelINS0_14default_configENS1_20scan_config_selectorIdEEZZNS1_9scan_implILNS1_25lookback_scan_determinismE0ELb0ELb0ES3_PKdPddZZZN2at6native31launch_logcumsumexp_cuda_kernelERKNSB_10TensorBaseESF_lENKUlvE_clEvENKUlvE_clEvEUlddE_dEEDaPvRmT3_T4_T5_mT6_P12ihipStream_tbENKUlT_T0_E_clISt17integral_constantIbLb1EESV_IbLb0EEEEDaSR_SS_EUlSR_E0_NS1_11comp_targetILNS1_3genE10ELNS1_11target_archE1200ELNS1_3gpuE4ELNS1_3repE0EEENS1_30default_config_static_selectorELNS0_4arch9wavefront6targetE1EEEvT1_,"axG",@progbits,_ZN7rocprim17ROCPRIM_400000_NS6detail17trampoline_kernelINS0_14default_configENS1_20scan_config_selectorIdEEZZNS1_9scan_implILNS1_25lookback_scan_determinismE0ELb0ELb0ES3_PKdPddZZZN2at6native31launch_logcumsumexp_cuda_kernelERKNSB_10TensorBaseESF_lENKUlvE_clEvENKUlvE_clEvEUlddE_dEEDaPvRmT3_T4_T5_mT6_P12ihipStream_tbENKUlT_T0_E_clISt17integral_constantIbLb1EESV_IbLb0EEEEDaSR_SS_EUlSR_E0_NS1_11comp_targetILNS1_3genE10ELNS1_11target_archE1200ELNS1_3gpuE4ELNS1_3repE0EEENS1_30default_config_static_selectorELNS0_4arch9wavefront6targetE1EEEvT1_,comdat
	.globl	_ZN7rocprim17ROCPRIM_400000_NS6detail17trampoline_kernelINS0_14default_configENS1_20scan_config_selectorIdEEZZNS1_9scan_implILNS1_25lookback_scan_determinismE0ELb0ELb0ES3_PKdPddZZZN2at6native31launch_logcumsumexp_cuda_kernelERKNSB_10TensorBaseESF_lENKUlvE_clEvENKUlvE_clEvEUlddE_dEEDaPvRmT3_T4_T5_mT6_P12ihipStream_tbENKUlT_T0_E_clISt17integral_constantIbLb1EESV_IbLb0EEEEDaSR_SS_EUlSR_E0_NS1_11comp_targetILNS1_3genE10ELNS1_11target_archE1200ELNS1_3gpuE4ELNS1_3repE0EEENS1_30default_config_static_selectorELNS0_4arch9wavefront6targetE1EEEvT1_ ; -- Begin function _ZN7rocprim17ROCPRIM_400000_NS6detail17trampoline_kernelINS0_14default_configENS1_20scan_config_selectorIdEEZZNS1_9scan_implILNS1_25lookback_scan_determinismE0ELb0ELb0ES3_PKdPddZZZN2at6native31launch_logcumsumexp_cuda_kernelERKNSB_10TensorBaseESF_lENKUlvE_clEvENKUlvE_clEvEUlddE_dEEDaPvRmT3_T4_T5_mT6_P12ihipStream_tbENKUlT_T0_E_clISt17integral_constantIbLb1EESV_IbLb0EEEEDaSR_SS_EUlSR_E0_NS1_11comp_targetILNS1_3genE10ELNS1_11target_archE1200ELNS1_3gpuE4ELNS1_3repE0EEENS1_30default_config_static_selectorELNS0_4arch9wavefront6targetE1EEEvT1_
	.p2align	8
	.type	_ZN7rocprim17ROCPRIM_400000_NS6detail17trampoline_kernelINS0_14default_configENS1_20scan_config_selectorIdEEZZNS1_9scan_implILNS1_25lookback_scan_determinismE0ELb0ELb0ES3_PKdPddZZZN2at6native31launch_logcumsumexp_cuda_kernelERKNSB_10TensorBaseESF_lENKUlvE_clEvENKUlvE_clEvEUlddE_dEEDaPvRmT3_T4_T5_mT6_P12ihipStream_tbENKUlT_T0_E_clISt17integral_constantIbLb1EESV_IbLb0EEEEDaSR_SS_EUlSR_E0_NS1_11comp_targetILNS1_3genE10ELNS1_11target_archE1200ELNS1_3gpuE4ELNS1_3repE0EEENS1_30default_config_static_selectorELNS0_4arch9wavefront6targetE1EEEvT1_,@function
_ZN7rocprim17ROCPRIM_400000_NS6detail17trampoline_kernelINS0_14default_configENS1_20scan_config_selectorIdEEZZNS1_9scan_implILNS1_25lookback_scan_determinismE0ELb0ELb0ES3_PKdPddZZZN2at6native31launch_logcumsumexp_cuda_kernelERKNSB_10TensorBaseESF_lENKUlvE_clEvENKUlvE_clEvEUlddE_dEEDaPvRmT3_T4_T5_mT6_P12ihipStream_tbENKUlT_T0_E_clISt17integral_constantIbLb1EESV_IbLb0EEEEDaSR_SS_EUlSR_E0_NS1_11comp_targetILNS1_3genE10ELNS1_11target_archE1200ELNS1_3gpuE4ELNS1_3repE0EEENS1_30default_config_static_selectorELNS0_4arch9wavefront6targetE1EEEvT1_: ; @_ZN7rocprim17ROCPRIM_400000_NS6detail17trampoline_kernelINS0_14default_configENS1_20scan_config_selectorIdEEZZNS1_9scan_implILNS1_25lookback_scan_determinismE0ELb0ELb0ES3_PKdPddZZZN2at6native31launch_logcumsumexp_cuda_kernelERKNSB_10TensorBaseESF_lENKUlvE_clEvENKUlvE_clEvEUlddE_dEEDaPvRmT3_T4_T5_mT6_P12ihipStream_tbENKUlT_T0_E_clISt17integral_constantIbLb1EESV_IbLb0EEEEDaSR_SS_EUlSR_E0_NS1_11comp_targetILNS1_3genE10ELNS1_11target_archE1200ELNS1_3gpuE4ELNS1_3repE0EEENS1_30default_config_static_selectorELNS0_4arch9wavefront6targetE1EEEvT1_
; %bb.0:
	.section	.rodata,"a",@progbits
	.p2align	6, 0x0
	.amdhsa_kernel _ZN7rocprim17ROCPRIM_400000_NS6detail17trampoline_kernelINS0_14default_configENS1_20scan_config_selectorIdEEZZNS1_9scan_implILNS1_25lookback_scan_determinismE0ELb0ELb0ES3_PKdPddZZZN2at6native31launch_logcumsumexp_cuda_kernelERKNSB_10TensorBaseESF_lENKUlvE_clEvENKUlvE_clEvEUlddE_dEEDaPvRmT3_T4_T5_mT6_P12ihipStream_tbENKUlT_T0_E_clISt17integral_constantIbLb1EESV_IbLb0EEEEDaSR_SS_EUlSR_E0_NS1_11comp_targetILNS1_3genE10ELNS1_11target_archE1200ELNS1_3gpuE4ELNS1_3repE0EEENS1_30default_config_static_selectorELNS0_4arch9wavefront6targetE1EEEvT1_
		.amdhsa_group_segment_fixed_size 0
		.amdhsa_private_segment_fixed_size 0
		.amdhsa_kernarg_size 40
		.amdhsa_user_sgpr_count 2
		.amdhsa_user_sgpr_dispatch_ptr 0
		.amdhsa_user_sgpr_queue_ptr 0
		.amdhsa_user_sgpr_kernarg_segment_ptr 1
		.amdhsa_user_sgpr_dispatch_id 0
		.amdhsa_user_sgpr_kernarg_preload_length 0
		.amdhsa_user_sgpr_kernarg_preload_offset 0
		.amdhsa_user_sgpr_private_segment_size 0
		.amdhsa_uses_dynamic_stack 0
		.amdhsa_enable_private_segment 0
		.amdhsa_system_sgpr_workgroup_id_x 1
		.amdhsa_system_sgpr_workgroup_id_y 0
		.amdhsa_system_sgpr_workgroup_id_z 0
		.amdhsa_system_sgpr_workgroup_info 0
		.amdhsa_system_vgpr_workitem_id 0
		.amdhsa_next_free_vgpr 1
		.amdhsa_next_free_sgpr 0
		.amdhsa_accum_offset 4
		.amdhsa_reserve_vcc 0
		.amdhsa_float_round_mode_32 0
		.amdhsa_float_round_mode_16_64 0
		.amdhsa_float_denorm_mode_32 3
		.amdhsa_float_denorm_mode_16_64 3
		.amdhsa_dx10_clamp 1
		.amdhsa_ieee_mode 1
		.amdhsa_fp16_overflow 0
		.amdhsa_tg_split 0
		.amdhsa_exception_fp_ieee_invalid_op 0
		.amdhsa_exception_fp_denorm_src 0
		.amdhsa_exception_fp_ieee_div_zero 0
		.amdhsa_exception_fp_ieee_overflow 0
		.amdhsa_exception_fp_ieee_underflow 0
		.amdhsa_exception_fp_ieee_inexact 0
		.amdhsa_exception_int_div_zero 0
	.end_amdhsa_kernel
	.section	.text._ZN7rocprim17ROCPRIM_400000_NS6detail17trampoline_kernelINS0_14default_configENS1_20scan_config_selectorIdEEZZNS1_9scan_implILNS1_25lookback_scan_determinismE0ELb0ELb0ES3_PKdPddZZZN2at6native31launch_logcumsumexp_cuda_kernelERKNSB_10TensorBaseESF_lENKUlvE_clEvENKUlvE_clEvEUlddE_dEEDaPvRmT3_T4_T5_mT6_P12ihipStream_tbENKUlT_T0_E_clISt17integral_constantIbLb1EESV_IbLb0EEEEDaSR_SS_EUlSR_E0_NS1_11comp_targetILNS1_3genE10ELNS1_11target_archE1200ELNS1_3gpuE4ELNS1_3repE0EEENS1_30default_config_static_selectorELNS0_4arch9wavefront6targetE1EEEvT1_,"axG",@progbits,_ZN7rocprim17ROCPRIM_400000_NS6detail17trampoline_kernelINS0_14default_configENS1_20scan_config_selectorIdEEZZNS1_9scan_implILNS1_25lookback_scan_determinismE0ELb0ELb0ES3_PKdPddZZZN2at6native31launch_logcumsumexp_cuda_kernelERKNSB_10TensorBaseESF_lENKUlvE_clEvENKUlvE_clEvEUlddE_dEEDaPvRmT3_T4_T5_mT6_P12ihipStream_tbENKUlT_T0_E_clISt17integral_constantIbLb1EESV_IbLb0EEEEDaSR_SS_EUlSR_E0_NS1_11comp_targetILNS1_3genE10ELNS1_11target_archE1200ELNS1_3gpuE4ELNS1_3repE0EEENS1_30default_config_static_selectorELNS0_4arch9wavefront6targetE1EEEvT1_,comdat
.Lfunc_end65:
	.size	_ZN7rocprim17ROCPRIM_400000_NS6detail17trampoline_kernelINS0_14default_configENS1_20scan_config_selectorIdEEZZNS1_9scan_implILNS1_25lookback_scan_determinismE0ELb0ELb0ES3_PKdPddZZZN2at6native31launch_logcumsumexp_cuda_kernelERKNSB_10TensorBaseESF_lENKUlvE_clEvENKUlvE_clEvEUlddE_dEEDaPvRmT3_T4_T5_mT6_P12ihipStream_tbENKUlT_T0_E_clISt17integral_constantIbLb1EESV_IbLb0EEEEDaSR_SS_EUlSR_E0_NS1_11comp_targetILNS1_3genE10ELNS1_11target_archE1200ELNS1_3gpuE4ELNS1_3repE0EEENS1_30default_config_static_selectorELNS0_4arch9wavefront6targetE1EEEvT1_, .Lfunc_end65-_ZN7rocprim17ROCPRIM_400000_NS6detail17trampoline_kernelINS0_14default_configENS1_20scan_config_selectorIdEEZZNS1_9scan_implILNS1_25lookback_scan_determinismE0ELb0ELb0ES3_PKdPddZZZN2at6native31launch_logcumsumexp_cuda_kernelERKNSB_10TensorBaseESF_lENKUlvE_clEvENKUlvE_clEvEUlddE_dEEDaPvRmT3_T4_T5_mT6_P12ihipStream_tbENKUlT_T0_E_clISt17integral_constantIbLb1EESV_IbLb0EEEEDaSR_SS_EUlSR_E0_NS1_11comp_targetILNS1_3genE10ELNS1_11target_archE1200ELNS1_3gpuE4ELNS1_3repE0EEENS1_30default_config_static_selectorELNS0_4arch9wavefront6targetE1EEEvT1_
                                        ; -- End function
	.section	.AMDGPU.csdata,"",@progbits
; Kernel info:
; codeLenInByte = 0
; NumSgprs: 6
; NumVgprs: 0
; NumAgprs: 0
; TotalNumVgprs: 0
; ScratchSize: 0
; MemoryBound: 0
; FloatMode: 240
; IeeeMode: 1
; LDSByteSize: 0 bytes/workgroup (compile time only)
; SGPRBlocks: 0
; VGPRBlocks: 0
; NumSGPRsForWavesPerEU: 6
; NumVGPRsForWavesPerEU: 1
; AccumOffset: 4
; Occupancy: 8
; WaveLimiterHint : 0
; COMPUTE_PGM_RSRC2:SCRATCH_EN: 0
; COMPUTE_PGM_RSRC2:USER_SGPR: 2
; COMPUTE_PGM_RSRC2:TRAP_HANDLER: 0
; COMPUTE_PGM_RSRC2:TGID_X_EN: 1
; COMPUTE_PGM_RSRC2:TGID_Y_EN: 0
; COMPUTE_PGM_RSRC2:TGID_Z_EN: 0
; COMPUTE_PGM_RSRC2:TIDIG_COMP_CNT: 0
; COMPUTE_PGM_RSRC3_GFX90A:ACCUM_OFFSET: 0
; COMPUTE_PGM_RSRC3_GFX90A:TG_SPLIT: 0
	.section	.text._ZN7rocprim17ROCPRIM_400000_NS6detail17trampoline_kernelINS0_14default_configENS1_20scan_config_selectorIdEEZZNS1_9scan_implILNS1_25lookback_scan_determinismE0ELb0ELb0ES3_PKdPddZZZN2at6native31launch_logcumsumexp_cuda_kernelERKNSB_10TensorBaseESF_lENKUlvE_clEvENKUlvE_clEvEUlddE_dEEDaPvRmT3_T4_T5_mT6_P12ihipStream_tbENKUlT_T0_E_clISt17integral_constantIbLb1EESV_IbLb0EEEEDaSR_SS_EUlSR_E0_NS1_11comp_targetILNS1_3genE9ELNS1_11target_archE1100ELNS1_3gpuE3ELNS1_3repE0EEENS1_30default_config_static_selectorELNS0_4arch9wavefront6targetE1EEEvT1_,"axG",@progbits,_ZN7rocprim17ROCPRIM_400000_NS6detail17trampoline_kernelINS0_14default_configENS1_20scan_config_selectorIdEEZZNS1_9scan_implILNS1_25lookback_scan_determinismE0ELb0ELb0ES3_PKdPddZZZN2at6native31launch_logcumsumexp_cuda_kernelERKNSB_10TensorBaseESF_lENKUlvE_clEvENKUlvE_clEvEUlddE_dEEDaPvRmT3_T4_T5_mT6_P12ihipStream_tbENKUlT_T0_E_clISt17integral_constantIbLb1EESV_IbLb0EEEEDaSR_SS_EUlSR_E0_NS1_11comp_targetILNS1_3genE9ELNS1_11target_archE1100ELNS1_3gpuE3ELNS1_3repE0EEENS1_30default_config_static_selectorELNS0_4arch9wavefront6targetE1EEEvT1_,comdat
	.globl	_ZN7rocprim17ROCPRIM_400000_NS6detail17trampoline_kernelINS0_14default_configENS1_20scan_config_selectorIdEEZZNS1_9scan_implILNS1_25lookback_scan_determinismE0ELb0ELb0ES3_PKdPddZZZN2at6native31launch_logcumsumexp_cuda_kernelERKNSB_10TensorBaseESF_lENKUlvE_clEvENKUlvE_clEvEUlddE_dEEDaPvRmT3_T4_T5_mT6_P12ihipStream_tbENKUlT_T0_E_clISt17integral_constantIbLb1EESV_IbLb0EEEEDaSR_SS_EUlSR_E0_NS1_11comp_targetILNS1_3genE9ELNS1_11target_archE1100ELNS1_3gpuE3ELNS1_3repE0EEENS1_30default_config_static_selectorELNS0_4arch9wavefront6targetE1EEEvT1_ ; -- Begin function _ZN7rocprim17ROCPRIM_400000_NS6detail17trampoline_kernelINS0_14default_configENS1_20scan_config_selectorIdEEZZNS1_9scan_implILNS1_25lookback_scan_determinismE0ELb0ELb0ES3_PKdPddZZZN2at6native31launch_logcumsumexp_cuda_kernelERKNSB_10TensorBaseESF_lENKUlvE_clEvENKUlvE_clEvEUlddE_dEEDaPvRmT3_T4_T5_mT6_P12ihipStream_tbENKUlT_T0_E_clISt17integral_constantIbLb1EESV_IbLb0EEEEDaSR_SS_EUlSR_E0_NS1_11comp_targetILNS1_3genE9ELNS1_11target_archE1100ELNS1_3gpuE3ELNS1_3repE0EEENS1_30default_config_static_selectorELNS0_4arch9wavefront6targetE1EEEvT1_
	.p2align	8
	.type	_ZN7rocprim17ROCPRIM_400000_NS6detail17trampoline_kernelINS0_14default_configENS1_20scan_config_selectorIdEEZZNS1_9scan_implILNS1_25lookback_scan_determinismE0ELb0ELb0ES3_PKdPddZZZN2at6native31launch_logcumsumexp_cuda_kernelERKNSB_10TensorBaseESF_lENKUlvE_clEvENKUlvE_clEvEUlddE_dEEDaPvRmT3_T4_T5_mT6_P12ihipStream_tbENKUlT_T0_E_clISt17integral_constantIbLb1EESV_IbLb0EEEEDaSR_SS_EUlSR_E0_NS1_11comp_targetILNS1_3genE9ELNS1_11target_archE1100ELNS1_3gpuE3ELNS1_3repE0EEENS1_30default_config_static_selectorELNS0_4arch9wavefront6targetE1EEEvT1_,@function
_ZN7rocprim17ROCPRIM_400000_NS6detail17trampoline_kernelINS0_14default_configENS1_20scan_config_selectorIdEEZZNS1_9scan_implILNS1_25lookback_scan_determinismE0ELb0ELb0ES3_PKdPddZZZN2at6native31launch_logcumsumexp_cuda_kernelERKNSB_10TensorBaseESF_lENKUlvE_clEvENKUlvE_clEvEUlddE_dEEDaPvRmT3_T4_T5_mT6_P12ihipStream_tbENKUlT_T0_E_clISt17integral_constantIbLb1EESV_IbLb0EEEEDaSR_SS_EUlSR_E0_NS1_11comp_targetILNS1_3genE9ELNS1_11target_archE1100ELNS1_3gpuE3ELNS1_3repE0EEENS1_30default_config_static_selectorELNS0_4arch9wavefront6targetE1EEEvT1_: ; @_ZN7rocprim17ROCPRIM_400000_NS6detail17trampoline_kernelINS0_14default_configENS1_20scan_config_selectorIdEEZZNS1_9scan_implILNS1_25lookback_scan_determinismE0ELb0ELb0ES3_PKdPddZZZN2at6native31launch_logcumsumexp_cuda_kernelERKNSB_10TensorBaseESF_lENKUlvE_clEvENKUlvE_clEvEUlddE_dEEDaPvRmT3_T4_T5_mT6_P12ihipStream_tbENKUlT_T0_E_clISt17integral_constantIbLb1EESV_IbLb0EEEEDaSR_SS_EUlSR_E0_NS1_11comp_targetILNS1_3genE9ELNS1_11target_archE1100ELNS1_3gpuE3ELNS1_3repE0EEENS1_30default_config_static_selectorELNS0_4arch9wavefront6targetE1EEEvT1_
; %bb.0:
	.section	.rodata,"a",@progbits
	.p2align	6, 0x0
	.amdhsa_kernel _ZN7rocprim17ROCPRIM_400000_NS6detail17trampoline_kernelINS0_14default_configENS1_20scan_config_selectorIdEEZZNS1_9scan_implILNS1_25lookback_scan_determinismE0ELb0ELb0ES3_PKdPddZZZN2at6native31launch_logcumsumexp_cuda_kernelERKNSB_10TensorBaseESF_lENKUlvE_clEvENKUlvE_clEvEUlddE_dEEDaPvRmT3_T4_T5_mT6_P12ihipStream_tbENKUlT_T0_E_clISt17integral_constantIbLb1EESV_IbLb0EEEEDaSR_SS_EUlSR_E0_NS1_11comp_targetILNS1_3genE9ELNS1_11target_archE1100ELNS1_3gpuE3ELNS1_3repE0EEENS1_30default_config_static_selectorELNS0_4arch9wavefront6targetE1EEEvT1_
		.amdhsa_group_segment_fixed_size 0
		.amdhsa_private_segment_fixed_size 0
		.amdhsa_kernarg_size 40
		.amdhsa_user_sgpr_count 2
		.amdhsa_user_sgpr_dispatch_ptr 0
		.amdhsa_user_sgpr_queue_ptr 0
		.amdhsa_user_sgpr_kernarg_segment_ptr 1
		.amdhsa_user_sgpr_dispatch_id 0
		.amdhsa_user_sgpr_kernarg_preload_length 0
		.amdhsa_user_sgpr_kernarg_preload_offset 0
		.amdhsa_user_sgpr_private_segment_size 0
		.amdhsa_uses_dynamic_stack 0
		.amdhsa_enable_private_segment 0
		.amdhsa_system_sgpr_workgroup_id_x 1
		.amdhsa_system_sgpr_workgroup_id_y 0
		.amdhsa_system_sgpr_workgroup_id_z 0
		.amdhsa_system_sgpr_workgroup_info 0
		.amdhsa_system_vgpr_workitem_id 0
		.amdhsa_next_free_vgpr 1
		.amdhsa_next_free_sgpr 0
		.amdhsa_accum_offset 4
		.amdhsa_reserve_vcc 0
		.amdhsa_float_round_mode_32 0
		.amdhsa_float_round_mode_16_64 0
		.amdhsa_float_denorm_mode_32 3
		.amdhsa_float_denorm_mode_16_64 3
		.amdhsa_dx10_clamp 1
		.amdhsa_ieee_mode 1
		.amdhsa_fp16_overflow 0
		.amdhsa_tg_split 0
		.amdhsa_exception_fp_ieee_invalid_op 0
		.amdhsa_exception_fp_denorm_src 0
		.amdhsa_exception_fp_ieee_div_zero 0
		.amdhsa_exception_fp_ieee_overflow 0
		.amdhsa_exception_fp_ieee_underflow 0
		.amdhsa_exception_fp_ieee_inexact 0
		.amdhsa_exception_int_div_zero 0
	.end_amdhsa_kernel
	.section	.text._ZN7rocprim17ROCPRIM_400000_NS6detail17trampoline_kernelINS0_14default_configENS1_20scan_config_selectorIdEEZZNS1_9scan_implILNS1_25lookback_scan_determinismE0ELb0ELb0ES3_PKdPddZZZN2at6native31launch_logcumsumexp_cuda_kernelERKNSB_10TensorBaseESF_lENKUlvE_clEvENKUlvE_clEvEUlddE_dEEDaPvRmT3_T4_T5_mT6_P12ihipStream_tbENKUlT_T0_E_clISt17integral_constantIbLb1EESV_IbLb0EEEEDaSR_SS_EUlSR_E0_NS1_11comp_targetILNS1_3genE9ELNS1_11target_archE1100ELNS1_3gpuE3ELNS1_3repE0EEENS1_30default_config_static_selectorELNS0_4arch9wavefront6targetE1EEEvT1_,"axG",@progbits,_ZN7rocprim17ROCPRIM_400000_NS6detail17trampoline_kernelINS0_14default_configENS1_20scan_config_selectorIdEEZZNS1_9scan_implILNS1_25lookback_scan_determinismE0ELb0ELb0ES3_PKdPddZZZN2at6native31launch_logcumsumexp_cuda_kernelERKNSB_10TensorBaseESF_lENKUlvE_clEvENKUlvE_clEvEUlddE_dEEDaPvRmT3_T4_T5_mT6_P12ihipStream_tbENKUlT_T0_E_clISt17integral_constantIbLb1EESV_IbLb0EEEEDaSR_SS_EUlSR_E0_NS1_11comp_targetILNS1_3genE9ELNS1_11target_archE1100ELNS1_3gpuE3ELNS1_3repE0EEENS1_30default_config_static_selectorELNS0_4arch9wavefront6targetE1EEEvT1_,comdat
.Lfunc_end66:
	.size	_ZN7rocprim17ROCPRIM_400000_NS6detail17trampoline_kernelINS0_14default_configENS1_20scan_config_selectorIdEEZZNS1_9scan_implILNS1_25lookback_scan_determinismE0ELb0ELb0ES3_PKdPddZZZN2at6native31launch_logcumsumexp_cuda_kernelERKNSB_10TensorBaseESF_lENKUlvE_clEvENKUlvE_clEvEUlddE_dEEDaPvRmT3_T4_T5_mT6_P12ihipStream_tbENKUlT_T0_E_clISt17integral_constantIbLb1EESV_IbLb0EEEEDaSR_SS_EUlSR_E0_NS1_11comp_targetILNS1_3genE9ELNS1_11target_archE1100ELNS1_3gpuE3ELNS1_3repE0EEENS1_30default_config_static_selectorELNS0_4arch9wavefront6targetE1EEEvT1_, .Lfunc_end66-_ZN7rocprim17ROCPRIM_400000_NS6detail17trampoline_kernelINS0_14default_configENS1_20scan_config_selectorIdEEZZNS1_9scan_implILNS1_25lookback_scan_determinismE0ELb0ELb0ES3_PKdPddZZZN2at6native31launch_logcumsumexp_cuda_kernelERKNSB_10TensorBaseESF_lENKUlvE_clEvENKUlvE_clEvEUlddE_dEEDaPvRmT3_T4_T5_mT6_P12ihipStream_tbENKUlT_T0_E_clISt17integral_constantIbLb1EESV_IbLb0EEEEDaSR_SS_EUlSR_E0_NS1_11comp_targetILNS1_3genE9ELNS1_11target_archE1100ELNS1_3gpuE3ELNS1_3repE0EEENS1_30default_config_static_selectorELNS0_4arch9wavefront6targetE1EEEvT1_
                                        ; -- End function
	.section	.AMDGPU.csdata,"",@progbits
; Kernel info:
; codeLenInByte = 0
; NumSgprs: 6
; NumVgprs: 0
; NumAgprs: 0
; TotalNumVgprs: 0
; ScratchSize: 0
; MemoryBound: 0
; FloatMode: 240
; IeeeMode: 1
; LDSByteSize: 0 bytes/workgroup (compile time only)
; SGPRBlocks: 0
; VGPRBlocks: 0
; NumSGPRsForWavesPerEU: 6
; NumVGPRsForWavesPerEU: 1
; AccumOffset: 4
; Occupancy: 8
; WaveLimiterHint : 0
; COMPUTE_PGM_RSRC2:SCRATCH_EN: 0
; COMPUTE_PGM_RSRC2:USER_SGPR: 2
; COMPUTE_PGM_RSRC2:TRAP_HANDLER: 0
; COMPUTE_PGM_RSRC2:TGID_X_EN: 1
; COMPUTE_PGM_RSRC2:TGID_Y_EN: 0
; COMPUTE_PGM_RSRC2:TGID_Z_EN: 0
; COMPUTE_PGM_RSRC2:TIDIG_COMP_CNT: 0
; COMPUTE_PGM_RSRC3_GFX90A:ACCUM_OFFSET: 0
; COMPUTE_PGM_RSRC3_GFX90A:TG_SPLIT: 0
	.section	.text._ZN7rocprim17ROCPRIM_400000_NS6detail17trampoline_kernelINS0_14default_configENS1_20scan_config_selectorIdEEZZNS1_9scan_implILNS1_25lookback_scan_determinismE0ELb0ELb0ES3_PKdPddZZZN2at6native31launch_logcumsumexp_cuda_kernelERKNSB_10TensorBaseESF_lENKUlvE_clEvENKUlvE_clEvEUlddE_dEEDaPvRmT3_T4_T5_mT6_P12ihipStream_tbENKUlT_T0_E_clISt17integral_constantIbLb1EESV_IbLb0EEEEDaSR_SS_EUlSR_E0_NS1_11comp_targetILNS1_3genE8ELNS1_11target_archE1030ELNS1_3gpuE2ELNS1_3repE0EEENS1_30default_config_static_selectorELNS0_4arch9wavefront6targetE1EEEvT1_,"axG",@progbits,_ZN7rocprim17ROCPRIM_400000_NS6detail17trampoline_kernelINS0_14default_configENS1_20scan_config_selectorIdEEZZNS1_9scan_implILNS1_25lookback_scan_determinismE0ELb0ELb0ES3_PKdPddZZZN2at6native31launch_logcumsumexp_cuda_kernelERKNSB_10TensorBaseESF_lENKUlvE_clEvENKUlvE_clEvEUlddE_dEEDaPvRmT3_T4_T5_mT6_P12ihipStream_tbENKUlT_T0_E_clISt17integral_constantIbLb1EESV_IbLb0EEEEDaSR_SS_EUlSR_E0_NS1_11comp_targetILNS1_3genE8ELNS1_11target_archE1030ELNS1_3gpuE2ELNS1_3repE0EEENS1_30default_config_static_selectorELNS0_4arch9wavefront6targetE1EEEvT1_,comdat
	.globl	_ZN7rocprim17ROCPRIM_400000_NS6detail17trampoline_kernelINS0_14default_configENS1_20scan_config_selectorIdEEZZNS1_9scan_implILNS1_25lookback_scan_determinismE0ELb0ELb0ES3_PKdPddZZZN2at6native31launch_logcumsumexp_cuda_kernelERKNSB_10TensorBaseESF_lENKUlvE_clEvENKUlvE_clEvEUlddE_dEEDaPvRmT3_T4_T5_mT6_P12ihipStream_tbENKUlT_T0_E_clISt17integral_constantIbLb1EESV_IbLb0EEEEDaSR_SS_EUlSR_E0_NS1_11comp_targetILNS1_3genE8ELNS1_11target_archE1030ELNS1_3gpuE2ELNS1_3repE0EEENS1_30default_config_static_selectorELNS0_4arch9wavefront6targetE1EEEvT1_ ; -- Begin function _ZN7rocprim17ROCPRIM_400000_NS6detail17trampoline_kernelINS0_14default_configENS1_20scan_config_selectorIdEEZZNS1_9scan_implILNS1_25lookback_scan_determinismE0ELb0ELb0ES3_PKdPddZZZN2at6native31launch_logcumsumexp_cuda_kernelERKNSB_10TensorBaseESF_lENKUlvE_clEvENKUlvE_clEvEUlddE_dEEDaPvRmT3_T4_T5_mT6_P12ihipStream_tbENKUlT_T0_E_clISt17integral_constantIbLb1EESV_IbLb0EEEEDaSR_SS_EUlSR_E0_NS1_11comp_targetILNS1_3genE8ELNS1_11target_archE1030ELNS1_3gpuE2ELNS1_3repE0EEENS1_30default_config_static_selectorELNS0_4arch9wavefront6targetE1EEEvT1_
	.p2align	8
	.type	_ZN7rocprim17ROCPRIM_400000_NS6detail17trampoline_kernelINS0_14default_configENS1_20scan_config_selectorIdEEZZNS1_9scan_implILNS1_25lookback_scan_determinismE0ELb0ELb0ES3_PKdPddZZZN2at6native31launch_logcumsumexp_cuda_kernelERKNSB_10TensorBaseESF_lENKUlvE_clEvENKUlvE_clEvEUlddE_dEEDaPvRmT3_T4_T5_mT6_P12ihipStream_tbENKUlT_T0_E_clISt17integral_constantIbLb1EESV_IbLb0EEEEDaSR_SS_EUlSR_E0_NS1_11comp_targetILNS1_3genE8ELNS1_11target_archE1030ELNS1_3gpuE2ELNS1_3repE0EEENS1_30default_config_static_selectorELNS0_4arch9wavefront6targetE1EEEvT1_,@function
_ZN7rocprim17ROCPRIM_400000_NS6detail17trampoline_kernelINS0_14default_configENS1_20scan_config_selectorIdEEZZNS1_9scan_implILNS1_25lookback_scan_determinismE0ELb0ELb0ES3_PKdPddZZZN2at6native31launch_logcumsumexp_cuda_kernelERKNSB_10TensorBaseESF_lENKUlvE_clEvENKUlvE_clEvEUlddE_dEEDaPvRmT3_T4_T5_mT6_P12ihipStream_tbENKUlT_T0_E_clISt17integral_constantIbLb1EESV_IbLb0EEEEDaSR_SS_EUlSR_E0_NS1_11comp_targetILNS1_3genE8ELNS1_11target_archE1030ELNS1_3gpuE2ELNS1_3repE0EEENS1_30default_config_static_selectorELNS0_4arch9wavefront6targetE1EEEvT1_: ; @_ZN7rocprim17ROCPRIM_400000_NS6detail17trampoline_kernelINS0_14default_configENS1_20scan_config_selectorIdEEZZNS1_9scan_implILNS1_25lookback_scan_determinismE0ELb0ELb0ES3_PKdPddZZZN2at6native31launch_logcumsumexp_cuda_kernelERKNSB_10TensorBaseESF_lENKUlvE_clEvENKUlvE_clEvEUlddE_dEEDaPvRmT3_T4_T5_mT6_P12ihipStream_tbENKUlT_T0_E_clISt17integral_constantIbLb1EESV_IbLb0EEEEDaSR_SS_EUlSR_E0_NS1_11comp_targetILNS1_3genE8ELNS1_11target_archE1030ELNS1_3gpuE2ELNS1_3repE0EEENS1_30default_config_static_selectorELNS0_4arch9wavefront6targetE1EEEvT1_
; %bb.0:
	.section	.rodata,"a",@progbits
	.p2align	6, 0x0
	.amdhsa_kernel _ZN7rocprim17ROCPRIM_400000_NS6detail17trampoline_kernelINS0_14default_configENS1_20scan_config_selectorIdEEZZNS1_9scan_implILNS1_25lookback_scan_determinismE0ELb0ELb0ES3_PKdPddZZZN2at6native31launch_logcumsumexp_cuda_kernelERKNSB_10TensorBaseESF_lENKUlvE_clEvENKUlvE_clEvEUlddE_dEEDaPvRmT3_T4_T5_mT6_P12ihipStream_tbENKUlT_T0_E_clISt17integral_constantIbLb1EESV_IbLb0EEEEDaSR_SS_EUlSR_E0_NS1_11comp_targetILNS1_3genE8ELNS1_11target_archE1030ELNS1_3gpuE2ELNS1_3repE0EEENS1_30default_config_static_selectorELNS0_4arch9wavefront6targetE1EEEvT1_
		.amdhsa_group_segment_fixed_size 0
		.amdhsa_private_segment_fixed_size 0
		.amdhsa_kernarg_size 40
		.amdhsa_user_sgpr_count 2
		.amdhsa_user_sgpr_dispatch_ptr 0
		.amdhsa_user_sgpr_queue_ptr 0
		.amdhsa_user_sgpr_kernarg_segment_ptr 1
		.amdhsa_user_sgpr_dispatch_id 0
		.amdhsa_user_sgpr_kernarg_preload_length 0
		.amdhsa_user_sgpr_kernarg_preload_offset 0
		.amdhsa_user_sgpr_private_segment_size 0
		.amdhsa_uses_dynamic_stack 0
		.amdhsa_enable_private_segment 0
		.amdhsa_system_sgpr_workgroup_id_x 1
		.amdhsa_system_sgpr_workgroup_id_y 0
		.amdhsa_system_sgpr_workgroup_id_z 0
		.amdhsa_system_sgpr_workgroup_info 0
		.amdhsa_system_vgpr_workitem_id 0
		.amdhsa_next_free_vgpr 1
		.amdhsa_next_free_sgpr 0
		.amdhsa_accum_offset 4
		.amdhsa_reserve_vcc 0
		.amdhsa_float_round_mode_32 0
		.amdhsa_float_round_mode_16_64 0
		.amdhsa_float_denorm_mode_32 3
		.amdhsa_float_denorm_mode_16_64 3
		.amdhsa_dx10_clamp 1
		.amdhsa_ieee_mode 1
		.amdhsa_fp16_overflow 0
		.amdhsa_tg_split 0
		.amdhsa_exception_fp_ieee_invalid_op 0
		.amdhsa_exception_fp_denorm_src 0
		.amdhsa_exception_fp_ieee_div_zero 0
		.amdhsa_exception_fp_ieee_overflow 0
		.amdhsa_exception_fp_ieee_underflow 0
		.amdhsa_exception_fp_ieee_inexact 0
		.amdhsa_exception_int_div_zero 0
	.end_amdhsa_kernel
	.section	.text._ZN7rocprim17ROCPRIM_400000_NS6detail17trampoline_kernelINS0_14default_configENS1_20scan_config_selectorIdEEZZNS1_9scan_implILNS1_25lookback_scan_determinismE0ELb0ELb0ES3_PKdPddZZZN2at6native31launch_logcumsumexp_cuda_kernelERKNSB_10TensorBaseESF_lENKUlvE_clEvENKUlvE_clEvEUlddE_dEEDaPvRmT3_T4_T5_mT6_P12ihipStream_tbENKUlT_T0_E_clISt17integral_constantIbLb1EESV_IbLb0EEEEDaSR_SS_EUlSR_E0_NS1_11comp_targetILNS1_3genE8ELNS1_11target_archE1030ELNS1_3gpuE2ELNS1_3repE0EEENS1_30default_config_static_selectorELNS0_4arch9wavefront6targetE1EEEvT1_,"axG",@progbits,_ZN7rocprim17ROCPRIM_400000_NS6detail17trampoline_kernelINS0_14default_configENS1_20scan_config_selectorIdEEZZNS1_9scan_implILNS1_25lookback_scan_determinismE0ELb0ELb0ES3_PKdPddZZZN2at6native31launch_logcumsumexp_cuda_kernelERKNSB_10TensorBaseESF_lENKUlvE_clEvENKUlvE_clEvEUlddE_dEEDaPvRmT3_T4_T5_mT6_P12ihipStream_tbENKUlT_T0_E_clISt17integral_constantIbLb1EESV_IbLb0EEEEDaSR_SS_EUlSR_E0_NS1_11comp_targetILNS1_3genE8ELNS1_11target_archE1030ELNS1_3gpuE2ELNS1_3repE0EEENS1_30default_config_static_selectorELNS0_4arch9wavefront6targetE1EEEvT1_,comdat
.Lfunc_end67:
	.size	_ZN7rocprim17ROCPRIM_400000_NS6detail17trampoline_kernelINS0_14default_configENS1_20scan_config_selectorIdEEZZNS1_9scan_implILNS1_25lookback_scan_determinismE0ELb0ELb0ES3_PKdPddZZZN2at6native31launch_logcumsumexp_cuda_kernelERKNSB_10TensorBaseESF_lENKUlvE_clEvENKUlvE_clEvEUlddE_dEEDaPvRmT3_T4_T5_mT6_P12ihipStream_tbENKUlT_T0_E_clISt17integral_constantIbLb1EESV_IbLb0EEEEDaSR_SS_EUlSR_E0_NS1_11comp_targetILNS1_3genE8ELNS1_11target_archE1030ELNS1_3gpuE2ELNS1_3repE0EEENS1_30default_config_static_selectorELNS0_4arch9wavefront6targetE1EEEvT1_, .Lfunc_end67-_ZN7rocprim17ROCPRIM_400000_NS6detail17trampoline_kernelINS0_14default_configENS1_20scan_config_selectorIdEEZZNS1_9scan_implILNS1_25lookback_scan_determinismE0ELb0ELb0ES3_PKdPddZZZN2at6native31launch_logcumsumexp_cuda_kernelERKNSB_10TensorBaseESF_lENKUlvE_clEvENKUlvE_clEvEUlddE_dEEDaPvRmT3_T4_T5_mT6_P12ihipStream_tbENKUlT_T0_E_clISt17integral_constantIbLb1EESV_IbLb0EEEEDaSR_SS_EUlSR_E0_NS1_11comp_targetILNS1_3genE8ELNS1_11target_archE1030ELNS1_3gpuE2ELNS1_3repE0EEENS1_30default_config_static_selectorELNS0_4arch9wavefront6targetE1EEEvT1_
                                        ; -- End function
	.section	.AMDGPU.csdata,"",@progbits
; Kernel info:
; codeLenInByte = 0
; NumSgprs: 6
; NumVgprs: 0
; NumAgprs: 0
; TotalNumVgprs: 0
; ScratchSize: 0
; MemoryBound: 0
; FloatMode: 240
; IeeeMode: 1
; LDSByteSize: 0 bytes/workgroup (compile time only)
; SGPRBlocks: 0
; VGPRBlocks: 0
; NumSGPRsForWavesPerEU: 6
; NumVGPRsForWavesPerEU: 1
; AccumOffset: 4
; Occupancy: 8
; WaveLimiterHint : 0
; COMPUTE_PGM_RSRC2:SCRATCH_EN: 0
; COMPUTE_PGM_RSRC2:USER_SGPR: 2
; COMPUTE_PGM_RSRC2:TRAP_HANDLER: 0
; COMPUTE_PGM_RSRC2:TGID_X_EN: 1
; COMPUTE_PGM_RSRC2:TGID_Y_EN: 0
; COMPUTE_PGM_RSRC2:TGID_Z_EN: 0
; COMPUTE_PGM_RSRC2:TIDIG_COMP_CNT: 0
; COMPUTE_PGM_RSRC3_GFX90A:ACCUM_OFFSET: 0
; COMPUTE_PGM_RSRC3_GFX90A:TG_SPLIT: 0
	.section	.text._ZN7rocprim17ROCPRIM_400000_NS6detail31init_lookback_scan_state_kernelINS1_19lookback_scan_stateIdLb0ELb1EEENS1_16block_id_wrapperIjLb1EEEEEvT_jT0_jPNS7_10value_typeE,"axG",@progbits,_ZN7rocprim17ROCPRIM_400000_NS6detail31init_lookback_scan_state_kernelINS1_19lookback_scan_stateIdLb0ELb1EEENS1_16block_id_wrapperIjLb1EEEEEvT_jT0_jPNS7_10value_typeE,comdat
	.protected	_ZN7rocprim17ROCPRIM_400000_NS6detail31init_lookback_scan_state_kernelINS1_19lookback_scan_stateIdLb0ELb1EEENS1_16block_id_wrapperIjLb1EEEEEvT_jT0_jPNS7_10value_typeE ; -- Begin function _ZN7rocprim17ROCPRIM_400000_NS6detail31init_lookback_scan_state_kernelINS1_19lookback_scan_stateIdLb0ELb1EEENS1_16block_id_wrapperIjLb1EEEEEvT_jT0_jPNS7_10value_typeE
	.globl	_ZN7rocprim17ROCPRIM_400000_NS6detail31init_lookback_scan_state_kernelINS1_19lookback_scan_stateIdLb0ELb1EEENS1_16block_id_wrapperIjLb1EEEEEvT_jT0_jPNS7_10value_typeE
	.p2align	8
	.type	_ZN7rocprim17ROCPRIM_400000_NS6detail31init_lookback_scan_state_kernelINS1_19lookback_scan_stateIdLb0ELb1EEENS1_16block_id_wrapperIjLb1EEEEEvT_jT0_jPNS7_10value_typeE,@function
_ZN7rocprim17ROCPRIM_400000_NS6detail31init_lookback_scan_state_kernelINS1_19lookback_scan_stateIdLb0ELb1EEENS1_16block_id_wrapperIjLb1EEEEEvT_jT0_jPNS7_10value_typeE: ; @_ZN7rocprim17ROCPRIM_400000_NS6detail31init_lookback_scan_state_kernelINS1_19lookback_scan_stateIdLb0ELb1EEENS1_16block_id_wrapperIjLb1EEEEEvT_jT0_jPNS7_10value_typeE
; %bb.0:
	s_load_dword s3, s[0:1], 0x34
	s_load_dwordx2 s[6:7], s[0:1], 0x20
	s_load_dwordx2 s[4:5], s[0:1], 0x0
	s_load_dword s14, s[0:1], 0x8
	s_waitcnt lgkmcnt(0)
	s_and_b32 s3, s3, 0xffff
	s_mul_i32 s2, s2, s3
	s_cmp_eq_u64 s[6:7], 0
	v_add_u32_e32 v0, s2, v0
	s_cbranch_scc1 .LBB68_8
; %bb.1:
	s_load_dword s8, s[0:1], 0x18
	s_mov_b32 s9, 0
	s_waitcnt lgkmcnt(0)
	s_cmp_lt_u32 s8, s14
	s_cselect_b32 s2, s8, 0
	v_cmp_eq_u32_e32 vcc, s2, v0
	s_and_saveexec_b64 s[2:3], vcc
	s_cbranch_execz .LBB68_7
; %bb.2:
	s_add_i32 s8, s8, 64
	s_lshl_b64 s[8:9], s[8:9], 4
	s_add_u32 s12, s4, s8
	s_addc_u32 s13, s5, s9
	v_mov_b64_e32 v[2:3], s[12:13]
	;;#ASMSTART
	global_load_dwordx4 v[2:5], v[2:3] off sc1	
s_waitcnt vmcnt(0)
	;;#ASMEND
	v_mov_b32_e32 v7, 0
	v_and_b32_e32 v6, 0xff, v4
	s_mov_b64 s[10:11], 0
	v_cmp_eq_u64_e32 vcc, 0, v[6:7]
	s_and_saveexec_b64 s[8:9], vcc
	s_cbranch_execz .LBB68_6
; %bb.3:
	v_mov_b64_e32 v[8:9], s[12:13]
.LBB68_4:                               ; =>This Inner Loop Header: Depth=1
	;;#ASMSTART
	global_load_dwordx4 v[2:5], v[8:9] off sc1	
s_waitcnt vmcnt(0)
	;;#ASMEND
	s_nop 0
	v_and_b32_e32 v6, 0xff, v4
	v_cmp_ne_u64_e32 vcc, 0, v[6:7]
	s_or_b64 s[10:11], vcc, s[10:11]
	s_andn2_b64 exec, exec, s[10:11]
	s_cbranch_execnz .LBB68_4
; %bb.5:
	s_or_b64 exec, exec, s[10:11]
.LBB68_6:
	s_or_b64 exec, exec, s[8:9]
	v_mov_b32_e32 v1, 0
	global_store_dwordx2 v1, v[2:3], s[6:7]
.LBB68_7:
	s_or_b64 exec, exec, s[2:3]
.LBB68_8:
	v_cmp_eq_u32_e32 vcc, 0, v0
	s_and_saveexec_b64 s[2:3], vcc
	s_cbranch_execnz .LBB68_12
; %bb.9:
	s_or_b64 exec, exec, s[2:3]
	v_cmp_gt_u32_e32 vcc, s14, v0
	s_and_saveexec_b64 s[0:1], vcc
	s_cbranch_execnz .LBB68_13
.LBB68_10:
	s_or_b64 exec, exec, s[0:1]
	v_cmp_gt_u32_e32 vcc, 64, v0
	s_and_saveexec_b64 s[0:1], vcc
	s_cbranch_execnz .LBB68_14
.LBB68_11:
	s_endpgm
.LBB68_12:
	s_load_dwordx2 s[0:1], s[0:1], 0x10
	v_mov_b32_e32 v1, 0
	s_waitcnt lgkmcnt(0)
	global_store_dword v1, v1, s[0:1]
	s_or_b64 exec, exec, s[2:3]
	v_cmp_gt_u32_e32 vcc, s14, v0
	s_and_saveexec_b64 s[0:1], vcc
	s_cbranch_execz .LBB68_10
.LBB68_13:
	v_add_u32_e32 v2, 64, v0
	v_mov_b32_e32 v3, 0
	v_lshl_add_u64 v[6:7], v[2:3], 4, s[4:5]
	v_mov_b32_e32 v2, v3
	v_mov_b32_e32 v4, v3
	;; [unrolled: 1-line block ×3, first 2 shown]
	global_store_dwordx4 v[6:7], v[2:5], off
	s_or_b64 exec, exec, s[0:1]
	v_cmp_gt_u32_e32 vcc, 64, v0
	s_and_saveexec_b64 s[0:1], vcc
	s_cbranch_execz .LBB68_11
.LBB68_14:
	v_mov_b32_e32 v1, 0
	v_lshl_add_u64 v[4:5], v[0:1], 4, s[4:5]
	v_mov_b32_e32 v2, 0xff
	v_mov_b32_e32 v0, v1
	;; [unrolled: 1-line block ×3, first 2 shown]
	global_store_dwordx4 v[4:5], v[0:3], off
	s_endpgm
	.section	.rodata,"a",@progbits
	.p2align	6, 0x0
	.amdhsa_kernel _ZN7rocprim17ROCPRIM_400000_NS6detail31init_lookback_scan_state_kernelINS1_19lookback_scan_stateIdLb0ELb1EEENS1_16block_id_wrapperIjLb1EEEEEvT_jT0_jPNS7_10value_typeE
		.amdhsa_group_segment_fixed_size 0
		.amdhsa_private_segment_fixed_size 0
		.amdhsa_kernarg_size 296
		.amdhsa_user_sgpr_count 2
		.amdhsa_user_sgpr_dispatch_ptr 0
		.amdhsa_user_sgpr_queue_ptr 0
		.amdhsa_user_sgpr_kernarg_segment_ptr 1
		.amdhsa_user_sgpr_dispatch_id 0
		.amdhsa_user_sgpr_kernarg_preload_length 0
		.amdhsa_user_sgpr_kernarg_preload_offset 0
		.amdhsa_user_sgpr_private_segment_size 0
		.amdhsa_uses_dynamic_stack 0
		.amdhsa_enable_private_segment 0
		.amdhsa_system_sgpr_workgroup_id_x 1
		.amdhsa_system_sgpr_workgroup_id_y 0
		.amdhsa_system_sgpr_workgroup_id_z 0
		.amdhsa_system_sgpr_workgroup_info 0
		.amdhsa_system_vgpr_workitem_id 0
		.amdhsa_next_free_vgpr 10
		.amdhsa_next_free_sgpr 15
		.amdhsa_accum_offset 12
		.amdhsa_reserve_vcc 1
		.amdhsa_float_round_mode_32 0
		.amdhsa_float_round_mode_16_64 0
		.amdhsa_float_denorm_mode_32 3
		.amdhsa_float_denorm_mode_16_64 3
		.amdhsa_dx10_clamp 1
		.amdhsa_ieee_mode 1
		.amdhsa_fp16_overflow 0
		.amdhsa_tg_split 0
		.amdhsa_exception_fp_ieee_invalid_op 0
		.amdhsa_exception_fp_denorm_src 0
		.amdhsa_exception_fp_ieee_div_zero 0
		.amdhsa_exception_fp_ieee_overflow 0
		.amdhsa_exception_fp_ieee_underflow 0
		.amdhsa_exception_fp_ieee_inexact 0
		.amdhsa_exception_int_div_zero 0
	.end_amdhsa_kernel
	.section	.text._ZN7rocprim17ROCPRIM_400000_NS6detail31init_lookback_scan_state_kernelINS1_19lookback_scan_stateIdLb0ELb1EEENS1_16block_id_wrapperIjLb1EEEEEvT_jT0_jPNS7_10value_typeE,"axG",@progbits,_ZN7rocprim17ROCPRIM_400000_NS6detail31init_lookback_scan_state_kernelINS1_19lookback_scan_stateIdLb0ELb1EEENS1_16block_id_wrapperIjLb1EEEEEvT_jT0_jPNS7_10value_typeE,comdat
.Lfunc_end68:
	.size	_ZN7rocprim17ROCPRIM_400000_NS6detail31init_lookback_scan_state_kernelINS1_19lookback_scan_stateIdLb0ELb1EEENS1_16block_id_wrapperIjLb1EEEEEvT_jT0_jPNS7_10value_typeE, .Lfunc_end68-_ZN7rocprim17ROCPRIM_400000_NS6detail31init_lookback_scan_state_kernelINS1_19lookback_scan_stateIdLb0ELb1EEENS1_16block_id_wrapperIjLb1EEEEEvT_jT0_jPNS7_10value_typeE
                                        ; -- End function
	.section	.AMDGPU.csdata,"",@progbits
; Kernel info:
; codeLenInByte = 412
; NumSgprs: 21
; NumVgprs: 10
; NumAgprs: 0
; TotalNumVgprs: 10
; ScratchSize: 0
; MemoryBound: 0
; FloatMode: 240
; IeeeMode: 1
; LDSByteSize: 0 bytes/workgroup (compile time only)
; SGPRBlocks: 2
; VGPRBlocks: 1
; NumSGPRsForWavesPerEU: 21
; NumVGPRsForWavesPerEU: 10
; AccumOffset: 12
; Occupancy: 8
; WaveLimiterHint : 0
; COMPUTE_PGM_RSRC2:SCRATCH_EN: 0
; COMPUTE_PGM_RSRC2:USER_SGPR: 2
; COMPUTE_PGM_RSRC2:TRAP_HANDLER: 0
; COMPUTE_PGM_RSRC2:TGID_X_EN: 1
; COMPUTE_PGM_RSRC2:TGID_Y_EN: 0
; COMPUTE_PGM_RSRC2:TGID_Z_EN: 0
; COMPUTE_PGM_RSRC2:TIDIG_COMP_CNT: 0
; COMPUTE_PGM_RSRC3_GFX90A:ACCUM_OFFSET: 2
; COMPUTE_PGM_RSRC3_GFX90A:TG_SPLIT: 0
	.section	.text._ZN7rocprim17ROCPRIM_400000_NS6detail17trampoline_kernelINS0_14default_configENS1_20scan_config_selectorIdEEZZNS1_9scan_implILNS1_25lookback_scan_determinismE0ELb0ELb0ES3_PKdPddZZZN2at6native31launch_logcumsumexp_cuda_kernelERKNSB_10TensorBaseESF_lENKUlvE_clEvENKUlvE_clEvEUlddE_dEEDaPvRmT3_T4_T5_mT6_P12ihipStream_tbENKUlT_T0_E_clISt17integral_constantIbLb0EESV_IbLb1EEEEDaSR_SS_EUlSR_E_NS1_11comp_targetILNS1_3genE0ELNS1_11target_archE4294967295ELNS1_3gpuE0ELNS1_3repE0EEENS1_30default_config_static_selectorELNS0_4arch9wavefront6targetE1EEEvT1_,"axG",@progbits,_ZN7rocprim17ROCPRIM_400000_NS6detail17trampoline_kernelINS0_14default_configENS1_20scan_config_selectorIdEEZZNS1_9scan_implILNS1_25lookback_scan_determinismE0ELb0ELb0ES3_PKdPddZZZN2at6native31launch_logcumsumexp_cuda_kernelERKNSB_10TensorBaseESF_lENKUlvE_clEvENKUlvE_clEvEUlddE_dEEDaPvRmT3_T4_T5_mT6_P12ihipStream_tbENKUlT_T0_E_clISt17integral_constantIbLb0EESV_IbLb1EEEEDaSR_SS_EUlSR_E_NS1_11comp_targetILNS1_3genE0ELNS1_11target_archE4294967295ELNS1_3gpuE0ELNS1_3repE0EEENS1_30default_config_static_selectorELNS0_4arch9wavefront6targetE1EEEvT1_,comdat
	.globl	_ZN7rocprim17ROCPRIM_400000_NS6detail17trampoline_kernelINS0_14default_configENS1_20scan_config_selectorIdEEZZNS1_9scan_implILNS1_25lookback_scan_determinismE0ELb0ELb0ES3_PKdPddZZZN2at6native31launch_logcumsumexp_cuda_kernelERKNSB_10TensorBaseESF_lENKUlvE_clEvENKUlvE_clEvEUlddE_dEEDaPvRmT3_T4_T5_mT6_P12ihipStream_tbENKUlT_T0_E_clISt17integral_constantIbLb0EESV_IbLb1EEEEDaSR_SS_EUlSR_E_NS1_11comp_targetILNS1_3genE0ELNS1_11target_archE4294967295ELNS1_3gpuE0ELNS1_3repE0EEENS1_30default_config_static_selectorELNS0_4arch9wavefront6targetE1EEEvT1_ ; -- Begin function _ZN7rocprim17ROCPRIM_400000_NS6detail17trampoline_kernelINS0_14default_configENS1_20scan_config_selectorIdEEZZNS1_9scan_implILNS1_25lookback_scan_determinismE0ELb0ELb0ES3_PKdPddZZZN2at6native31launch_logcumsumexp_cuda_kernelERKNSB_10TensorBaseESF_lENKUlvE_clEvENKUlvE_clEvEUlddE_dEEDaPvRmT3_T4_T5_mT6_P12ihipStream_tbENKUlT_T0_E_clISt17integral_constantIbLb0EESV_IbLb1EEEEDaSR_SS_EUlSR_E_NS1_11comp_targetILNS1_3genE0ELNS1_11target_archE4294967295ELNS1_3gpuE0ELNS1_3repE0EEENS1_30default_config_static_selectorELNS0_4arch9wavefront6targetE1EEEvT1_
	.p2align	8
	.type	_ZN7rocprim17ROCPRIM_400000_NS6detail17trampoline_kernelINS0_14default_configENS1_20scan_config_selectorIdEEZZNS1_9scan_implILNS1_25lookback_scan_determinismE0ELb0ELb0ES3_PKdPddZZZN2at6native31launch_logcumsumexp_cuda_kernelERKNSB_10TensorBaseESF_lENKUlvE_clEvENKUlvE_clEvEUlddE_dEEDaPvRmT3_T4_T5_mT6_P12ihipStream_tbENKUlT_T0_E_clISt17integral_constantIbLb0EESV_IbLb1EEEEDaSR_SS_EUlSR_E_NS1_11comp_targetILNS1_3genE0ELNS1_11target_archE4294967295ELNS1_3gpuE0ELNS1_3repE0EEENS1_30default_config_static_selectorELNS0_4arch9wavefront6targetE1EEEvT1_,@function
_ZN7rocprim17ROCPRIM_400000_NS6detail17trampoline_kernelINS0_14default_configENS1_20scan_config_selectorIdEEZZNS1_9scan_implILNS1_25lookback_scan_determinismE0ELb0ELb0ES3_PKdPddZZZN2at6native31launch_logcumsumexp_cuda_kernelERKNSB_10TensorBaseESF_lENKUlvE_clEvENKUlvE_clEvEUlddE_dEEDaPvRmT3_T4_T5_mT6_P12ihipStream_tbENKUlT_T0_E_clISt17integral_constantIbLb0EESV_IbLb1EEEEDaSR_SS_EUlSR_E_NS1_11comp_targetILNS1_3genE0ELNS1_11target_archE4294967295ELNS1_3gpuE0ELNS1_3repE0EEENS1_30default_config_static_selectorELNS0_4arch9wavefront6targetE1EEEvT1_: ; @_ZN7rocprim17ROCPRIM_400000_NS6detail17trampoline_kernelINS0_14default_configENS1_20scan_config_selectorIdEEZZNS1_9scan_implILNS1_25lookback_scan_determinismE0ELb0ELb0ES3_PKdPddZZZN2at6native31launch_logcumsumexp_cuda_kernelERKNSB_10TensorBaseESF_lENKUlvE_clEvENKUlvE_clEvEUlddE_dEEDaPvRmT3_T4_T5_mT6_P12ihipStream_tbENKUlT_T0_E_clISt17integral_constantIbLb0EESV_IbLb1EEEEDaSR_SS_EUlSR_E_NS1_11comp_targetILNS1_3genE0ELNS1_11target_archE4294967295ELNS1_3gpuE0ELNS1_3repE0EEENS1_30default_config_static_selectorELNS0_4arch9wavefront6targetE1EEEvT1_
; %bb.0:
	.section	.rodata,"a",@progbits
	.p2align	6, 0x0
	.amdhsa_kernel _ZN7rocprim17ROCPRIM_400000_NS6detail17trampoline_kernelINS0_14default_configENS1_20scan_config_selectorIdEEZZNS1_9scan_implILNS1_25lookback_scan_determinismE0ELb0ELb0ES3_PKdPddZZZN2at6native31launch_logcumsumexp_cuda_kernelERKNSB_10TensorBaseESF_lENKUlvE_clEvENKUlvE_clEvEUlddE_dEEDaPvRmT3_T4_T5_mT6_P12ihipStream_tbENKUlT_T0_E_clISt17integral_constantIbLb0EESV_IbLb1EEEEDaSR_SS_EUlSR_E_NS1_11comp_targetILNS1_3genE0ELNS1_11target_archE4294967295ELNS1_3gpuE0ELNS1_3repE0EEENS1_30default_config_static_selectorELNS0_4arch9wavefront6targetE1EEEvT1_
		.amdhsa_group_segment_fixed_size 0
		.amdhsa_private_segment_fixed_size 0
		.amdhsa_kernarg_size 104
		.amdhsa_user_sgpr_count 2
		.amdhsa_user_sgpr_dispatch_ptr 0
		.amdhsa_user_sgpr_queue_ptr 0
		.amdhsa_user_sgpr_kernarg_segment_ptr 1
		.amdhsa_user_sgpr_dispatch_id 0
		.amdhsa_user_sgpr_kernarg_preload_length 0
		.amdhsa_user_sgpr_kernarg_preload_offset 0
		.amdhsa_user_sgpr_private_segment_size 0
		.amdhsa_uses_dynamic_stack 0
		.amdhsa_enable_private_segment 0
		.amdhsa_system_sgpr_workgroup_id_x 1
		.amdhsa_system_sgpr_workgroup_id_y 0
		.amdhsa_system_sgpr_workgroup_id_z 0
		.amdhsa_system_sgpr_workgroup_info 0
		.amdhsa_system_vgpr_workitem_id 0
		.amdhsa_next_free_vgpr 1
		.amdhsa_next_free_sgpr 0
		.amdhsa_accum_offset 4
		.amdhsa_reserve_vcc 0
		.amdhsa_float_round_mode_32 0
		.amdhsa_float_round_mode_16_64 0
		.amdhsa_float_denorm_mode_32 3
		.amdhsa_float_denorm_mode_16_64 3
		.amdhsa_dx10_clamp 1
		.amdhsa_ieee_mode 1
		.amdhsa_fp16_overflow 0
		.amdhsa_tg_split 0
		.amdhsa_exception_fp_ieee_invalid_op 0
		.amdhsa_exception_fp_denorm_src 0
		.amdhsa_exception_fp_ieee_div_zero 0
		.amdhsa_exception_fp_ieee_overflow 0
		.amdhsa_exception_fp_ieee_underflow 0
		.amdhsa_exception_fp_ieee_inexact 0
		.amdhsa_exception_int_div_zero 0
	.end_amdhsa_kernel
	.section	.text._ZN7rocprim17ROCPRIM_400000_NS6detail17trampoline_kernelINS0_14default_configENS1_20scan_config_selectorIdEEZZNS1_9scan_implILNS1_25lookback_scan_determinismE0ELb0ELb0ES3_PKdPddZZZN2at6native31launch_logcumsumexp_cuda_kernelERKNSB_10TensorBaseESF_lENKUlvE_clEvENKUlvE_clEvEUlddE_dEEDaPvRmT3_T4_T5_mT6_P12ihipStream_tbENKUlT_T0_E_clISt17integral_constantIbLb0EESV_IbLb1EEEEDaSR_SS_EUlSR_E_NS1_11comp_targetILNS1_3genE0ELNS1_11target_archE4294967295ELNS1_3gpuE0ELNS1_3repE0EEENS1_30default_config_static_selectorELNS0_4arch9wavefront6targetE1EEEvT1_,"axG",@progbits,_ZN7rocprim17ROCPRIM_400000_NS6detail17trampoline_kernelINS0_14default_configENS1_20scan_config_selectorIdEEZZNS1_9scan_implILNS1_25lookback_scan_determinismE0ELb0ELb0ES3_PKdPddZZZN2at6native31launch_logcumsumexp_cuda_kernelERKNSB_10TensorBaseESF_lENKUlvE_clEvENKUlvE_clEvEUlddE_dEEDaPvRmT3_T4_T5_mT6_P12ihipStream_tbENKUlT_T0_E_clISt17integral_constantIbLb0EESV_IbLb1EEEEDaSR_SS_EUlSR_E_NS1_11comp_targetILNS1_3genE0ELNS1_11target_archE4294967295ELNS1_3gpuE0ELNS1_3repE0EEENS1_30default_config_static_selectorELNS0_4arch9wavefront6targetE1EEEvT1_,comdat
.Lfunc_end69:
	.size	_ZN7rocprim17ROCPRIM_400000_NS6detail17trampoline_kernelINS0_14default_configENS1_20scan_config_selectorIdEEZZNS1_9scan_implILNS1_25lookback_scan_determinismE0ELb0ELb0ES3_PKdPddZZZN2at6native31launch_logcumsumexp_cuda_kernelERKNSB_10TensorBaseESF_lENKUlvE_clEvENKUlvE_clEvEUlddE_dEEDaPvRmT3_T4_T5_mT6_P12ihipStream_tbENKUlT_T0_E_clISt17integral_constantIbLb0EESV_IbLb1EEEEDaSR_SS_EUlSR_E_NS1_11comp_targetILNS1_3genE0ELNS1_11target_archE4294967295ELNS1_3gpuE0ELNS1_3repE0EEENS1_30default_config_static_selectorELNS0_4arch9wavefront6targetE1EEEvT1_, .Lfunc_end69-_ZN7rocprim17ROCPRIM_400000_NS6detail17trampoline_kernelINS0_14default_configENS1_20scan_config_selectorIdEEZZNS1_9scan_implILNS1_25lookback_scan_determinismE0ELb0ELb0ES3_PKdPddZZZN2at6native31launch_logcumsumexp_cuda_kernelERKNSB_10TensorBaseESF_lENKUlvE_clEvENKUlvE_clEvEUlddE_dEEDaPvRmT3_T4_T5_mT6_P12ihipStream_tbENKUlT_T0_E_clISt17integral_constantIbLb0EESV_IbLb1EEEEDaSR_SS_EUlSR_E_NS1_11comp_targetILNS1_3genE0ELNS1_11target_archE4294967295ELNS1_3gpuE0ELNS1_3repE0EEENS1_30default_config_static_selectorELNS0_4arch9wavefront6targetE1EEEvT1_
                                        ; -- End function
	.section	.AMDGPU.csdata,"",@progbits
; Kernel info:
; codeLenInByte = 0
; NumSgprs: 6
; NumVgprs: 0
; NumAgprs: 0
; TotalNumVgprs: 0
; ScratchSize: 0
; MemoryBound: 0
; FloatMode: 240
; IeeeMode: 1
; LDSByteSize: 0 bytes/workgroup (compile time only)
; SGPRBlocks: 0
; VGPRBlocks: 0
; NumSGPRsForWavesPerEU: 6
; NumVGPRsForWavesPerEU: 1
; AccumOffset: 4
; Occupancy: 8
; WaveLimiterHint : 0
; COMPUTE_PGM_RSRC2:SCRATCH_EN: 0
; COMPUTE_PGM_RSRC2:USER_SGPR: 2
; COMPUTE_PGM_RSRC2:TRAP_HANDLER: 0
; COMPUTE_PGM_RSRC2:TGID_X_EN: 1
; COMPUTE_PGM_RSRC2:TGID_Y_EN: 0
; COMPUTE_PGM_RSRC2:TGID_Z_EN: 0
; COMPUTE_PGM_RSRC2:TIDIG_COMP_CNT: 0
; COMPUTE_PGM_RSRC3_GFX90A:ACCUM_OFFSET: 0
; COMPUTE_PGM_RSRC3_GFX90A:TG_SPLIT: 0
	.text
	.p2align	2                               ; -- Begin function _ZZZN7rocprim17ROCPRIM_400000_NS6detail9scan_implILNS1_25lookback_scan_determinismE0ELb0ELb0ENS0_14default_configEPKdPddZZZN2at6native31launch_logcumsumexp_cuda_kernelERKNS8_10TensorBaseESC_lENKUlvE_clEvENKUlvE_clEvEUlddE_dEEDaPvRmT3_T4_T5_mT6_P12ihipStream_tbENKUlT_T0_E_clISt17integral_constantIbLb0EESS_IbLb1EEEEDaSO_SP_ENKUlSO_E_clINS1_13target_configIS4_NS1_20scan_config_selectorIdEENS1_11comp_targetILNS1_3genE5ELNS1_11target_archE942ELNS1_3gpuE9ELNS1_3repE0EEELNS0_4arch9wavefront6targetE1EEEEEDaSO_
	.type	_ZZZN7rocprim17ROCPRIM_400000_NS6detail9scan_implILNS1_25lookback_scan_determinismE0ELb0ELb0ENS0_14default_configEPKdPddZZZN2at6native31launch_logcumsumexp_cuda_kernelERKNS8_10TensorBaseESC_lENKUlvE_clEvENKUlvE_clEvEUlddE_dEEDaPvRmT3_T4_T5_mT6_P12ihipStream_tbENKUlT_T0_E_clISt17integral_constantIbLb0EESS_IbLb1EEEEDaSO_SP_ENKUlSO_E_clINS1_13target_configIS4_NS1_20scan_config_selectorIdEENS1_11comp_targetILNS1_3genE5ELNS1_11target_archE942ELNS1_3gpuE9ELNS1_3repE0EEELNS0_4arch9wavefront6targetE1EEEEEDaSO_,@function
_ZZZN7rocprim17ROCPRIM_400000_NS6detail9scan_implILNS1_25lookback_scan_determinismE0ELb0ELb0ENS0_14default_configEPKdPddZZZN2at6native31launch_logcumsumexp_cuda_kernelERKNS8_10TensorBaseESC_lENKUlvE_clEvENKUlvE_clEvEUlddE_dEEDaPvRmT3_T4_T5_mT6_P12ihipStream_tbENKUlT_T0_E_clISt17integral_constantIbLb0EESS_IbLb1EEEEDaSO_SP_ENKUlSO_E_clINS1_13target_configIS4_NS1_20scan_config_selectorIdEENS1_11comp_targetILNS1_3genE5ELNS1_11target_archE942ELNS1_3gpuE9ELNS1_3repE0EEELNS0_4arch9wavefront6targetE1EEEEEDaSO_: ; @_ZZZN7rocprim17ROCPRIM_400000_NS6detail9scan_implILNS1_25lookback_scan_determinismE0ELb0ELb0ENS0_14default_configEPKdPddZZZN2at6native31launch_logcumsumexp_cuda_kernelERKNS8_10TensorBaseESC_lENKUlvE_clEvENKUlvE_clEvEUlddE_dEEDaPvRmT3_T4_T5_mT6_P12ihipStream_tbENKUlT_T0_E_clISt17integral_constantIbLb0EESS_IbLb1EEEEDaSO_SP_ENKUlSO_E_clINS1_13target_configIS4_NS1_20scan_config_selectorIdEENS1_11comp_targetILNS1_3genE5ELNS1_11target_archE942ELNS1_3gpuE9ELNS1_3repE0EEELNS0_4arch9wavefront6targetE1EEEEEDaSO_
; %bb.0:
	s_waitcnt vmcnt(0) expcnt(0) lgkmcnt(0)
	s_or_saveexec_b64 s[0:1], -1
	scratch_store_dword off, v77, s32       ; 4-byte Folded Spill
	s_mov_b64 exec, s[0:1]
	v_writelane_b32 v77, s30, 0
	s_nop 1
	v_writelane_b32 v77, s31, 1
	flat_load_dwordx4 v[52:55], v[0:1]
	flat_load_dwordx4 v[64:67], v[0:1] offset:16
	flat_load_dwordx3 v[116:118], v[0:1] offset:48
	flat_load_dwordx4 v[36:39], v[0:1] offset:64
	flat_load_dwordx4 v[48:51], v[0:1] offset:80
	v_and_b32_e32 v70, 0x3ff, v31
	v_cmp_ne_u32_e64 s[2:3], 0, v70
	v_cmp_eq_u32_e64 s[4:5], 0, v70
	s_and_saveexec_b64 s[0:1], s[4:5]
	s_cbranch_execz .LBB70_2
; %bb.1:
	flat_load_dwordx2 v[0:1], v[0:1] offset:96
	v_mov_b32_e32 v2, 1
	s_waitcnt vmcnt(0) lgkmcnt(0)
	flat_atomic_add v0, v[0:1], v2 sc0
	v_mov_b32_e32 v1, 0
	s_waitcnt vmcnt(0) lgkmcnt(0)
	ds_write_b32 v1, v0
.LBB70_2:
	s_or_b64 exec, exec, s[0:1]
	v_mov_b32_e32 v129, 0
	s_waitcnt lgkmcnt(0)
	s_barrier
	ds_read_b32 v71, v129
	s_movk_i32 s0, 0xf00
	s_waitcnt vmcnt(0)
	v_add_u32_e32 v2, -1, v118
	v_mul_lo_u32 v3, v2, s0
	v_lshl_add_u64 v[0:1], v[54:55], 3, v[52:53]
	s_waitcnt lgkmcnt(0)
	v_mul_lo_u32 v128, v71, s0
	v_sub_co_u32_e32 v118, vcc, v66, v3
	v_cmp_ne_u32_e64 s[0:1], v71, v2
	s_nop 0
	v_subbrev_co_u32_e32 v119, vcc, 0, v67, vcc
	v_lshl_add_u64 v[0:1], v[128:129], 3, v[0:1]
	v_lshlrev_b32_e32 v52, 3, v70
	s_barrier
	s_and_saveexec_b64 s[6:7], s[0:1]
	s_xor_b64 s[6:7], exec, s[6:7]
	s_cbranch_execz .LBB70_4
; %bb.3:
	v_mov_b32_e32 v53, v129
	v_lshl_add_u64 v[0:1], v[0:1], 0, v[52:53]
	v_add_co_u32_e32 v2, vcc, 0x1000, v0
	s_nop 1
	v_addc_co_u32_e32 v3, vcc, 0, v1, vcc
	flat_load_dwordx2 v[4:5], v[0:1]
	flat_load_dwordx2 v[6:7], v[0:1] offset:2048
	flat_load_dwordx2 v[8:9], v[2:3]
	flat_load_dwordx2 v[10:11], v[2:3] offset:2048
	v_add_co_u32_e32 v2, vcc, 0x2000, v0
	s_nop 1
	v_addc_co_u32_e32 v3, vcc, 0, v1, vcc
	v_add_co_u32_e32 v12, vcc, 0x3000, v0
	s_nop 1
	v_addc_co_u32_e32 v13, vcc, 0, v1, vcc
	flat_load_dwordx2 v[14:15], v[2:3]
	flat_load_dwordx2 v[16:17], v[2:3] offset:2048
	flat_load_dwordx2 v[18:19], v[12:13]
	flat_load_dwordx2 v[20:21], v[12:13] offset:2048
	v_add_co_u32_e32 v2, vcc, 0x4000, v0
	s_nop 1
	v_addc_co_u32_e32 v3, vcc, 0, v1, vcc
	;; [unrolled: 10-line block ×3, first 2 shown]
	v_add_co_u32_e32 v0, vcc, 0x7000, v0
	s_nop 1
	v_addc_co_u32_e32 v1, vcc, 0, v1, vcc
	flat_load_dwordx2 v[12:13], v[2:3]
	flat_load_dwordx2 v[30:31], v[2:3] offset:2048
	flat_load_dwordx2 v[32:33], v[0:1]
                                        ; implicit-def: $vgpr0_vgpr1
	s_waitcnt vmcnt(0) lgkmcnt(0)
	ds_write2st64_b64 v52, v[4:5], v[6:7] offset1:4
	ds_write2st64_b64 v52, v[8:9], v[10:11] offset0:8 offset1:12
	ds_write2st64_b64 v52, v[14:15], v[16:17] offset0:16 offset1:20
	;; [unrolled: 1-line block ×6, first 2 shown]
	ds_write_b64 v52, v[32:33] offset:28672
	s_waitcnt lgkmcnt(0)
	s_barrier
.LBB70_4:
	s_andn2_saveexec_b64 s[6:7], s[6:7]
	s_cbranch_execz .LBB70_36
; %bb.5:
	flat_load_dwordx2 v[2:3], v[0:1]
	v_cmp_lt_u32_e32 vcc, v70, v118
	s_waitcnt vmcnt(0) lgkmcnt(0)
	v_mov_b32_e32 v4, v2
	v_mov_b32_e32 v5, v3
	;; [unrolled: 1-line block ×26, first 2 shown]
	v_mov_b64_e32 v[34:35], v[30:31]
	v_mov_b64_e32 v[32:33], v[28:29]
	;; [unrolled: 1-line block ×16, first 2 shown]
	s_and_saveexec_b64 s[8:9], vcc
	s_cbranch_execz .LBB70_7
; %bb.6:
	v_mov_b32_e32 v53, 0
	v_lshl_add_u64 v[4:5], v[0:1], 0, v[52:53]
	flat_load_dwordx2 v[66:67], v[4:5]
	v_mov_b32_e32 v4, v2
	v_mov_b32_e32 v5, v3
	;; [unrolled: 1-line block ×26, first 2 shown]
	v_mov_b64_e32 v[34:35], v[30:31]
	v_mov_b64_e32 v[32:33], v[28:29]
	;; [unrolled: 1-line block ×16, first 2 shown]
	s_waitcnt vmcnt(0) lgkmcnt(0)
	v_mov_b64_e32 v[2:3], v[66:67]
.LBB70_7:
	s_or_b64 exec, exec, s[8:9]
	v_add_u32_e32 v4, 0x100, v70
	v_cmp_lt_u32_e32 vcc, v4, v118
	s_and_saveexec_b64 s[8:9], vcc
	s_cbranch_execz .LBB70_9
; %bb.8:
	v_mov_b32_e32 v53, 0
	v_lshl_add_u64 v[4:5], v[0:1], 0, v[52:53]
	flat_load_dwordx2 v[6:7], v[4:5] offset:2048
.LBB70_9:
	s_or_b64 exec, exec, s[8:9]
	v_add_u32_e32 v4, 0x200, v70
	v_cmp_lt_u32_e32 vcc, v4, v118
	s_and_saveexec_b64 s[8:9], vcc
	s_cbranch_execz .LBB70_11
; %bb.10:
	v_lshlrev_b32_e32 v4, 3, v4
	v_mov_b32_e32 v5, 0
	v_lshl_add_u64 v[4:5], v[0:1], 0, v[4:5]
	flat_load_dwordx2 v[8:9], v[4:5]
.LBB70_11:
	s_or_b64 exec, exec, s[8:9]
	v_add_u32_e32 v4, 0x300, v70
	v_cmp_lt_u32_e32 vcc, v4, v118
	s_and_saveexec_b64 s[8:9], vcc
	s_cbranch_execz .LBB70_13
; %bb.12:
	v_lshlrev_b32_e32 v4, 3, v4
	v_mov_b32_e32 v5, 0
	v_lshl_add_u64 v[4:5], v[0:1], 0, v[4:5]
	flat_load_dwordx2 v[10:11], v[4:5]
.LBB70_13:
	s_or_b64 exec, exec, s[8:9]
	v_or_b32_e32 v4, 0x400, v70
	v_cmp_lt_u32_e32 vcc, v4, v118
	s_and_saveexec_b64 s[8:9], vcc
	s_cbranch_execz .LBB70_15
; %bb.14:
	v_lshlrev_b32_e32 v4, 3, v4
	v_mov_b32_e32 v5, 0
	v_lshl_add_u64 v[4:5], v[0:1], 0, v[4:5]
	flat_load_dwordx2 v[12:13], v[4:5]
.LBB70_15:
	s_or_b64 exec, exec, s[8:9]
	v_add_u32_e32 v4, 0x500, v70
	v_cmp_lt_u32_e32 vcc, v4, v118
	s_and_saveexec_b64 s[8:9], vcc
	s_cbranch_execz .LBB70_17
; %bb.16:
	v_lshlrev_b32_e32 v4, 3, v4
	v_mov_b32_e32 v5, 0
	v_lshl_add_u64 v[4:5], v[0:1], 0, v[4:5]
	flat_load_dwordx2 v[14:15], v[4:5]
.LBB70_17:
	s_or_b64 exec, exec, s[8:9]
	v_add_u32_e32 v4, 0x600, v70
	v_cmp_lt_u32_e32 vcc, v4, v118
	s_and_saveexec_b64 s[8:9], vcc
	s_cbranch_execz .LBB70_19
; %bb.18:
	v_lshlrev_b32_e32 v4, 3, v4
	v_mov_b32_e32 v5, 0
	v_lshl_add_u64 v[4:5], v[0:1], 0, v[4:5]
	flat_load_dwordx2 v[16:17], v[4:5]
.LBB70_19:
	s_or_b64 exec, exec, s[8:9]
	v_add_u32_e32 v4, 0x700, v70
	v_cmp_lt_u32_e32 vcc, v4, v118
	s_and_saveexec_b64 s[8:9], vcc
	s_cbranch_execz .LBB70_21
; %bb.20:
	v_lshlrev_b32_e32 v4, 3, v4
	v_mov_b32_e32 v5, 0
	v_lshl_add_u64 v[4:5], v[0:1], 0, v[4:5]
	flat_load_dwordx2 v[18:19], v[4:5]
.LBB70_21:
	s_or_b64 exec, exec, s[8:9]
	v_or_b32_e32 v4, 0x800, v70
	v_cmp_lt_u32_e32 vcc, v4, v118
	s_and_saveexec_b64 s[8:9], vcc
	s_cbranch_execz .LBB70_23
; %bb.22:
	v_lshlrev_b32_e32 v4, 3, v4
	v_mov_b32_e32 v5, 0
	v_lshl_add_u64 v[4:5], v[0:1], 0, v[4:5]
	flat_load_dwordx2 v[20:21], v[4:5]
.LBB70_23:
	s_or_b64 exec, exec, s[8:9]
	v_add_u32_e32 v4, 0x900, v70
	v_cmp_lt_u32_e32 vcc, v4, v118
	s_and_saveexec_b64 s[8:9], vcc
	s_cbranch_execz .LBB70_25
; %bb.24:
	v_lshlrev_b32_e32 v4, 3, v4
	v_mov_b32_e32 v5, 0
	v_lshl_add_u64 v[4:5], v[0:1], 0, v[4:5]
	flat_load_dwordx2 v[22:23], v[4:5]
.LBB70_25:
	;; [unrolled: 44-line block ×3, first 2 shown]
	s_or_b64 exec, exec, s[8:9]
	v_add_u32_e32 v4, 0xe00, v70
	v_cmp_lt_u32_e32 vcc, v4, v118
	s_and_saveexec_b64 s[8:9], vcc
	s_cbranch_execz .LBB70_35
; %bb.34:
	v_lshlrev_b32_e32 v4, 3, v4
	v_mov_b32_e32 v5, 0
	v_lshl_add_u64 v[0:1], v[0:1], 0, v[4:5]
	flat_load_dwordx2 v[32:33], v[0:1]
.LBB70_35:
	s_or_b64 exec, exec, s[8:9]
	s_waitcnt vmcnt(0) lgkmcnt(0)
	ds_write2st64_b64 v52, v[2:3], v[6:7] offset1:4
	ds_write2st64_b64 v52, v[8:9], v[10:11] offset0:8 offset1:12
	ds_write2st64_b64 v52, v[12:13], v[14:15] offset0:16 offset1:20
	;; [unrolled: 1-line block ×6, first 2 shown]
	ds_write_b64 v52, v[32:33] offset:28672
	s_waitcnt lgkmcnt(0)
	s_barrier
.LBB70_36:
	s_or_b64 exec, exec, s[6:7]
	v_mul_u32_u24_e32 v40, 15, v70
	v_lshlrev_b32_e32 v4, 3, v40
	v_cmp_ne_u32_e32 vcc, 0, v71
	ds_read2_b64 v[0:3], v4 offset1:1
	ds_read2_b64 v[112:115], v4 offset0:2 offset1:3
	ds_read2_b64 v[100:103], v4 offset0:4 offset1:5
	;; [unrolled: 1-line block ×6, first 2 shown]
	ds_read_b64 v[130:131], v4 offset:112
	s_and_b64 vcc, exec, vcc
	s_waitcnt lgkmcnt(7)
	v_cmp_u_f64_e64 s[6:7], v[2:3], v[2:3]
	v_max_f64 v[132:133], v[2:3], v[2:3]
	s_waitcnt lgkmcnt(0)
	s_barrier
	s_cbranch_vccz .LBB70_136
; %bb.37:
	v_max_f64 v[134:135], v[0:1], v[0:1]
	v_min_f64 v[4:5], v[134:135], v[132:133]
	v_cmp_u_f64_e64 s[36:37], v[0:1], v[0:1]
	s_movk_i32 s16, 0x1f8
	v_mov_b64_e32 v[144:145], v[0:1]
	v_cndmask_b32_e64 v4, v4, v0, s[36:37]
	v_cndmask_b32_e64 v5, v5, v1, s[36:37]
	;; [unrolled: 1-line block ×4, first 2 shown]
	v_max_f64 v[4:5], v[134:135], v[132:133]
	v_cndmask_b32_e64 v4, v4, v0, s[36:37]
	v_cndmask_b32_e64 v5, v5, v1, s[36:37]
	;; [unrolled: 1-line block ×4, first 2 shown]
	v_cmp_neq_f64_e32 vcc, v[6:7], v[4:5]
	v_cmp_class_f64_e64 s[8:9], v[6:7], s16
	s_or_b64 s[8:9], vcc, s[8:9]
	s_and_saveexec_b64 s[10:11], s[8:9]
	s_cbranch_execz .LBB70_39
; %bb.38:
	s_mov_b32 s8, 0x652b82fe
	v_add_f64 v[6:7], v[6:7], -v[4:5]
	s_mov_b32 s9, 0x3ff71547
	v_mul_f64 v[8:9], v[6:7], s[8:9]
	v_rndne_f64_e32 v[8:9], v[8:9]
	s_mov_b32 s13, 0xbfe62e42
	s_mov_b32 s12, 0xfefa39ef
	v_fma_f64 v[10:11], s[12:13], v[8:9], v[6:7]
	s_mov_b32 s15, 0xbc7abc9e
	s_mov_b32 s14, 0x3b39803f
	;; [unrolled: 1-line block ×3, first 2 shown]
	v_fmac_f64_e32 v[10:11], s[14:15], v[8:9]
	v_mov_b32_e32 v12, 0xfca7ab0c
	v_mov_b32_e32 v13, 0x3e928af3
	s_mov_b32 s9, 0x3e5ade15
	v_fmac_f64_e32 v[12:13], s[8:9], v[10:11]
	v_mov_b32_e32 v14, 0x623fde64
	v_mov_b32_e32 v15, 0x3ec71dee
	v_fmac_f64_e32 v[14:15], v[10:11], v[12:13]
	v_mov_b32_e32 v12, 0x7c89e6b0
	v_mov_b32_e32 v13, 0x3efa0199
	;; [unrolled: 3-line block ×8, first 2 shown]
	s_mov_b32 s8, 0
	v_fmac_f64_e32 v[12:13], v[10:11], v[14:15]
	s_mov_b32 s9, 0x40900000
	v_fma_f64 v[12:13], v[10:11], v[12:13], 1.0
	v_cmp_nlt_f64_e32 vcc, s[8:9], v[6:7]
	s_mov_b32 s8, 0
	v_fma_f64 v[10:11], v[10:11], v[12:13], 1.0
	v_cvt_i32_f64_e32 v8, v[8:9]
	s_mov_b32 s9, 0xc090cc00
	v_ldexp_f64 v[8:9], v[10:11], v8
	v_mov_b32_e32 v10, 0x7ff00000
	v_cmp_ngt_f64_e64 s[8:9], s[8:9], v[6:7]
	v_cndmask_b32_e32 v9, v10, v9, vcc
	s_and_b64 vcc, s[8:9], vcc
	v_cndmask_b32_e64 v7, 0, v9, s[8:9]
	v_cndmask_b32_e32 v6, 0, v8, vcc
	v_add_f64 v[8:9], v[6:7], 1.0
	v_add_f64 v[10:11], v[8:9], -1.0
	v_add_f64 v[12:13], v[10:11], -v[8:9]
	v_add_f64 v[12:13], v[12:13], 1.0
	v_add_f64 v[10:11], v[6:7], -v[10:11]
	s_mov_b32 s8, 0x55555555
	v_add_f64 v[10:11], v[10:11], v[12:13]
	v_frexp_mant_f64_e32 v[12:13], v[8:9]
	s_mov_b32 s9, 0x3fe55555
	v_frexp_exp_i32_f64_e32 v14, v[8:9]
	v_cmp_gt_f64_e32 vcc, s[8:9], v[12:13]
	s_mov_b32 s8, 0xbf559e2b
	s_mov_b32 s9, 0x3fc3ab76
	v_subbrev_co_u32_e32 v28, vcc, 0, v14, vcc
	v_sub_u32_e32 v12, 0, v28
	v_ldexp_f64 v[8:9], v[8:9], v12
	v_ldexp_f64 v[10:11], v[10:11], v12
	v_add_f64 v[12:13], v[8:9], -1.0
	v_add_f64 v[18:19], v[8:9], 1.0
	v_add_f64 v[14:15], v[12:13], 1.0
	v_add_f64 v[20:21], v[18:19], -1.0
	v_add_f64 v[14:15], v[8:9], -v[14:15]
	v_add_f64 v[8:9], v[8:9], -v[20:21]
	v_add_f64 v[8:9], v[10:11], v[8:9]
	v_add_f64 v[14:15], v[10:11], v[14:15]
	;; [unrolled: 1-line block ×3, first 2 shown]
	v_rcp_f64_e32 v[20:21], v[10:11]
	v_add_f64 v[16:17], v[12:13], v[14:15]
	v_add_f64 v[12:13], v[16:17], -v[12:13]
	v_add_f64 v[12:13], v[14:15], -v[12:13]
	;; [unrolled: 1-line block ×4, first 2 shown]
	v_fma_f64 v[14:15], -v[10:11], v[20:21], 1.0
	v_fmac_f64_e32 v[20:21], v[14:15], v[20:21]
	v_fma_f64 v[14:15], -v[10:11], v[20:21], 1.0
	v_fmac_f64_e32 v[20:21], v[14:15], v[20:21]
	v_mul_f64 v[14:15], v[16:17], v[20:21]
	v_mul_f64 v[18:19], v[10:11], v[14:15]
	v_fma_f64 v[22:23], v[14:15], v[10:11], -v[18:19]
	v_fmac_f64_e32 v[22:23], v[14:15], v[8:9]
	v_add_f64 v[24:25], v[18:19], v[22:23]
	v_add_f64 v[26:27], v[16:17], -v[24:25]
	v_add_f64 v[16:17], v[16:17], -v[26:27]
	;; [unrolled: 1-line block ×4, first 2 shown]
	v_add_f64 v[12:13], v[12:13], v[16:17]
	v_add_f64 v[16:17], v[18:19], -v[22:23]
	v_add_f64 v[12:13], v[16:17], v[12:13]
	v_add_f64 v[16:17], v[26:27], v[12:13]
	v_add_f64 v[18:19], v[26:27], -v[16:17]
	v_add_f64 v[12:13], v[12:13], v[18:19]
	v_mul_f64 v[18:19], v[20:21], v[16:17]
	v_mul_f64 v[22:23], v[10:11], v[18:19]
	v_fma_f64 v[10:11], v[18:19], v[10:11], -v[22:23]
	v_fmac_f64_e32 v[10:11], v[18:19], v[8:9]
	v_add_f64 v[8:9], v[22:23], v[10:11]
	v_add_f64 v[24:25], v[16:17], -v[8:9]
	v_add_f64 v[16:17], v[16:17], -v[24:25]
	;; [unrolled: 1-line block ×4, first 2 shown]
	v_add_f64 v[8:9], v[12:13], v[8:9]
	v_add_f64 v[10:11], v[22:23], -v[10:11]
	v_add_f64 v[8:9], v[10:11], v[8:9]
	v_add_f64 v[10:11], v[14:15], v[18:19]
	;; [unrolled: 1-line block ×3, first 2 shown]
	v_add_f64 v[12:13], v[10:11], -v[14:15]
	v_mul_f64 v[8:9], v[20:21], v[8:9]
	v_add_f64 v[12:13], v[18:19], -v[12:13]
	v_add_f64 v[8:9], v[12:13], v[8:9]
	v_add_f64 v[12:13], v[10:11], v[8:9]
	v_add_f64 v[10:11], v[12:13], -v[10:11]
	v_add_f64 v[8:9], v[8:9], -v[10:11]
	v_mul_f64 v[10:11], v[12:13], v[12:13]
	v_mov_b32_e32 v14, 0x6b47b09a
	v_mov_b32_e32 v15, 0x3fc38538
	v_fmac_f64_e32 v[14:15], s[8:9], v[10:11]
	v_mov_b32_e32 v16, 0xd7f4df2e
	v_mov_b32_e32 v17, 0x3fc7474d
	v_fmac_f64_e32 v[16:17], v[10:11], v[14:15]
	v_mov_b32_e32 v14, 0x16291751
	v_mov_b32_e32 v15, 0x3fcc71c0
	v_fmac_f64_e32 v[14:15], v[10:11], v[16:17]
	v_mov_b32_e32 v16, 0x9b27acf1
	v_mov_b32_e32 v17, 0x3fd24924
	v_fmac_f64_e32 v[16:17], v[10:11], v[14:15]
	v_mov_b32_e32 v14, 0x998ef7b6
	v_mov_b32_e32 v15, 0x3fd99999
	v_fmac_f64_e32 v[14:15], v[10:11], v[16:17]
	v_mov_b32_e32 v16, 0x55555780
	v_mov_b32_e32 v17, 0x3fe55555
	v_fmac_f64_e32 v[16:17], v[10:11], v[14:15]
	v_cvt_f64_i32_e32 v[14:15], v28
	s_mov_b32 s13, 0x3fe62e42
	v_mul_f64 v[18:19], v[14:15], s[12:13]
	v_fma_f64 v[20:21], v[14:15], s[12:13], -v[18:19]
	s_mov_b32 s15, 0x3c7abc9e
	v_fmac_f64_e32 v[20:21], s[14:15], v[14:15]
	v_add_f64 v[14:15], v[18:19], v[20:21]
	v_add_f64 v[18:19], v[14:15], -v[18:19]
	v_mul_f64 v[10:11], v[12:13], v[10:11]
	v_add_f64 v[18:19], v[20:21], -v[18:19]
	v_ldexp_f64 v[20:21], v[12:13], 1
	v_mul_f64 v[10:11], v[10:11], v[16:17]
	v_add_f64 v[12:13], v[20:21], v[10:11]
	v_add_f64 v[16:17], v[12:13], -v[20:21]
	v_ldexp_f64 v[8:9], v[8:9], 1
	v_add_f64 v[10:11], v[10:11], -v[16:17]
	v_add_f64 v[8:9], v[8:9], v[10:11]
	v_add_f64 v[10:11], v[12:13], v[8:9]
	v_add_f64 v[12:13], v[10:11], -v[12:13]
	v_add_f64 v[8:9], v[8:9], -v[12:13]
	v_add_f64 v[12:13], v[14:15], v[10:11]
	v_add_f64 v[16:17], v[12:13], -v[14:15]
	v_add_f64 v[20:21], v[12:13], -v[16:17]
	;; [unrolled: 1-line block ×4, first 2 shown]
	v_add_f64 v[10:11], v[10:11], v[14:15]
	v_add_f64 v[14:15], v[18:19], v[8:9]
	v_add_f64 v[16:17], v[14:15], -v[18:19]
	v_add_f64 v[10:11], v[14:15], v[10:11]
	v_add_f64 v[20:21], v[14:15], -v[16:17]
	v_add_f64 v[14:15], v[12:13], v[10:11]
	v_add_f64 v[18:19], v[18:19], -v[20:21]
	v_add_f64 v[8:9], v[8:9], -v[16:17]
	v_add_f64 v[12:13], v[14:15], -v[12:13]
	v_add_f64 v[8:9], v[8:9], v[18:19]
	v_add_f64 v[10:11], v[10:11], -v[12:13]
	s_mov_b32 s8, 0
	v_add_f64 v[8:9], v[8:9], v[10:11]
	s_mov_b32 s9, 0x7ff00000
	v_add_f64 v[8:9], v[14:15], v[8:9]
	v_cmp_eq_f64_e32 vcc, s[8:9], v[6:7]
	v_mov_b32_e32 v10, 0x7ff80000
	s_nop 0
	v_cndmask_b32_e32 v8, v8, v6, vcc
	v_cndmask_b32_e32 v9, v9, v7, vcc
	v_cmp_ngt_f64_e32 vcc, -1.0, v[6:7]
	s_nop 1
	v_cndmask_b32_e32 v9, v10, v9, vcc
	v_cmp_nge_f64_e32 vcc, -1.0, v[6:7]
	v_mov_b32_e32 v10, 0xfff00000
	s_nop 0
	v_cndmask_b32_e32 v8, 0, v8, vcc
	v_cmp_neq_f64_e32 vcc, -1.0, v[6:7]
	s_nop 1
	v_cndmask_b32_e32 v9, v10, v9, vcc
	v_add_f64 v[144:145], v[4:5], v[8:9]
.LBB70_39:
	s_or_b64 exec, exec, s[10:11]
	v_max_f64 v[10:11], v[112:113], v[112:113]
	v_max_f64 v[4:5], v[144:145], v[144:145]
	v_min_f64 v[6:7], v[4:5], v[10:11]
	v_cmp_u_f64_e32 vcc, v[144:145], v[144:145]
	v_max_f64 v[4:5], v[4:5], v[10:11]
	v_cmp_u_f64_e64 s[8:9], v[112:113], v[112:113]
	v_cndmask_b32_e32 v6, v6, v144, vcc
	v_cndmask_b32_e32 v7, v7, v145, vcc
	;; [unrolled: 1-line block ×4, first 2 shown]
	v_cndmask_b32_e64 v7, v7, v113, s[8:9]
	v_cndmask_b32_e64 v6, v6, v112, s[8:9]
	;; [unrolled: 1-line block ×4, first 2 shown]
	v_cmp_neq_f64_e32 vcc, v[6:7], v[4:5]
	v_cmp_class_f64_e64 s[10:11], v[6:7], s16
	s_or_b64 s[10:11], vcc, s[10:11]
	s_and_saveexec_b64 s[12:13], s[10:11]
	s_cbranch_execz .LBB70_41
; %bb.40:
	s_mov_b32 s10, 0x652b82fe
	v_add_f64 v[6:7], v[6:7], -v[4:5]
	s_mov_b32 s11, 0x3ff71547
	v_mul_f64 v[8:9], v[6:7], s[10:11]
	v_rndne_f64_e32 v[8:9], v[8:9]
	s_mov_b32 s15, 0xbfe62e42
	s_mov_b32 s14, 0xfefa39ef
	v_fma_f64 v[12:13], s[14:15], v[8:9], v[6:7]
	s_mov_b32 s17, 0xbc7abc9e
	s_mov_b32 s16, 0x3b39803f
	;; [unrolled: 1-line block ×3, first 2 shown]
	v_fmac_f64_e32 v[12:13], s[16:17], v[8:9]
	v_mov_b32_e32 v14, 0xfca7ab0c
	v_mov_b32_e32 v15, 0x3e928af3
	s_mov_b32 s11, 0x3e5ade15
	v_fmac_f64_e32 v[14:15], s[10:11], v[12:13]
	v_mov_b32_e32 v16, 0x623fde64
	v_mov_b32_e32 v17, 0x3ec71dee
	v_fmac_f64_e32 v[16:17], v[12:13], v[14:15]
	v_mov_b32_e32 v14, 0x7c89e6b0
	v_mov_b32_e32 v15, 0x3efa0199
	;; [unrolled: 3-line block ×8, first 2 shown]
	s_mov_b32 s10, 0
	v_fmac_f64_e32 v[14:15], v[12:13], v[16:17]
	s_mov_b32 s11, 0x40900000
	v_fma_f64 v[14:15], v[12:13], v[14:15], 1.0
	v_cmp_nlt_f64_e32 vcc, s[10:11], v[6:7]
	s_mov_b32 s10, 0
	v_fma_f64 v[12:13], v[12:13], v[14:15], 1.0
	v_cvt_i32_f64_e32 v8, v[8:9]
	s_mov_b32 s11, 0xc090cc00
	v_ldexp_f64 v[8:9], v[12:13], v8
	v_mov_b32_e32 v12, 0x7ff00000
	v_cmp_ngt_f64_e64 s[10:11], s[10:11], v[6:7]
	v_cndmask_b32_e32 v9, v12, v9, vcc
	s_and_b64 vcc, s[10:11], vcc
	v_cndmask_b32_e64 v7, 0, v9, s[10:11]
	v_cndmask_b32_e32 v6, 0, v8, vcc
	v_add_f64 v[8:9], v[6:7], 1.0
	v_add_f64 v[12:13], v[8:9], -1.0
	v_add_f64 v[14:15], v[12:13], -v[8:9]
	v_add_f64 v[14:15], v[14:15], 1.0
	v_add_f64 v[12:13], v[6:7], -v[12:13]
	s_mov_b32 s10, 0x55555555
	v_add_f64 v[12:13], v[12:13], v[14:15]
	v_frexp_mant_f64_e32 v[14:15], v[8:9]
	s_mov_b32 s11, 0x3fe55555
	v_frexp_exp_i32_f64_e32 v16, v[8:9]
	v_cmp_gt_f64_e32 vcc, s[10:11], v[14:15]
	s_mov_b32 s10, 0xbf559e2b
	s_mov_b32 s11, 0x3fc3ab76
	v_subbrev_co_u32_e32 v30, vcc, 0, v16, vcc
	v_sub_u32_e32 v14, 0, v30
	v_ldexp_f64 v[8:9], v[8:9], v14
	v_ldexp_f64 v[12:13], v[12:13], v14
	v_add_f64 v[14:15], v[8:9], -1.0
	v_add_f64 v[20:21], v[8:9], 1.0
	v_add_f64 v[16:17], v[14:15], 1.0
	v_add_f64 v[22:23], v[20:21], -1.0
	v_add_f64 v[16:17], v[8:9], -v[16:17]
	v_add_f64 v[8:9], v[8:9], -v[22:23]
	v_add_f64 v[8:9], v[12:13], v[8:9]
	v_add_f64 v[16:17], v[12:13], v[16:17]
	;; [unrolled: 1-line block ×3, first 2 shown]
	v_rcp_f64_e32 v[22:23], v[12:13]
	v_add_f64 v[18:19], v[14:15], v[16:17]
	v_add_f64 v[14:15], v[18:19], -v[14:15]
	v_add_f64 v[14:15], v[16:17], -v[14:15]
	;; [unrolled: 1-line block ×4, first 2 shown]
	v_fma_f64 v[16:17], -v[12:13], v[22:23], 1.0
	v_fmac_f64_e32 v[22:23], v[16:17], v[22:23]
	v_fma_f64 v[16:17], -v[12:13], v[22:23], 1.0
	v_fmac_f64_e32 v[22:23], v[16:17], v[22:23]
	v_mul_f64 v[16:17], v[18:19], v[22:23]
	v_mul_f64 v[20:21], v[12:13], v[16:17]
	v_fma_f64 v[24:25], v[16:17], v[12:13], -v[20:21]
	v_fmac_f64_e32 v[24:25], v[16:17], v[8:9]
	v_add_f64 v[26:27], v[20:21], v[24:25]
	v_add_f64 v[28:29], v[18:19], -v[26:27]
	v_add_f64 v[18:19], v[18:19], -v[28:29]
	;; [unrolled: 1-line block ×4, first 2 shown]
	v_add_f64 v[14:15], v[14:15], v[18:19]
	v_add_f64 v[18:19], v[20:21], -v[24:25]
	v_add_f64 v[14:15], v[18:19], v[14:15]
	v_add_f64 v[18:19], v[28:29], v[14:15]
	v_add_f64 v[20:21], v[28:29], -v[18:19]
	v_add_f64 v[14:15], v[14:15], v[20:21]
	v_mul_f64 v[20:21], v[22:23], v[18:19]
	v_mul_f64 v[24:25], v[12:13], v[20:21]
	v_fma_f64 v[12:13], v[20:21], v[12:13], -v[24:25]
	v_fmac_f64_e32 v[12:13], v[20:21], v[8:9]
	v_add_f64 v[8:9], v[24:25], v[12:13]
	v_add_f64 v[26:27], v[18:19], -v[8:9]
	v_add_f64 v[18:19], v[18:19], -v[26:27]
	;; [unrolled: 1-line block ×4, first 2 shown]
	v_add_f64 v[8:9], v[14:15], v[8:9]
	v_add_f64 v[12:13], v[24:25], -v[12:13]
	v_add_f64 v[8:9], v[12:13], v[8:9]
	v_add_f64 v[12:13], v[16:17], v[20:21]
	;; [unrolled: 1-line block ×3, first 2 shown]
	v_add_f64 v[14:15], v[12:13], -v[16:17]
	v_mul_f64 v[8:9], v[22:23], v[8:9]
	v_add_f64 v[14:15], v[20:21], -v[14:15]
	v_add_f64 v[8:9], v[14:15], v[8:9]
	v_add_f64 v[14:15], v[12:13], v[8:9]
	v_add_f64 v[12:13], v[14:15], -v[12:13]
	v_add_f64 v[8:9], v[8:9], -v[12:13]
	v_mul_f64 v[12:13], v[14:15], v[14:15]
	v_mov_b32_e32 v16, 0x6b47b09a
	v_mov_b32_e32 v17, 0x3fc38538
	v_fmac_f64_e32 v[16:17], s[10:11], v[12:13]
	v_mov_b32_e32 v18, 0xd7f4df2e
	v_mov_b32_e32 v19, 0x3fc7474d
	v_fmac_f64_e32 v[18:19], v[12:13], v[16:17]
	;; [unrolled: 3-line block ×6, first 2 shown]
	v_cvt_f64_i32_e32 v[16:17], v30
	s_mov_b32 s15, 0x3fe62e42
	v_mul_f64 v[20:21], v[16:17], s[14:15]
	v_fma_f64 v[22:23], v[16:17], s[14:15], -v[20:21]
	s_mov_b32 s17, 0x3c7abc9e
	v_fmac_f64_e32 v[22:23], s[16:17], v[16:17]
	v_add_f64 v[16:17], v[20:21], v[22:23]
	v_add_f64 v[20:21], v[16:17], -v[20:21]
	v_mul_f64 v[12:13], v[14:15], v[12:13]
	v_add_f64 v[20:21], v[22:23], -v[20:21]
	v_ldexp_f64 v[22:23], v[14:15], 1
	v_mul_f64 v[12:13], v[12:13], v[18:19]
	v_add_f64 v[14:15], v[22:23], v[12:13]
	v_add_f64 v[18:19], v[14:15], -v[22:23]
	v_ldexp_f64 v[8:9], v[8:9], 1
	v_add_f64 v[12:13], v[12:13], -v[18:19]
	v_add_f64 v[8:9], v[8:9], v[12:13]
	v_add_f64 v[12:13], v[14:15], v[8:9]
	v_add_f64 v[14:15], v[12:13], -v[14:15]
	v_add_f64 v[8:9], v[8:9], -v[14:15]
	v_add_f64 v[14:15], v[16:17], v[12:13]
	v_add_f64 v[18:19], v[14:15], -v[16:17]
	v_add_f64 v[22:23], v[14:15], -v[18:19]
	;; [unrolled: 1-line block ×4, first 2 shown]
	v_add_f64 v[12:13], v[12:13], v[16:17]
	v_add_f64 v[16:17], v[20:21], v[8:9]
	v_add_f64 v[18:19], v[16:17], -v[20:21]
	v_add_f64 v[12:13], v[16:17], v[12:13]
	v_add_f64 v[22:23], v[16:17], -v[18:19]
	;; [unrolled: 2-line block ×3, first 2 shown]
	v_add_f64 v[8:9], v[8:9], -v[18:19]
	v_add_f64 v[14:15], v[16:17], -v[14:15]
	v_add_f64 v[8:9], v[8:9], v[20:21]
	v_add_f64 v[12:13], v[12:13], -v[14:15]
	s_mov_b32 s10, 0
	v_add_f64 v[8:9], v[8:9], v[12:13]
	s_mov_b32 s11, 0x7ff00000
	v_add_f64 v[8:9], v[16:17], v[8:9]
	v_cmp_eq_f64_e32 vcc, s[10:11], v[6:7]
	v_mov_b32_e32 v12, 0x7ff80000
	s_nop 0
	v_cndmask_b32_e32 v8, v8, v6, vcc
	v_cndmask_b32_e32 v9, v9, v7, vcc
	v_cmp_ngt_f64_e32 vcc, -1.0, v[6:7]
	s_nop 1
	v_cndmask_b32_e32 v9, v12, v9, vcc
	v_cmp_nge_f64_e32 vcc, -1.0, v[6:7]
	v_mov_b32_e32 v12, 0xfff00000
	s_nop 0
	v_cndmask_b32_e32 v8, 0, v8, vcc
	v_cmp_neq_f64_e32 vcc, -1.0, v[6:7]
	s_nop 1
	v_cndmask_b32_e32 v9, v12, v9, vcc
	v_add_f64 v[144:145], v[4:5], v[8:9]
.LBB70_41:
	s_or_b64 exec, exec, s[12:13]
	v_max_f64 v[12:13], v[114:115], v[114:115]
	v_max_f64 v[4:5], v[144:145], v[144:145]
	v_min_f64 v[6:7], v[4:5], v[12:13]
	v_cmp_u_f64_e32 vcc, v[144:145], v[144:145]
	v_max_f64 v[4:5], v[4:5], v[12:13]
	v_cmp_u_f64_e64 s[10:11], v[114:115], v[114:115]
	v_cndmask_b32_e32 v6, v6, v144, vcc
	v_cndmask_b32_e32 v7, v7, v145, vcc
	;; [unrolled: 1-line block ×4, first 2 shown]
	v_cndmask_b32_e64 v7, v7, v115, s[10:11]
	v_cndmask_b32_e64 v6, v6, v114, s[10:11]
	;; [unrolled: 1-line block ×4, first 2 shown]
	s_movk_i32 s20, 0x1f8
	v_cmp_neq_f64_e32 vcc, v[6:7], v[4:5]
	v_cmp_class_f64_e64 s[12:13], v[6:7], s20
	s_or_b64 s[12:13], vcc, s[12:13]
	s_and_saveexec_b64 s[14:15], s[12:13]
	s_cbranch_execz .LBB70_43
; %bb.42:
	s_mov_b32 s12, 0x652b82fe
	v_add_f64 v[6:7], v[6:7], -v[4:5]
	s_mov_b32 s13, 0x3ff71547
	v_mul_f64 v[8:9], v[6:7], s[12:13]
	v_rndne_f64_e32 v[8:9], v[8:9]
	s_mov_b32 s17, 0xbfe62e42
	s_mov_b32 s16, 0xfefa39ef
	v_fma_f64 v[14:15], s[16:17], v[8:9], v[6:7]
	s_mov_b32 s19, 0xbc7abc9e
	s_mov_b32 s18, 0x3b39803f
	;; [unrolled: 1-line block ×3, first 2 shown]
	v_fmac_f64_e32 v[14:15], s[18:19], v[8:9]
	v_mov_b32_e32 v16, 0xfca7ab0c
	v_mov_b32_e32 v17, 0x3e928af3
	s_mov_b32 s13, 0x3e5ade15
	v_fmac_f64_e32 v[16:17], s[12:13], v[14:15]
	v_mov_b32_e32 v18, 0x623fde64
	v_mov_b32_e32 v19, 0x3ec71dee
	v_fmac_f64_e32 v[18:19], v[14:15], v[16:17]
	v_mov_b32_e32 v16, 0x7c89e6b0
	v_mov_b32_e32 v17, 0x3efa0199
	;; [unrolled: 3-line block ×8, first 2 shown]
	s_mov_b32 s12, 0
	v_fmac_f64_e32 v[16:17], v[14:15], v[18:19]
	s_mov_b32 s13, 0x40900000
	v_fma_f64 v[16:17], v[14:15], v[16:17], 1.0
	v_cmp_nlt_f64_e32 vcc, s[12:13], v[6:7]
	s_mov_b32 s12, 0
	v_fma_f64 v[14:15], v[14:15], v[16:17], 1.0
	v_cvt_i32_f64_e32 v8, v[8:9]
	s_mov_b32 s13, 0xc090cc00
	v_ldexp_f64 v[8:9], v[14:15], v8
	v_mov_b32_e32 v14, 0x7ff00000
	v_cmp_ngt_f64_e64 s[12:13], s[12:13], v[6:7]
	v_cndmask_b32_e32 v9, v14, v9, vcc
	s_and_b64 vcc, s[12:13], vcc
	v_cndmask_b32_e64 v7, 0, v9, s[12:13]
	v_cndmask_b32_e32 v6, 0, v8, vcc
	v_add_f64 v[8:9], v[6:7], 1.0
	v_add_f64 v[14:15], v[8:9], -1.0
	v_add_f64 v[16:17], v[14:15], -v[8:9]
	v_add_f64 v[16:17], v[16:17], 1.0
	v_add_f64 v[14:15], v[6:7], -v[14:15]
	s_mov_b32 s12, 0x55555555
	v_add_f64 v[14:15], v[14:15], v[16:17]
	v_frexp_mant_f64_e32 v[16:17], v[8:9]
	s_mov_b32 s13, 0x3fe55555
	v_frexp_exp_i32_f64_e32 v18, v[8:9]
	v_cmp_gt_f64_e32 vcc, s[12:13], v[16:17]
	s_mov_b32 s12, 0xbf559e2b
	s_mov_b32 s13, 0x3fc3ab76
	v_subbrev_co_u32_e32 v32, vcc, 0, v18, vcc
	v_sub_u32_e32 v16, 0, v32
	v_ldexp_f64 v[8:9], v[8:9], v16
	v_ldexp_f64 v[14:15], v[14:15], v16
	v_add_f64 v[16:17], v[8:9], -1.0
	v_add_f64 v[22:23], v[8:9], 1.0
	v_add_f64 v[18:19], v[16:17], 1.0
	v_add_f64 v[24:25], v[22:23], -1.0
	v_add_f64 v[18:19], v[8:9], -v[18:19]
	v_add_f64 v[8:9], v[8:9], -v[24:25]
	v_add_f64 v[8:9], v[14:15], v[8:9]
	v_add_f64 v[18:19], v[14:15], v[18:19]
	;; [unrolled: 1-line block ×3, first 2 shown]
	v_rcp_f64_e32 v[24:25], v[14:15]
	v_add_f64 v[20:21], v[16:17], v[18:19]
	v_add_f64 v[16:17], v[20:21], -v[16:17]
	v_add_f64 v[16:17], v[18:19], -v[16:17]
	;; [unrolled: 1-line block ×4, first 2 shown]
	v_fma_f64 v[18:19], -v[14:15], v[24:25], 1.0
	v_fmac_f64_e32 v[24:25], v[18:19], v[24:25]
	v_fma_f64 v[18:19], -v[14:15], v[24:25], 1.0
	v_fmac_f64_e32 v[24:25], v[18:19], v[24:25]
	v_mul_f64 v[18:19], v[20:21], v[24:25]
	v_mul_f64 v[22:23], v[14:15], v[18:19]
	v_fma_f64 v[26:27], v[18:19], v[14:15], -v[22:23]
	v_fmac_f64_e32 v[26:27], v[18:19], v[8:9]
	v_add_f64 v[28:29], v[22:23], v[26:27]
	v_add_f64 v[30:31], v[20:21], -v[28:29]
	v_add_f64 v[20:21], v[20:21], -v[30:31]
	;; [unrolled: 1-line block ×4, first 2 shown]
	v_add_f64 v[16:17], v[16:17], v[20:21]
	v_add_f64 v[20:21], v[22:23], -v[26:27]
	v_add_f64 v[16:17], v[20:21], v[16:17]
	v_add_f64 v[20:21], v[30:31], v[16:17]
	v_add_f64 v[22:23], v[30:31], -v[20:21]
	v_add_f64 v[16:17], v[16:17], v[22:23]
	v_mul_f64 v[22:23], v[24:25], v[20:21]
	v_mul_f64 v[26:27], v[14:15], v[22:23]
	v_fma_f64 v[14:15], v[22:23], v[14:15], -v[26:27]
	v_fmac_f64_e32 v[14:15], v[22:23], v[8:9]
	v_add_f64 v[8:9], v[26:27], v[14:15]
	v_add_f64 v[28:29], v[20:21], -v[8:9]
	v_add_f64 v[20:21], v[20:21], -v[28:29]
	;; [unrolled: 1-line block ×4, first 2 shown]
	v_add_f64 v[8:9], v[16:17], v[8:9]
	v_add_f64 v[14:15], v[26:27], -v[14:15]
	v_add_f64 v[8:9], v[14:15], v[8:9]
	v_add_f64 v[14:15], v[18:19], v[22:23]
	;; [unrolled: 1-line block ×3, first 2 shown]
	v_add_f64 v[16:17], v[14:15], -v[18:19]
	v_mul_f64 v[8:9], v[24:25], v[8:9]
	v_add_f64 v[16:17], v[22:23], -v[16:17]
	v_add_f64 v[8:9], v[16:17], v[8:9]
	v_add_f64 v[16:17], v[14:15], v[8:9]
	v_add_f64 v[14:15], v[16:17], -v[14:15]
	v_add_f64 v[8:9], v[8:9], -v[14:15]
	v_mul_f64 v[14:15], v[16:17], v[16:17]
	v_mov_b32_e32 v18, 0x6b47b09a
	v_mov_b32_e32 v19, 0x3fc38538
	v_fmac_f64_e32 v[18:19], s[12:13], v[14:15]
	v_mov_b32_e32 v20, 0xd7f4df2e
	v_mov_b32_e32 v21, 0x3fc7474d
	v_fmac_f64_e32 v[20:21], v[14:15], v[18:19]
	;; [unrolled: 3-line block ×6, first 2 shown]
	v_cvt_f64_i32_e32 v[18:19], v32
	s_mov_b32 s17, 0x3fe62e42
	v_mul_f64 v[22:23], v[18:19], s[16:17]
	v_fma_f64 v[24:25], v[18:19], s[16:17], -v[22:23]
	s_mov_b32 s19, 0x3c7abc9e
	v_fmac_f64_e32 v[24:25], s[18:19], v[18:19]
	v_add_f64 v[18:19], v[22:23], v[24:25]
	v_add_f64 v[22:23], v[18:19], -v[22:23]
	v_mul_f64 v[14:15], v[16:17], v[14:15]
	v_add_f64 v[22:23], v[24:25], -v[22:23]
	v_ldexp_f64 v[24:25], v[16:17], 1
	v_mul_f64 v[14:15], v[14:15], v[20:21]
	v_add_f64 v[16:17], v[24:25], v[14:15]
	v_add_f64 v[20:21], v[16:17], -v[24:25]
	v_ldexp_f64 v[8:9], v[8:9], 1
	v_add_f64 v[14:15], v[14:15], -v[20:21]
	v_add_f64 v[8:9], v[8:9], v[14:15]
	v_add_f64 v[14:15], v[16:17], v[8:9]
	v_add_f64 v[16:17], v[14:15], -v[16:17]
	v_add_f64 v[8:9], v[8:9], -v[16:17]
	v_add_f64 v[16:17], v[18:19], v[14:15]
	v_add_f64 v[20:21], v[16:17], -v[18:19]
	v_add_f64 v[24:25], v[16:17], -v[20:21]
	;; [unrolled: 1-line block ×4, first 2 shown]
	v_add_f64 v[14:15], v[14:15], v[18:19]
	v_add_f64 v[18:19], v[22:23], v[8:9]
	v_add_f64 v[20:21], v[18:19], -v[22:23]
	v_add_f64 v[14:15], v[18:19], v[14:15]
	v_add_f64 v[24:25], v[18:19], -v[20:21]
	;; [unrolled: 2-line block ×3, first 2 shown]
	v_add_f64 v[8:9], v[8:9], -v[20:21]
	v_add_f64 v[16:17], v[18:19], -v[16:17]
	v_add_f64 v[8:9], v[8:9], v[22:23]
	v_add_f64 v[14:15], v[14:15], -v[16:17]
	s_mov_b32 s12, 0
	v_add_f64 v[8:9], v[8:9], v[14:15]
	s_mov_b32 s13, 0x7ff00000
	v_add_f64 v[8:9], v[18:19], v[8:9]
	v_cmp_eq_f64_e32 vcc, s[12:13], v[6:7]
	v_mov_b32_e32 v14, 0x7ff80000
	s_nop 0
	v_cndmask_b32_e32 v8, v8, v6, vcc
	v_cndmask_b32_e32 v9, v9, v7, vcc
	v_cmp_ngt_f64_e32 vcc, -1.0, v[6:7]
	s_nop 1
	v_cndmask_b32_e32 v9, v14, v9, vcc
	v_cmp_nge_f64_e32 vcc, -1.0, v[6:7]
	v_mov_b32_e32 v14, 0xfff00000
	s_nop 0
	v_cndmask_b32_e32 v8, 0, v8, vcc
	v_cmp_neq_f64_e32 vcc, -1.0, v[6:7]
	s_nop 1
	v_cndmask_b32_e32 v9, v14, v9, vcc
	v_add_f64 v[144:145], v[4:5], v[8:9]
.LBB70_43:
	s_or_b64 exec, exec, s[14:15]
	v_max_f64 v[14:15], v[100:101], v[100:101]
	v_max_f64 v[4:5], v[144:145], v[144:145]
	v_min_f64 v[6:7], v[4:5], v[14:15]
	v_cmp_u_f64_e32 vcc, v[144:145], v[144:145]
	v_max_f64 v[4:5], v[4:5], v[14:15]
	v_cmp_u_f64_e64 s[12:13], v[100:101], v[100:101]
	v_cndmask_b32_e32 v6, v6, v144, vcc
	v_cndmask_b32_e32 v7, v7, v145, vcc
	;; [unrolled: 1-line block ×4, first 2 shown]
	v_cndmask_b32_e64 v7, v7, v101, s[12:13]
	v_cndmask_b32_e64 v6, v6, v100, s[12:13]
	;; [unrolled: 1-line block ×4, first 2 shown]
	v_cmp_neq_f64_e32 vcc, v[6:7], v[4:5]
	v_cmp_class_f64_e64 s[14:15], v[6:7], s20
	s_or_b64 s[14:15], vcc, s[14:15]
	s_and_saveexec_b64 s[16:17], s[14:15]
	s_cbranch_execz .LBB70_45
; %bb.44:
	s_mov_b32 s14, 0x652b82fe
	v_add_f64 v[6:7], v[6:7], -v[4:5]
	s_mov_b32 s15, 0x3ff71547
	v_mul_f64 v[8:9], v[6:7], s[14:15]
	v_rndne_f64_e32 v[8:9], v[8:9]
	s_mov_b32 s19, 0xbfe62e42
	s_mov_b32 s18, 0xfefa39ef
	v_fma_f64 v[16:17], s[18:19], v[8:9], v[6:7]
	s_mov_b32 s21, 0xbc7abc9e
	s_mov_b32 s20, 0x3b39803f
	;; [unrolled: 1-line block ×3, first 2 shown]
	v_fmac_f64_e32 v[16:17], s[20:21], v[8:9]
	v_mov_b32_e32 v18, 0xfca7ab0c
	v_mov_b32_e32 v19, 0x3e928af3
	s_mov_b32 s15, 0x3e5ade15
	v_fmac_f64_e32 v[18:19], s[14:15], v[16:17]
	v_mov_b32_e32 v20, 0x623fde64
	v_mov_b32_e32 v21, 0x3ec71dee
	v_fmac_f64_e32 v[20:21], v[16:17], v[18:19]
	v_mov_b32_e32 v18, 0x7c89e6b0
	v_mov_b32_e32 v19, 0x3efa0199
	;; [unrolled: 3-line block ×8, first 2 shown]
	s_mov_b32 s14, 0
	v_fmac_f64_e32 v[18:19], v[16:17], v[20:21]
	s_mov_b32 s15, 0x40900000
	v_fma_f64 v[18:19], v[16:17], v[18:19], 1.0
	v_cmp_nlt_f64_e32 vcc, s[14:15], v[6:7]
	s_mov_b32 s14, 0
	v_fma_f64 v[16:17], v[16:17], v[18:19], 1.0
	v_cvt_i32_f64_e32 v8, v[8:9]
	s_mov_b32 s15, 0xc090cc00
	v_ldexp_f64 v[8:9], v[16:17], v8
	v_mov_b32_e32 v16, 0x7ff00000
	v_cmp_ngt_f64_e64 s[14:15], s[14:15], v[6:7]
	v_cndmask_b32_e32 v9, v16, v9, vcc
	s_and_b64 vcc, s[14:15], vcc
	v_cndmask_b32_e64 v7, 0, v9, s[14:15]
	v_cndmask_b32_e32 v6, 0, v8, vcc
	v_add_f64 v[8:9], v[6:7], 1.0
	v_add_f64 v[16:17], v[8:9], -1.0
	v_add_f64 v[18:19], v[16:17], -v[8:9]
	v_add_f64 v[18:19], v[18:19], 1.0
	v_add_f64 v[16:17], v[6:7], -v[16:17]
	s_mov_b32 s14, 0x55555555
	v_add_f64 v[16:17], v[16:17], v[18:19]
	v_frexp_mant_f64_e32 v[18:19], v[8:9]
	s_mov_b32 s15, 0x3fe55555
	v_frexp_exp_i32_f64_e32 v20, v[8:9]
	v_cmp_gt_f64_e32 vcc, s[14:15], v[18:19]
	s_mov_b32 s14, 0xbf559e2b
	s_mov_b32 s15, 0x3fc3ab76
	v_subbrev_co_u32_e32 v34, vcc, 0, v20, vcc
	v_sub_u32_e32 v18, 0, v34
	v_ldexp_f64 v[8:9], v[8:9], v18
	v_ldexp_f64 v[16:17], v[16:17], v18
	v_add_f64 v[18:19], v[8:9], -1.0
	v_add_f64 v[24:25], v[8:9], 1.0
	v_add_f64 v[20:21], v[18:19], 1.0
	v_add_f64 v[26:27], v[24:25], -1.0
	v_add_f64 v[20:21], v[8:9], -v[20:21]
	v_add_f64 v[8:9], v[8:9], -v[26:27]
	v_add_f64 v[8:9], v[16:17], v[8:9]
	v_add_f64 v[20:21], v[16:17], v[20:21]
	v_add_f64 v[16:17], v[24:25], v[8:9]
	v_rcp_f64_e32 v[26:27], v[16:17]
	v_add_f64 v[22:23], v[18:19], v[20:21]
	v_add_f64 v[18:19], v[22:23], -v[18:19]
	v_add_f64 v[18:19], v[20:21], -v[18:19]
	v_add_f64 v[20:21], v[16:17], -v[24:25]
	v_add_f64 v[8:9], v[8:9], -v[20:21]
	v_fma_f64 v[20:21], -v[16:17], v[26:27], 1.0
	v_fmac_f64_e32 v[26:27], v[20:21], v[26:27]
	v_fma_f64 v[20:21], -v[16:17], v[26:27], 1.0
	v_fmac_f64_e32 v[26:27], v[20:21], v[26:27]
	v_mul_f64 v[20:21], v[22:23], v[26:27]
	v_mul_f64 v[24:25], v[16:17], v[20:21]
	v_fma_f64 v[28:29], v[20:21], v[16:17], -v[24:25]
	v_fmac_f64_e32 v[28:29], v[20:21], v[8:9]
	v_add_f64 v[30:31], v[24:25], v[28:29]
	v_add_f64 v[32:33], v[22:23], -v[30:31]
	v_add_f64 v[22:23], v[22:23], -v[32:33]
	;; [unrolled: 1-line block ×4, first 2 shown]
	v_add_f64 v[18:19], v[18:19], v[22:23]
	v_add_f64 v[22:23], v[24:25], -v[28:29]
	v_add_f64 v[18:19], v[22:23], v[18:19]
	v_add_f64 v[22:23], v[32:33], v[18:19]
	v_add_f64 v[24:25], v[32:33], -v[22:23]
	v_add_f64 v[18:19], v[18:19], v[24:25]
	v_mul_f64 v[24:25], v[26:27], v[22:23]
	v_mul_f64 v[28:29], v[16:17], v[24:25]
	v_fma_f64 v[16:17], v[24:25], v[16:17], -v[28:29]
	v_fmac_f64_e32 v[16:17], v[24:25], v[8:9]
	v_add_f64 v[8:9], v[28:29], v[16:17]
	v_add_f64 v[30:31], v[22:23], -v[8:9]
	v_add_f64 v[22:23], v[22:23], -v[30:31]
	;; [unrolled: 1-line block ×4, first 2 shown]
	v_add_f64 v[8:9], v[18:19], v[8:9]
	v_add_f64 v[16:17], v[28:29], -v[16:17]
	v_add_f64 v[8:9], v[16:17], v[8:9]
	v_add_f64 v[16:17], v[20:21], v[24:25]
	;; [unrolled: 1-line block ×3, first 2 shown]
	v_add_f64 v[18:19], v[16:17], -v[20:21]
	v_mul_f64 v[8:9], v[26:27], v[8:9]
	v_add_f64 v[18:19], v[24:25], -v[18:19]
	v_add_f64 v[8:9], v[18:19], v[8:9]
	v_add_f64 v[18:19], v[16:17], v[8:9]
	v_add_f64 v[16:17], v[18:19], -v[16:17]
	v_add_f64 v[8:9], v[8:9], -v[16:17]
	v_mul_f64 v[16:17], v[18:19], v[18:19]
	v_mov_b32_e32 v20, 0x6b47b09a
	v_mov_b32_e32 v21, 0x3fc38538
	v_fmac_f64_e32 v[20:21], s[14:15], v[16:17]
	v_mov_b32_e32 v22, 0xd7f4df2e
	v_mov_b32_e32 v23, 0x3fc7474d
	v_fmac_f64_e32 v[22:23], v[16:17], v[20:21]
	;; [unrolled: 3-line block ×6, first 2 shown]
	v_cvt_f64_i32_e32 v[20:21], v34
	s_mov_b32 s19, 0x3fe62e42
	v_mul_f64 v[24:25], v[20:21], s[18:19]
	v_fma_f64 v[26:27], v[20:21], s[18:19], -v[24:25]
	s_mov_b32 s21, 0x3c7abc9e
	v_fmac_f64_e32 v[26:27], s[20:21], v[20:21]
	v_add_f64 v[20:21], v[24:25], v[26:27]
	v_add_f64 v[24:25], v[20:21], -v[24:25]
	v_mul_f64 v[16:17], v[18:19], v[16:17]
	v_add_f64 v[24:25], v[26:27], -v[24:25]
	v_ldexp_f64 v[26:27], v[18:19], 1
	v_mul_f64 v[16:17], v[16:17], v[22:23]
	v_add_f64 v[18:19], v[26:27], v[16:17]
	v_add_f64 v[22:23], v[18:19], -v[26:27]
	v_ldexp_f64 v[8:9], v[8:9], 1
	v_add_f64 v[16:17], v[16:17], -v[22:23]
	v_add_f64 v[8:9], v[8:9], v[16:17]
	v_add_f64 v[16:17], v[18:19], v[8:9]
	v_add_f64 v[18:19], v[16:17], -v[18:19]
	v_add_f64 v[8:9], v[8:9], -v[18:19]
	v_add_f64 v[18:19], v[20:21], v[16:17]
	v_add_f64 v[22:23], v[18:19], -v[20:21]
	v_add_f64 v[26:27], v[18:19], -v[22:23]
	;; [unrolled: 1-line block ×4, first 2 shown]
	v_add_f64 v[16:17], v[16:17], v[20:21]
	v_add_f64 v[20:21], v[24:25], v[8:9]
	v_add_f64 v[22:23], v[20:21], -v[24:25]
	v_add_f64 v[16:17], v[20:21], v[16:17]
	v_add_f64 v[26:27], v[20:21], -v[22:23]
	;; [unrolled: 2-line block ×3, first 2 shown]
	v_add_f64 v[8:9], v[8:9], -v[22:23]
	v_add_f64 v[18:19], v[20:21], -v[18:19]
	v_add_f64 v[8:9], v[8:9], v[24:25]
	v_add_f64 v[16:17], v[16:17], -v[18:19]
	s_mov_b32 s14, 0
	v_add_f64 v[8:9], v[8:9], v[16:17]
	s_mov_b32 s15, 0x7ff00000
	v_add_f64 v[8:9], v[20:21], v[8:9]
	v_cmp_eq_f64_e32 vcc, s[14:15], v[6:7]
	v_mov_b32_e32 v16, 0x7ff80000
	s_nop 0
	v_cndmask_b32_e32 v8, v8, v6, vcc
	v_cndmask_b32_e32 v9, v9, v7, vcc
	v_cmp_ngt_f64_e32 vcc, -1.0, v[6:7]
	s_nop 1
	v_cndmask_b32_e32 v9, v16, v9, vcc
	v_cmp_nge_f64_e32 vcc, -1.0, v[6:7]
	v_mov_b32_e32 v16, 0xfff00000
	s_nop 0
	v_cndmask_b32_e32 v8, 0, v8, vcc
	v_cmp_neq_f64_e32 vcc, -1.0, v[6:7]
	s_nop 1
	v_cndmask_b32_e32 v9, v16, v9, vcc
	v_add_f64 v[144:145], v[4:5], v[8:9]
.LBB70_45:
	s_or_b64 exec, exec, s[16:17]
	v_max_f64 v[16:17], v[102:103], v[102:103]
	v_max_f64 v[4:5], v[144:145], v[144:145]
	v_min_f64 v[6:7], v[4:5], v[16:17]
	v_cmp_u_f64_e32 vcc, v[144:145], v[144:145]
	v_max_f64 v[4:5], v[4:5], v[16:17]
	v_cmp_u_f64_e64 s[14:15], v[102:103], v[102:103]
	v_cndmask_b32_e32 v6, v6, v144, vcc
	v_cndmask_b32_e32 v7, v7, v145, vcc
	;; [unrolled: 1-line block ×4, first 2 shown]
	v_cndmask_b32_e64 v7, v7, v103, s[14:15]
	v_cndmask_b32_e64 v6, v6, v102, s[14:15]
	;; [unrolled: 1-line block ×4, first 2 shown]
	s_movk_i32 s24, 0x1f8
	v_cmp_neq_f64_e32 vcc, v[6:7], v[4:5]
	v_cmp_class_f64_e64 s[16:17], v[6:7], s24
	s_or_b64 s[16:17], vcc, s[16:17]
	s_and_saveexec_b64 s[18:19], s[16:17]
	s_cbranch_execz .LBB70_47
; %bb.46:
	s_mov_b32 s16, 0x652b82fe
	v_add_f64 v[6:7], v[6:7], -v[4:5]
	s_mov_b32 s17, 0x3ff71547
	v_mul_f64 v[8:9], v[6:7], s[16:17]
	v_rndne_f64_e32 v[8:9], v[8:9]
	s_mov_b32 s21, 0xbfe62e42
	s_mov_b32 s20, 0xfefa39ef
	v_fma_f64 v[18:19], s[20:21], v[8:9], v[6:7]
	s_mov_b32 s23, 0xbc7abc9e
	s_mov_b32 s22, 0x3b39803f
	;; [unrolled: 1-line block ×3, first 2 shown]
	v_fmac_f64_e32 v[18:19], s[22:23], v[8:9]
	v_mov_b32_e32 v20, 0xfca7ab0c
	v_mov_b32_e32 v21, 0x3e928af3
	s_mov_b32 s17, 0x3e5ade15
	v_fmac_f64_e32 v[20:21], s[16:17], v[18:19]
	v_mov_b32_e32 v22, 0x623fde64
	v_mov_b32_e32 v23, 0x3ec71dee
	v_fmac_f64_e32 v[22:23], v[18:19], v[20:21]
	v_mov_b32_e32 v20, 0x7c89e6b0
	v_mov_b32_e32 v21, 0x3efa0199
	;; [unrolled: 3-line block ×8, first 2 shown]
	s_mov_b32 s16, 0
	v_fmac_f64_e32 v[20:21], v[18:19], v[22:23]
	s_mov_b32 s17, 0x40900000
	v_fma_f64 v[20:21], v[18:19], v[20:21], 1.0
	v_cmp_nlt_f64_e32 vcc, s[16:17], v[6:7]
	s_mov_b32 s16, 0
	v_fma_f64 v[18:19], v[18:19], v[20:21], 1.0
	v_cvt_i32_f64_e32 v8, v[8:9]
	s_mov_b32 s17, 0xc090cc00
	v_ldexp_f64 v[8:9], v[18:19], v8
	v_mov_b32_e32 v18, 0x7ff00000
	v_cmp_ngt_f64_e64 s[16:17], s[16:17], v[6:7]
	v_cndmask_b32_e32 v9, v18, v9, vcc
	s_and_b64 vcc, s[16:17], vcc
	v_cndmask_b32_e64 v7, 0, v9, s[16:17]
	v_cndmask_b32_e32 v6, 0, v8, vcc
	v_add_f64 v[8:9], v[6:7], 1.0
	v_add_f64 v[18:19], v[8:9], -1.0
	v_add_f64 v[20:21], v[18:19], -v[8:9]
	v_add_f64 v[20:21], v[20:21], 1.0
	v_add_f64 v[18:19], v[6:7], -v[18:19]
	s_mov_b32 s16, 0x55555555
	v_add_f64 v[18:19], v[18:19], v[20:21]
	v_frexp_mant_f64_e32 v[20:21], v[8:9]
	s_mov_b32 s17, 0x3fe55555
	v_frexp_exp_i32_f64_e32 v22, v[8:9]
	v_cmp_gt_f64_e32 vcc, s[16:17], v[20:21]
	s_mov_b32 s16, 0xbf559e2b
	s_mov_b32 s17, 0x3fc3ab76
	v_subbrev_co_u32_e32 v53, vcc, 0, v22, vcc
	v_sub_u32_e32 v20, 0, v53
	v_ldexp_f64 v[8:9], v[8:9], v20
	v_ldexp_f64 v[18:19], v[18:19], v20
	v_add_f64 v[20:21], v[8:9], -1.0
	v_add_f64 v[26:27], v[8:9], 1.0
	v_add_f64 v[22:23], v[20:21], 1.0
	v_add_f64 v[28:29], v[26:27], -1.0
	v_add_f64 v[22:23], v[8:9], -v[22:23]
	v_add_f64 v[8:9], v[8:9], -v[28:29]
	v_add_f64 v[8:9], v[18:19], v[8:9]
	v_add_f64 v[22:23], v[18:19], v[22:23]
	;; [unrolled: 1-line block ×3, first 2 shown]
	v_rcp_f64_e32 v[28:29], v[18:19]
	v_add_f64 v[24:25], v[20:21], v[22:23]
	v_add_f64 v[20:21], v[24:25], -v[20:21]
	v_add_f64 v[20:21], v[22:23], -v[20:21]
	;; [unrolled: 1-line block ×4, first 2 shown]
	v_fma_f64 v[22:23], -v[18:19], v[28:29], 1.0
	v_fmac_f64_e32 v[28:29], v[22:23], v[28:29]
	v_fma_f64 v[22:23], -v[18:19], v[28:29], 1.0
	v_fmac_f64_e32 v[28:29], v[22:23], v[28:29]
	v_mul_f64 v[22:23], v[24:25], v[28:29]
	v_mul_f64 v[26:27], v[18:19], v[22:23]
	v_fma_f64 v[30:31], v[22:23], v[18:19], -v[26:27]
	v_fmac_f64_e32 v[30:31], v[22:23], v[8:9]
	v_add_f64 v[32:33], v[26:27], v[30:31]
	v_add_f64 v[34:35], v[24:25], -v[32:33]
	v_add_f64 v[24:25], v[24:25], -v[34:35]
	v_add_f64 v[26:27], v[32:33], -v[26:27]
	v_add_f64 v[24:25], v[24:25], -v[32:33]
	v_add_f64 v[20:21], v[20:21], v[24:25]
	v_add_f64 v[24:25], v[26:27], -v[30:31]
	v_add_f64 v[20:21], v[24:25], v[20:21]
	v_add_f64 v[24:25], v[34:35], v[20:21]
	v_add_f64 v[26:27], v[34:35], -v[24:25]
	v_add_f64 v[20:21], v[20:21], v[26:27]
	v_mul_f64 v[26:27], v[28:29], v[24:25]
	v_mul_f64 v[30:31], v[18:19], v[26:27]
	v_fma_f64 v[18:19], v[26:27], v[18:19], -v[30:31]
	v_fmac_f64_e32 v[18:19], v[26:27], v[8:9]
	v_add_f64 v[8:9], v[30:31], v[18:19]
	v_add_f64 v[32:33], v[24:25], -v[8:9]
	v_add_f64 v[24:25], v[24:25], -v[32:33]
	;; [unrolled: 1-line block ×4, first 2 shown]
	v_add_f64 v[8:9], v[20:21], v[8:9]
	v_add_f64 v[18:19], v[30:31], -v[18:19]
	v_add_f64 v[8:9], v[18:19], v[8:9]
	v_add_f64 v[18:19], v[22:23], v[26:27]
	;; [unrolled: 1-line block ×3, first 2 shown]
	v_add_f64 v[20:21], v[18:19], -v[22:23]
	v_mul_f64 v[8:9], v[28:29], v[8:9]
	v_add_f64 v[20:21], v[26:27], -v[20:21]
	v_add_f64 v[8:9], v[20:21], v[8:9]
	v_add_f64 v[20:21], v[18:19], v[8:9]
	v_add_f64 v[18:19], v[20:21], -v[18:19]
	v_add_f64 v[8:9], v[8:9], -v[18:19]
	v_mul_f64 v[18:19], v[20:21], v[20:21]
	v_mov_b32_e32 v22, 0x6b47b09a
	v_mov_b32_e32 v23, 0x3fc38538
	v_fmac_f64_e32 v[22:23], s[16:17], v[18:19]
	v_mov_b32_e32 v24, 0xd7f4df2e
	v_mov_b32_e32 v25, 0x3fc7474d
	v_fmac_f64_e32 v[24:25], v[18:19], v[22:23]
	;; [unrolled: 3-line block ×6, first 2 shown]
	v_cvt_f64_i32_e32 v[22:23], v53
	s_mov_b32 s21, 0x3fe62e42
	v_mul_f64 v[26:27], v[22:23], s[20:21]
	v_fma_f64 v[28:29], v[22:23], s[20:21], -v[26:27]
	s_mov_b32 s23, 0x3c7abc9e
	v_fmac_f64_e32 v[28:29], s[22:23], v[22:23]
	v_add_f64 v[22:23], v[26:27], v[28:29]
	v_add_f64 v[26:27], v[22:23], -v[26:27]
	v_mul_f64 v[18:19], v[20:21], v[18:19]
	v_add_f64 v[26:27], v[28:29], -v[26:27]
	v_ldexp_f64 v[28:29], v[20:21], 1
	v_mul_f64 v[18:19], v[18:19], v[24:25]
	v_add_f64 v[20:21], v[28:29], v[18:19]
	v_add_f64 v[24:25], v[20:21], -v[28:29]
	v_ldexp_f64 v[8:9], v[8:9], 1
	v_add_f64 v[18:19], v[18:19], -v[24:25]
	v_add_f64 v[8:9], v[8:9], v[18:19]
	v_add_f64 v[18:19], v[20:21], v[8:9]
	v_add_f64 v[20:21], v[18:19], -v[20:21]
	v_add_f64 v[8:9], v[8:9], -v[20:21]
	v_add_f64 v[20:21], v[22:23], v[18:19]
	v_add_f64 v[24:25], v[20:21], -v[22:23]
	v_add_f64 v[28:29], v[20:21], -v[24:25]
	;; [unrolled: 1-line block ×4, first 2 shown]
	v_add_f64 v[18:19], v[18:19], v[22:23]
	v_add_f64 v[22:23], v[26:27], v[8:9]
	v_add_f64 v[24:25], v[22:23], -v[26:27]
	v_add_f64 v[18:19], v[22:23], v[18:19]
	v_add_f64 v[28:29], v[22:23], -v[24:25]
	;; [unrolled: 2-line block ×3, first 2 shown]
	v_add_f64 v[8:9], v[8:9], -v[24:25]
	v_add_f64 v[20:21], v[22:23], -v[20:21]
	v_add_f64 v[8:9], v[8:9], v[26:27]
	v_add_f64 v[18:19], v[18:19], -v[20:21]
	s_mov_b32 s16, 0
	v_add_f64 v[8:9], v[8:9], v[18:19]
	s_mov_b32 s17, 0x7ff00000
	v_add_f64 v[8:9], v[22:23], v[8:9]
	v_cmp_eq_f64_e32 vcc, s[16:17], v[6:7]
	v_mov_b32_e32 v18, 0x7ff80000
	s_nop 0
	v_cndmask_b32_e32 v8, v8, v6, vcc
	v_cndmask_b32_e32 v9, v9, v7, vcc
	v_cmp_ngt_f64_e32 vcc, -1.0, v[6:7]
	s_nop 1
	v_cndmask_b32_e32 v9, v18, v9, vcc
	v_cmp_nge_f64_e32 vcc, -1.0, v[6:7]
	v_mov_b32_e32 v18, 0xfff00000
	s_nop 0
	v_cndmask_b32_e32 v8, 0, v8, vcc
	v_cmp_neq_f64_e32 vcc, -1.0, v[6:7]
	s_nop 1
	v_cndmask_b32_e32 v9, v18, v9, vcc
	v_add_f64 v[144:145], v[4:5], v[8:9]
.LBB70_47:
	s_or_b64 exec, exec, s[18:19]
	v_max_f64 v[18:19], v[96:97], v[96:97]
	v_max_f64 v[4:5], v[144:145], v[144:145]
	v_min_f64 v[6:7], v[4:5], v[18:19]
	v_cmp_u_f64_e32 vcc, v[144:145], v[144:145]
	v_max_f64 v[4:5], v[4:5], v[18:19]
	v_cmp_u_f64_e64 s[16:17], v[96:97], v[96:97]
	v_cndmask_b32_e32 v6, v6, v144, vcc
	v_cndmask_b32_e32 v7, v7, v145, vcc
	;; [unrolled: 1-line block ×4, first 2 shown]
	v_cndmask_b32_e64 v7, v7, v97, s[16:17]
	v_cndmask_b32_e64 v6, v6, v96, s[16:17]
	;; [unrolled: 1-line block ×4, first 2 shown]
	v_cmp_neq_f64_e32 vcc, v[6:7], v[4:5]
	v_cmp_class_f64_e64 s[18:19], v[6:7], s24
	s_or_b64 s[18:19], vcc, s[18:19]
	s_and_saveexec_b64 s[20:21], s[18:19]
	s_cbranch_execz .LBB70_49
; %bb.48:
	s_mov_b32 s18, 0x652b82fe
	v_add_f64 v[6:7], v[6:7], -v[4:5]
	s_mov_b32 s19, 0x3ff71547
	v_mul_f64 v[8:9], v[6:7], s[18:19]
	v_rndne_f64_e32 v[8:9], v[8:9]
	s_mov_b32 s23, 0xbfe62e42
	s_mov_b32 s22, 0xfefa39ef
	v_fma_f64 v[20:21], s[22:23], v[8:9], v[6:7]
	s_mov_b32 s25, 0xbc7abc9e
	s_mov_b32 s24, 0x3b39803f
	;; [unrolled: 1-line block ×3, first 2 shown]
	v_fmac_f64_e32 v[20:21], s[24:25], v[8:9]
	v_mov_b32_e32 v22, 0xfca7ab0c
	v_mov_b32_e32 v23, 0x3e928af3
	s_mov_b32 s19, 0x3e5ade15
	v_fmac_f64_e32 v[22:23], s[18:19], v[20:21]
	v_mov_b32_e32 v24, 0x623fde64
	v_mov_b32_e32 v25, 0x3ec71dee
	v_fmac_f64_e32 v[24:25], v[20:21], v[22:23]
	v_mov_b32_e32 v22, 0x7c89e6b0
	v_mov_b32_e32 v23, 0x3efa0199
	v_fmac_f64_e32 v[22:23], v[20:21], v[24:25]
	v_mov_b32_e32 v24, 0x14761f6e
	v_mov_b32_e32 v25, 0x3f2a01a0
	v_fmac_f64_e32 v[24:25], v[20:21], v[22:23]
	v_mov_b32_e32 v22, 0x1852b7b0
	v_mov_b32_e32 v23, 0x3f56c16c
	v_fmac_f64_e32 v[22:23], v[20:21], v[24:25]
	v_mov_b32_e32 v24, 0x11122322
	v_mov_b32_e32 v25, 0x3f811111
	v_fmac_f64_e32 v[24:25], v[20:21], v[22:23]
	v_mov_b32_e32 v22, 0x555502a1
	v_mov_b32_e32 v23, 0x3fa55555
	v_fmac_f64_e32 v[22:23], v[20:21], v[24:25]
	v_mov_b32_e32 v24, 0x55555511
	v_mov_b32_e32 v25, 0x3fc55555
	v_fmac_f64_e32 v[24:25], v[20:21], v[22:23]
	v_mov_b32_e32 v22, 11
	v_mov_b32_e32 v23, 0x3fe00000
	s_mov_b32 s18, 0
	v_fmac_f64_e32 v[22:23], v[20:21], v[24:25]
	s_mov_b32 s19, 0x40900000
	v_fma_f64 v[22:23], v[20:21], v[22:23], 1.0
	v_cmp_nlt_f64_e32 vcc, s[18:19], v[6:7]
	s_mov_b32 s18, 0
	v_fma_f64 v[20:21], v[20:21], v[22:23], 1.0
	v_cvt_i32_f64_e32 v8, v[8:9]
	s_mov_b32 s19, 0xc090cc00
	v_ldexp_f64 v[8:9], v[20:21], v8
	v_mov_b32_e32 v20, 0x7ff00000
	v_cmp_ngt_f64_e64 s[18:19], s[18:19], v[6:7]
	v_cndmask_b32_e32 v9, v20, v9, vcc
	s_and_b64 vcc, s[18:19], vcc
	v_cndmask_b32_e64 v7, 0, v9, s[18:19]
	v_cndmask_b32_e32 v6, 0, v8, vcc
	v_add_f64 v[8:9], v[6:7], 1.0
	v_add_f64 v[20:21], v[8:9], -1.0
	v_add_f64 v[22:23], v[20:21], -v[8:9]
	v_add_f64 v[22:23], v[22:23], 1.0
	v_add_f64 v[20:21], v[6:7], -v[20:21]
	s_mov_b32 s18, 0x55555555
	v_add_f64 v[20:21], v[20:21], v[22:23]
	v_frexp_mant_f64_e32 v[22:23], v[8:9]
	s_mov_b32 s19, 0x3fe55555
	v_frexp_exp_i32_f64_e32 v24, v[8:9]
	v_cmp_gt_f64_e32 vcc, s[18:19], v[22:23]
	s_mov_b32 s18, 0xbf559e2b
	s_mov_b32 s19, 0x3fc3ab76
	v_subbrev_co_u32_e32 v53, vcc, 0, v24, vcc
	v_sub_u32_e32 v22, 0, v53
	v_ldexp_f64 v[8:9], v[8:9], v22
	v_ldexp_f64 v[20:21], v[20:21], v22
	v_add_f64 v[22:23], v[8:9], -1.0
	v_add_f64 v[28:29], v[8:9], 1.0
	v_add_f64 v[24:25], v[22:23], 1.0
	v_add_f64 v[30:31], v[28:29], -1.0
	v_add_f64 v[24:25], v[8:9], -v[24:25]
	v_add_f64 v[8:9], v[8:9], -v[30:31]
	v_add_f64 v[8:9], v[20:21], v[8:9]
	v_add_f64 v[24:25], v[20:21], v[24:25]
	;; [unrolled: 1-line block ×3, first 2 shown]
	v_rcp_f64_e32 v[30:31], v[20:21]
	v_add_f64 v[26:27], v[22:23], v[24:25]
	v_add_f64 v[22:23], v[26:27], -v[22:23]
	v_add_f64 v[22:23], v[24:25], -v[22:23]
	;; [unrolled: 1-line block ×4, first 2 shown]
	v_fma_f64 v[24:25], -v[20:21], v[30:31], 1.0
	v_fmac_f64_e32 v[30:31], v[24:25], v[30:31]
	v_fma_f64 v[24:25], -v[20:21], v[30:31], 1.0
	v_fmac_f64_e32 v[30:31], v[24:25], v[30:31]
	v_mul_f64 v[24:25], v[26:27], v[30:31]
	v_mul_f64 v[28:29], v[20:21], v[24:25]
	v_fma_f64 v[32:33], v[24:25], v[20:21], -v[28:29]
	v_fmac_f64_e32 v[32:33], v[24:25], v[8:9]
	v_add_f64 v[34:35], v[28:29], v[32:33]
	v_add_f64 v[144:145], v[26:27], -v[34:35]
	v_add_f64 v[26:27], v[26:27], -v[144:145]
	;; [unrolled: 1-line block ×4, first 2 shown]
	v_add_f64 v[22:23], v[22:23], v[26:27]
	v_add_f64 v[26:27], v[28:29], -v[32:33]
	v_add_f64 v[22:23], v[26:27], v[22:23]
	v_add_f64 v[26:27], v[144:145], v[22:23]
	v_add_f64 v[28:29], v[144:145], -v[26:27]
	v_add_f64 v[22:23], v[22:23], v[28:29]
	v_mul_f64 v[28:29], v[30:31], v[26:27]
	v_mul_f64 v[32:33], v[20:21], v[28:29]
	v_fma_f64 v[20:21], v[28:29], v[20:21], -v[32:33]
	v_fmac_f64_e32 v[20:21], v[28:29], v[8:9]
	v_add_f64 v[8:9], v[32:33], v[20:21]
	v_add_f64 v[34:35], v[26:27], -v[8:9]
	v_add_f64 v[26:27], v[26:27], -v[34:35]
	;; [unrolled: 1-line block ×4, first 2 shown]
	v_add_f64 v[8:9], v[22:23], v[8:9]
	v_add_f64 v[20:21], v[32:33], -v[20:21]
	v_add_f64 v[8:9], v[20:21], v[8:9]
	v_add_f64 v[20:21], v[24:25], v[28:29]
	;; [unrolled: 1-line block ×3, first 2 shown]
	v_add_f64 v[22:23], v[20:21], -v[24:25]
	v_mul_f64 v[8:9], v[30:31], v[8:9]
	v_add_f64 v[22:23], v[28:29], -v[22:23]
	v_add_f64 v[8:9], v[22:23], v[8:9]
	v_add_f64 v[22:23], v[20:21], v[8:9]
	v_add_f64 v[20:21], v[22:23], -v[20:21]
	v_add_f64 v[8:9], v[8:9], -v[20:21]
	v_mul_f64 v[20:21], v[22:23], v[22:23]
	v_mov_b32_e32 v24, 0x6b47b09a
	v_mov_b32_e32 v25, 0x3fc38538
	v_fmac_f64_e32 v[24:25], s[18:19], v[20:21]
	v_mov_b32_e32 v26, 0xd7f4df2e
	v_mov_b32_e32 v27, 0x3fc7474d
	v_fmac_f64_e32 v[26:27], v[20:21], v[24:25]
	;; [unrolled: 3-line block ×6, first 2 shown]
	v_cvt_f64_i32_e32 v[24:25], v53
	s_mov_b32 s23, 0x3fe62e42
	v_mul_f64 v[28:29], v[24:25], s[22:23]
	v_fma_f64 v[30:31], v[24:25], s[22:23], -v[28:29]
	s_mov_b32 s25, 0x3c7abc9e
	v_fmac_f64_e32 v[30:31], s[24:25], v[24:25]
	v_add_f64 v[24:25], v[28:29], v[30:31]
	v_add_f64 v[28:29], v[24:25], -v[28:29]
	v_mul_f64 v[20:21], v[22:23], v[20:21]
	v_add_f64 v[28:29], v[30:31], -v[28:29]
	v_ldexp_f64 v[30:31], v[22:23], 1
	v_mul_f64 v[20:21], v[20:21], v[26:27]
	v_add_f64 v[22:23], v[30:31], v[20:21]
	v_add_f64 v[26:27], v[22:23], -v[30:31]
	v_ldexp_f64 v[8:9], v[8:9], 1
	v_add_f64 v[20:21], v[20:21], -v[26:27]
	v_add_f64 v[8:9], v[8:9], v[20:21]
	v_add_f64 v[20:21], v[22:23], v[8:9]
	v_add_f64 v[22:23], v[20:21], -v[22:23]
	v_add_f64 v[8:9], v[8:9], -v[22:23]
	v_add_f64 v[22:23], v[24:25], v[20:21]
	v_add_f64 v[26:27], v[22:23], -v[24:25]
	v_add_f64 v[30:31], v[22:23], -v[26:27]
	;; [unrolled: 1-line block ×4, first 2 shown]
	v_add_f64 v[20:21], v[20:21], v[24:25]
	v_add_f64 v[24:25], v[28:29], v[8:9]
	v_add_f64 v[26:27], v[24:25], -v[28:29]
	v_add_f64 v[20:21], v[24:25], v[20:21]
	v_add_f64 v[30:31], v[24:25], -v[26:27]
	;; [unrolled: 2-line block ×3, first 2 shown]
	v_add_f64 v[8:9], v[8:9], -v[26:27]
	v_add_f64 v[22:23], v[24:25], -v[22:23]
	v_add_f64 v[8:9], v[8:9], v[28:29]
	v_add_f64 v[20:21], v[20:21], -v[22:23]
	s_mov_b32 s18, 0
	v_add_f64 v[8:9], v[8:9], v[20:21]
	s_mov_b32 s19, 0x7ff00000
	v_add_f64 v[8:9], v[24:25], v[8:9]
	v_cmp_eq_f64_e32 vcc, s[18:19], v[6:7]
	v_mov_b32_e32 v20, 0x7ff80000
	s_nop 0
	v_cndmask_b32_e32 v8, v8, v6, vcc
	v_cndmask_b32_e32 v9, v9, v7, vcc
	v_cmp_ngt_f64_e32 vcc, -1.0, v[6:7]
	s_nop 1
	v_cndmask_b32_e32 v9, v20, v9, vcc
	v_cmp_nge_f64_e32 vcc, -1.0, v[6:7]
	v_mov_b32_e32 v20, 0xfff00000
	s_nop 0
	v_cndmask_b32_e32 v8, 0, v8, vcc
	v_cmp_neq_f64_e32 vcc, -1.0, v[6:7]
	s_nop 1
	v_cndmask_b32_e32 v9, v20, v9, vcc
	v_add_f64 v[144:145], v[4:5], v[8:9]
.LBB70_49:
	s_or_b64 exec, exec, s[20:21]
	v_max_f64 v[20:21], v[98:99], v[98:99]
	v_max_f64 v[4:5], v[144:145], v[144:145]
	v_min_f64 v[6:7], v[4:5], v[20:21]
	v_cmp_u_f64_e32 vcc, v[144:145], v[144:145]
	v_max_f64 v[4:5], v[4:5], v[20:21]
	v_cmp_u_f64_e64 s[18:19], v[98:99], v[98:99]
	v_cndmask_b32_e32 v6, v6, v144, vcc
	v_cndmask_b32_e32 v7, v7, v145, vcc
	;; [unrolled: 1-line block ×4, first 2 shown]
	v_cndmask_b32_e64 v7, v7, v99, s[18:19]
	v_cndmask_b32_e64 v6, v6, v98, s[18:19]
	;; [unrolled: 1-line block ×4, first 2 shown]
	s_movk_i32 s28, 0x1f8
	v_cmp_neq_f64_e32 vcc, v[6:7], v[4:5]
	v_cmp_class_f64_e64 s[20:21], v[6:7], s28
	s_or_b64 s[20:21], vcc, s[20:21]
	s_and_saveexec_b64 s[22:23], s[20:21]
	s_cbranch_execz .LBB70_51
; %bb.50:
	s_mov_b32 s20, 0x652b82fe
	v_add_f64 v[6:7], v[6:7], -v[4:5]
	s_mov_b32 s21, 0x3ff71547
	v_mul_f64 v[8:9], v[6:7], s[20:21]
	v_rndne_f64_e32 v[8:9], v[8:9]
	s_mov_b32 s25, 0xbfe62e42
	s_mov_b32 s24, 0xfefa39ef
	v_fma_f64 v[22:23], s[24:25], v[8:9], v[6:7]
	s_mov_b32 s27, 0xbc7abc9e
	s_mov_b32 s26, 0x3b39803f
	;; [unrolled: 1-line block ×3, first 2 shown]
	v_fmac_f64_e32 v[22:23], s[26:27], v[8:9]
	v_mov_b32_e32 v24, 0xfca7ab0c
	v_mov_b32_e32 v25, 0x3e928af3
	s_mov_b32 s21, 0x3e5ade15
	v_fmac_f64_e32 v[24:25], s[20:21], v[22:23]
	v_mov_b32_e32 v26, 0x623fde64
	v_mov_b32_e32 v27, 0x3ec71dee
	v_fmac_f64_e32 v[26:27], v[22:23], v[24:25]
	v_mov_b32_e32 v24, 0x7c89e6b0
	v_mov_b32_e32 v25, 0x3efa0199
	;; [unrolled: 3-line block ×8, first 2 shown]
	s_mov_b32 s20, 0
	v_fmac_f64_e32 v[24:25], v[22:23], v[26:27]
	s_mov_b32 s21, 0x40900000
	v_fma_f64 v[24:25], v[22:23], v[24:25], 1.0
	v_cmp_nlt_f64_e32 vcc, s[20:21], v[6:7]
	s_mov_b32 s20, 0
	v_fma_f64 v[22:23], v[22:23], v[24:25], 1.0
	v_cvt_i32_f64_e32 v8, v[8:9]
	s_mov_b32 s21, 0xc090cc00
	v_ldexp_f64 v[8:9], v[22:23], v8
	v_mov_b32_e32 v22, 0x7ff00000
	v_cmp_ngt_f64_e64 s[20:21], s[20:21], v[6:7]
	v_cndmask_b32_e32 v9, v22, v9, vcc
	s_and_b64 vcc, s[20:21], vcc
	v_cndmask_b32_e64 v7, 0, v9, s[20:21]
	v_cndmask_b32_e32 v6, 0, v8, vcc
	v_add_f64 v[8:9], v[6:7], 1.0
	v_add_f64 v[22:23], v[8:9], -1.0
	v_add_f64 v[24:25], v[22:23], -v[8:9]
	v_add_f64 v[24:25], v[24:25], 1.0
	v_add_f64 v[22:23], v[6:7], -v[22:23]
	s_mov_b32 s20, 0x55555555
	v_add_f64 v[22:23], v[22:23], v[24:25]
	v_frexp_mant_f64_e32 v[24:25], v[8:9]
	s_mov_b32 s21, 0x3fe55555
	v_frexp_exp_i32_f64_e32 v26, v[8:9]
	v_cmp_gt_f64_e32 vcc, s[20:21], v[24:25]
	s_mov_b32 s20, 0xbf559e2b
	s_mov_b32 s21, 0x3fc3ab76
	v_subbrev_co_u32_e32 v53, vcc, 0, v26, vcc
	v_sub_u32_e32 v24, 0, v53
	v_ldexp_f64 v[8:9], v[8:9], v24
	v_ldexp_f64 v[22:23], v[22:23], v24
	v_add_f64 v[24:25], v[8:9], -1.0
	v_add_f64 v[30:31], v[8:9], 1.0
	v_add_f64 v[26:27], v[24:25], 1.0
	v_add_f64 v[32:33], v[30:31], -1.0
	v_add_f64 v[26:27], v[8:9], -v[26:27]
	v_add_f64 v[8:9], v[8:9], -v[32:33]
	v_add_f64 v[8:9], v[22:23], v[8:9]
	v_add_f64 v[26:27], v[22:23], v[26:27]
	;; [unrolled: 1-line block ×3, first 2 shown]
	v_rcp_f64_e32 v[32:33], v[22:23]
	v_add_f64 v[28:29], v[24:25], v[26:27]
	v_add_f64 v[24:25], v[28:29], -v[24:25]
	v_add_f64 v[24:25], v[26:27], -v[24:25]
	;; [unrolled: 1-line block ×4, first 2 shown]
	v_fma_f64 v[26:27], -v[22:23], v[32:33], 1.0
	v_fmac_f64_e32 v[32:33], v[26:27], v[32:33]
	v_fma_f64 v[26:27], -v[22:23], v[32:33], 1.0
	v_fmac_f64_e32 v[32:33], v[26:27], v[32:33]
	v_mul_f64 v[26:27], v[28:29], v[32:33]
	v_mul_f64 v[30:31], v[22:23], v[26:27]
	v_fma_f64 v[34:35], v[26:27], v[22:23], -v[30:31]
	v_fmac_f64_e32 v[34:35], v[26:27], v[8:9]
	v_add_f64 v[144:145], v[30:31], v[34:35]
	v_add_f64 v[146:147], v[28:29], -v[144:145]
	v_add_f64 v[28:29], v[28:29], -v[146:147]
	;; [unrolled: 1-line block ×4, first 2 shown]
	v_add_f64 v[24:25], v[24:25], v[28:29]
	v_add_f64 v[28:29], v[30:31], -v[34:35]
	v_add_f64 v[24:25], v[28:29], v[24:25]
	v_add_f64 v[28:29], v[146:147], v[24:25]
	v_add_f64 v[30:31], v[146:147], -v[28:29]
	v_add_f64 v[24:25], v[24:25], v[30:31]
	v_mul_f64 v[30:31], v[32:33], v[28:29]
	v_mul_f64 v[34:35], v[22:23], v[30:31]
	v_fma_f64 v[22:23], v[30:31], v[22:23], -v[34:35]
	v_fmac_f64_e32 v[22:23], v[30:31], v[8:9]
	v_add_f64 v[8:9], v[34:35], v[22:23]
	v_add_f64 v[144:145], v[28:29], -v[8:9]
	v_add_f64 v[28:29], v[28:29], -v[144:145]
	v_add_f64 v[34:35], v[8:9], -v[34:35]
	v_add_f64 v[8:9], v[28:29], -v[8:9]
	v_add_f64 v[8:9], v[24:25], v[8:9]
	v_add_f64 v[22:23], v[34:35], -v[22:23]
	v_add_f64 v[8:9], v[22:23], v[8:9]
	v_add_f64 v[22:23], v[26:27], v[30:31]
	;; [unrolled: 1-line block ×3, first 2 shown]
	v_add_f64 v[24:25], v[22:23], -v[26:27]
	v_mul_f64 v[8:9], v[32:33], v[8:9]
	v_add_f64 v[24:25], v[30:31], -v[24:25]
	v_add_f64 v[8:9], v[24:25], v[8:9]
	v_add_f64 v[24:25], v[22:23], v[8:9]
	v_add_f64 v[22:23], v[24:25], -v[22:23]
	v_add_f64 v[8:9], v[8:9], -v[22:23]
	v_mul_f64 v[22:23], v[24:25], v[24:25]
	v_mov_b32_e32 v26, 0x6b47b09a
	v_mov_b32_e32 v27, 0x3fc38538
	v_fmac_f64_e32 v[26:27], s[20:21], v[22:23]
	v_mov_b32_e32 v28, 0xd7f4df2e
	v_mov_b32_e32 v29, 0x3fc7474d
	v_fmac_f64_e32 v[28:29], v[22:23], v[26:27]
	;; [unrolled: 3-line block ×6, first 2 shown]
	v_cvt_f64_i32_e32 v[26:27], v53
	s_mov_b32 s25, 0x3fe62e42
	v_mul_f64 v[30:31], v[26:27], s[24:25]
	v_fma_f64 v[32:33], v[26:27], s[24:25], -v[30:31]
	s_mov_b32 s27, 0x3c7abc9e
	v_fmac_f64_e32 v[32:33], s[26:27], v[26:27]
	v_add_f64 v[26:27], v[30:31], v[32:33]
	v_add_f64 v[30:31], v[26:27], -v[30:31]
	v_mul_f64 v[22:23], v[24:25], v[22:23]
	v_add_f64 v[30:31], v[32:33], -v[30:31]
	v_ldexp_f64 v[32:33], v[24:25], 1
	v_mul_f64 v[22:23], v[22:23], v[28:29]
	v_add_f64 v[24:25], v[32:33], v[22:23]
	v_add_f64 v[28:29], v[24:25], -v[32:33]
	v_ldexp_f64 v[8:9], v[8:9], 1
	v_add_f64 v[22:23], v[22:23], -v[28:29]
	v_add_f64 v[8:9], v[8:9], v[22:23]
	v_add_f64 v[22:23], v[24:25], v[8:9]
	v_add_f64 v[24:25], v[22:23], -v[24:25]
	v_add_f64 v[8:9], v[8:9], -v[24:25]
	v_add_f64 v[24:25], v[26:27], v[22:23]
	v_add_f64 v[28:29], v[24:25], -v[26:27]
	v_add_f64 v[32:33], v[24:25], -v[28:29]
	;; [unrolled: 1-line block ×4, first 2 shown]
	v_add_f64 v[22:23], v[22:23], v[26:27]
	v_add_f64 v[26:27], v[30:31], v[8:9]
	v_add_f64 v[28:29], v[26:27], -v[30:31]
	v_add_f64 v[22:23], v[26:27], v[22:23]
	v_add_f64 v[32:33], v[26:27], -v[28:29]
	;; [unrolled: 2-line block ×3, first 2 shown]
	v_add_f64 v[8:9], v[8:9], -v[28:29]
	v_add_f64 v[24:25], v[26:27], -v[24:25]
	v_add_f64 v[8:9], v[8:9], v[30:31]
	v_add_f64 v[22:23], v[22:23], -v[24:25]
	s_mov_b32 s20, 0
	v_add_f64 v[8:9], v[8:9], v[22:23]
	s_mov_b32 s21, 0x7ff00000
	v_add_f64 v[8:9], v[26:27], v[8:9]
	v_cmp_eq_f64_e32 vcc, s[20:21], v[6:7]
	v_mov_b32_e32 v22, 0x7ff80000
	s_nop 0
	v_cndmask_b32_e32 v8, v8, v6, vcc
	v_cndmask_b32_e32 v9, v9, v7, vcc
	v_cmp_ngt_f64_e32 vcc, -1.0, v[6:7]
	s_nop 1
	v_cndmask_b32_e32 v9, v22, v9, vcc
	v_cmp_nge_f64_e32 vcc, -1.0, v[6:7]
	v_mov_b32_e32 v22, 0xfff00000
	s_nop 0
	v_cndmask_b32_e32 v8, 0, v8, vcc
	v_cmp_neq_f64_e32 vcc, -1.0, v[6:7]
	s_nop 1
	v_cndmask_b32_e32 v9, v22, v9, vcc
	v_add_f64 v[144:145], v[4:5], v[8:9]
.LBB70_51:
	s_or_b64 exec, exec, s[22:23]
	v_max_f64 v[22:23], v[84:85], v[84:85]
	v_max_f64 v[4:5], v[144:145], v[144:145]
	v_min_f64 v[6:7], v[4:5], v[22:23]
	v_cmp_u_f64_e32 vcc, v[144:145], v[144:145]
	v_max_f64 v[4:5], v[4:5], v[22:23]
	v_cmp_u_f64_e64 s[20:21], v[84:85], v[84:85]
	v_cndmask_b32_e32 v6, v6, v144, vcc
	v_cndmask_b32_e32 v7, v7, v145, vcc
	;; [unrolled: 1-line block ×4, first 2 shown]
	v_cndmask_b32_e64 v7, v7, v85, s[20:21]
	v_cndmask_b32_e64 v6, v6, v84, s[20:21]
	;; [unrolled: 1-line block ×4, first 2 shown]
	v_cmp_neq_f64_e32 vcc, v[6:7], v[4:5]
	v_cmp_class_f64_e64 s[22:23], v[6:7], s28
	s_or_b64 s[22:23], vcc, s[22:23]
	s_and_saveexec_b64 s[24:25], s[22:23]
	s_cbranch_execz .LBB70_53
; %bb.52:
	s_mov_b32 s22, 0x652b82fe
	v_add_f64 v[6:7], v[6:7], -v[4:5]
	s_mov_b32 s23, 0x3ff71547
	v_mul_f64 v[8:9], v[6:7], s[22:23]
	v_rndne_f64_e32 v[8:9], v[8:9]
	s_mov_b32 s27, 0xbfe62e42
	s_mov_b32 s26, 0xfefa39ef
	v_fma_f64 v[24:25], s[26:27], v[8:9], v[6:7]
	s_mov_b32 s29, 0xbc7abc9e
	s_mov_b32 s28, 0x3b39803f
	;; [unrolled: 1-line block ×3, first 2 shown]
	v_fmac_f64_e32 v[24:25], s[28:29], v[8:9]
	v_mov_b32_e32 v26, 0xfca7ab0c
	v_mov_b32_e32 v27, 0x3e928af3
	s_mov_b32 s23, 0x3e5ade15
	v_fmac_f64_e32 v[26:27], s[22:23], v[24:25]
	v_mov_b32_e32 v28, 0x623fde64
	v_mov_b32_e32 v29, 0x3ec71dee
	v_fmac_f64_e32 v[28:29], v[24:25], v[26:27]
	v_mov_b32_e32 v26, 0x7c89e6b0
	v_mov_b32_e32 v27, 0x3efa0199
	;; [unrolled: 3-line block ×8, first 2 shown]
	s_mov_b32 s22, 0
	v_fmac_f64_e32 v[26:27], v[24:25], v[28:29]
	s_mov_b32 s23, 0x40900000
	v_fma_f64 v[26:27], v[24:25], v[26:27], 1.0
	v_cmp_nlt_f64_e32 vcc, s[22:23], v[6:7]
	s_mov_b32 s22, 0
	v_fma_f64 v[24:25], v[24:25], v[26:27], 1.0
	v_cvt_i32_f64_e32 v8, v[8:9]
	s_mov_b32 s23, 0xc090cc00
	v_ldexp_f64 v[8:9], v[24:25], v8
	v_mov_b32_e32 v24, 0x7ff00000
	v_cmp_ngt_f64_e64 s[22:23], s[22:23], v[6:7]
	v_cndmask_b32_e32 v9, v24, v9, vcc
	s_and_b64 vcc, s[22:23], vcc
	v_cndmask_b32_e64 v7, 0, v9, s[22:23]
	v_cndmask_b32_e32 v6, 0, v8, vcc
	v_add_f64 v[8:9], v[6:7], 1.0
	v_add_f64 v[24:25], v[8:9], -1.0
	v_add_f64 v[26:27], v[24:25], -v[8:9]
	v_add_f64 v[26:27], v[26:27], 1.0
	v_add_f64 v[24:25], v[6:7], -v[24:25]
	s_mov_b32 s22, 0x55555555
	v_add_f64 v[24:25], v[24:25], v[26:27]
	v_frexp_mant_f64_e32 v[26:27], v[8:9]
	s_mov_b32 s23, 0x3fe55555
	v_frexp_exp_i32_f64_e32 v28, v[8:9]
	v_cmp_gt_f64_e32 vcc, s[22:23], v[26:27]
	s_mov_b32 s22, 0xbf559e2b
	s_mov_b32 s23, 0x3fc3ab76
	v_subbrev_co_u32_e32 v53, vcc, 0, v28, vcc
	v_sub_u32_e32 v26, 0, v53
	v_ldexp_f64 v[8:9], v[8:9], v26
	v_ldexp_f64 v[24:25], v[24:25], v26
	v_add_f64 v[26:27], v[8:9], -1.0
	v_add_f64 v[32:33], v[8:9], 1.0
	v_add_f64 v[28:29], v[26:27], 1.0
	v_add_f64 v[34:35], v[32:33], -1.0
	v_add_f64 v[28:29], v[8:9], -v[28:29]
	v_add_f64 v[8:9], v[8:9], -v[34:35]
	v_add_f64 v[8:9], v[24:25], v[8:9]
	v_add_f64 v[28:29], v[24:25], v[28:29]
	;; [unrolled: 1-line block ×3, first 2 shown]
	v_rcp_f64_e32 v[34:35], v[24:25]
	v_add_f64 v[30:31], v[26:27], v[28:29]
	v_add_f64 v[26:27], v[30:31], -v[26:27]
	v_add_f64 v[26:27], v[28:29], -v[26:27]
	v_add_f64 v[28:29], v[24:25], -v[32:33]
	v_add_f64 v[8:9], v[8:9], -v[28:29]
	v_fma_f64 v[28:29], -v[24:25], v[34:35], 1.0
	v_fmac_f64_e32 v[34:35], v[28:29], v[34:35]
	v_fma_f64 v[28:29], -v[24:25], v[34:35], 1.0
	v_fmac_f64_e32 v[34:35], v[28:29], v[34:35]
	v_mul_f64 v[28:29], v[30:31], v[34:35]
	v_mul_f64 v[32:33], v[24:25], v[28:29]
	v_fma_f64 v[144:145], v[28:29], v[24:25], -v[32:33]
	v_fmac_f64_e32 v[144:145], v[28:29], v[8:9]
	v_add_f64 v[146:147], v[32:33], v[144:145]
	v_add_f64 v[148:149], v[30:31], -v[146:147]
	v_add_f64 v[30:31], v[30:31], -v[148:149]
	;; [unrolled: 1-line block ×4, first 2 shown]
	v_add_f64 v[26:27], v[26:27], v[30:31]
	v_add_f64 v[30:31], v[32:33], -v[144:145]
	v_add_f64 v[26:27], v[30:31], v[26:27]
	v_add_f64 v[30:31], v[148:149], v[26:27]
	v_add_f64 v[32:33], v[148:149], -v[30:31]
	v_add_f64 v[26:27], v[26:27], v[32:33]
	v_mul_f64 v[32:33], v[34:35], v[30:31]
	v_mul_f64 v[144:145], v[24:25], v[32:33]
	v_fma_f64 v[24:25], v[32:33], v[24:25], -v[144:145]
	v_fmac_f64_e32 v[24:25], v[32:33], v[8:9]
	v_add_f64 v[8:9], v[144:145], v[24:25]
	v_add_f64 v[146:147], v[30:31], -v[8:9]
	v_add_f64 v[30:31], v[30:31], -v[146:147]
	;; [unrolled: 1-line block ×4, first 2 shown]
	v_add_f64 v[8:9], v[26:27], v[8:9]
	v_add_f64 v[24:25], v[144:145], -v[24:25]
	v_add_f64 v[8:9], v[24:25], v[8:9]
	v_add_f64 v[24:25], v[28:29], v[32:33]
	;; [unrolled: 1-line block ×3, first 2 shown]
	v_add_f64 v[26:27], v[24:25], -v[28:29]
	v_mul_f64 v[8:9], v[34:35], v[8:9]
	v_add_f64 v[26:27], v[32:33], -v[26:27]
	v_add_f64 v[8:9], v[26:27], v[8:9]
	v_add_f64 v[26:27], v[24:25], v[8:9]
	v_add_f64 v[24:25], v[26:27], -v[24:25]
	v_add_f64 v[8:9], v[8:9], -v[24:25]
	v_mul_f64 v[24:25], v[26:27], v[26:27]
	v_mov_b32_e32 v28, 0x6b47b09a
	v_mov_b32_e32 v29, 0x3fc38538
	v_fmac_f64_e32 v[28:29], s[22:23], v[24:25]
	v_mov_b32_e32 v30, 0xd7f4df2e
	v_mov_b32_e32 v31, 0x3fc7474d
	v_fmac_f64_e32 v[30:31], v[24:25], v[28:29]
	;; [unrolled: 3-line block ×6, first 2 shown]
	v_cvt_f64_i32_e32 v[28:29], v53
	s_mov_b32 s27, 0x3fe62e42
	v_mul_f64 v[32:33], v[28:29], s[26:27]
	v_fma_f64 v[34:35], v[28:29], s[26:27], -v[32:33]
	s_mov_b32 s29, 0x3c7abc9e
	v_fmac_f64_e32 v[34:35], s[28:29], v[28:29]
	v_add_f64 v[28:29], v[32:33], v[34:35]
	v_add_f64 v[32:33], v[28:29], -v[32:33]
	v_mul_f64 v[24:25], v[26:27], v[24:25]
	v_add_f64 v[32:33], v[34:35], -v[32:33]
	v_ldexp_f64 v[34:35], v[26:27], 1
	v_mul_f64 v[24:25], v[24:25], v[30:31]
	v_add_f64 v[26:27], v[34:35], v[24:25]
	v_add_f64 v[30:31], v[26:27], -v[34:35]
	v_ldexp_f64 v[8:9], v[8:9], 1
	v_add_f64 v[24:25], v[24:25], -v[30:31]
	v_add_f64 v[8:9], v[8:9], v[24:25]
	v_add_f64 v[24:25], v[26:27], v[8:9]
	v_add_f64 v[26:27], v[24:25], -v[26:27]
	v_add_f64 v[8:9], v[8:9], -v[26:27]
	v_add_f64 v[26:27], v[28:29], v[24:25]
	v_add_f64 v[30:31], v[26:27], -v[28:29]
	v_add_f64 v[34:35], v[26:27], -v[30:31]
	;; [unrolled: 1-line block ×4, first 2 shown]
	v_add_f64 v[24:25], v[24:25], v[28:29]
	v_add_f64 v[28:29], v[32:33], v[8:9]
	v_add_f64 v[30:31], v[28:29], -v[32:33]
	v_add_f64 v[24:25], v[28:29], v[24:25]
	v_add_f64 v[34:35], v[28:29], -v[30:31]
	;; [unrolled: 2-line block ×3, first 2 shown]
	v_add_f64 v[8:9], v[8:9], -v[30:31]
	v_add_f64 v[26:27], v[28:29], -v[26:27]
	v_add_f64 v[8:9], v[8:9], v[32:33]
	v_add_f64 v[24:25], v[24:25], -v[26:27]
	s_mov_b32 s22, 0
	v_add_f64 v[8:9], v[8:9], v[24:25]
	s_mov_b32 s23, 0x7ff00000
	v_add_f64 v[8:9], v[28:29], v[8:9]
	v_cmp_eq_f64_e32 vcc, s[22:23], v[6:7]
	v_mov_b32_e32 v24, 0x7ff80000
	s_nop 0
	v_cndmask_b32_e32 v8, v8, v6, vcc
	v_cndmask_b32_e32 v9, v9, v7, vcc
	v_cmp_ngt_f64_e32 vcc, -1.0, v[6:7]
	s_nop 1
	v_cndmask_b32_e32 v9, v24, v9, vcc
	v_cmp_nge_f64_e32 vcc, -1.0, v[6:7]
	v_mov_b32_e32 v24, 0xfff00000
	s_nop 0
	v_cndmask_b32_e32 v8, 0, v8, vcc
	v_cmp_neq_f64_e32 vcc, -1.0, v[6:7]
	s_nop 1
	v_cndmask_b32_e32 v9, v24, v9, vcc
	v_add_f64 v[144:145], v[4:5], v[8:9]
.LBB70_53:
	s_or_b64 exec, exec, s[24:25]
	v_max_f64 v[24:25], v[86:87], v[86:87]
	v_max_f64 v[4:5], v[144:145], v[144:145]
	v_min_f64 v[6:7], v[4:5], v[24:25]
	v_cmp_u_f64_e32 vcc, v[144:145], v[144:145]
	v_max_f64 v[4:5], v[4:5], v[24:25]
	v_cmp_u_f64_e64 s[22:23], v[86:87], v[86:87]
	v_cndmask_b32_e32 v6, v6, v144, vcc
	v_cndmask_b32_e32 v7, v7, v145, vcc
	;; [unrolled: 1-line block ×4, first 2 shown]
	v_cndmask_b32_e64 v7, v7, v87, s[22:23]
	v_cndmask_b32_e64 v6, v6, v86, s[22:23]
	v_cndmask_b32_e64 v5, v5, v87, s[22:23]
	v_cndmask_b32_e64 v4, v4, v86, s[22:23]
	s_movk_i32 s34, 0x1f8
	v_cmp_neq_f64_e32 vcc, v[6:7], v[4:5]
	v_cmp_class_f64_e64 s[24:25], v[6:7], s34
	s_or_b64 s[24:25], vcc, s[24:25]
	s_and_saveexec_b64 s[26:27], s[24:25]
	s_cbranch_execz .LBB70_55
; %bb.54:
	s_mov_b32 s24, 0x652b82fe
	v_add_f64 v[6:7], v[6:7], -v[4:5]
	s_mov_b32 s25, 0x3ff71547
	v_mul_f64 v[8:9], v[6:7], s[24:25]
	v_rndne_f64_e32 v[8:9], v[8:9]
	s_mov_b32 s29, 0xbfe62e42
	s_mov_b32 s28, 0xfefa39ef
	v_fma_f64 v[26:27], s[28:29], v[8:9], v[6:7]
	s_mov_b32 s31, 0xbc7abc9e
	s_mov_b32 s30, 0x3b39803f
	;; [unrolled: 1-line block ×3, first 2 shown]
	v_fmac_f64_e32 v[26:27], s[30:31], v[8:9]
	v_mov_b32_e32 v28, 0xfca7ab0c
	v_mov_b32_e32 v29, 0x3e928af3
	s_mov_b32 s25, 0x3e5ade15
	v_fmac_f64_e32 v[28:29], s[24:25], v[26:27]
	v_mov_b32_e32 v30, 0x623fde64
	v_mov_b32_e32 v31, 0x3ec71dee
	v_fmac_f64_e32 v[30:31], v[26:27], v[28:29]
	v_mov_b32_e32 v28, 0x7c89e6b0
	v_mov_b32_e32 v29, 0x3efa0199
	;; [unrolled: 3-line block ×8, first 2 shown]
	s_mov_b32 s24, 0
	v_fmac_f64_e32 v[28:29], v[26:27], v[30:31]
	s_mov_b32 s25, 0x40900000
	v_fma_f64 v[28:29], v[26:27], v[28:29], 1.0
	v_cmp_nlt_f64_e32 vcc, s[24:25], v[6:7]
	s_mov_b32 s24, 0
	v_fma_f64 v[26:27], v[26:27], v[28:29], 1.0
	v_cvt_i32_f64_e32 v8, v[8:9]
	s_mov_b32 s25, 0xc090cc00
	v_ldexp_f64 v[8:9], v[26:27], v8
	v_mov_b32_e32 v26, 0x7ff00000
	v_cmp_ngt_f64_e64 s[24:25], s[24:25], v[6:7]
	v_cndmask_b32_e32 v9, v26, v9, vcc
	s_and_b64 vcc, s[24:25], vcc
	v_cndmask_b32_e64 v7, 0, v9, s[24:25]
	v_cndmask_b32_e32 v6, 0, v8, vcc
	v_add_f64 v[8:9], v[6:7], 1.0
	v_add_f64 v[26:27], v[8:9], -1.0
	v_add_f64 v[28:29], v[26:27], -v[8:9]
	v_add_f64 v[28:29], v[28:29], 1.0
	v_add_f64 v[26:27], v[6:7], -v[26:27]
	s_mov_b32 s24, 0x55555555
	v_add_f64 v[26:27], v[26:27], v[28:29]
	v_frexp_mant_f64_e32 v[28:29], v[8:9]
	s_mov_b32 s25, 0x3fe55555
	v_frexp_exp_i32_f64_e32 v30, v[8:9]
	v_cmp_gt_f64_e32 vcc, s[24:25], v[28:29]
	s_mov_b32 s24, 0xbf559e2b
	s_mov_b32 s25, 0x3fc3ab76
	v_subbrev_co_u32_e32 v53, vcc, 0, v30, vcc
	v_sub_u32_e32 v28, 0, v53
	v_ldexp_f64 v[8:9], v[8:9], v28
	v_ldexp_f64 v[26:27], v[26:27], v28
	v_add_f64 v[28:29], v[8:9], -1.0
	v_add_f64 v[34:35], v[8:9], 1.0
	v_add_f64 v[30:31], v[28:29], 1.0
	v_add_f64 v[144:145], v[34:35], -1.0
	v_add_f64 v[30:31], v[8:9], -v[30:31]
	v_add_f64 v[8:9], v[8:9], -v[144:145]
	v_add_f64 v[8:9], v[26:27], v[8:9]
	v_add_f64 v[30:31], v[26:27], v[30:31]
	;; [unrolled: 1-line block ×3, first 2 shown]
	v_rcp_f64_e32 v[144:145], v[26:27]
	v_add_f64 v[32:33], v[28:29], v[30:31]
	v_add_f64 v[28:29], v[32:33], -v[28:29]
	v_add_f64 v[28:29], v[30:31], -v[28:29]
	;; [unrolled: 1-line block ×4, first 2 shown]
	v_fma_f64 v[30:31], -v[26:27], v[144:145], 1.0
	v_fmac_f64_e32 v[144:145], v[30:31], v[144:145]
	v_fma_f64 v[30:31], -v[26:27], v[144:145], 1.0
	v_fmac_f64_e32 v[144:145], v[30:31], v[144:145]
	v_mul_f64 v[30:31], v[32:33], v[144:145]
	v_mul_f64 v[34:35], v[26:27], v[30:31]
	v_fma_f64 v[146:147], v[30:31], v[26:27], -v[34:35]
	v_fmac_f64_e32 v[146:147], v[30:31], v[8:9]
	v_add_f64 v[148:149], v[34:35], v[146:147]
	v_add_f64 v[150:151], v[32:33], -v[148:149]
	v_add_f64 v[32:33], v[32:33], -v[150:151]
	;; [unrolled: 1-line block ×4, first 2 shown]
	v_add_f64 v[28:29], v[28:29], v[32:33]
	v_add_f64 v[32:33], v[34:35], -v[146:147]
	v_add_f64 v[28:29], v[32:33], v[28:29]
	v_add_f64 v[32:33], v[150:151], v[28:29]
	v_add_f64 v[34:35], v[150:151], -v[32:33]
	v_add_f64 v[28:29], v[28:29], v[34:35]
	v_mul_f64 v[34:35], v[144:145], v[32:33]
	v_mul_f64 v[146:147], v[26:27], v[34:35]
	v_fma_f64 v[26:27], v[34:35], v[26:27], -v[146:147]
	v_fmac_f64_e32 v[26:27], v[34:35], v[8:9]
	v_add_f64 v[8:9], v[146:147], v[26:27]
	v_add_f64 v[148:149], v[32:33], -v[8:9]
	v_add_f64 v[32:33], v[32:33], -v[148:149]
	;; [unrolled: 1-line block ×4, first 2 shown]
	v_add_f64 v[8:9], v[28:29], v[8:9]
	v_add_f64 v[26:27], v[146:147], -v[26:27]
	v_add_f64 v[8:9], v[26:27], v[8:9]
	v_add_f64 v[26:27], v[30:31], v[34:35]
	;; [unrolled: 1-line block ×3, first 2 shown]
	v_add_f64 v[28:29], v[26:27], -v[30:31]
	v_mul_f64 v[8:9], v[144:145], v[8:9]
	v_add_f64 v[28:29], v[34:35], -v[28:29]
	v_add_f64 v[8:9], v[28:29], v[8:9]
	v_add_f64 v[28:29], v[26:27], v[8:9]
	v_add_f64 v[26:27], v[28:29], -v[26:27]
	v_add_f64 v[8:9], v[8:9], -v[26:27]
	v_mul_f64 v[26:27], v[28:29], v[28:29]
	v_mov_b32_e32 v30, 0x6b47b09a
	v_mov_b32_e32 v31, 0x3fc38538
	v_fmac_f64_e32 v[30:31], s[24:25], v[26:27]
	v_mov_b32_e32 v32, 0xd7f4df2e
	v_mov_b32_e32 v33, 0x3fc7474d
	v_fmac_f64_e32 v[32:33], v[26:27], v[30:31]
	;; [unrolled: 3-line block ×6, first 2 shown]
	v_cvt_f64_i32_e32 v[30:31], v53
	s_mov_b32 s29, 0x3fe62e42
	v_mul_f64 v[34:35], v[30:31], s[28:29]
	v_fma_f64 v[144:145], v[30:31], s[28:29], -v[34:35]
	s_mov_b32 s31, 0x3c7abc9e
	v_fmac_f64_e32 v[144:145], s[30:31], v[30:31]
	v_add_f64 v[30:31], v[34:35], v[144:145]
	v_add_f64 v[34:35], v[30:31], -v[34:35]
	v_mul_f64 v[26:27], v[28:29], v[26:27]
	v_add_f64 v[34:35], v[144:145], -v[34:35]
	v_ldexp_f64 v[144:145], v[28:29], 1
	v_mul_f64 v[26:27], v[26:27], v[32:33]
	v_add_f64 v[28:29], v[144:145], v[26:27]
	v_add_f64 v[32:33], v[28:29], -v[144:145]
	v_ldexp_f64 v[8:9], v[8:9], 1
	v_add_f64 v[26:27], v[26:27], -v[32:33]
	v_add_f64 v[8:9], v[8:9], v[26:27]
	v_add_f64 v[26:27], v[28:29], v[8:9]
	v_add_f64 v[28:29], v[26:27], -v[28:29]
	v_add_f64 v[8:9], v[8:9], -v[28:29]
	v_add_f64 v[28:29], v[30:31], v[26:27]
	v_add_f64 v[32:33], v[28:29], -v[30:31]
	v_add_f64 v[144:145], v[28:29], -v[32:33]
	;; [unrolled: 1-line block ×4, first 2 shown]
	v_add_f64 v[26:27], v[26:27], v[30:31]
	v_add_f64 v[30:31], v[34:35], v[8:9]
	v_add_f64 v[32:33], v[30:31], -v[34:35]
	v_add_f64 v[26:27], v[30:31], v[26:27]
	v_add_f64 v[144:145], v[30:31], -v[32:33]
	;; [unrolled: 2-line block ×3, first 2 shown]
	v_add_f64 v[8:9], v[8:9], -v[32:33]
	v_add_f64 v[28:29], v[30:31], -v[28:29]
	v_add_f64 v[8:9], v[8:9], v[34:35]
	v_add_f64 v[26:27], v[26:27], -v[28:29]
	s_mov_b32 s24, 0
	v_add_f64 v[8:9], v[8:9], v[26:27]
	s_mov_b32 s25, 0x7ff00000
	v_add_f64 v[8:9], v[30:31], v[8:9]
	v_cmp_eq_f64_e32 vcc, s[24:25], v[6:7]
	v_mov_b32_e32 v26, 0x7ff80000
	s_nop 0
	v_cndmask_b32_e32 v8, v8, v6, vcc
	v_cndmask_b32_e32 v9, v9, v7, vcc
	v_cmp_ngt_f64_e32 vcc, -1.0, v[6:7]
	s_nop 1
	v_cndmask_b32_e32 v9, v26, v9, vcc
	v_cmp_nge_f64_e32 vcc, -1.0, v[6:7]
	v_mov_b32_e32 v26, 0xfff00000
	s_nop 0
	v_cndmask_b32_e32 v8, 0, v8, vcc
	v_cmp_neq_f64_e32 vcc, -1.0, v[6:7]
	s_nop 1
	v_cndmask_b32_e32 v9, v26, v9, vcc
	v_add_f64 v[144:145], v[4:5], v[8:9]
.LBB70_55:
	s_or_b64 exec, exec, s[26:27]
	v_max_f64 v[26:27], v[80:81], v[80:81]
	v_max_f64 v[4:5], v[144:145], v[144:145]
	v_min_f64 v[6:7], v[4:5], v[26:27]
	v_cmp_u_f64_e32 vcc, v[144:145], v[144:145]
	v_max_f64 v[4:5], v[4:5], v[26:27]
	v_cmp_u_f64_e64 s[24:25], v[80:81], v[80:81]
	v_cndmask_b32_e32 v6, v6, v144, vcc
	v_cndmask_b32_e32 v7, v7, v145, vcc
	v_cndmask_b32_e32 v4, v4, v144, vcc
	v_cndmask_b32_e32 v5, v5, v145, vcc
	v_cndmask_b32_e64 v7, v7, v81, s[24:25]
	v_cndmask_b32_e64 v6, v6, v80, s[24:25]
	;; [unrolled: 1-line block ×4, first 2 shown]
	v_cmp_neq_f64_e32 vcc, v[6:7], v[4:5]
	v_cmp_class_f64_e64 s[26:27], v[6:7], s34
	s_or_b64 s[26:27], vcc, s[26:27]
	s_and_saveexec_b64 s[28:29], s[26:27]
	s_cbranch_execz .LBB70_57
; %bb.56:
	s_mov_b32 s26, 0x652b82fe
	v_add_f64 v[6:7], v[6:7], -v[4:5]
	s_mov_b32 s27, 0x3ff71547
	v_mul_f64 v[8:9], v[6:7], s[26:27]
	v_rndne_f64_e32 v[8:9], v[8:9]
	s_mov_b32 s31, 0xbfe62e42
	s_mov_b32 s30, 0xfefa39ef
	v_fma_f64 v[28:29], s[30:31], v[8:9], v[6:7]
	s_mov_b32 s35, 0xbc7abc9e
	s_mov_b32 s34, 0x3b39803f
	;; [unrolled: 1-line block ×3, first 2 shown]
	v_fmac_f64_e32 v[28:29], s[34:35], v[8:9]
	v_mov_b32_e32 v30, 0xfca7ab0c
	v_mov_b32_e32 v31, 0x3e928af3
	s_mov_b32 s27, 0x3e5ade15
	v_fmac_f64_e32 v[30:31], s[26:27], v[28:29]
	v_mov_b32_e32 v32, 0x623fde64
	v_mov_b32_e32 v33, 0x3ec71dee
	v_fmac_f64_e32 v[32:33], v[28:29], v[30:31]
	v_mov_b32_e32 v30, 0x7c89e6b0
	v_mov_b32_e32 v31, 0x3efa0199
	;; [unrolled: 3-line block ×8, first 2 shown]
	s_mov_b32 s26, 0
	v_fmac_f64_e32 v[30:31], v[28:29], v[32:33]
	s_mov_b32 s27, 0x40900000
	v_fma_f64 v[30:31], v[28:29], v[30:31], 1.0
	v_cmp_nlt_f64_e32 vcc, s[26:27], v[6:7]
	s_mov_b32 s26, 0
	v_fma_f64 v[28:29], v[28:29], v[30:31], 1.0
	v_cvt_i32_f64_e32 v8, v[8:9]
	s_mov_b32 s27, 0xc090cc00
	v_ldexp_f64 v[8:9], v[28:29], v8
	v_mov_b32_e32 v28, 0x7ff00000
	v_cmp_ngt_f64_e64 s[26:27], s[26:27], v[6:7]
	v_cndmask_b32_e32 v9, v28, v9, vcc
	s_and_b64 vcc, s[26:27], vcc
	v_cndmask_b32_e64 v7, 0, v9, s[26:27]
	v_cndmask_b32_e32 v6, 0, v8, vcc
	v_add_f64 v[8:9], v[6:7], 1.0
	v_add_f64 v[28:29], v[8:9], -1.0
	v_add_f64 v[30:31], v[28:29], -v[8:9]
	v_add_f64 v[30:31], v[30:31], 1.0
	v_add_f64 v[28:29], v[6:7], -v[28:29]
	s_mov_b32 s26, 0x55555555
	v_add_f64 v[28:29], v[28:29], v[30:31]
	v_frexp_mant_f64_e32 v[30:31], v[8:9]
	s_mov_b32 s27, 0x3fe55555
	v_frexp_exp_i32_f64_e32 v32, v[8:9]
	v_cmp_gt_f64_e32 vcc, s[26:27], v[30:31]
	s_mov_b32 s26, 0xbf559e2b
	s_mov_b32 s27, 0x3fc3ab76
	v_subbrev_co_u32_e32 v53, vcc, 0, v32, vcc
	v_sub_u32_e32 v30, 0, v53
	v_ldexp_f64 v[8:9], v[8:9], v30
	v_ldexp_f64 v[28:29], v[28:29], v30
	v_add_f64 v[30:31], v[8:9], -1.0
	v_add_f64 v[144:145], v[8:9], 1.0
	v_add_f64 v[32:33], v[30:31], 1.0
	v_add_f64 v[146:147], v[144:145], -1.0
	v_add_f64 v[32:33], v[8:9], -v[32:33]
	v_add_f64 v[8:9], v[8:9], -v[146:147]
	v_add_f64 v[8:9], v[28:29], v[8:9]
	v_add_f64 v[32:33], v[28:29], v[32:33]
	;; [unrolled: 1-line block ×3, first 2 shown]
	v_rcp_f64_e32 v[146:147], v[28:29]
	v_add_f64 v[34:35], v[30:31], v[32:33]
	v_add_f64 v[30:31], v[34:35], -v[30:31]
	v_add_f64 v[30:31], v[32:33], -v[30:31]
	;; [unrolled: 1-line block ×4, first 2 shown]
	v_fma_f64 v[32:33], -v[28:29], v[146:147], 1.0
	v_fmac_f64_e32 v[146:147], v[32:33], v[146:147]
	v_fma_f64 v[32:33], -v[28:29], v[146:147], 1.0
	v_fmac_f64_e32 v[146:147], v[32:33], v[146:147]
	v_mul_f64 v[32:33], v[34:35], v[146:147]
	v_mul_f64 v[144:145], v[28:29], v[32:33]
	v_fma_f64 v[148:149], v[32:33], v[28:29], -v[144:145]
	v_fmac_f64_e32 v[148:149], v[32:33], v[8:9]
	v_add_f64 v[150:151], v[144:145], v[148:149]
	v_add_f64 v[160:161], v[34:35], -v[150:151]
	v_add_f64 v[34:35], v[34:35], -v[160:161]
	;; [unrolled: 1-line block ×4, first 2 shown]
	v_add_f64 v[30:31], v[30:31], v[34:35]
	v_add_f64 v[34:35], v[144:145], -v[148:149]
	v_add_f64 v[30:31], v[34:35], v[30:31]
	v_add_f64 v[34:35], v[160:161], v[30:31]
	v_add_f64 v[144:145], v[160:161], -v[34:35]
	v_add_f64 v[30:31], v[30:31], v[144:145]
	v_mul_f64 v[144:145], v[146:147], v[34:35]
	v_mul_f64 v[148:149], v[28:29], v[144:145]
	v_fma_f64 v[28:29], v[144:145], v[28:29], -v[148:149]
	v_fmac_f64_e32 v[28:29], v[144:145], v[8:9]
	v_add_f64 v[8:9], v[148:149], v[28:29]
	v_add_f64 v[150:151], v[34:35], -v[8:9]
	v_add_f64 v[34:35], v[34:35], -v[150:151]
	;; [unrolled: 1-line block ×4, first 2 shown]
	v_add_f64 v[8:9], v[30:31], v[8:9]
	v_add_f64 v[28:29], v[148:149], -v[28:29]
	v_add_f64 v[8:9], v[28:29], v[8:9]
	v_add_f64 v[28:29], v[32:33], v[144:145]
	;; [unrolled: 1-line block ×3, first 2 shown]
	v_add_f64 v[30:31], v[28:29], -v[32:33]
	v_mul_f64 v[8:9], v[146:147], v[8:9]
	v_add_f64 v[30:31], v[144:145], -v[30:31]
	v_add_f64 v[8:9], v[30:31], v[8:9]
	v_add_f64 v[30:31], v[28:29], v[8:9]
	v_add_f64 v[28:29], v[30:31], -v[28:29]
	v_add_f64 v[8:9], v[8:9], -v[28:29]
	v_mul_f64 v[28:29], v[30:31], v[30:31]
	v_mov_b32_e32 v32, 0x6b47b09a
	v_mov_b32_e32 v33, 0x3fc38538
	v_fmac_f64_e32 v[32:33], s[26:27], v[28:29]
	v_mov_b32_e32 v34, 0xd7f4df2e
	v_mov_b32_e32 v35, 0x3fc7474d
	v_fmac_f64_e32 v[34:35], v[28:29], v[32:33]
	;; [unrolled: 3-line block ×6, first 2 shown]
	v_cvt_f64_i32_e32 v[32:33], v53
	s_mov_b32 s31, 0x3fe62e42
	v_mul_f64 v[144:145], v[32:33], s[30:31]
	v_fma_f64 v[146:147], v[32:33], s[30:31], -v[144:145]
	s_mov_b32 s35, 0x3c7abc9e
	v_fmac_f64_e32 v[146:147], s[34:35], v[32:33]
	v_add_f64 v[32:33], v[144:145], v[146:147]
	v_add_f64 v[144:145], v[32:33], -v[144:145]
	v_mul_f64 v[28:29], v[30:31], v[28:29]
	v_add_f64 v[144:145], v[146:147], -v[144:145]
	v_ldexp_f64 v[146:147], v[30:31], 1
	v_mul_f64 v[28:29], v[28:29], v[34:35]
	v_add_f64 v[30:31], v[146:147], v[28:29]
	v_add_f64 v[34:35], v[30:31], -v[146:147]
	v_ldexp_f64 v[8:9], v[8:9], 1
	v_add_f64 v[28:29], v[28:29], -v[34:35]
	v_add_f64 v[8:9], v[8:9], v[28:29]
	v_add_f64 v[28:29], v[30:31], v[8:9]
	v_add_f64 v[30:31], v[28:29], -v[30:31]
	v_add_f64 v[8:9], v[8:9], -v[30:31]
	v_add_f64 v[30:31], v[32:33], v[28:29]
	v_add_f64 v[34:35], v[30:31], -v[32:33]
	v_add_f64 v[146:147], v[30:31], -v[34:35]
	;; [unrolled: 1-line block ×4, first 2 shown]
	v_add_f64 v[28:29], v[28:29], v[32:33]
	v_add_f64 v[32:33], v[144:145], v[8:9]
	v_add_f64 v[34:35], v[32:33], -v[144:145]
	v_add_f64 v[28:29], v[32:33], v[28:29]
	v_add_f64 v[146:147], v[32:33], -v[34:35]
	;; [unrolled: 2-line block ×3, first 2 shown]
	v_add_f64 v[8:9], v[8:9], -v[34:35]
	v_add_f64 v[30:31], v[32:33], -v[30:31]
	v_add_f64 v[8:9], v[8:9], v[144:145]
	v_add_f64 v[28:29], v[28:29], -v[30:31]
	s_mov_b32 s26, 0
	v_add_f64 v[8:9], v[8:9], v[28:29]
	s_mov_b32 s27, 0x7ff00000
	v_add_f64 v[8:9], v[32:33], v[8:9]
	v_cmp_eq_f64_e32 vcc, s[26:27], v[6:7]
	v_mov_b32_e32 v28, 0x7ff80000
	s_nop 0
	v_cndmask_b32_e32 v8, v8, v6, vcc
	v_cndmask_b32_e32 v9, v9, v7, vcc
	v_cmp_ngt_f64_e32 vcc, -1.0, v[6:7]
	s_nop 1
	v_cndmask_b32_e32 v9, v28, v9, vcc
	v_cmp_nge_f64_e32 vcc, -1.0, v[6:7]
	v_mov_b32_e32 v28, 0xfff00000
	s_nop 0
	v_cndmask_b32_e32 v8, 0, v8, vcc
	v_cmp_neq_f64_e32 vcc, -1.0, v[6:7]
	s_nop 1
	v_cndmask_b32_e32 v9, v28, v9, vcc
	v_add_f64 v[144:145], v[4:5], v[8:9]
.LBB70_57:
	s_or_b64 exec, exec, s[28:29]
	v_max_f64 v[28:29], v[82:83], v[82:83]
	v_max_f64 v[4:5], v[144:145], v[144:145]
	v_min_f64 v[6:7], v[4:5], v[28:29]
	v_cmp_u_f64_e32 vcc, v[144:145], v[144:145]
	v_max_f64 v[4:5], v[4:5], v[28:29]
	v_cmp_u_f64_e64 s[26:27], v[82:83], v[82:83]
	v_cndmask_b32_e32 v6, v6, v144, vcc
	v_cndmask_b32_e32 v7, v7, v145, vcc
	;; [unrolled: 1-line block ×4, first 2 shown]
	v_cndmask_b32_e64 v7, v7, v83, s[26:27]
	v_cndmask_b32_e64 v6, v6, v82, s[26:27]
	;; [unrolled: 1-line block ×4, first 2 shown]
	s_movk_i32 s40, 0x1f8
	v_cmp_neq_f64_e32 vcc, v[6:7], v[4:5]
	v_cmp_class_f64_e64 s[28:29], v[6:7], s40
	s_or_b64 s[28:29], vcc, s[28:29]
	s_and_saveexec_b64 s[30:31], s[28:29]
	s_cbranch_execz .LBB70_59
; %bb.58:
	s_mov_b32 s28, 0x652b82fe
	v_add_f64 v[6:7], v[6:7], -v[4:5]
	s_mov_b32 s29, 0x3ff71547
	v_mul_f64 v[8:9], v[6:7], s[28:29]
	v_rndne_f64_e32 v[8:9], v[8:9]
	s_mov_b32 s35, 0xbfe62e42
	s_mov_b32 s34, 0xfefa39ef
	v_fma_f64 v[30:31], s[34:35], v[8:9], v[6:7]
	s_mov_b32 s39, 0xbc7abc9e
	s_mov_b32 s38, 0x3b39803f
	;; [unrolled: 1-line block ×3, first 2 shown]
	v_fmac_f64_e32 v[30:31], s[38:39], v[8:9]
	v_mov_b32_e32 v32, 0xfca7ab0c
	v_mov_b32_e32 v33, 0x3e928af3
	s_mov_b32 s29, 0x3e5ade15
	v_fmac_f64_e32 v[32:33], s[28:29], v[30:31]
	v_mov_b32_e32 v34, 0x623fde64
	v_mov_b32_e32 v35, 0x3ec71dee
	v_fmac_f64_e32 v[34:35], v[30:31], v[32:33]
	v_mov_b32_e32 v32, 0x7c89e6b0
	v_mov_b32_e32 v33, 0x3efa0199
	;; [unrolled: 3-line block ×8, first 2 shown]
	s_mov_b32 s28, 0
	v_fmac_f64_e32 v[32:33], v[30:31], v[34:35]
	s_mov_b32 s29, 0x40900000
	v_fma_f64 v[32:33], v[30:31], v[32:33], 1.0
	v_cmp_nlt_f64_e32 vcc, s[28:29], v[6:7]
	s_mov_b32 s28, 0
	v_fma_f64 v[30:31], v[30:31], v[32:33], 1.0
	v_cvt_i32_f64_e32 v8, v[8:9]
	s_mov_b32 s29, 0xc090cc00
	v_ldexp_f64 v[8:9], v[30:31], v8
	v_mov_b32_e32 v30, 0x7ff00000
	v_cmp_ngt_f64_e64 s[28:29], s[28:29], v[6:7]
	v_cndmask_b32_e32 v9, v30, v9, vcc
	s_and_b64 vcc, s[28:29], vcc
	v_cndmask_b32_e64 v7, 0, v9, s[28:29]
	v_cndmask_b32_e32 v6, 0, v8, vcc
	v_add_f64 v[8:9], v[6:7], 1.0
	v_add_f64 v[30:31], v[8:9], -1.0
	v_add_f64 v[32:33], v[30:31], -v[8:9]
	v_add_f64 v[32:33], v[32:33], 1.0
	v_add_f64 v[30:31], v[6:7], -v[30:31]
	s_mov_b32 s28, 0x55555555
	v_add_f64 v[30:31], v[30:31], v[32:33]
	v_frexp_mant_f64_e32 v[32:33], v[8:9]
	s_mov_b32 s29, 0x3fe55555
	v_frexp_exp_i32_f64_e32 v34, v[8:9]
	v_cmp_gt_f64_e32 vcc, s[28:29], v[32:33]
	s_mov_b32 s28, 0xbf559e2b
	s_mov_b32 s29, 0x3fc3ab76
	v_subbrev_co_u32_e32 v53, vcc, 0, v34, vcc
	v_sub_u32_e32 v32, 0, v53
	v_ldexp_f64 v[8:9], v[8:9], v32
	v_ldexp_f64 v[30:31], v[30:31], v32
	v_add_f64 v[32:33], v[8:9], -1.0
	v_add_f64 v[146:147], v[8:9], 1.0
	v_add_f64 v[34:35], v[32:33], 1.0
	v_add_f64 v[148:149], v[146:147], -1.0
	v_add_f64 v[34:35], v[8:9], -v[34:35]
	v_add_f64 v[8:9], v[8:9], -v[148:149]
	v_add_f64 v[8:9], v[30:31], v[8:9]
	v_add_f64 v[34:35], v[30:31], v[34:35]
	;; [unrolled: 1-line block ×3, first 2 shown]
	v_rcp_f64_e32 v[148:149], v[30:31]
	v_add_f64 v[144:145], v[32:33], v[34:35]
	v_add_f64 v[32:33], v[144:145], -v[32:33]
	v_add_f64 v[32:33], v[34:35], -v[32:33]
	;; [unrolled: 1-line block ×4, first 2 shown]
	v_fma_f64 v[34:35], -v[30:31], v[148:149], 1.0
	v_fmac_f64_e32 v[148:149], v[34:35], v[148:149]
	v_fma_f64 v[34:35], -v[30:31], v[148:149], 1.0
	v_fmac_f64_e32 v[148:149], v[34:35], v[148:149]
	v_mul_f64 v[34:35], v[144:145], v[148:149]
	v_mul_f64 v[146:147], v[30:31], v[34:35]
	v_fma_f64 v[150:151], v[34:35], v[30:31], -v[146:147]
	v_fmac_f64_e32 v[150:151], v[34:35], v[8:9]
	v_add_f64 v[160:161], v[146:147], v[150:151]
	v_add_f64 v[162:163], v[144:145], -v[160:161]
	v_add_f64 v[144:145], v[144:145], -v[162:163]
	;; [unrolled: 1-line block ×4, first 2 shown]
	v_add_f64 v[32:33], v[32:33], v[144:145]
	v_add_f64 v[144:145], v[146:147], -v[150:151]
	v_add_f64 v[32:33], v[144:145], v[32:33]
	v_add_f64 v[144:145], v[162:163], v[32:33]
	v_add_f64 v[146:147], v[162:163], -v[144:145]
	v_add_f64 v[32:33], v[32:33], v[146:147]
	v_mul_f64 v[146:147], v[148:149], v[144:145]
	v_mul_f64 v[150:151], v[30:31], v[146:147]
	v_fma_f64 v[30:31], v[146:147], v[30:31], -v[150:151]
	v_fmac_f64_e32 v[30:31], v[146:147], v[8:9]
	v_add_f64 v[8:9], v[150:151], v[30:31]
	v_add_f64 v[160:161], v[144:145], -v[8:9]
	v_add_f64 v[144:145], v[144:145], -v[160:161]
	;; [unrolled: 1-line block ×4, first 2 shown]
	v_add_f64 v[8:9], v[32:33], v[8:9]
	v_add_f64 v[30:31], v[150:151], -v[30:31]
	v_add_f64 v[8:9], v[30:31], v[8:9]
	v_add_f64 v[30:31], v[34:35], v[146:147]
	;; [unrolled: 1-line block ×3, first 2 shown]
	v_add_f64 v[32:33], v[30:31], -v[34:35]
	v_mul_f64 v[8:9], v[148:149], v[8:9]
	v_add_f64 v[32:33], v[146:147], -v[32:33]
	v_add_f64 v[8:9], v[32:33], v[8:9]
	v_add_f64 v[32:33], v[30:31], v[8:9]
	v_add_f64 v[30:31], v[32:33], -v[30:31]
	v_add_f64 v[8:9], v[8:9], -v[30:31]
	v_mul_f64 v[30:31], v[32:33], v[32:33]
	v_mov_b32_e32 v34, 0x6b47b09a
	v_mov_b32_e32 v35, 0x3fc38538
	v_fmac_f64_e32 v[34:35], s[28:29], v[30:31]
	v_mov_b32_e32 v144, 0xd7f4df2e
	v_mov_b32_e32 v145, 0x3fc7474d
	v_fmac_f64_e32 v[144:145], v[30:31], v[34:35]
	;; [unrolled: 3-line block ×6, first 2 shown]
	v_cvt_f64_i32_e32 v[34:35], v53
	s_mov_b32 s35, 0x3fe62e42
	v_mul_f64 v[146:147], v[34:35], s[34:35]
	v_fma_f64 v[148:149], v[34:35], s[34:35], -v[146:147]
	s_mov_b32 s39, 0x3c7abc9e
	v_fmac_f64_e32 v[148:149], s[38:39], v[34:35]
	v_add_f64 v[34:35], v[146:147], v[148:149]
	v_add_f64 v[146:147], v[34:35], -v[146:147]
	v_mul_f64 v[30:31], v[32:33], v[30:31]
	v_add_f64 v[146:147], v[148:149], -v[146:147]
	v_ldexp_f64 v[148:149], v[32:33], 1
	v_mul_f64 v[30:31], v[30:31], v[144:145]
	v_add_f64 v[32:33], v[148:149], v[30:31]
	v_add_f64 v[144:145], v[32:33], -v[148:149]
	v_ldexp_f64 v[8:9], v[8:9], 1
	v_add_f64 v[30:31], v[30:31], -v[144:145]
	v_add_f64 v[8:9], v[8:9], v[30:31]
	v_add_f64 v[30:31], v[32:33], v[8:9]
	v_add_f64 v[32:33], v[30:31], -v[32:33]
	v_add_f64 v[8:9], v[8:9], -v[32:33]
	v_add_f64 v[32:33], v[34:35], v[30:31]
	v_add_f64 v[144:145], v[32:33], -v[34:35]
	v_add_f64 v[148:149], v[32:33], -v[144:145]
	;; [unrolled: 1-line block ×4, first 2 shown]
	v_add_f64 v[30:31], v[30:31], v[34:35]
	v_add_f64 v[34:35], v[146:147], v[8:9]
	v_add_f64 v[144:145], v[34:35], -v[146:147]
	v_add_f64 v[30:31], v[34:35], v[30:31]
	v_add_f64 v[148:149], v[34:35], -v[144:145]
	;; [unrolled: 2-line block ×3, first 2 shown]
	v_add_f64 v[8:9], v[8:9], -v[144:145]
	v_add_f64 v[32:33], v[34:35], -v[32:33]
	v_add_f64 v[8:9], v[8:9], v[146:147]
	v_add_f64 v[30:31], v[30:31], -v[32:33]
	s_mov_b32 s28, 0
	v_add_f64 v[8:9], v[8:9], v[30:31]
	s_mov_b32 s29, 0x7ff00000
	v_add_f64 v[8:9], v[34:35], v[8:9]
	v_cmp_eq_f64_e32 vcc, s[28:29], v[6:7]
	v_mov_b32_e32 v30, 0x7ff80000
	s_nop 0
	v_cndmask_b32_e32 v8, v8, v6, vcc
	v_cndmask_b32_e32 v9, v9, v7, vcc
	v_cmp_ngt_f64_e32 vcc, -1.0, v[6:7]
	s_nop 1
	v_cndmask_b32_e32 v9, v30, v9, vcc
	v_cmp_nge_f64_e32 vcc, -1.0, v[6:7]
	v_mov_b32_e32 v30, 0xfff00000
	s_nop 0
	v_cndmask_b32_e32 v8, 0, v8, vcc
	v_cmp_neq_f64_e32 vcc, -1.0, v[6:7]
	s_nop 1
	v_cndmask_b32_e32 v9, v30, v9, vcc
	v_add_f64 v[144:145], v[4:5], v[8:9]
.LBB70_59:
	s_or_b64 exec, exec, s[30:31]
	v_max_f64 v[30:31], v[66:67], v[66:67]
	v_max_f64 v[4:5], v[144:145], v[144:145]
	v_min_f64 v[6:7], v[4:5], v[30:31]
	v_cmp_u_f64_e32 vcc, v[144:145], v[144:145]
	v_max_f64 v[4:5], v[4:5], v[30:31]
	v_cmp_u_f64_e64 s[28:29], v[66:67], v[66:67]
	v_cndmask_b32_e32 v6, v6, v144, vcc
	v_cndmask_b32_e32 v7, v7, v145, vcc
	v_cndmask_b32_e32 v4, v4, v144, vcc
	v_cndmask_b32_e32 v5, v5, v145, vcc
	v_cndmask_b32_e64 v7, v7, v67, s[28:29]
	v_cndmask_b32_e64 v6, v6, v66, s[28:29]
	;; [unrolled: 1-line block ×4, first 2 shown]
	v_cmp_neq_f64_e32 vcc, v[6:7], v[4:5]
	v_cmp_class_f64_e64 s[30:31], v[6:7], s40
	s_or_b64 vcc, vcc, s[30:31]
	s_and_saveexec_b64 s[34:35], vcc
	s_cbranch_execz .LBB70_61
; %bb.60:
	s_mov_b32 vcc_lo, 0x652b82fe
	v_add_f64 v[6:7], v[6:7], -v[4:5]
	s_mov_b32 vcc_hi, 0x3ff71547
	v_mul_f64 v[8:9], v[6:7], vcc
	v_rndne_f64_e32 v[8:9], v[8:9]
	s_mov_b32 s39, 0xbfe62e42
	s_mov_b32 s38, 0xfefa39ef
	v_fma_f64 v[32:33], s[38:39], v[8:9], v[6:7]
	s_mov_b32 s41, 0xbc7abc9e
	s_mov_b32 s40, 0x3b39803f
	s_mov_b32 vcc_lo, 0x6a5dcb37
	v_fmac_f64_e32 v[32:33], s[40:41], v[8:9]
	v_mov_b32_e32 v34, 0xfca7ab0c
	v_mov_b32_e32 v35, 0x3e928af3
	s_mov_b32 vcc_hi, 0x3e5ade15
	v_fmac_f64_e32 v[34:35], vcc, v[32:33]
	v_mov_b32_e32 v144, 0x623fde64
	v_mov_b32_e32 v145, 0x3ec71dee
	v_fmac_f64_e32 v[144:145], v[32:33], v[34:35]
	v_mov_b32_e32 v34, 0x7c89e6b0
	v_mov_b32_e32 v35, 0x3efa0199
	v_fmac_f64_e32 v[34:35], v[32:33], v[144:145]
	;; [unrolled: 3-line block ×8, first 2 shown]
	v_fma_f64 v[34:35], v[32:33], v[34:35], 1.0
	s_mov_b32 vcc_lo, 0
	s_mov_b32 s30, 0
	v_fma_f64 v[32:33], v[32:33], v[34:35], 1.0
	v_cvt_i32_f64_e32 v8, v[8:9]
	s_mov_b32 vcc_hi, 0x40900000
	s_mov_b32 s31, 0xc090cc00
	v_ldexp_f64 v[8:9], v[32:33], v8
	v_mov_b32_e32 v32, 0x7ff00000
	v_cmp_nlt_f64_e32 vcc, vcc, v[6:7]
	v_cmp_ngt_f64_e64 s[30:31], s[30:31], v[6:7]
	s_mov_b32 s39, 0x3fe62e42
	v_cndmask_b32_e32 v9, v32, v9, vcc
	s_and_b64 vcc, s[30:31], vcc
	v_cndmask_b32_e64 v7, 0, v9, s[30:31]
	v_cndmask_b32_e32 v6, 0, v8, vcc
	v_add_f64 v[8:9], v[6:7], 1.0
	v_add_f64 v[32:33], v[8:9], -1.0
	v_add_f64 v[34:35], v[32:33], -v[8:9]
	v_add_f64 v[34:35], v[34:35], 1.0
	v_add_f64 v[32:33], v[6:7], -v[32:33]
	s_mov_b32 vcc_lo, 0x55555555
	v_add_f64 v[32:33], v[32:33], v[34:35]
	v_frexp_mant_f64_e32 v[34:35], v[8:9]
	s_mov_b32 vcc_hi, 0x3fe55555
	v_frexp_exp_i32_f64_e32 v53, v[8:9]
	v_cmp_gt_f64_e32 vcc, vcc, v[34:35]
	s_mov_b32 s41, 0x3c7abc9e
	s_nop 0
	v_subbrev_co_u32_e32 v53, vcc, 0, v53, vcc
	v_sub_u32_e32 v34, 0, v53
	v_ldexp_f64 v[8:9], v[8:9], v34
	v_ldexp_f64 v[32:33], v[32:33], v34
	v_add_f64 v[34:35], v[8:9], -1.0
	v_add_f64 v[148:149], v[8:9], 1.0
	v_add_f64 v[144:145], v[34:35], 1.0
	v_add_f64 v[150:151], v[148:149], -1.0
	v_add_f64 v[144:145], v[8:9], -v[144:145]
	v_add_f64 v[8:9], v[8:9], -v[150:151]
	v_add_f64 v[8:9], v[32:33], v[8:9]
	v_add_f64 v[144:145], v[32:33], v[144:145]
	;; [unrolled: 1-line block ×3, first 2 shown]
	v_rcp_f64_e32 v[150:151], v[32:33]
	v_add_f64 v[146:147], v[34:35], v[144:145]
	v_add_f64 v[34:35], v[146:147], -v[34:35]
	v_add_f64 v[34:35], v[144:145], -v[34:35]
	;; [unrolled: 1-line block ×4, first 2 shown]
	v_fma_f64 v[144:145], -v[32:33], v[150:151], 1.0
	v_fmac_f64_e32 v[150:151], v[144:145], v[150:151]
	v_fma_f64 v[144:145], -v[32:33], v[150:151], 1.0
	v_fmac_f64_e32 v[150:151], v[144:145], v[150:151]
	v_mul_f64 v[144:145], v[146:147], v[150:151]
	v_mul_f64 v[148:149], v[32:33], v[144:145]
	v_fma_f64 v[160:161], v[144:145], v[32:33], -v[148:149]
	v_fmac_f64_e32 v[160:161], v[144:145], v[8:9]
	v_add_f64 v[162:163], v[148:149], v[160:161]
	v_add_f64 v[164:165], v[146:147], -v[162:163]
	v_add_f64 v[146:147], v[146:147], -v[164:165]
	;; [unrolled: 1-line block ×4, first 2 shown]
	v_add_f64 v[34:35], v[34:35], v[146:147]
	v_add_f64 v[146:147], v[148:149], -v[160:161]
	v_add_f64 v[34:35], v[146:147], v[34:35]
	v_add_f64 v[146:147], v[164:165], v[34:35]
	v_add_f64 v[148:149], v[164:165], -v[146:147]
	v_add_f64 v[34:35], v[34:35], v[148:149]
	v_mul_f64 v[148:149], v[150:151], v[146:147]
	v_mul_f64 v[160:161], v[32:33], v[148:149]
	v_fma_f64 v[32:33], v[148:149], v[32:33], -v[160:161]
	v_fmac_f64_e32 v[32:33], v[148:149], v[8:9]
	v_add_f64 v[8:9], v[160:161], v[32:33]
	v_add_f64 v[162:163], v[146:147], -v[8:9]
	v_add_f64 v[146:147], v[146:147], -v[162:163]
	;; [unrolled: 1-line block ×4, first 2 shown]
	v_add_f64 v[8:9], v[34:35], v[8:9]
	v_add_f64 v[32:33], v[160:161], -v[32:33]
	v_add_f64 v[8:9], v[32:33], v[8:9]
	v_add_f64 v[32:33], v[144:145], v[148:149]
	;; [unrolled: 1-line block ×3, first 2 shown]
	v_add_f64 v[34:35], v[32:33], -v[144:145]
	v_mul_f64 v[8:9], v[150:151], v[8:9]
	v_add_f64 v[34:35], v[148:149], -v[34:35]
	v_add_f64 v[8:9], v[34:35], v[8:9]
	v_add_f64 v[34:35], v[32:33], v[8:9]
	v_add_f64 v[32:33], v[34:35], -v[32:33]
	s_mov_b32 vcc_lo, 0xbf559e2b
	v_add_f64 v[8:9], v[8:9], -v[32:33]
	v_mul_f64 v[32:33], v[34:35], v[34:35]
	v_mov_b32_e32 v144, 0x6b47b09a
	v_mov_b32_e32 v145, 0x3fc38538
	s_mov_b32 vcc_hi, 0x3fc3ab76
	v_fmac_f64_e32 v[144:145], vcc, v[32:33]
	v_mov_b32_e32 v146, 0xd7f4df2e
	v_mov_b32_e32 v147, 0x3fc7474d
	v_fmac_f64_e32 v[146:147], v[32:33], v[144:145]
	v_mov_b32_e32 v144, 0x16291751
	v_mov_b32_e32 v145, 0x3fcc71c0
	v_fmac_f64_e32 v[144:145], v[32:33], v[146:147]
	;; [unrolled: 3-line block ×5, first 2 shown]
	v_cvt_f64_i32_e32 v[144:145], v53
	v_mul_f64 v[148:149], v[144:145], s[38:39]
	v_fma_f64 v[150:151], v[144:145], s[38:39], -v[148:149]
	v_fmac_f64_e32 v[150:151], s[40:41], v[144:145]
	v_add_f64 v[144:145], v[148:149], v[150:151]
	v_add_f64 v[148:149], v[144:145], -v[148:149]
	v_mul_f64 v[32:33], v[34:35], v[32:33]
	v_add_f64 v[148:149], v[150:151], -v[148:149]
	v_ldexp_f64 v[150:151], v[34:35], 1
	v_mul_f64 v[32:33], v[32:33], v[146:147]
	v_add_f64 v[34:35], v[150:151], v[32:33]
	v_add_f64 v[146:147], v[34:35], -v[150:151]
	v_ldexp_f64 v[8:9], v[8:9], 1
	v_add_f64 v[32:33], v[32:33], -v[146:147]
	v_add_f64 v[8:9], v[8:9], v[32:33]
	v_add_f64 v[32:33], v[34:35], v[8:9]
	v_add_f64 v[34:35], v[32:33], -v[34:35]
	v_add_f64 v[8:9], v[8:9], -v[34:35]
	v_add_f64 v[34:35], v[144:145], v[32:33]
	v_add_f64 v[146:147], v[34:35], -v[144:145]
	v_add_f64 v[150:151], v[34:35], -v[146:147]
	;; [unrolled: 1-line block ×4, first 2 shown]
	v_add_f64 v[32:33], v[32:33], v[144:145]
	v_add_f64 v[144:145], v[148:149], v[8:9]
	v_add_f64 v[146:147], v[144:145], -v[148:149]
	v_add_f64 v[32:33], v[144:145], v[32:33]
	v_add_f64 v[150:151], v[144:145], -v[146:147]
	;; [unrolled: 2-line block ×3, first 2 shown]
	v_add_f64 v[8:9], v[8:9], -v[146:147]
	v_add_f64 v[34:35], v[144:145], -v[34:35]
	v_add_f64 v[8:9], v[8:9], v[148:149]
	v_add_f64 v[32:33], v[32:33], -v[34:35]
	s_mov_b32 vcc_lo, 0
	v_add_f64 v[8:9], v[8:9], v[32:33]
	s_mov_b32 vcc_hi, 0x7ff00000
	v_add_f64 v[8:9], v[144:145], v[8:9]
	v_cmp_eq_f64_e32 vcc, vcc, v[6:7]
	v_mov_b32_e32 v32, 0x7ff80000
	s_nop 0
	v_cndmask_b32_e32 v8, v8, v6, vcc
	v_cndmask_b32_e32 v9, v9, v7, vcc
	v_cmp_ngt_f64_e32 vcc, -1.0, v[6:7]
	s_nop 1
	v_cndmask_b32_e32 v9, v32, v9, vcc
	v_cmp_nge_f64_e32 vcc, -1.0, v[6:7]
	v_mov_b32_e32 v32, 0xfff00000
	s_nop 0
	v_cndmask_b32_e32 v8, 0, v8, vcc
	v_cmp_neq_f64_e32 vcc, -1.0, v[6:7]
	s_nop 1
	v_cndmask_b32_e32 v9, v32, v9, vcc
	v_add_f64 v[144:145], v[4:5], v[8:9]
.LBB70_61:
	s_or_b64 exec, exec, s[34:35]
	v_max_f64 v[32:33], v[68:69], v[68:69]
	v_max_f64 v[4:5], v[144:145], v[144:145]
	v_min_f64 v[6:7], v[4:5], v[32:33]
	v_cmp_u_f64_e32 vcc, v[144:145], v[144:145]
	v_max_f64 v[4:5], v[4:5], v[32:33]
	v_cmp_u_f64_e64 s[30:31], v[68:69], v[68:69]
	v_cndmask_b32_e32 v6, v6, v144, vcc
	v_cndmask_b32_e32 v7, v7, v145, vcc
	;; [unrolled: 1-line block ×4, first 2 shown]
	v_cndmask_b32_e64 v7, v7, v69, s[30:31]
	v_cndmask_b32_e64 v6, v6, v68, s[30:31]
	;; [unrolled: 1-line block ×4, first 2 shown]
	s_movk_i32 s44, 0x1f8
	v_cmp_neq_f64_e32 vcc, v[6:7], v[4:5]
	v_cmp_class_f64_e64 s[34:35], v[6:7], s44
	s_or_b64 vcc, vcc, s[34:35]
	s_and_saveexec_b64 s[38:39], vcc
	s_cbranch_execz .LBB70_63
; %bb.62:
	s_mov_b32 vcc_lo, 0x652b82fe
	v_add_f64 v[6:7], v[6:7], -v[4:5]
	s_mov_b32 vcc_hi, 0x3ff71547
	v_mul_f64 v[8:9], v[6:7], vcc
	v_rndne_f64_e32 v[8:9], v[8:9]
	s_mov_b32 s41, 0xbfe62e42
	s_mov_b32 s40, 0xfefa39ef
	v_fma_f64 v[34:35], s[40:41], v[8:9], v[6:7]
	s_mov_b32 s43, 0xbc7abc9e
	s_mov_b32 s42, 0x3b39803f
	s_mov_b32 vcc_lo, 0x6a5dcb37
	v_fmac_f64_e32 v[34:35], s[42:43], v[8:9]
	v_mov_b32_e32 v144, 0xfca7ab0c
	v_mov_b32_e32 v145, 0x3e928af3
	s_mov_b32 vcc_hi, 0x3e5ade15
	v_fmac_f64_e32 v[144:145], vcc, v[34:35]
	v_mov_b32_e32 v146, 0x623fde64
	v_mov_b32_e32 v147, 0x3ec71dee
	v_fmac_f64_e32 v[146:147], v[34:35], v[144:145]
	v_mov_b32_e32 v144, 0x7c89e6b0
	v_mov_b32_e32 v145, 0x3efa0199
	v_fmac_f64_e32 v[144:145], v[34:35], v[146:147]
	;; [unrolled: 3-line block ×8, first 2 shown]
	v_fma_f64 v[144:145], v[34:35], v[144:145], 1.0
	s_mov_b32 vcc_lo, 0
	s_mov_b32 s34, 0
	v_fma_f64 v[34:35], v[34:35], v[144:145], 1.0
	v_cvt_i32_f64_e32 v8, v[8:9]
	s_mov_b32 vcc_hi, 0x40900000
	s_mov_b32 s35, 0xc090cc00
	v_ldexp_f64 v[8:9], v[34:35], v8
	v_mov_b32_e32 v34, 0x7ff00000
	v_cmp_nlt_f64_e32 vcc, vcc, v[6:7]
	v_cmp_ngt_f64_e64 s[34:35], s[34:35], v[6:7]
	s_mov_b32 s41, 0x3fe62e42
	v_cndmask_b32_e32 v9, v34, v9, vcc
	s_and_b64 vcc, s[34:35], vcc
	v_cndmask_b32_e64 v7, 0, v9, s[34:35]
	v_cndmask_b32_e32 v6, 0, v8, vcc
	v_add_f64 v[8:9], v[6:7], 1.0
	v_add_f64 v[34:35], v[8:9], -1.0
	v_add_f64 v[144:145], v[34:35], -v[8:9]
	v_add_f64 v[144:145], v[144:145], 1.0
	v_add_f64 v[34:35], v[6:7], -v[34:35]
	s_mov_b32 vcc_lo, 0x55555555
	v_add_f64 v[34:35], v[34:35], v[144:145]
	v_frexp_mant_f64_e32 v[144:145], v[8:9]
	s_mov_b32 vcc_hi, 0x3fe55555
	v_frexp_exp_i32_f64_e32 v53, v[8:9]
	v_cmp_gt_f64_e32 vcc, vcc, v[144:145]
	s_mov_b32 s43, 0x3c7abc9e
	s_nop 0
	v_subbrev_co_u32_e32 v53, vcc, 0, v53, vcc
	v_sub_u32_e32 v144, 0, v53
	v_ldexp_f64 v[8:9], v[8:9], v144
	v_ldexp_f64 v[34:35], v[34:35], v144
	v_add_f64 v[144:145], v[8:9], -1.0
	v_add_f64 v[150:151], v[8:9], 1.0
	v_add_f64 v[146:147], v[144:145], 1.0
	v_add_f64 v[160:161], v[150:151], -1.0
	v_add_f64 v[146:147], v[8:9], -v[146:147]
	v_add_f64 v[8:9], v[8:9], -v[160:161]
	v_add_f64 v[8:9], v[34:35], v[8:9]
	v_add_f64 v[146:147], v[34:35], v[146:147]
	v_add_f64 v[34:35], v[150:151], v[8:9]
	v_rcp_f64_e32 v[160:161], v[34:35]
	v_add_f64 v[148:149], v[144:145], v[146:147]
	v_add_f64 v[144:145], v[148:149], -v[144:145]
	v_add_f64 v[144:145], v[146:147], -v[144:145]
	;; [unrolled: 1-line block ×4, first 2 shown]
	v_fma_f64 v[146:147], -v[34:35], v[160:161], 1.0
	v_fmac_f64_e32 v[160:161], v[146:147], v[160:161]
	v_fma_f64 v[146:147], -v[34:35], v[160:161], 1.0
	v_fmac_f64_e32 v[160:161], v[146:147], v[160:161]
	v_mul_f64 v[146:147], v[148:149], v[160:161]
	v_mul_f64 v[150:151], v[34:35], v[146:147]
	v_fma_f64 v[162:163], v[146:147], v[34:35], -v[150:151]
	v_fmac_f64_e32 v[162:163], v[146:147], v[8:9]
	v_add_f64 v[164:165], v[150:151], v[162:163]
	v_add_f64 v[166:167], v[148:149], -v[164:165]
	v_add_f64 v[148:149], v[148:149], -v[166:167]
	;; [unrolled: 1-line block ×4, first 2 shown]
	v_add_f64 v[144:145], v[144:145], v[148:149]
	v_add_f64 v[148:149], v[150:151], -v[162:163]
	v_add_f64 v[144:145], v[148:149], v[144:145]
	v_add_f64 v[148:149], v[166:167], v[144:145]
	v_add_f64 v[150:151], v[166:167], -v[148:149]
	v_add_f64 v[144:145], v[144:145], v[150:151]
	v_mul_f64 v[150:151], v[160:161], v[148:149]
	v_mul_f64 v[162:163], v[34:35], v[150:151]
	v_fma_f64 v[34:35], v[150:151], v[34:35], -v[162:163]
	v_fmac_f64_e32 v[34:35], v[150:151], v[8:9]
	v_add_f64 v[8:9], v[162:163], v[34:35]
	v_add_f64 v[164:165], v[148:149], -v[8:9]
	v_add_f64 v[148:149], v[148:149], -v[164:165]
	;; [unrolled: 1-line block ×4, first 2 shown]
	v_add_f64 v[8:9], v[144:145], v[8:9]
	v_add_f64 v[34:35], v[162:163], -v[34:35]
	v_add_f64 v[8:9], v[34:35], v[8:9]
	v_add_f64 v[34:35], v[146:147], v[150:151]
	;; [unrolled: 1-line block ×3, first 2 shown]
	v_add_f64 v[144:145], v[34:35], -v[146:147]
	v_mul_f64 v[8:9], v[160:161], v[8:9]
	v_add_f64 v[144:145], v[150:151], -v[144:145]
	v_add_f64 v[8:9], v[144:145], v[8:9]
	v_add_f64 v[144:145], v[34:35], v[8:9]
	v_add_f64 v[34:35], v[144:145], -v[34:35]
	s_mov_b32 vcc_lo, 0xbf559e2b
	v_add_f64 v[8:9], v[8:9], -v[34:35]
	v_mul_f64 v[34:35], v[144:145], v[144:145]
	v_mov_b32_e32 v146, 0x6b47b09a
	v_mov_b32_e32 v147, 0x3fc38538
	s_mov_b32 vcc_hi, 0x3fc3ab76
	v_fmac_f64_e32 v[146:147], vcc, v[34:35]
	v_mov_b32_e32 v148, 0xd7f4df2e
	v_mov_b32_e32 v149, 0x3fc7474d
	v_fmac_f64_e32 v[148:149], v[34:35], v[146:147]
	v_mov_b32_e32 v146, 0x16291751
	v_mov_b32_e32 v147, 0x3fcc71c0
	v_fmac_f64_e32 v[146:147], v[34:35], v[148:149]
	;; [unrolled: 3-line block ×5, first 2 shown]
	v_cvt_f64_i32_e32 v[146:147], v53
	v_mul_f64 v[150:151], v[146:147], s[40:41]
	v_fma_f64 v[160:161], v[146:147], s[40:41], -v[150:151]
	v_fmac_f64_e32 v[160:161], s[42:43], v[146:147]
	v_add_f64 v[146:147], v[150:151], v[160:161]
	v_add_f64 v[150:151], v[146:147], -v[150:151]
	v_mul_f64 v[34:35], v[144:145], v[34:35]
	v_add_f64 v[150:151], v[160:161], -v[150:151]
	v_ldexp_f64 v[160:161], v[144:145], 1
	v_mul_f64 v[34:35], v[34:35], v[148:149]
	v_add_f64 v[144:145], v[160:161], v[34:35]
	v_add_f64 v[148:149], v[144:145], -v[160:161]
	v_ldexp_f64 v[8:9], v[8:9], 1
	v_add_f64 v[34:35], v[34:35], -v[148:149]
	v_add_f64 v[8:9], v[8:9], v[34:35]
	v_add_f64 v[34:35], v[144:145], v[8:9]
	v_add_f64 v[144:145], v[34:35], -v[144:145]
	v_add_f64 v[8:9], v[8:9], -v[144:145]
	v_add_f64 v[144:145], v[146:147], v[34:35]
	v_add_f64 v[148:149], v[144:145], -v[146:147]
	v_add_f64 v[160:161], v[144:145], -v[148:149]
	v_add_f64 v[146:147], v[146:147], -v[160:161]
	v_add_f64 v[34:35], v[34:35], -v[148:149]
	v_add_f64 v[34:35], v[34:35], v[146:147]
	v_add_f64 v[146:147], v[150:151], v[8:9]
	v_add_f64 v[148:149], v[146:147], -v[150:151]
	v_add_f64 v[34:35], v[146:147], v[34:35]
	v_add_f64 v[160:161], v[146:147], -v[148:149]
	;; [unrolled: 2-line block ×3, first 2 shown]
	v_add_f64 v[8:9], v[8:9], -v[148:149]
	v_add_f64 v[144:145], v[146:147], -v[144:145]
	v_add_f64 v[8:9], v[8:9], v[150:151]
	v_add_f64 v[34:35], v[34:35], -v[144:145]
	s_mov_b32 vcc_lo, 0
	v_add_f64 v[8:9], v[8:9], v[34:35]
	s_mov_b32 vcc_hi, 0x7ff00000
	v_add_f64 v[8:9], v[146:147], v[8:9]
	v_cmp_eq_f64_e32 vcc, vcc, v[6:7]
	v_mov_b32_e32 v34, 0x7ff80000
	s_nop 0
	v_cndmask_b32_e32 v8, v8, v6, vcc
	v_cndmask_b32_e32 v9, v9, v7, vcc
	v_cmp_ngt_f64_e32 vcc, -1.0, v[6:7]
	s_nop 1
	v_cndmask_b32_e32 v9, v34, v9, vcc
	v_cmp_nge_f64_e32 vcc, -1.0, v[6:7]
	v_mov_b32_e32 v34, 0xfff00000
	s_nop 0
	v_cndmask_b32_e32 v8, 0, v8, vcc
	v_cmp_neq_f64_e32 vcc, -1.0, v[6:7]
	s_nop 1
	v_cndmask_b32_e32 v9, v34, v9, vcc
	v_add_f64 v[144:145], v[4:5], v[8:9]
.LBB70_63:
	s_or_b64 exec, exec, s[38:39]
	v_max_f64 v[34:35], v[130:131], v[130:131]
	v_max_f64 v[4:5], v[144:145], v[144:145]
	v_min_f64 v[6:7], v[4:5], v[34:35]
	v_cmp_u_f64_e32 vcc, v[144:145], v[144:145]
	v_max_f64 v[4:5], v[4:5], v[34:35]
	v_cmp_u_f64_e64 s[34:35], v[130:131], v[130:131]
	v_cndmask_b32_e32 v6, v6, v144, vcc
	v_cndmask_b32_e32 v7, v7, v145, vcc
	;; [unrolled: 1-line block ×4, first 2 shown]
	v_cndmask_b32_e64 v7, v7, v131, s[34:35]
	v_cndmask_b32_e64 v6, v6, v130, s[34:35]
	;; [unrolled: 1-line block ×4, first 2 shown]
	v_cmp_neq_f64_e32 vcc, v[6:7], v[4:5]
	v_cmp_class_f64_e64 s[38:39], v[6:7], s44
	s_or_b64 vcc, vcc, s[38:39]
	s_and_saveexec_b64 s[40:41], vcc
	s_cbranch_execz .LBB70_65
; %bb.64:
	s_mov_b32 vcc_lo, 0x652b82fe
	v_add_f64 v[6:7], v[6:7], -v[4:5]
	s_mov_b32 vcc_hi, 0x3ff71547
	v_mul_f64 v[8:9], v[6:7], vcc
	v_rndne_f64_e32 v[8:9], v[8:9]
	s_mov_b32 s43, 0xbfe62e42
	s_mov_b32 s42, 0xfefa39ef
	v_fma_f64 v[144:145], s[42:43], v[8:9], v[6:7]
	s_mov_b32 s45, 0xbc7abc9e
	s_mov_b32 s44, 0x3b39803f
	s_mov_b32 vcc_lo, 0x6a5dcb37
	v_fmac_f64_e32 v[144:145], s[44:45], v[8:9]
	v_mov_b32_e32 v146, 0xfca7ab0c
	v_mov_b32_e32 v147, 0x3e928af3
	s_mov_b32 vcc_hi, 0x3e5ade15
	v_fmac_f64_e32 v[146:147], vcc, v[144:145]
	v_mov_b32_e32 v148, 0x623fde64
	v_mov_b32_e32 v149, 0x3ec71dee
	v_fmac_f64_e32 v[148:149], v[144:145], v[146:147]
	v_mov_b32_e32 v146, 0x7c89e6b0
	v_mov_b32_e32 v147, 0x3efa0199
	v_fmac_f64_e32 v[146:147], v[144:145], v[148:149]
	;; [unrolled: 3-line block ×8, first 2 shown]
	v_fma_f64 v[146:147], v[144:145], v[146:147], 1.0
	s_mov_b32 vcc_lo, 0
	s_mov_b32 s38, 0
	v_fma_f64 v[144:145], v[144:145], v[146:147], 1.0
	v_cvt_i32_f64_e32 v8, v[8:9]
	s_mov_b32 vcc_hi, 0x40900000
	s_mov_b32 s39, 0xc090cc00
	v_ldexp_f64 v[8:9], v[144:145], v8
	v_mov_b32_e32 v53, 0x7ff00000
	v_cmp_nlt_f64_e32 vcc, vcc, v[6:7]
	v_cmp_ngt_f64_e64 s[38:39], s[38:39], v[6:7]
	s_mov_b32 s43, 0x3fe62e42
	v_cndmask_b32_e32 v9, v53, v9, vcc
	s_and_b64 vcc, s[38:39], vcc
	v_cndmask_b32_e64 v7, 0, v9, s[38:39]
	v_cndmask_b32_e32 v6, 0, v8, vcc
	v_add_f64 v[8:9], v[6:7], 1.0
	v_add_f64 v[144:145], v[8:9], -1.0
	v_add_f64 v[146:147], v[144:145], -v[8:9]
	v_add_f64 v[146:147], v[146:147], 1.0
	v_add_f64 v[144:145], v[6:7], -v[144:145]
	s_mov_b32 vcc_lo, 0x55555555
	v_add_f64 v[144:145], v[144:145], v[146:147]
	v_frexp_mant_f64_e32 v[146:147], v[8:9]
	s_mov_b32 vcc_hi, 0x3fe55555
	v_frexp_exp_i32_f64_e32 v53, v[8:9]
	v_cmp_gt_f64_e32 vcc, vcc, v[146:147]
	s_mov_b32 s45, 0x3c7abc9e
	s_nop 0
	v_subbrev_co_u32_e32 v53, vcc, 0, v53, vcc
	v_sub_u32_e32 v146, 0, v53
	v_ldexp_f64 v[8:9], v[8:9], v146
	v_ldexp_f64 v[144:145], v[144:145], v146
	v_add_f64 v[146:147], v[8:9], -1.0
	v_add_f64 v[160:161], v[8:9], 1.0
	v_add_f64 v[148:149], v[146:147], 1.0
	v_add_f64 v[162:163], v[160:161], -1.0
	v_add_f64 v[148:149], v[8:9], -v[148:149]
	v_add_f64 v[8:9], v[8:9], -v[162:163]
	v_add_f64 v[8:9], v[144:145], v[8:9]
	v_add_f64 v[148:149], v[144:145], v[148:149]
	;; [unrolled: 1-line block ×3, first 2 shown]
	v_rcp_f64_e32 v[162:163], v[144:145]
	v_add_f64 v[150:151], v[146:147], v[148:149]
	v_add_f64 v[146:147], v[150:151], -v[146:147]
	v_add_f64 v[146:147], v[148:149], -v[146:147]
	;; [unrolled: 1-line block ×4, first 2 shown]
	v_fma_f64 v[148:149], -v[144:145], v[162:163], 1.0
	v_fmac_f64_e32 v[162:163], v[148:149], v[162:163]
	v_fma_f64 v[148:149], -v[144:145], v[162:163], 1.0
	v_fmac_f64_e32 v[162:163], v[148:149], v[162:163]
	v_mul_f64 v[148:149], v[150:151], v[162:163]
	v_mul_f64 v[160:161], v[144:145], v[148:149]
	v_fma_f64 v[164:165], v[148:149], v[144:145], -v[160:161]
	v_fmac_f64_e32 v[164:165], v[148:149], v[8:9]
	v_add_f64 v[166:167], v[160:161], v[164:165]
	v_add_f64 v[176:177], v[150:151], -v[166:167]
	v_add_f64 v[150:151], v[150:151], -v[176:177]
	;; [unrolled: 1-line block ×4, first 2 shown]
	v_add_f64 v[146:147], v[146:147], v[150:151]
	v_add_f64 v[150:151], v[160:161], -v[164:165]
	v_add_f64 v[146:147], v[150:151], v[146:147]
	v_add_f64 v[150:151], v[176:177], v[146:147]
	v_add_f64 v[160:161], v[176:177], -v[150:151]
	v_add_f64 v[146:147], v[146:147], v[160:161]
	v_mul_f64 v[160:161], v[162:163], v[150:151]
	v_mul_f64 v[164:165], v[144:145], v[160:161]
	v_fma_f64 v[144:145], v[160:161], v[144:145], -v[164:165]
	v_fmac_f64_e32 v[144:145], v[160:161], v[8:9]
	v_add_f64 v[8:9], v[164:165], v[144:145]
	v_add_f64 v[166:167], v[150:151], -v[8:9]
	v_add_f64 v[150:151], v[150:151], -v[166:167]
	;; [unrolled: 1-line block ×4, first 2 shown]
	v_add_f64 v[8:9], v[146:147], v[8:9]
	v_add_f64 v[144:145], v[164:165], -v[144:145]
	v_add_f64 v[8:9], v[144:145], v[8:9]
	v_add_f64 v[144:145], v[148:149], v[160:161]
	;; [unrolled: 1-line block ×3, first 2 shown]
	v_add_f64 v[146:147], v[144:145], -v[148:149]
	v_mul_f64 v[8:9], v[162:163], v[8:9]
	v_add_f64 v[146:147], v[160:161], -v[146:147]
	v_add_f64 v[8:9], v[146:147], v[8:9]
	v_add_f64 v[146:147], v[144:145], v[8:9]
	v_add_f64 v[144:145], v[146:147], -v[144:145]
	s_mov_b32 vcc_lo, 0xbf559e2b
	v_add_f64 v[8:9], v[8:9], -v[144:145]
	v_mul_f64 v[144:145], v[146:147], v[146:147]
	v_mov_b32_e32 v148, 0x6b47b09a
	v_mov_b32_e32 v149, 0x3fc38538
	s_mov_b32 vcc_hi, 0x3fc3ab76
	v_fmac_f64_e32 v[148:149], vcc, v[144:145]
	v_mov_b32_e32 v150, 0xd7f4df2e
	v_mov_b32_e32 v151, 0x3fc7474d
	v_fmac_f64_e32 v[150:151], v[144:145], v[148:149]
	v_mov_b32_e32 v148, 0x16291751
	v_mov_b32_e32 v149, 0x3fcc71c0
	v_fmac_f64_e32 v[148:149], v[144:145], v[150:151]
	;; [unrolled: 3-line block ×5, first 2 shown]
	v_cvt_f64_i32_e32 v[148:149], v53
	v_mul_f64 v[160:161], v[148:149], s[42:43]
	v_fma_f64 v[162:163], v[148:149], s[42:43], -v[160:161]
	v_fmac_f64_e32 v[162:163], s[44:45], v[148:149]
	v_add_f64 v[148:149], v[160:161], v[162:163]
	v_add_f64 v[160:161], v[148:149], -v[160:161]
	v_mul_f64 v[144:145], v[146:147], v[144:145]
	v_add_f64 v[160:161], v[162:163], -v[160:161]
	v_ldexp_f64 v[162:163], v[146:147], 1
	v_mul_f64 v[144:145], v[144:145], v[150:151]
	v_add_f64 v[146:147], v[162:163], v[144:145]
	v_add_f64 v[150:151], v[146:147], -v[162:163]
	v_ldexp_f64 v[8:9], v[8:9], 1
	v_add_f64 v[144:145], v[144:145], -v[150:151]
	v_add_f64 v[8:9], v[8:9], v[144:145]
	v_add_f64 v[144:145], v[146:147], v[8:9]
	v_add_f64 v[146:147], v[144:145], -v[146:147]
	v_add_f64 v[8:9], v[8:9], -v[146:147]
	v_add_f64 v[146:147], v[148:149], v[144:145]
	v_add_f64 v[150:151], v[146:147], -v[148:149]
	v_add_f64 v[162:163], v[146:147], -v[150:151]
	v_add_f64 v[148:149], v[148:149], -v[162:163]
	v_add_f64 v[144:145], v[144:145], -v[150:151]
	v_add_f64 v[144:145], v[144:145], v[148:149]
	v_add_f64 v[148:149], v[160:161], v[8:9]
	v_add_f64 v[150:151], v[148:149], -v[160:161]
	v_add_f64 v[144:145], v[148:149], v[144:145]
	v_add_f64 v[162:163], v[148:149], -v[150:151]
	v_add_f64 v[148:149], v[146:147], v[144:145]
	v_add_f64 v[160:161], v[160:161], -v[162:163]
	v_add_f64 v[8:9], v[8:9], -v[150:151]
	v_add_f64 v[146:147], v[148:149], -v[146:147]
	v_add_f64 v[8:9], v[8:9], v[160:161]
	v_add_f64 v[144:145], v[144:145], -v[146:147]
	s_mov_b32 vcc_lo, 0
	v_add_f64 v[8:9], v[8:9], v[144:145]
	s_mov_b32 vcc_hi, 0x7ff00000
	v_add_f64 v[8:9], v[148:149], v[8:9]
	v_cmp_eq_f64_e32 vcc, vcc, v[6:7]
	v_mov_b32_e32 v53, 0x7ff80000
	s_nop 0
	v_cndmask_b32_e32 v8, v8, v6, vcc
	v_cndmask_b32_e32 v9, v9, v7, vcc
	v_cmp_ngt_f64_e32 vcc, -1.0, v[6:7]
	s_nop 1
	v_cndmask_b32_e32 v9, v53, v9, vcc
	v_cmp_nge_f64_e32 vcc, -1.0, v[6:7]
	v_mov_b32_e32 v53, 0xfff00000
	s_nop 0
	v_cndmask_b32_e32 v8, 0, v8, vcc
	v_cmp_neq_f64_e32 vcc, -1.0, v[6:7]
	s_nop 1
	v_cndmask_b32_e32 v9, v53, v9, vcc
	v_add_f64 v[144:145], v[4:5], v[8:9]
.LBB70_65:
	s_or_b64 exec, exec, s[40:41]
	v_lshrrev_b32_e32 v4, 5, v70
	v_add_lshl_u32 v4, v4, v70, 3
	v_cmp_gt_u32_e32 vcc, 64, v70
	ds_write_b64 v4, v[144:145]
	s_waitcnt lgkmcnt(0)
	s_barrier
	s_and_saveexec_b64 s[44:45], vcc
	s_cbranch_execz .LBB70_105
; %bb.66:
	v_lshlrev_b32_e32 v4, 2, v70
	v_lshrrev_b32_e32 v5, 3, v70
	v_add_lshl_u32 v53, v5, v4, 3
	ds_read2_b64 v[4:7], v53 offset1:1
	s_movk_i32 s52, 0x1f8
	s_waitcnt lgkmcnt(0)
	v_max_f64 v[146:147], v[6:7], v[6:7]
	v_max_f64 v[8:9], v[4:5], v[4:5]
	v_min_f64 v[148:149], v[8:9], v[146:147]
	v_cmp_u_f64_e64 s[38:39], v[4:5], v[4:5]
	v_max_f64 v[146:147], v[8:9], v[146:147]
	v_cmp_u_f64_e64 s[40:41], v[6:7], v[6:7]
	v_cndmask_b32_e64 v148, v148, v4, s[38:39]
	v_cndmask_b32_e64 v149, v149, v5, s[38:39]
	;; [unrolled: 1-line block ×8, first 2 shown]
	v_cmp_neq_f64_e64 s[40:41], v[148:149], v[146:147]
	v_cmp_class_f64_e64 s[42:43], v[148:149], s52
	s_or_b64 s[40:41], s[40:41], s[42:43]
	v_mov_b64_e32 v[6:7], v[4:5]
	s_and_saveexec_b64 s[46:47], s[40:41]
	s_cbranch_execz .LBB70_68
; %bb.67:
	s_mov_b32 s40, 0x652b82fe
	v_add_f64 v[6:7], v[148:149], -v[146:147]
	s_mov_b32 s41, 0x3ff71547
	v_mul_f64 v[148:149], v[6:7], s[40:41]
	v_rndne_f64_e32 v[148:149], v[148:149]
	s_mov_b32 s49, 0xbfe62e42
	s_mov_b32 s48, 0xfefa39ef
	v_fma_f64 v[150:151], s[48:49], v[148:149], v[6:7]
	s_mov_b32 s51, 0xbc7abc9e
	s_mov_b32 s50, 0x3b39803f
	s_mov_b32 s40, 0x6a5dcb37
	v_fmac_f64_e32 v[150:151], s[50:51], v[148:149]
	v_mov_b32_e32 v160, 0xfca7ab0c
	v_mov_b32_e32 v161, 0x3e928af3
	s_mov_b32 s41, 0x3e5ade15
	v_fmac_f64_e32 v[160:161], s[40:41], v[150:151]
	v_mov_b32_e32 v162, 0x623fde64
	v_mov_b32_e32 v163, 0x3ec71dee
	v_fmac_f64_e32 v[162:163], v[150:151], v[160:161]
	v_mov_b32_e32 v160, 0x7c89e6b0
	v_mov_b32_e32 v161, 0x3efa0199
	;; [unrolled: 3-line block ×8, first 2 shown]
	v_fmac_f64_e32 v[160:161], v[150:151], v[162:163]
	v_fma_f64 v[160:161], v[150:151], v[160:161], 1.0
	s_mov_b32 s40, 0
	s_mov_b32 s42, 0
	v_fma_f64 v[150:151], v[150:151], v[160:161], 1.0
	v_cvt_i32_f64_e32 v148, v[148:149]
	s_mov_b32 s41, 0x40900000
	s_mov_b32 s43, 0xc090cc00
	v_ldexp_f64 v[148:149], v[150:151], v148
	v_mov_b32_e32 v150, 0x7ff00000
	v_cmp_nlt_f64_e64 s[40:41], s[40:41], v[6:7]
	v_cmp_ngt_f64_e64 s[42:43], s[42:43], v[6:7]
	s_mov_b32 s49, 0x3fe62e42
	v_cndmask_b32_e64 v149, v150, v149, s[40:41]
	s_and_b64 s[40:41], s[42:43], s[40:41]
	v_cndmask_b32_e64 v7, 0, v149, s[42:43]
	v_cndmask_b32_e64 v6, 0, v148, s[40:41]
	v_add_f64 v[148:149], v[6:7], 1.0
	v_add_f64 v[150:151], v[148:149], -1.0
	v_add_f64 v[160:161], v[150:151], -v[148:149]
	v_add_f64 v[160:161], v[160:161], 1.0
	v_add_f64 v[150:151], v[6:7], -v[150:151]
	s_mov_b32 s40, 0x55555555
	v_add_f64 v[150:151], v[150:151], v[160:161]
	v_frexp_mant_f64_e32 v[160:161], v[148:149]
	s_mov_b32 s41, 0x3fe55555
	v_frexp_exp_i32_f64_e32 v162, v[148:149]
	v_cmp_gt_f64_e64 s[40:41], s[40:41], v[160:161]
	s_mov_b32 s51, 0x3c7abc9e
	s_nop 0
	v_subbrev_co_u32_e64 v192, s[40:41], 0, v162, s[40:41]
	v_sub_u32_e32 v160, 0, v192
	v_ldexp_f64 v[148:149], v[148:149], v160
	v_ldexp_f64 v[150:151], v[150:151], v160
	v_add_f64 v[160:161], v[148:149], -1.0
	v_add_f64 v[166:167], v[148:149], 1.0
	v_add_f64 v[162:163], v[160:161], 1.0
	v_add_f64 v[176:177], v[166:167], -1.0
	v_add_f64 v[162:163], v[148:149], -v[162:163]
	v_add_f64 v[148:149], v[148:149], -v[176:177]
	v_add_f64 v[148:149], v[150:151], v[148:149]
	v_add_f64 v[162:163], v[150:151], v[162:163]
	;; [unrolled: 1-line block ×3, first 2 shown]
	v_rcp_f64_e32 v[176:177], v[150:151]
	v_add_f64 v[164:165], v[160:161], v[162:163]
	v_add_f64 v[160:161], v[164:165], -v[160:161]
	v_add_f64 v[160:161], v[162:163], -v[160:161]
	;; [unrolled: 1-line block ×4, first 2 shown]
	v_fma_f64 v[162:163], -v[150:151], v[176:177], 1.0
	v_fmac_f64_e32 v[176:177], v[162:163], v[176:177]
	v_fma_f64 v[162:163], -v[150:151], v[176:177], 1.0
	v_fmac_f64_e32 v[176:177], v[162:163], v[176:177]
	v_mul_f64 v[162:163], v[164:165], v[176:177]
	v_mul_f64 v[166:167], v[150:151], v[162:163]
	v_fma_f64 v[178:179], v[162:163], v[150:151], -v[166:167]
	v_fmac_f64_e32 v[178:179], v[162:163], v[148:149]
	v_add_f64 v[180:181], v[166:167], v[178:179]
	v_add_f64 v[182:183], v[164:165], -v[180:181]
	v_add_f64 v[164:165], v[164:165], -v[182:183]
	v_add_f64 v[166:167], v[180:181], -v[166:167]
	v_add_f64 v[164:165], v[164:165], -v[180:181]
	v_add_f64 v[160:161], v[160:161], v[164:165]
	v_add_f64 v[164:165], v[166:167], -v[178:179]
	v_add_f64 v[160:161], v[164:165], v[160:161]
	v_add_f64 v[164:165], v[182:183], v[160:161]
	v_add_f64 v[166:167], v[182:183], -v[164:165]
	v_add_f64 v[160:161], v[160:161], v[166:167]
	v_mul_f64 v[166:167], v[176:177], v[164:165]
	v_mul_f64 v[178:179], v[150:151], v[166:167]
	v_fma_f64 v[150:151], v[166:167], v[150:151], -v[178:179]
	v_fmac_f64_e32 v[150:151], v[166:167], v[148:149]
	v_add_f64 v[148:149], v[178:179], v[150:151]
	v_add_f64 v[180:181], v[164:165], -v[148:149]
	v_add_f64 v[164:165], v[164:165], -v[180:181]
	v_add_f64 v[178:179], v[148:149], -v[178:179]
	v_add_f64 v[148:149], v[164:165], -v[148:149]
	v_add_f64 v[148:149], v[160:161], v[148:149]
	v_add_f64 v[150:151], v[178:179], -v[150:151]
	v_add_f64 v[148:149], v[150:151], v[148:149]
	v_add_f64 v[150:151], v[162:163], v[166:167]
	;; [unrolled: 1-line block ×3, first 2 shown]
	v_add_f64 v[160:161], v[150:151], -v[162:163]
	v_mul_f64 v[148:149], v[176:177], v[148:149]
	v_add_f64 v[160:161], v[166:167], -v[160:161]
	v_add_f64 v[148:149], v[160:161], v[148:149]
	v_add_f64 v[160:161], v[150:151], v[148:149]
	v_add_f64 v[150:151], v[160:161], -v[150:151]
	s_mov_b32 s40, 0xbf559e2b
	v_add_f64 v[148:149], v[148:149], -v[150:151]
	v_mul_f64 v[150:151], v[160:161], v[160:161]
	v_mov_b32_e32 v162, 0x6b47b09a
	v_mov_b32_e32 v163, 0x3fc38538
	s_mov_b32 s41, 0x3fc3ab76
	v_fmac_f64_e32 v[162:163], s[40:41], v[150:151]
	v_mov_b32_e32 v164, 0xd7f4df2e
	v_mov_b32_e32 v165, 0x3fc7474d
	v_fmac_f64_e32 v[164:165], v[150:151], v[162:163]
	v_mov_b32_e32 v162, 0x16291751
	v_mov_b32_e32 v163, 0x3fcc71c0
	;; [unrolled: 3-line block ×5, first 2 shown]
	v_fmac_f64_e32 v[164:165], v[150:151], v[162:163]
	v_cvt_f64_i32_e32 v[162:163], v192
	v_mul_f64 v[166:167], v[162:163], s[48:49]
	v_fma_f64 v[176:177], v[162:163], s[48:49], -v[166:167]
	v_fmac_f64_e32 v[176:177], s[50:51], v[162:163]
	v_add_f64 v[162:163], v[166:167], v[176:177]
	v_add_f64 v[166:167], v[162:163], -v[166:167]
	v_mul_f64 v[150:151], v[160:161], v[150:151]
	v_add_f64 v[166:167], v[176:177], -v[166:167]
	v_ldexp_f64 v[176:177], v[160:161], 1
	v_mul_f64 v[150:151], v[150:151], v[164:165]
	v_add_f64 v[160:161], v[176:177], v[150:151]
	v_add_f64 v[164:165], v[160:161], -v[176:177]
	v_ldexp_f64 v[148:149], v[148:149], 1
	v_add_f64 v[150:151], v[150:151], -v[164:165]
	v_add_f64 v[148:149], v[148:149], v[150:151]
	v_add_f64 v[150:151], v[160:161], v[148:149]
	v_add_f64 v[160:161], v[150:151], -v[160:161]
	v_add_f64 v[148:149], v[148:149], -v[160:161]
	v_add_f64 v[160:161], v[162:163], v[150:151]
	v_add_f64 v[164:165], v[160:161], -v[162:163]
	v_add_f64 v[176:177], v[160:161], -v[164:165]
	;; [unrolled: 1-line block ×4, first 2 shown]
	v_add_f64 v[150:151], v[150:151], v[162:163]
	v_add_f64 v[162:163], v[166:167], v[148:149]
	v_add_f64 v[164:165], v[162:163], -v[166:167]
	v_add_f64 v[150:151], v[162:163], v[150:151]
	v_add_f64 v[176:177], v[162:163], -v[164:165]
	;; [unrolled: 2-line block ×3, first 2 shown]
	v_add_f64 v[148:149], v[148:149], -v[164:165]
	v_add_f64 v[160:161], v[162:163], -v[160:161]
	v_add_f64 v[148:149], v[148:149], v[166:167]
	v_add_f64 v[150:151], v[150:151], -v[160:161]
	s_mov_b32 s40, 0
	v_add_f64 v[148:149], v[148:149], v[150:151]
	s_mov_b32 s41, 0x7ff00000
	v_add_f64 v[148:149], v[162:163], v[148:149]
	v_cmp_eq_f64_e64 s[40:41], s[40:41], v[6:7]
	v_mov_b32_e32 v150, 0x7ff80000
	s_nop 0
	v_cndmask_b32_e64 v148, v148, v6, s[40:41]
	v_cndmask_b32_e64 v149, v149, v7, s[40:41]
	v_cmp_ngt_f64_e64 s[40:41], -1.0, v[6:7]
	s_nop 1
	v_cndmask_b32_e64 v149, v150, v149, s[40:41]
	v_cmp_nge_f64_e64 s[40:41], -1.0, v[6:7]
	v_mov_b32_e32 v150, 0xfff00000
	s_nop 0
	v_cndmask_b32_e64 v148, 0, v148, s[40:41]
	v_cmp_neq_f64_e64 s[40:41], -1.0, v[6:7]
	s_nop 1
	v_cndmask_b32_e64 v149, v150, v149, s[40:41]
	v_add_f64 v[6:7], v[146:147], v[148:149]
.LBB70_68:
	s_or_b64 exec, exec, s[46:47]
	ds_read_b64 v[146:147], v53 offset:16
	v_max_f64 v[150:151], v[6:7], v[6:7]
	v_cmp_u_f64_e64 s[40:41], v[6:7], v[6:7]
	s_waitcnt lgkmcnt(0)
	v_max_f64 v[160:161], v[146:147], v[146:147]
	v_min_f64 v[148:149], v[150:151], v[160:161]
	v_max_f64 v[150:151], v[150:151], v[160:161]
	v_cndmask_b32_e64 v148, v148, v6, s[40:41]
	v_cndmask_b32_e64 v149, v149, v7, s[40:41]
	v_cmp_u_f64_e64 s[42:43], v[146:147], v[146:147]
	v_cndmask_b32_e64 v150, v150, v6, s[40:41]
	v_cndmask_b32_e64 v151, v151, v7, s[40:41]
	;; [unrolled: 1-line block ×6, first 2 shown]
	v_cmp_neq_f64_e64 s[40:41], v[148:149], v[146:147]
	v_cmp_class_f64_e64 s[42:43], v[148:149], s52
	s_or_b64 s[40:41], s[40:41], s[42:43]
	s_and_saveexec_b64 s[46:47], s[40:41]
	s_cbranch_execz .LBB70_70
; %bb.69:
	s_mov_b32 s40, 0x652b82fe
	v_add_f64 v[6:7], v[148:149], -v[146:147]
	s_mov_b32 s41, 0x3ff71547
	v_mul_f64 v[148:149], v[6:7], s[40:41]
	v_rndne_f64_e32 v[148:149], v[148:149]
	s_mov_b32 s49, 0xbfe62e42
	s_mov_b32 s48, 0xfefa39ef
	v_fma_f64 v[150:151], s[48:49], v[148:149], v[6:7]
	s_mov_b32 s51, 0xbc7abc9e
	s_mov_b32 s50, 0x3b39803f
	;; [unrolled: 1-line block ×3, first 2 shown]
	v_fmac_f64_e32 v[150:151], s[50:51], v[148:149]
	v_mov_b32_e32 v160, 0xfca7ab0c
	v_mov_b32_e32 v161, 0x3e928af3
	s_mov_b32 s41, 0x3e5ade15
	v_fmac_f64_e32 v[160:161], s[40:41], v[150:151]
	v_mov_b32_e32 v162, 0x623fde64
	v_mov_b32_e32 v163, 0x3ec71dee
	v_fmac_f64_e32 v[162:163], v[150:151], v[160:161]
	v_mov_b32_e32 v160, 0x7c89e6b0
	v_mov_b32_e32 v161, 0x3efa0199
	;; [unrolled: 3-line block ×8, first 2 shown]
	v_fmac_f64_e32 v[160:161], v[150:151], v[162:163]
	v_fma_f64 v[160:161], v[150:151], v[160:161], 1.0
	s_mov_b32 s40, 0
	s_mov_b32 s42, 0
	v_fma_f64 v[150:151], v[150:151], v[160:161], 1.0
	v_cvt_i32_f64_e32 v148, v[148:149]
	s_mov_b32 s41, 0x40900000
	s_mov_b32 s43, 0xc090cc00
	v_ldexp_f64 v[148:149], v[150:151], v148
	v_mov_b32_e32 v150, 0x7ff00000
	v_cmp_nlt_f64_e64 s[40:41], s[40:41], v[6:7]
	v_cmp_ngt_f64_e64 s[42:43], s[42:43], v[6:7]
	s_mov_b32 s49, 0x3fe62e42
	v_cndmask_b32_e64 v149, v150, v149, s[40:41]
	s_and_b64 s[40:41], s[42:43], s[40:41]
	v_cndmask_b32_e64 v7, 0, v149, s[42:43]
	v_cndmask_b32_e64 v6, 0, v148, s[40:41]
	v_add_f64 v[148:149], v[6:7], 1.0
	v_add_f64 v[150:151], v[148:149], -1.0
	v_add_f64 v[160:161], v[150:151], -v[148:149]
	v_add_f64 v[160:161], v[160:161], 1.0
	v_add_f64 v[150:151], v[6:7], -v[150:151]
	s_mov_b32 s40, 0x55555555
	v_add_f64 v[150:151], v[150:151], v[160:161]
	v_frexp_mant_f64_e32 v[160:161], v[148:149]
	s_mov_b32 s41, 0x3fe55555
	v_frexp_exp_i32_f64_e32 v162, v[148:149]
	v_cmp_gt_f64_e64 s[40:41], s[40:41], v[160:161]
	s_mov_b32 s51, 0x3c7abc9e
	s_nop 0
	v_subbrev_co_u32_e64 v192, s[40:41], 0, v162, s[40:41]
	v_sub_u32_e32 v160, 0, v192
	v_ldexp_f64 v[148:149], v[148:149], v160
	v_ldexp_f64 v[150:151], v[150:151], v160
	v_add_f64 v[160:161], v[148:149], -1.0
	v_add_f64 v[166:167], v[148:149], 1.0
	v_add_f64 v[162:163], v[160:161], 1.0
	v_add_f64 v[176:177], v[166:167], -1.0
	v_add_f64 v[162:163], v[148:149], -v[162:163]
	v_add_f64 v[148:149], v[148:149], -v[176:177]
	v_add_f64 v[148:149], v[150:151], v[148:149]
	v_add_f64 v[162:163], v[150:151], v[162:163]
	;; [unrolled: 1-line block ×3, first 2 shown]
	v_rcp_f64_e32 v[176:177], v[150:151]
	v_add_f64 v[164:165], v[160:161], v[162:163]
	v_add_f64 v[160:161], v[164:165], -v[160:161]
	v_add_f64 v[160:161], v[162:163], -v[160:161]
	;; [unrolled: 1-line block ×4, first 2 shown]
	v_fma_f64 v[162:163], -v[150:151], v[176:177], 1.0
	v_fmac_f64_e32 v[176:177], v[162:163], v[176:177]
	v_fma_f64 v[162:163], -v[150:151], v[176:177], 1.0
	v_fmac_f64_e32 v[176:177], v[162:163], v[176:177]
	v_mul_f64 v[162:163], v[164:165], v[176:177]
	v_mul_f64 v[166:167], v[150:151], v[162:163]
	v_fma_f64 v[178:179], v[162:163], v[150:151], -v[166:167]
	v_fmac_f64_e32 v[178:179], v[162:163], v[148:149]
	v_add_f64 v[180:181], v[166:167], v[178:179]
	v_add_f64 v[182:183], v[164:165], -v[180:181]
	v_add_f64 v[164:165], v[164:165], -v[182:183]
	;; [unrolled: 1-line block ×4, first 2 shown]
	v_add_f64 v[160:161], v[160:161], v[164:165]
	v_add_f64 v[164:165], v[166:167], -v[178:179]
	v_add_f64 v[160:161], v[164:165], v[160:161]
	v_add_f64 v[164:165], v[182:183], v[160:161]
	v_add_f64 v[166:167], v[182:183], -v[164:165]
	v_add_f64 v[160:161], v[160:161], v[166:167]
	v_mul_f64 v[166:167], v[176:177], v[164:165]
	v_mul_f64 v[178:179], v[150:151], v[166:167]
	v_fma_f64 v[150:151], v[166:167], v[150:151], -v[178:179]
	v_fmac_f64_e32 v[150:151], v[166:167], v[148:149]
	v_add_f64 v[148:149], v[178:179], v[150:151]
	v_add_f64 v[180:181], v[164:165], -v[148:149]
	v_add_f64 v[164:165], v[164:165], -v[180:181]
	v_add_f64 v[178:179], v[148:149], -v[178:179]
	v_add_f64 v[148:149], v[164:165], -v[148:149]
	v_add_f64 v[148:149], v[160:161], v[148:149]
	v_add_f64 v[150:151], v[178:179], -v[150:151]
	v_add_f64 v[148:149], v[150:151], v[148:149]
	v_add_f64 v[150:151], v[162:163], v[166:167]
	;; [unrolled: 1-line block ×3, first 2 shown]
	v_add_f64 v[160:161], v[150:151], -v[162:163]
	v_mul_f64 v[148:149], v[176:177], v[148:149]
	v_add_f64 v[160:161], v[166:167], -v[160:161]
	v_add_f64 v[148:149], v[160:161], v[148:149]
	v_add_f64 v[160:161], v[150:151], v[148:149]
	v_add_f64 v[150:151], v[160:161], -v[150:151]
	s_mov_b32 s40, 0xbf559e2b
	v_add_f64 v[148:149], v[148:149], -v[150:151]
	v_mul_f64 v[150:151], v[160:161], v[160:161]
	v_mov_b32_e32 v162, 0x6b47b09a
	v_mov_b32_e32 v163, 0x3fc38538
	s_mov_b32 s41, 0x3fc3ab76
	v_fmac_f64_e32 v[162:163], s[40:41], v[150:151]
	v_mov_b32_e32 v164, 0xd7f4df2e
	v_mov_b32_e32 v165, 0x3fc7474d
	v_fmac_f64_e32 v[164:165], v[150:151], v[162:163]
	v_mov_b32_e32 v162, 0x16291751
	v_mov_b32_e32 v163, 0x3fcc71c0
	;; [unrolled: 3-line block ×5, first 2 shown]
	v_fmac_f64_e32 v[164:165], v[150:151], v[162:163]
	v_cvt_f64_i32_e32 v[162:163], v192
	v_mul_f64 v[166:167], v[162:163], s[48:49]
	v_fma_f64 v[176:177], v[162:163], s[48:49], -v[166:167]
	v_fmac_f64_e32 v[176:177], s[50:51], v[162:163]
	v_add_f64 v[162:163], v[166:167], v[176:177]
	v_add_f64 v[166:167], v[162:163], -v[166:167]
	v_mul_f64 v[150:151], v[160:161], v[150:151]
	v_add_f64 v[166:167], v[176:177], -v[166:167]
	v_ldexp_f64 v[176:177], v[160:161], 1
	v_mul_f64 v[150:151], v[150:151], v[164:165]
	v_add_f64 v[160:161], v[176:177], v[150:151]
	v_add_f64 v[164:165], v[160:161], -v[176:177]
	v_ldexp_f64 v[148:149], v[148:149], 1
	v_add_f64 v[150:151], v[150:151], -v[164:165]
	v_add_f64 v[148:149], v[148:149], v[150:151]
	v_add_f64 v[150:151], v[160:161], v[148:149]
	v_add_f64 v[160:161], v[150:151], -v[160:161]
	v_add_f64 v[148:149], v[148:149], -v[160:161]
	v_add_f64 v[160:161], v[162:163], v[150:151]
	v_add_f64 v[164:165], v[160:161], -v[162:163]
	v_add_f64 v[176:177], v[160:161], -v[164:165]
	;; [unrolled: 1-line block ×4, first 2 shown]
	v_add_f64 v[150:151], v[150:151], v[162:163]
	v_add_f64 v[162:163], v[166:167], v[148:149]
	v_add_f64 v[164:165], v[162:163], -v[166:167]
	v_add_f64 v[150:151], v[162:163], v[150:151]
	v_add_f64 v[176:177], v[162:163], -v[164:165]
	;; [unrolled: 2-line block ×3, first 2 shown]
	v_add_f64 v[148:149], v[148:149], -v[164:165]
	v_add_f64 v[160:161], v[162:163], -v[160:161]
	v_add_f64 v[148:149], v[148:149], v[166:167]
	v_add_f64 v[150:151], v[150:151], -v[160:161]
	s_mov_b32 s40, 0
	v_add_f64 v[148:149], v[148:149], v[150:151]
	s_mov_b32 s41, 0x7ff00000
	v_add_f64 v[148:149], v[162:163], v[148:149]
	v_cmp_eq_f64_e64 s[40:41], s[40:41], v[6:7]
	v_mov_b32_e32 v150, 0x7ff80000
	s_nop 0
	v_cndmask_b32_e64 v148, v148, v6, s[40:41]
	v_cndmask_b32_e64 v149, v149, v7, s[40:41]
	v_cmp_ngt_f64_e64 s[40:41], -1.0, v[6:7]
	s_nop 1
	v_cndmask_b32_e64 v149, v150, v149, s[40:41]
	v_cmp_nge_f64_e64 s[40:41], -1.0, v[6:7]
	v_mov_b32_e32 v150, 0xfff00000
	s_nop 0
	v_cndmask_b32_e64 v148, 0, v148, s[40:41]
	v_cmp_neq_f64_e64 s[40:41], -1.0, v[6:7]
	s_nop 1
	v_cndmask_b32_e64 v149, v150, v149, s[40:41]
	v_add_f64 v[6:7], v[146:147], v[148:149]
.LBB70_70:
	s_or_b64 exec, exec, s[46:47]
	ds_read_b64 v[146:147], v53 offset:24
	v_max_f64 v[150:151], v[6:7], v[6:7]
	v_cmp_u_f64_e64 s[40:41], v[6:7], v[6:7]
	s_waitcnt lgkmcnt(0)
	v_max_f64 v[160:161], v[146:147], v[146:147]
	v_min_f64 v[148:149], v[150:151], v[160:161]
	v_max_f64 v[150:151], v[150:151], v[160:161]
	v_cndmask_b32_e64 v148, v148, v6, s[40:41]
	v_cndmask_b32_e64 v149, v149, v7, s[40:41]
	v_cmp_u_f64_e64 s[42:43], v[146:147], v[146:147]
	v_cndmask_b32_e64 v150, v150, v6, s[40:41]
	v_cndmask_b32_e64 v151, v151, v7, s[40:41]
	v_cndmask_b32_e64 v149, v149, v147, s[42:43]
	v_cndmask_b32_e64 v148, v148, v146, s[42:43]
	v_cndmask_b32_e64 v147, v151, v147, s[42:43]
	v_cndmask_b32_e64 v146, v150, v146, s[42:43]
	s_movk_i32 s42, 0x1f8
	v_cmp_neq_f64_e64 s[40:41], v[148:149], v[146:147]
	v_cmp_class_f64_e64 s[42:43], v[148:149], s42
	s_or_b64 s[40:41], s[40:41], s[42:43]
	s_and_saveexec_b64 s[46:47], s[40:41]
	s_cbranch_execz .LBB70_72
; %bb.71:
	s_mov_b32 s40, 0x652b82fe
	v_add_f64 v[6:7], v[148:149], -v[146:147]
	s_mov_b32 s41, 0x3ff71547
	v_mul_f64 v[148:149], v[6:7], s[40:41]
	v_rndne_f64_e32 v[148:149], v[148:149]
	s_mov_b32 s49, 0xbfe62e42
	s_mov_b32 s48, 0xfefa39ef
	v_fma_f64 v[150:151], s[48:49], v[148:149], v[6:7]
	s_mov_b32 s51, 0xbc7abc9e
	s_mov_b32 s50, 0x3b39803f
	;; [unrolled: 1-line block ×3, first 2 shown]
	v_fmac_f64_e32 v[150:151], s[50:51], v[148:149]
	v_mov_b32_e32 v160, 0xfca7ab0c
	v_mov_b32_e32 v161, 0x3e928af3
	s_mov_b32 s41, 0x3e5ade15
	v_fmac_f64_e32 v[160:161], s[40:41], v[150:151]
	v_mov_b32_e32 v162, 0x623fde64
	v_mov_b32_e32 v163, 0x3ec71dee
	v_fmac_f64_e32 v[162:163], v[150:151], v[160:161]
	v_mov_b32_e32 v160, 0x7c89e6b0
	v_mov_b32_e32 v161, 0x3efa0199
	;; [unrolled: 3-line block ×8, first 2 shown]
	v_fmac_f64_e32 v[160:161], v[150:151], v[162:163]
	v_fma_f64 v[160:161], v[150:151], v[160:161], 1.0
	s_mov_b32 s40, 0
	s_mov_b32 s42, 0
	v_fma_f64 v[150:151], v[150:151], v[160:161], 1.0
	v_cvt_i32_f64_e32 v148, v[148:149]
	s_mov_b32 s41, 0x40900000
	s_mov_b32 s43, 0xc090cc00
	v_ldexp_f64 v[148:149], v[150:151], v148
	v_mov_b32_e32 v150, 0x7ff00000
	v_cmp_nlt_f64_e64 s[40:41], s[40:41], v[6:7]
	v_cmp_ngt_f64_e64 s[42:43], s[42:43], v[6:7]
	s_mov_b32 s49, 0x3fe62e42
	v_cndmask_b32_e64 v149, v150, v149, s[40:41]
	s_and_b64 s[40:41], s[42:43], s[40:41]
	v_cndmask_b32_e64 v7, 0, v149, s[42:43]
	v_cndmask_b32_e64 v6, 0, v148, s[40:41]
	v_add_f64 v[148:149], v[6:7], 1.0
	v_add_f64 v[150:151], v[148:149], -1.0
	v_add_f64 v[160:161], v[150:151], -v[148:149]
	v_add_f64 v[160:161], v[160:161], 1.0
	v_add_f64 v[150:151], v[6:7], -v[150:151]
	s_mov_b32 s40, 0x55555555
	v_add_f64 v[150:151], v[150:151], v[160:161]
	v_frexp_mant_f64_e32 v[160:161], v[148:149]
	s_mov_b32 s41, 0x3fe55555
	v_frexp_exp_i32_f64_e32 v162, v[148:149]
	v_cmp_gt_f64_e64 s[40:41], s[40:41], v[160:161]
	s_mov_b32 s51, 0x3c7abc9e
	s_nop 0
	v_subbrev_co_u32_e64 v192, s[40:41], 0, v162, s[40:41]
	v_sub_u32_e32 v160, 0, v192
	v_ldexp_f64 v[148:149], v[148:149], v160
	v_ldexp_f64 v[150:151], v[150:151], v160
	v_add_f64 v[160:161], v[148:149], -1.0
	v_add_f64 v[166:167], v[148:149], 1.0
	v_add_f64 v[162:163], v[160:161], 1.0
	v_add_f64 v[176:177], v[166:167], -1.0
	v_add_f64 v[162:163], v[148:149], -v[162:163]
	v_add_f64 v[148:149], v[148:149], -v[176:177]
	v_add_f64 v[148:149], v[150:151], v[148:149]
	v_add_f64 v[162:163], v[150:151], v[162:163]
	;; [unrolled: 1-line block ×3, first 2 shown]
	v_rcp_f64_e32 v[176:177], v[150:151]
	v_add_f64 v[164:165], v[160:161], v[162:163]
	v_add_f64 v[160:161], v[164:165], -v[160:161]
	v_add_f64 v[160:161], v[162:163], -v[160:161]
	;; [unrolled: 1-line block ×4, first 2 shown]
	v_fma_f64 v[162:163], -v[150:151], v[176:177], 1.0
	v_fmac_f64_e32 v[176:177], v[162:163], v[176:177]
	v_fma_f64 v[162:163], -v[150:151], v[176:177], 1.0
	v_fmac_f64_e32 v[176:177], v[162:163], v[176:177]
	v_mul_f64 v[162:163], v[164:165], v[176:177]
	v_mul_f64 v[166:167], v[150:151], v[162:163]
	v_fma_f64 v[178:179], v[162:163], v[150:151], -v[166:167]
	v_fmac_f64_e32 v[178:179], v[162:163], v[148:149]
	v_add_f64 v[180:181], v[166:167], v[178:179]
	v_add_f64 v[182:183], v[164:165], -v[180:181]
	v_add_f64 v[164:165], v[164:165], -v[182:183]
	;; [unrolled: 1-line block ×4, first 2 shown]
	v_add_f64 v[160:161], v[160:161], v[164:165]
	v_add_f64 v[164:165], v[166:167], -v[178:179]
	v_add_f64 v[160:161], v[164:165], v[160:161]
	v_add_f64 v[164:165], v[182:183], v[160:161]
	v_add_f64 v[166:167], v[182:183], -v[164:165]
	v_add_f64 v[160:161], v[160:161], v[166:167]
	v_mul_f64 v[166:167], v[176:177], v[164:165]
	v_mul_f64 v[178:179], v[150:151], v[166:167]
	v_fma_f64 v[150:151], v[166:167], v[150:151], -v[178:179]
	v_fmac_f64_e32 v[150:151], v[166:167], v[148:149]
	v_add_f64 v[148:149], v[178:179], v[150:151]
	v_add_f64 v[180:181], v[164:165], -v[148:149]
	v_add_f64 v[164:165], v[164:165], -v[180:181]
	v_add_f64 v[178:179], v[148:149], -v[178:179]
	v_add_f64 v[148:149], v[164:165], -v[148:149]
	v_add_f64 v[148:149], v[160:161], v[148:149]
	v_add_f64 v[150:151], v[178:179], -v[150:151]
	v_add_f64 v[148:149], v[150:151], v[148:149]
	v_add_f64 v[150:151], v[162:163], v[166:167]
	;; [unrolled: 1-line block ×3, first 2 shown]
	v_add_f64 v[160:161], v[150:151], -v[162:163]
	v_mul_f64 v[148:149], v[176:177], v[148:149]
	v_add_f64 v[160:161], v[166:167], -v[160:161]
	v_add_f64 v[148:149], v[160:161], v[148:149]
	v_add_f64 v[160:161], v[150:151], v[148:149]
	v_add_f64 v[150:151], v[160:161], -v[150:151]
	s_mov_b32 s40, 0xbf559e2b
	v_add_f64 v[148:149], v[148:149], -v[150:151]
	v_mul_f64 v[150:151], v[160:161], v[160:161]
	v_mov_b32_e32 v162, 0x6b47b09a
	v_mov_b32_e32 v163, 0x3fc38538
	s_mov_b32 s41, 0x3fc3ab76
	v_fmac_f64_e32 v[162:163], s[40:41], v[150:151]
	v_mov_b32_e32 v164, 0xd7f4df2e
	v_mov_b32_e32 v165, 0x3fc7474d
	v_fmac_f64_e32 v[164:165], v[150:151], v[162:163]
	v_mov_b32_e32 v162, 0x16291751
	v_mov_b32_e32 v163, 0x3fcc71c0
	;; [unrolled: 3-line block ×5, first 2 shown]
	v_fmac_f64_e32 v[164:165], v[150:151], v[162:163]
	v_cvt_f64_i32_e32 v[162:163], v192
	v_mul_f64 v[166:167], v[162:163], s[48:49]
	v_fma_f64 v[176:177], v[162:163], s[48:49], -v[166:167]
	v_fmac_f64_e32 v[176:177], s[50:51], v[162:163]
	v_add_f64 v[162:163], v[166:167], v[176:177]
	v_add_f64 v[166:167], v[162:163], -v[166:167]
	v_mul_f64 v[150:151], v[160:161], v[150:151]
	v_add_f64 v[166:167], v[176:177], -v[166:167]
	v_ldexp_f64 v[176:177], v[160:161], 1
	v_mul_f64 v[150:151], v[150:151], v[164:165]
	v_add_f64 v[160:161], v[176:177], v[150:151]
	v_add_f64 v[164:165], v[160:161], -v[176:177]
	v_ldexp_f64 v[148:149], v[148:149], 1
	v_add_f64 v[150:151], v[150:151], -v[164:165]
	v_add_f64 v[148:149], v[148:149], v[150:151]
	v_add_f64 v[150:151], v[160:161], v[148:149]
	v_add_f64 v[160:161], v[150:151], -v[160:161]
	v_add_f64 v[148:149], v[148:149], -v[160:161]
	v_add_f64 v[160:161], v[162:163], v[150:151]
	v_add_f64 v[164:165], v[160:161], -v[162:163]
	v_add_f64 v[176:177], v[160:161], -v[164:165]
	;; [unrolled: 1-line block ×4, first 2 shown]
	v_add_f64 v[150:151], v[150:151], v[162:163]
	v_add_f64 v[162:163], v[166:167], v[148:149]
	v_add_f64 v[164:165], v[162:163], -v[166:167]
	v_add_f64 v[150:151], v[162:163], v[150:151]
	v_add_f64 v[176:177], v[162:163], -v[164:165]
	;; [unrolled: 2-line block ×3, first 2 shown]
	v_add_f64 v[148:149], v[148:149], -v[164:165]
	v_add_f64 v[160:161], v[162:163], -v[160:161]
	v_add_f64 v[148:149], v[148:149], v[166:167]
	v_add_f64 v[150:151], v[150:151], -v[160:161]
	s_mov_b32 s40, 0
	v_add_f64 v[148:149], v[148:149], v[150:151]
	s_mov_b32 s41, 0x7ff00000
	v_add_f64 v[148:149], v[162:163], v[148:149]
	v_cmp_eq_f64_e64 s[40:41], s[40:41], v[6:7]
	v_mov_b32_e32 v150, 0x7ff80000
	s_nop 0
	v_cndmask_b32_e64 v148, v148, v6, s[40:41]
	v_cndmask_b32_e64 v149, v149, v7, s[40:41]
	v_cmp_ngt_f64_e64 s[40:41], -1.0, v[6:7]
	s_nop 1
	v_cndmask_b32_e64 v149, v150, v149, s[40:41]
	v_cmp_nge_f64_e64 s[40:41], -1.0, v[6:7]
	v_mov_b32_e32 v150, 0xfff00000
	s_nop 0
	v_cndmask_b32_e64 v148, 0, v148, s[40:41]
	v_cmp_neq_f64_e64 s[40:41], -1.0, v[6:7]
	s_nop 1
	v_cndmask_b32_e64 v149, v150, v149, s[40:41]
	v_add_f64 v[6:7], v[146:147], v[148:149]
.LBB70_72:
	s_or_b64 exec, exec, s[46:47]
	v_mbcnt_lo_u32_b32 v146, -1, 0
	v_mbcnt_hi_u32_b32 v150, -1, v146
	v_and_b32_e32 v151, 15, v150
	v_mov_b32_dpp v146, v6 row_shr:1 row_mask:0xf bank_mask:0xf
	v_mov_b32_dpp v147, v7 row_shr:1 row_mask:0xf bank_mask:0xf
	v_cmp_ne_u32_e64 s[40:41], 0, v151
	v_mov_b32_e32 v148, v6
	v_mov_b32_e32 v149, v7
	s_and_saveexec_b64 s[42:43], s[40:41]
	s_xor_b64 s[46:47], exec, s[42:43]
	s_cbranch_execz .LBB70_76
; %bb.73:
	v_max_f64 v[160:161], v[146:147], v[146:147]
	v_max_f64 v[162:163], v[6:7], v[6:7]
	v_min_f64 v[148:149], v[160:161], v[162:163]
	v_cmp_u_f64_e64 s[40:41], v[146:147], v[146:147]
	v_max_f64 v[160:161], v[160:161], v[162:163]
	v_cmp_u_f64_e64 s[42:43], v[6:7], v[6:7]
	v_cndmask_b32_e64 v148, v148, v146, s[40:41]
	v_cndmask_b32_e64 v149, v149, v147, s[40:41]
	;; [unrolled: 1-line block ×8, first 2 shown]
	s_movk_i32 s42, 0x1f8
	v_cmp_neq_f64_e64 s[40:41], v[148:149], v[6:7]
	v_cmp_class_f64_e64 s[42:43], v[148:149], s42
	s_or_b64 s[40:41], s[40:41], s[42:43]
	s_and_saveexec_b64 s[48:49], s[40:41]
	s_cbranch_execz .LBB70_75
; %bb.74:
	s_mov_b32 s40, 0x652b82fe
	v_add_f64 v[146:147], v[148:149], -v[6:7]
	s_mov_b32 s41, 0x3ff71547
	v_mul_f64 v[148:149], v[146:147], s[40:41]
	v_rndne_f64_e32 v[148:149], v[148:149]
	s_mov_b32 s51, 0xbfe62e42
	s_mov_b32 s50, 0xfefa39ef
	v_fma_f64 v[160:161], s[50:51], v[148:149], v[146:147]
	s_mov_b32 s53, 0xbc7abc9e
	s_mov_b32 s52, 0x3b39803f
	;; [unrolled: 1-line block ×3, first 2 shown]
	v_fmac_f64_e32 v[160:161], s[52:53], v[148:149]
	v_mov_b32_e32 v162, 0xfca7ab0c
	v_mov_b32_e32 v163, 0x3e928af3
	s_mov_b32 s41, 0x3e5ade15
	v_fmac_f64_e32 v[162:163], s[40:41], v[160:161]
	v_mov_b32_e32 v164, 0x623fde64
	v_mov_b32_e32 v165, 0x3ec71dee
	v_fmac_f64_e32 v[164:165], v[160:161], v[162:163]
	v_mov_b32_e32 v162, 0x7c89e6b0
	v_mov_b32_e32 v163, 0x3efa0199
	;; [unrolled: 3-line block ×8, first 2 shown]
	v_fmac_f64_e32 v[162:163], v[160:161], v[164:165]
	v_fma_f64 v[162:163], v[160:161], v[162:163], 1.0
	s_mov_b32 s40, 0
	s_mov_b32 s42, 0
	v_fma_f64 v[160:161], v[160:161], v[162:163], 1.0
	v_cvt_i32_f64_e32 v148, v[148:149]
	s_mov_b32 s41, 0x40900000
	s_mov_b32 s43, 0xc090cc00
	v_ldexp_f64 v[148:149], v[160:161], v148
	v_mov_b32_e32 v160, 0x7ff00000
	v_cmp_nlt_f64_e64 s[40:41], s[40:41], v[146:147]
	v_cmp_ngt_f64_e64 s[42:43], s[42:43], v[146:147]
	s_mov_b32 s51, 0x3fe62e42
	v_cndmask_b32_e64 v149, v160, v149, s[40:41]
	s_and_b64 s[40:41], s[42:43], s[40:41]
	v_cndmask_b32_e64 v147, 0, v149, s[42:43]
	v_cndmask_b32_e64 v146, 0, v148, s[40:41]
	v_add_f64 v[148:149], v[146:147], 1.0
	v_add_f64 v[160:161], v[148:149], -1.0
	v_add_f64 v[162:163], v[160:161], -v[148:149]
	v_add_f64 v[162:163], v[162:163], 1.0
	v_add_f64 v[160:161], v[146:147], -v[160:161]
	s_mov_b32 s40, 0x55555555
	v_add_f64 v[160:161], v[160:161], v[162:163]
	v_frexp_mant_f64_e32 v[162:163], v[148:149]
	s_mov_b32 s41, 0x3fe55555
	v_frexp_exp_i32_f64_e32 v164, v[148:149]
	v_cmp_gt_f64_e64 s[40:41], s[40:41], v[162:163]
	s_mov_b32 s53, 0x3c7abc9e
	s_nop 0
	v_subbrev_co_u32_e64 v194, s[40:41], 0, v164, s[40:41]
	v_sub_u32_e32 v162, 0, v194
	v_ldexp_f64 v[148:149], v[148:149], v162
	v_ldexp_f64 v[160:161], v[160:161], v162
	v_add_f64 v[162:163], v[148:149], -1.0
	v_add_f64 v[176:177], v[148:149], 1.0
	v_add_f64 v[164:165], v[162:163], 1.0
	v_add_f64 v[178:179], v[176:177], -1.0
	v_add_f64 v[164:165], v[148:149], -v[164:165]
	v_add_f64 v[148:149], v[148:149], -v[178:179]
	v_add_f64 v[148:149], v[160:161], v[148:149]
	v_add_f64 v[164:165], v[160:161], v[164:165]
	;; [unrolled: 1-line block ×3, first 2 shown]
	v_rcp_f64_e32 v[178:179], v[160:161]
	v_add_f64 v[166:167], v[162:163], v[164:165]
	v_add_f64 v[162:163], v[166:167], -v[162:163]
	v_add_f64 v[162:163], v[164:165], -v[162:163]
	v_add_f64 v[164:165], v[160:161], -v[176:177]
	v_add_f64 v[148:149], v[148:149], -v[164:165]
	v_fma_f64 v[164:165], -v[160:161], v[178:179], 1.0
	v_fmac_f64_e32 v[178:179], v[164:165], v[178:179]
	v_fma_f64 v[164:165], -v[160:161], v[178:179], 1.0
	v_fmac_f64_e32 v[178:179], v[164:165], v[178:179]
	v_mul_f64 v[164:165], v[166:167], v[178:179]
	v_mul_f64 v[176:177], v[160:161], v[164:165]
	v_fma_f64 v[180:181], v[164:165], v[160:161], -v[176:177]
	v_fmac_f64_e32 v[180:181], v[164:165], v[148:149]
	v_add_f64 v[182:183], v[176:177], v[180:181]
	v_add_f64 v[192:193], v[166:167], -v[182:183]
	v_add_f64 v[166:167], v[166:167], -v[192:193]
	;; [unrolled: 1-line block ×4, first 2 shown]
	v_add_f64 v[162:163], v[162:163], v[166:167]
	v_add_f64 v[166:167], v[176:177], -v[180:181]
	v_add_f64 v[162:163], v[166:167], v[162:163]
	v_add_f64 v[166:167], v[192:193], v[162:163]
	v_add_f64 v[176:177], v[192:193], -v[166:167]
	v_add_f64 v[162:163], v[162:163], v[176:177]
	v_mul_f64 v[176:177], v[178:179], v[166:167]
	v_mul_f64 v[180:181], v[160:161], v[176:177]
	v_fma_f64 v[160:161], v[176:177], v[160:161], -v[180:181]
	v_fmac_f64_e32 v[160:161], v[176:177], v[148:149]
	v_add_f64 v[148:149], v[180:181], v[160:161]
	v_add_f64 v[182:183], v[166:167], -v[148:149]
	v_add_f64 v[166:167], v[166:167], -v[182:183]
	;; [unrolled: 1-line block ×4, first 2 shown]
	v_add_f64 v[148:149], v[162:163], v[148:149]
	v_add_f64 v[160:161], v[180:181], -v[160:161]
	v_add_f64 v[148:149], v[160:161], v[148:149]
	v_add_f64 v[160:161], v[164:165], v[176:177]
	;; [unrolled: 1-line block ×3, first 2 shown]
	v_add_f64 v[162:163], v[160:161], -v[164:165]
	v_mul_f64 v[148:149], v[178:179], v[148:149]
	v_add_f64 v[162:163], v[176:177], -v[162:163]
	v_add_f64 v[148:149], v[162:163], v[148:149]
	v_add_f64 v[162:163], v[160:161], v[148:149]
	v_add_f64 v[160:161], v[162:163], -v[160:161]
	s_mov_b32 s40, 0xbf559e2b
	v_add_f64 v[148:149], v[148:149], -v[160:161]
	v_mul_f64 v[160:161], v[162:163], v[162:163]
	v_mov_b32_e32 v164, 0x6b47b09a
	v_mov_b32_e32 v165, 0x3fc38538
	s_mov_b32 s41, 0x3fc3ab76
	v_fmac_f64_e32 v[164:165], s[40:41], v[160:161]
	v_mov_b32_e32 v166, 0xd7f4df2e
	v_mov_b32_e32 v167, 0x3fc7474d
	v_fmac_f64_e32 v[166:167], v[160:161], v[164:165]
	v_mov_b32_e32 v164, 0x16291751
	v_mov_b32_e32 v165, 0x3fcc71c0
	v_fmac_f64_e32 v[164:165], v[160:161], v[166:167]
	v_mov_b32_e32 v166, 0x9b27acf1
	v_mov_b32_e32 v167, 0x3fd24924
	v_fmac_f64_e32 v[166:167], v[160:161], v[164:165]
	v_mov_b32_e32 v164, 0x998ef7b6
	v_mov_b32_e32 v165, 0x3fd99999
	v_fmac_f64_e32 v[164:165], v[160:161], v[166:167]
	v_mov_b32_e32 v166, 0x55555780
	v_mov_b32_e32 v167, 0x3fe55555
	v_fmac_f64_e32 v[166:167], v[160:161], v[164:165]
	v_cvt_f64_i32_e32 v[164:165], v194
	v_mul_f64 v[176:177], v[164:165], s[50:51]
	v_fma_f64 v[178:179], v[164:165], s[50:51], -v[176:177]
	v_fmac_f64_e32 v[178:179], s[52:53], v[164:165]
	v_add_f64 v[164:165], v[176:177], v[178:179]
	v_add_f64 v[176:177], v[164:165], -v[176:177]
	v_mul_f64 v[160:161], v[162:163], v[160:161]
	v_add_f64 v[176:177], v[178:179], -v[176:177]
	v_ldexp_f64 v[178:179], v[162:163], 1
	v_mul_f64 v[160:161], v[160:161], v[166:167]
	v_add_f64 v[162:163], v[178:179], v[160:161]
	v_add_f64 v[166:167], v[162:163], -v[178:179]
	v_ldexp_f64 v[148:149], v[148:149], 1
	v_add_f64 v[160:161], v[160:161], -v[166:167]
	v_add_f64 v[148:149], v[148:149], v[160:161]
	v_add_f64 v[160:161], v[162:163], v[148:149]
	v_add_f64 v[162:163], v[160:161], -v[162:163]
	v_add_f64 v[148:149], v[148:149], -v[162:163]
	v_add_f64 v[162:163], v[164:165], v[160:161]
	v_add_f64 v[166:167], v[162:163], -v[164:165]
	v_add_f64 v[178:179], v[162:163], -v[166:167]
	;; [unrolled: 1-line block ×4, first 2 shown]
	v_add_f64 v[160:161], v[160:161], v[164:165]
	v_add_f64 v[164:165], v[176:177], v[148:149]
	v_add_f64 v[166:167], v[164:165], -v[176:177]
	v_add_f64 v[160:161], v[164:165], v[160:161]
	v_add_f64 v[178:179], v[164:165], -v[166:167]
	v_add_f64 v[164:165], v[162:163], v[160:161]
	v_add_f64 v[176:177], v[176:177], -v[178:179]
	v_add_f64 v[148:149], v[148:149], -v[166:167]
	v_add_f64 v[162:163], v[164:165], -v[162:163]
	v_add_f64 v[148:149], v[148:149], v[176:177]
	v_add_f64 v[160:161], v[160:161], -v[162:163]
	s_mov_b32 s40, 0
	v_add_f64 v[148:149], v[148:149], v[160:161]
	s_mov_b32 s41, 0x7ff00000
	v_add_f64 v[148:149], v[164:165], v[148:149]
	v_cmp_eq_f64_e64 s[40:41], s[40:41], v[146:147]
	v_mov_b32_e32 v160, 0x7ff80000
	s_nop 0
	v_cndmask_b32_e64 v148, v148, v146, s[40:41]
	v_cndmask_b32_e64 v149, v149, v147, s[40:41]
	v_cmp_ngt_f64_e64 s[40:41], -1.0, v[146:147]
	s_nop 1
	v_cndmask_b32_e64 v149, v160, v149, s[40:41]
	v_cmp_nge_f64_e64 s[40:41], -1.0, v[146:147]
	v_mov_b32_e32 v160, 0xfff00000
	s_nop 0
	v_cndmask_b32_e64 v148, 0, v148, s[40:41]
	v_cmp_neq_f64_e64 s[40:41], -1.0, v[146:147]
	s_nop 1
	v_cndmask_b32_e64 v149, v160, v149, s[40:41]
	v_add_f64 v[146:147], v[6:7], v[148:149]
.LBB70_75:
	s_or_b64 exec, exec, s[48:49]
	v_mov_b32_e32 v148, v146
	v_mov_b32_e32 v149, v147
	v_mov_b64_e32 v[6:7], v[146:147]
.LBB70_76:
	s_or_b64 exec, exec, s[46:47]
	v_mov_b32_dpp v146, v148 row_shr:2 row_mask:0xf bank_mask:0xf
	v_mov_b32_dpp v147, v149 row_shr:2 row_mask:0xf bank_mask:0xf
	v_cmp_lt_u32_e64 s[40:41], 1, v151
	s_and_saveexec_b64 s[46:47], s[40:41]
	s_cbranch_execz .LBB70_80
; %bb.77:
	v_max_f64 v[160:161], v[146:147], v[146:147]
	v_max_f64 v[162:163], v[6:7], v[6:7]
	v_min_f64 v[148:149], v[160:161], v[162:163]
	v_cmp_u_f64_e64 s[40:41], v[146:147], v[146:147]
	v_max_f64 v[160:161], v[160:161], v[162:163]
	v_cmp_u_f64_e64 s[42:43], v[6:7], v[6:7]
	v_cndmask_b32_e64 v148, v148, v146, s[40:41]
	v_cndmask_b32_e64 v149, v149, v147, s[40:41]
	;; [unrolled: 1-line block ×8, first 2 shown]
	s_movk_i32 s42, 0x1f8
	v_cmp_neq_f64_e64 s[40:41], v[148:149], v[6:7]
	v_cmp_class_f64_e64 s[42:43], v[148:149], s42
	s_or_b64 s[40:41], s[40:41], s[42:43]
	s_and_saveexec_b64 s[48:49], s[40:41]
	s_cbranch_execz .LBB70_79
; %bb.78:
	s_mov_b32 s40, 0x652b82fe
	v_add_f64 v[146:147], v[148:149], -v[6:7]
	s_mov_b32 s41, 0x3ff71547
	v_mul_f64 v[148:149], v[146:147], s[40:41]
	v_rndne_f64_e32 v[148:149], v[148:149]
	s_mov_b32 s51, 0xbfe62e42
	s_mov_b32 s50, 0xfefa39ef
	v_fma_f64 v[160:161], s[50:51], v[148:149], v[146:147]
	s_mov_b32 s53, 0xbc7abc9e
	s_mov_b32 s52, 0x3b39803f
	;; [unrolled: 1-line block ×3, first 2 shown]
	v_fmac_f64_e32 v[160:161], s[52:53], v[148:149]
	v_mov_b32_e32 v162, 0xfca7ab0c
	v_mov_b32_e32 v163, 0x3e928af3
	s_mov_b32 s41, 0x3e5ade15
	v_fmac_f64_e32 v[162:163], s[40:41], v[160:161]
	v_mov_b32_e32 v164, 0x623fde64
	v_mov_b32_e32 v165, 0x3ec71dee
	v_fmac_f64_e32 v[164:165], v[160:161], v[162:163]
	v_mov_b32_e32 v162, 0x7c89e6b0
	v_mov_b32_e32 v163, 0x3efa0199
	;; [unrolled: 3-line block ×8, first 2 shown]
	v_fmac_f64_e32 v[162:163], v[160:161], v[164:165]
	v_fma_f64 v[162:163], v[160:161], v[162:163], 1.0
	s_mov_b32 s40, 0
	s_mov_b32 s42, 0
	v_fma_f64 v[160:161], v[160:161], v[162:163], 1.0
	v_cvt_i32_f64_e32 v148, v[148:149]
	s_mov_b32 s41, 0x40900000
	s_mov_b32 s43, 0xc090cc00
	v_ldexp_f64 v[148:149], v[160:161], v148
	v_mov_b32_e32 v160, 0x7ff00000
	v_cmp_nlt_f64_e64 s[40:41], s[40:41], v[146:147]
	v_cmp_ngt_f64_e64 s[42:43], s[42:43], v[146:147]
	s_mov_b32 s51, 0x3fe62e42
	v_cndmask_b32_e64 v149, v160, v149, s[40:41]
	s_and_b64 s[40:41], s[42:43], s[40:41]
	v_cndmask_b32_e64 v147, 0, v149, s[42:43]
	v_cndmask_b32_e64 v146, 0, v148, s[40:41]
	v_add_f64 v[148:149], v[146:147], 1.0
	v_add_f64 v[160:161], v[148:149], -1.0
	v_add_f64 v[162:163], v[160:161], -v[148:149]
	v_add_f64 v[162:163], v[162:163], 1.0
	v_add_f64 v[160:161], v[146:147], -v[160:161]
	s_mov_b32 s40, 0x55555555
	v_add_f64 v[160:161], v[160:161], v[162:163]
	v_frexp_mant_f64_e32 v[162:163], v[148:149]
	s_mov_b32 s41, 0x3fe55555
	v_frexp_exp_i32_f64_e32 v164, v[148:149]
	v_cmp_gt_f64_e64 s[40:41], s[40:41], v[162:163]
	s_mov_b32 s53, 0x3c7abc9e
	s_nop 0
	v_subbrev_co_u32_e64 v194, s[40:41], 0, v164, s[40:41]
	v_sub_u32_e32 v162, 0, v194
	v_ldexp_f64 v[148:149], v[148:149], v162
	v_ldexp_f64 v[160:161], v[160:161], v162
	v_add_f64 v[162:163], v[148:149], -1.0
	v_add_f64 v[176:177], v[148:149], 1.0
	v_add_f64 v[164:165], v[162:163], 1.0
	v_add_f64 v[178:179], v[176:177], -1.0
	v_add_f64 v[164:165], v[148:149], -v[164:165]
	v_add_f64 v[148:149], v[148:149], -v[178:179]
	v_add_f64 v[148:149], v[160:161], v[148:149]
	v_add_f64 v[164:165], v[160:161], v[164:165]
	;; [unrolled: 1-line block ×3, first 2 shown]
	v_rcp_f64_e32 v[178:179], v[160:161]
	v_add_f64 v[166:167], v[162:163], v[164:165]
	v_add_f64 v[162:163], v[166:167], -v[162:163]
	v_add_f64 v[162:163], v[164:165], -v[162:163]
	;; [unrolled: 1-line block ×4, first 2 shown]
	v_fma_f64 v[164:165], -v[160:161], v[178:179], 1.0
	v_fmac_f64_e32 v[178:179], v[164:165], v[178:179]
	v_fma_f64 v[164:165], -v[160:161], v[178:179], 1.0
	v_fmac_f64_e32 v[178:179], v[164:165], v[178:179]
	v_mul_f64 v[164:165], v[166:167], v[178:179]
	v_mul_f64 v[176:177], v[160:161], v[164:165]
	v_fma_f64 v[180:181], v[164:165], v[160:161], -v[176:177]
	v_fmac_f64_e32 v[180:181], v[164:165], v[148:149]
	v_add_f64 v[182:183], v[176:177], v[180:181]
	v_add_f64 v[192:193], v[166:167], -v[182:183]
	v_add_f64 v[166:167], v[166:167], -v[192:193]
	;; [unrolled: 1-line block ×4, first 2 shown]
	v_add_f64 v[162:163], v[162:163], v[166:167]
	v_add_f64 v[166:167], v[176:177], -v[180:181]
	v_add_f64 v[162:163], v[166:167], v[162:163]
	v_add_f64 v[166:167], v[192:193], v[162:163]
	v_add_f64 v[176:177], v[192:193], -v[166:167]
	v_add_f64 v[162:163], v[162:163], v[176:177]
	v_mul_f64 v[176:177], v[178:179], v[166:167]
	v_mul_f64 v[180:181], v[160:161], v[176:177]
	v_fma_f64 v[160:161], v[176:177], v[160:161], -v[180:181]
	v_fmac_f64_e32 v[160:161], v[176:177], v[148:149]
	v_add_f64 v[148:149], v[180:181], v[160:161]
	v_add_f64 v[182:183], v[166:167], -v[148:149]
	v_add_f64 v[166:167], v[166:167], -v[182:183]
	;; [unrolled: 1-line block ×4, first 2 shown]
	v_add_f64 v[148:149], v[162:163], v[148:149]
	v_add_f64 v[160:161], v[180:181], -v[160:161]
	v_add_f64 v[148:149], v[160:161], v[148:149]
	v_add_f64 v[160:161], v[164:165], v[176:177]
	;; [unrolled: 1-line block ×3, first 2 shown]
	v_add_f64 v[162:163], v[160:161], -v[164:165]
	v_mul_f64 v[148:149], v[178:179], v[148:149]
	v_add_f64 v[162:163], v[176:177], -v[162:163]
	v_add_f64 v[148:149], v[162:163], v[148:149]
	v_add_f64 v[162:163], v[160:161], v[148:149]
	v_add_f64 v[160:161], v[162:163], -v[160:161]
	s_mov_b32 s40, 0xbf559e2b
	v_add_f64 v[148:149], v[148:149], -v[160:161]
	v_mul_f64 v[160:161], v[162:163], v[162:163]
	v_mov_b32_e32 v164, 0x6b47b09a
	v_mov_b32_e32 v165, 0x3fc38538
	s_mov_b32 s41, 0x3fc3ab76
	v_fmac_f64_e32 v[164:165], s[40:41], v[160:161]
	v_mov_b32_e32 v166, 0xd7f4df2e
	v_mov_b32_e32 v167, 0x3fc7474d
	v_fmac_f64_e32 v[166:167], v[160:161], v[164:165]
	v_mov_b32_e32 v164, 0x16291751
	v_mov_b32_e32 v165, 0x3fcc71c0
	;; [unrolled: 3-line block ×5, first 2 shown]
	v_fmac_f64_e32 v[166:167], v[160:161], v[164:165]
	v_cvt_f64_i32_e32 v[164:165], v194
	v_mul_f64 v[176:177], v[164:165], s[50:51]
	v_fma_f64 v[178:179], v[164:165], s[50:51], -v[176:177]
	v_fmac_f64_e32 v[178:179], s[52:53], v[164:165]
	v_add_f64 v[164:165], v[176:177], v[178:179]
	v_add_f64 v[176:177], v[164:165], -v[176:177]
	v_mul_f64 v[160:161], v[162:163], v[160:161]
	v_add_f64 v[176:177], v[178:179], -v[176:177]
	v_ldexp_f64 v[178:179], v[162:163], 1
	v_mul_f64 v[160:161], v[160:161], v[166:167]
	v_add_f64 v[162:163], v[178:179], v[160:161]
	v_add_f64 v[166:167], v[162:163], -v[178:179]
	v_ldexp_f64 v[148:149], v[148:149], 1
	v_add_f64 v[160:161], v[160:161], -v[166:167]
	v_add_f64 v[148:149], v[148:149], v[160:161]
	v_add_f64 v[160:161], v[162:163], v[148:149]
	v_add_f64 v[162:163], v[160:161], -v[162:163]
	v_add_f64 v[148:149], v[148:149], -v[162:163]
	v_add_f64 v[162:163], v[164:165], v[160:161]
	v_add_f64 v[166:167], v[162:163], -v[164:165]
	v_add_f64 v[178:179], v[162:163], -v[166:167]
	;; [unrolled: 1-line block ×4, first 2 shown]
	v_add_f64 v[160:161], v[160:161], v[164:165]
	v_add_f64 v[164:165], v[176:177], v[148:149]
	v_add_f64 v[166:167], v[164:165], -v[176:177]
	v_add_f64 v[160:161], v[164:165], v[160:161]
	v_add_f64 v[178:179], v[164:165], -v[166:167]
	;; [unrolled: 2-line block ×3, first 2 shown]
	v_add_f64 v[148:149], v[148:149], -v[166:167]
	v_add_f64 v[162:163], v[164:165], -v[162:163]
	v_add_f64 v[148:149], v[148:149], v[176:177]
	v_add_f64 v[160:161], v[160:161], -v[162:163]
	s_mov_b32 s40, 0
	v_add_f64 v[148:149], v[148:149], v[160:161]
	s_mov_b32 s41, 0x7ff00000
	v_add_f64 v[148:149], v[164:165], v[148:149]
	v_cmp_eq_f64_e64 s[40:41], s[40:41], v[146:147]
	v_mov_b32_e32 v160, 0x7ff80000
	s_nop 0
	v_cndmask_b32_e64 v148, v148, v146, s[40:41]
	v_cndmask_b32_e64 v149, v149, v147, s[40:41]
	v_cmp_ngt_f64_e64 s[40:41], -1.0, v[146:147]
	s_nop 1
	v_cndmask_b32_e64 v149, v160, v149, s[40:41]
	v_cmp_nge_f64_e64 s[40:41], -1.0, v[146:147]
	v_mov_b32_e32 v160, 0xfff00000
	s_nop 0
	v_cndmask_b32_e64 v148, 0, v148, s[40:41]
	v_cmp_neq_f64_e64 s[40:41], -1.0, v[146:147]
	s_nop 1
	v_cndmask_b32_e64 v149, v160, v149, s[40:41]
	v_add_f64 v[146:147], v[6:7], v[148:149]
.LBB70_79:
	s_or_b64 exec, exec, s[48:49]
	v_mov_b64_e32 v[6:7], v[146:147]
	v_mov_b32_e32 v148, v146
	v_mov_b32_e32 v149, v147
.LBB70_80:
	s_or_b64 exec, exec, s[46:47]
	v_mov_b32_dpp v146, v148 row_shr:4 row_mask:0xf bank_mask:0xf
	v_mov_b32_dpp v147, v149 row_shr:4 row_mask:0xf bank_mask:0xf
	v_cmp_lt_u32_e64 s[40:41], 3, v151
	s_and_saveexec_b64 s[46:47], s[40:41]
	s_cbranch_execz .LBB70_84
; %bb.81:
	v_max_f64 v[160:161], v[146:147], v[146:147]
	v_max_f64 v[162:163], v[6:7], v[6:7]
	v_min_f64 v[148:149], v[160:161], v[162:163]
	v_cmp_u_f64_e64 s[40:41], v[146:147], v[146:147]
	v_max_f64 v[160:161], v[160:161], v[162:163]
	v_cmp_u_f64_e64 s[42:43], v[6:7], v[6:7]
	v_cndmask_b32_e64 v148, v148, v146, s[40:41]
	v_cndmask_b32_e64 v149, v149, v147, s[40:41]
	;; [unrolled: 1-line block ×8, first 2 shown]
	s_movk_i32 s42, 0x1f8
	v_cmp_neq_f64_e64 s[40:41], v[148:149], v[6:7]
	v_cmp_class_f64_e64 s[42:43], v[148:149], s42
	s_or_b64 s[40:41], s[40:41], s[42:43]
	s_and_saveexec_b64 s[48:49], s[40:41]
	s_cbranch_execz .LBB70_83
; %bb.82:
	s_mov_b32 s40, 0x652b82fe
	v_add_f64 v[146:147], v[148:149], -v[6:7]
	s_mov_b32 s41, 0x3ff71547
	v_mul_f64 v[148:149], v[146:147], s[40:41]
	v_rndne_f64_e32 v[148:149], v[148:149]
	s_mov_b32 s51, 0xbfe62e42
	s_mov_b32 s50, 0xfefa39ef
	v_fma_f64 v[160:161], s[50:51], v[148:149], v[146:147]
	s_mov_b32 s53, 0xbc7abc9e
	s_mov_b32 s52, 0x3b39803f
	;; [unrolled: 1-line block ×3, first 2 shown]
	v_fmac_f64_e32 v[160:161], s[52:53], v[148:149]
	v_mov_b32_e32 v162, 0xfca7ab0c
	v_mov_b32_e32 v163, 0x3e928af3
	s_mov_b32 s41, 0x3e5ade15
	v_fmac_f64_e32 v[162:163], s[40:41], v[160:161]
	v_mov_b32_e32 v164, 0x623fde64
	v_mov_b32_e32 v165, 0x3ec71dee
	v_fmac_f64_e32 v[164:165], v[160:161], v[162:163]
	v_mov_b32_e32 v162, 0x7c89e6b0
	v_mov_b32_e32 v163, 0x3efa0199
	;; [unrolled: 3-line block ×8, first 2 shown]
	v_fmac_f64_e32 v[162:163], v[160:161], v[164:165]
	v_fma_f64 v[162:163], v[160:161], v[162:163], 1.0
	s_mov_b32 s40, 0
	s_mov_b32 s42, 0
	v_fma_f64 v[160:161], v[160:161], v[162:163], 1.0
	v_cvt_i32_f64_e32 v148, v[148:149]
	s_mov_b32 s41, 0x40900000
	s_mov_b32 s43, 0xc090cc00
	v_ldexp_f64 v[148:149], v[160:161], v148
	v_mov_b32_e32 v160, 0x7ff00000
	v_cmp_nlt_f64_e64 s[40:41], s[40:41], v[146:147]
	v_cmp_ngt_f64_e64 s[42:43], s[42:43], v[146:147]
	s_mov_b32 s51, 0x3fe62e42
	v_cndmask_b32_e64 v149, v160, v149, s[40:41]
	s_and_b64 s[40:41], s[42:43], s[40:41]
	v_cndmask_b32_e64 v147, 0, v149, s[42:43]
	v_cndmask_b32_e64 v146, 0, v148, s[40:41]
	v_add_f64 v[148:149], v[146:147], 1.0
	v_add_f64 v[160:161], v[148:149], -1.0
	v_add_f64 v[162:163], v[160:161], -v[148:149]
	v_add_f64 v[162:163], v[162:163], 1.0
	v_add_f64 v[160:161], v[146:147], -v[160:161]
	s_mov_b32 s40, 0x55555555
	v_add_f64 v[160:161], v[160:161], v[162:163]
	v_frexp_mant_f64_e32 v[162:163], v[148:149]
	s_mov_b32 s41, 0x3fe55555
	v_frexp_exp_i32_f64_e32 v164, v[148:149]
	v_cmp_gt_f64_e64 s[40:41], s[40:41], v[162:163]
	s_mov_b32 s53, 0x3c7abc9e
	s_nop 0
	v_subbrev_co_u32_e64 v194, s[40:41], 0, v164, s[40:41]
	v_sub_u32_e32 v162, 0, v194
	v_ldexp_f64 v[148:149], v[148:149], v162
	v_ldexp_f64 v[160:161], v[160:161], v162
	v_add_f64 v[162:163], v[148:149], -1.0
	v_add_f64 v[176:177], v[148:149], 1.0
	v_add_f64 v[164:165], v[162:163], 1.0
	v_add_f64 v[178:179], v[176:177], -1.0
	v_add_f64 v[164:165], v[148:149], -v[164:165]
	v_add_f64 v[148:149], v[148:149], -v[178:179]
	v_add_f64 v[148:149], v[160:161], v[148:149]
	v_add_f64 v[164:165], v[160:161], v[164:165]
	;; [unrolled: 1-line block ×3, first 2 shown]
	v_rcp_f64_e32 v[178:179], v[160:161]
	v_add_f64 v[166:167], v[162:163], v[164:165]
	v_add_f64 v[162:163], v[166:167], -v[162:163]
	v_add_f64 v[162:163], v[164:165], -v[162:163]
	;; [unrolled: 1-line block ×4, first 2 shown]
	v_fma_f64 v[164:165], -v[160:161], v[178:179], 1.0
	v_fmac_f64_e32 v[178:179], v[164:165], v[178:179]
	v_fma_f64 v[164:165], -v[160:161], v[178:179], 1.0
	v_fmac_f64_e32 v[178:179], v[164:165], v[178:179]
	v_mul_f64 v[164:165], v[166:167], v[178:179]
	v_mul_f64 v[176:177], v[160:161], v[164:165]
	v_fma_f64 v[180:181], v[164:165], v[160:161], -v[176:177]
	v_fmac_f64_e32 v[180:181], v[164:165], v[148:149]
	v_add_f64 v[182:183], v[176:177], v[180:181]
	v_add_f64 v[192:193], v[166:167], -v[182:183]
	v_add_f64 v[166:167], v[166:167], -v[192:193]
	;; [unrolled: 1-line block ×4, first 2 shown]
	v_add_f64 v[162:163], v[162:163], v[166:167]
	v_add_f64 v[166:167], v[176:177], -v[180:181]
	v_add_f64 v[162:163], v[166:167], v[162:163]
	v_add_f64 v[166:167], v[192:193], v[162:163]
	v_add_f64 v[176:177], v[192:193], -v[166:167]
	v_add_f64 v[162:163], v[162:163], v[176:177]
	v_mul_f64 v[176:177], v[178:179], v[166:167]
	v_mul_f64 v[180:181], v[160:161], v[176:177]
	v_fma_f64 v[160:161], v[176:177], v[160:161], -v[180:181]
	v_fmac_f64_e32 v[160:161], v[176:177], v[148:149]
	v_add_f64 v[148:149], v[180:181], v[160:161]
	v_add_f64 v[182:183], v[166:167], -v[148:149]
	v_add_f64 v[166:167], v[166:167], -v[182:183]
	;; [unrolled: 1-line block ×4, first 2 shown]
	v_add_f64 v[148:149], v[162:163], v[148:149]
	v_add_f64 v[160:161], v[180:181], -v[160:161]
	v_add_f64 v[148:149], v[160:161], v[148:149]
	v_add_f64 v[160:161], v[164:165], v[176:177]
	;; [unrolled: 1-line block ×3, first 2 shown]
	v_add_f64 v[162:163], v[160:161], -v[164:165]
	v_mul_f64 v[148:149], v[178:179], v[148:149]
	v_add_f64 v[162:163], v[176:177], -v[162:163]
	v_add_f64 v[148:149], v[162:163], v[148:149]
	v_add_f64 v[162:163], v[160:161], v[148:149]
	v_add_f64 v[160:161], v[162:163], -v[160:161]
	s_mov_b32 s40, 0xbf559e2b
	v_add_f64 v[148:149], v[148:149], -v[160:161]
	v_mul_f64 v[160:161], v[162:163], v[162:163]
	v_mov_b32_e32 v164, 0x6b47b09a
	v_mov_b32_e32 v165, 0x3fc38538
	s_mov_b32 s41, 0x3fc3ab76
	v_fmac_f64_e32 v[164:165], s[40:41], v[160:161]
	v_mov_b32_e32 v166, 0xd7f4df2e
	v_mov_b32_e32 v167, 0x3fc7474d
	v_fmac_f64_e32 v[166:167], v[160:161], v[164:165]
	v_mov_b32_e32 v164, 0x16291751
	v_mov_b32_e32 v165, 0x3fcc71c0
	;; [unrolled: 3-line block ×5, first 2 shown]
	v_fmac_f64_e32 v[166:167], v[160:161], v[164:165]
	v_cvt_f64_i32_e32 v[164:165], v194
	v_mul_f64 v[176:177], v[164:165], s[50:51]
	v_fma_f64 v[178:179], v[164:165], s[50:51], -v[176:177]
	v_fmac_f64_e32 v[178:179], s[52:53], v[164:165]
	v_add_f64 v[164:165], v[176:177], v[178:179]
	v_add_f64 v[176:177], v[164:165], -v[176:177]
	v_mul_f64 v[160:161], v[162:163], v[160:161]
	v_add_f64 v[176:177], v[178:179], -v[176:177]
	v_ldexp_f64 v[178:179], v[162:163], 1
	v_mul_f64 v[160:161], v[160:161], v[166:167]
	v_add_f64 v[162:163], v[178:179], v[160:161]
	v_add_f64 v[166:167], v[162:163], -v[178:179]
	v_ldexp_f64 v[148:149], v[148:149], 1
	v_add_f64 v[160:161], v[160:161], -v[166:167]
	v_add_f64 v[148:149], v[148:149], v[160:161]
	v_add_f64 v[160:161], v[162:163], v[148:149]
	v_add_f64 v[162:163], v[160:161], -v[162:163]
	v_add_f64 v[148:149], v[148:149], -v[162:163]
	v_add_f64 v[162:163], v[164:165], v[160:161]
	v_add_f64 v[166:167], v[162:163], -v[164:165]
	v_add_f64 v[178:179], v[162:163], -v[166:167]
	;; [unrolled: 1-line block ×4, first 2 shown]
	v_add_f64 v[160:161], v[160:161], v[164:165]
	v_add_f64 v[164:165], v[176:177], v[148:149]
	v_add_f64 v[166:167], v[164:165], -v[176:177]
	v_add_f64 v[160:161], v[164:165], v[160:161]
	v_add_f64 v[178:179], v[164:165], -v[166:167]
	;; [unrolled: 2-line block ×3, first 2 shown]
	v_add_f64 v[148:149], v[148:149], -v[166:167]
	v_add_f64 v[162:163], v[164:165], -v[162:163]
	v_add_f64 v[148:149], v[148:149], v[176:177]
	v_add_f64 v[160:161], v[160:161], -v[162:163]
	s_mov_b32 s40, 0
	v_add_f64 v[148:149], v[148:149], v[160:161]
	s_mov_b32 s41, 0x7ff00000
	v_add_f64 v[148:149], v[164:165], v[148:149]
	v_cmp_eq_f64_e64 s[40:41], s[40:41], v[146:147]
	v_mov_b32_e32 v160, 0x7ff80000
	s_nop 0
	v_cndmask_b32_e64 v148, v148, v146, s[40:41]
	v_cndmask_b32_e64 v149, v149, v147, s[40:41]
	v_cmp_ngt_f64_e64 s[40:41], -1.0, v[146:147]
	s_nop 1
	v_cndmask_b32_e64 v149, v160, v149, s[40:41]
	v_cmp_nge_f64_e64 s[40:41], -1.0, v[146:147]
	v_mov_b32_e32 v160, 0xfff00000
	s_nop 0
	v_cndmask_b32_e64 v148, 0, v148, s[40:41]
	v_cmp_neq_f64_e64 s[40:41], -1.0, v[146:147]
	s_nop 1
	v_cndmask_b32_e64 v149, v160, v149, s[40:41]
	v_add_f64 v[146:147], v[6:7], v[148:149]
.LBB70_83:
	s_or_b64 exec, exec, s[48:49]
	v_mov_b64_e32 v[6:7], v[146:147]
	v_mov_b32_e32 v148, v146
	v_mov_b32_e32 v149, v147
.LBB70_84:
	s_or_b64 exec, exec, s[46:47]
	v_mov_b32_dpp v146, v148 row_shr:8 row_mask:0xf bank_mask:0xf
	v_mov_b32_dpp v147, v149 row_shr:8 row_mask:0xf bank_mask:0xf
	v_cmp_lt_u32_e64 s[40:41], 7, v151
	s_and_saveexec_b64 s[46:47], s[40:41]
	s_cbranch_execz .LBB70_88
; %bb.85:
	v_max_f64 v[160:161], v[146:147], v[146:147]
	v_max_f64 v[162:163], v[6:7], v[6:7]
	v_min_f64 v[148:149], v[160:161], v[162:163]
	v_cmp_u_f64_e64 s[40:41], v[146:147], v[146:147]
	v_max_f64 v[160:161], v[160:161], v[162:163]
	v_cmp_u_f64_e64 s[42:43], v[6:7], v[6:7]
	v_cndmask_b32_e64 v148, v148, v146, s[40:41]
	v_cndmask_b32_e64 v149, v149, v147, s[40:41]
	;; [unrolled: 1-line block ×8, first 2 shown]
	s_movk_i32 s42, 0x1f8
	v_cmp_neq_f64_e64 s[40:41], v[148:149], v[6:7]
	v_cmp_class_f64_e64 s[42:43], v[148:149], s42
	s_or_b64 s[40:41], s[40:41], s[42:43]
	s_and_saveexec_b64 s[48:49], s[40:41]
	s_cbranch_execz .LBB70_87
; %bb.86:
	s_mov_b32 s40, 0x652b82fe
	v_add_f64 v[146:147], v[148:149], -v[6:7]
	s_mov_b32 s41, 0x3ff71547
	v_mul_f64 v[148:149], v[146:147], s[40:41]
	v_rndne_f64_e32 v[148:149], v[148:149]
	s_mov_b32 s51, 0xbfe62e42
	s_mov_b32 s50, 0xfefa39ef
	v_fma_f64 v[160:161], s[50:51], v[148:149], v[146:147]
	s_mov_b32 s53, 0xbc7abc9e
	s_mov_b32 s52, 0x3b39803f
	;; [unrolled: 1-line block ×3, first 2 shown]
	v_fmac_f64_e32 v[160:161], s[52:53], v[148:149]
	v_mov_b32_e32 v162, 0xfca7ab0c
	v_mov_b32_e32 v163, 0x3e928af3
	s_mov_b32 s41, 0x3e5ade15
	v_fmac_f64_e32 v[162:163], s[40:41], v[160:161]
	v_mov_b32_e32 v164, 0x623fde64
	v_mov_b32_e32 v165, 0x3ec71dee
	v_fmac_f64_e32 v[164:165], v[160:161], v[162:163]
	v_mov_b32_e32 v162, 0x7c89e6b0
	v_mov_b32_e32 v163, 0x3efa0199
	;; [unrolled: 3-line block ×8, first 2 shown]
	v_fmac_f64_e32 v[162:163], v[160:161], v[164:165]
	v_fma_f64 v[162:163], v[160:161], v[162:163], 1.0
	s_mov_b32 s40, 0
	s_mov_b32 s42, 0
	v_fma_f64 v[160:161], v[160:161], v[162:163], 1.0
	v_cvt_i32_f64_e32 v148, v[148:149]
	s_mov_b32 s41, 0x40900000
	s_mov_b32 s43, 0xc090cc00
	v_ldexp_f64 v[148:149], v[160:161], v148
	v_mov_b32_e32 v151, 0x7ff00000
	v_cmp_nlt_f64_e64 s[40:41], s[40:41], v[146:147]
	v_cmp_ngt_f64_e64 s[42:43], s[42:43], v[146:147]
	s_mov_b32 s51, 0x3fe62e42
	v_cndmask_b32_e64 v149, v151, v149, s[40:41]
	s_and_b64 s[40:41], s[42:43], s[40:41]
	v_cndmask_b32_e64 v147, 0, v149, s[42:43]
	v_cndmask_b32_e64 v146, 0, v148, s[40:41]
	v_add_f64 v[148:149], v[146:147], 1.0
	v_add_f64 v[160:161], v[148:149], -1.0
	v_add_f64 v[162:163], v[160:161], -v[148:149]
	v_add_f64 v[162:163], v[162:163], 1.0
	v_add_f64 v[160:161], v[146:147], -v[160:161]
	s_mov_b32 s40, 0x55555555
	v_add_f64 v[160:161], v[160:161], v[162:163]
	v_frexp_mant_f64_e32 v[162:163], v[148:149]
	s_mov_b32 s41, 0x3fe55555
	v_frexp_exp_i32_f64_e32 v151, v[148:149]
	v_cmp_gt_f64_e64 s[40:41], s[40:41], v[162:163]
	s_mov_b32 s53, 0x3c7abc9e
	s_nop 0
	v_subbrev_co_u32_e64 v151, s[40:41], 0, v151, s[40:41]
	v_sub_u32_e32 v162, 0, v151
	v_ldexp_f64 v[148:149], v[148:149], v162
	v_ldexp_f64 v[160:161], v[160:161], v162
	v_add_f64 v[162:163], v[148:149], -1.0
	v_add_f64 v[176:177], v[148:149], 1.0
	v_add_f64 v[164:165], v[162:163], 1.0
	v_add_f64 v[178:179], v[176:177], -1.0
	v_add_f64 v[164:165], v[148:149], -v[164:165]
	v_add_f64 v[148:149], v[148:149], -v[178:179]
	v_add_f64 v[148:149], v[160:161], v[148:149]
	v_add_f64 v[164:165], v[160:161], v[164:165]
	;; [unrolled: 1-line block ×3, first 2 shown]
	v_rcp_f64_e32 v[178:179], v[160:161]
	v_add_f64 v[166:167], v[162:163], v[164:165]
	v_add_f64 v[162:163], v[166:167], -v[162:163]
	v_add_f64 v[162:163], v[164:165], -v[162:163]
	;; [unrolled: 1-line block ×4, first 2 shown]
	v_fma_f64 v[164:165], -v[160:161], v[178:179], 1.0
	v_fmac_f64_e32 v[178:179], v[164:165], v[178:179]
	v_fma_f64 v[164:165], -v[160:161], v[178:179], 1.0
	v_fmac_f64_e32 v[178:179], v[164:165], v[178:179]
	v_mul_f64 v[164:165], v[166:167], v[178:179]
	v_mul_f64 v[176:177], v[160:161], v[164:165]
	v_fma_f64 v[180:181], v[164:165], v[160:161], -v[176:177]
	v_fmac_f64_e32 v[180:181], v[164:165], v[148:149]
	v_add_f64 v[182:183], v[176:177], v[180:181]
	v_add_f64 v[192:193], v[166:167], -v[182:183]
	v_add_f64 v[166:167], v[166:167], -v[192:193]
	;; [unrolled: 1-line block ×4, first 2 shown]
	v_add_f64 v[162:163], v[162:163], v[166:167]
	v_add_f64 v[166:167], v[176:177], -v[180:181]
	v_add_f64 v[162:163], v[166:167], v[162:163]
	v_add_f64 v[166:167], v[192:193], v[162:163]
	v_add_f64 v[176:177], v[192:193], -v[166:167]
	v_add_f64 v[162:163], v[162:163], v[176:177]
	v_mul_f64 v[176:177], v[178:179], v[166:167]
	v_mul_f64 v[180:181], v[160:161], v[176:177]
	v_fma_f64 v[160:161], v[176:177], v[160:161], -v[180:181]
	v_fmac_f64_e32 v[160:161], v[176:177], v[148:149]
	v_add_f64 v[148:149], v[180:181], v[160:161]
	v_add_f64 v[182:183], v[166:167], -v[148:149]
	v_add_f64 v[166:167], v[166:167], -v[182:183]
	;; [unrolled: 1-line block ×4, first 2 shown]
	v_add_f64 v[148:149], v[162:163], v[148:149]
	v_add_f64 v[160:161], v[180:181], -v[160:161]
	v_add_f64 v[148:149], v[160:161], v[148:149]
	v_add_f64 v[160:161], v[164:165], v[176:177]
	;; [unrolled: 1-line block ×3, first 2 shown]
	v_add_f64 v[162:163], v[160:161], -v[164:165]
	v_mul_f64 v[148:149], v[178:179], v[148:149]
	v_add_f64 v[162:163], v[176:177], -v[162:163]
	v_add_f64 v[148:149], v[162:163], v[148:149]
	v_add_f64 v[162:163], v[160:161], v[148:149]
	v_add_f64 v[160:161], v[162:163], -v[160:161]
	s_mov_b32 s40, 0xbf559e2b
	v_add_f64 v[148:149], v[148:149], -v[160:161]
	v_mul_f64 v[160:161], v[162:163], v[162:163]
	v_mov_b32_e32 v164, 0x6b47b09a
	v_mov_b32_e32 v165, 0x3fc38538
	s_mov_b32 s41, 0x3fc3ab76
	v_fmac_f64_e32 v[164:165], s[40:41], v[160:161]
	v_mov_b32_e32 v166, 0xd7f4df2e
	v_mov_b32_e32 v167, 0x3fc7474d
	v_fmac_f64_e32 v[166:167], v[160:161], v[164:165]
	v_mov_b32_e32 v164, 0x16291751
	v_mov_b32_e32 v165, 0x3fcc71c0
	;; [unrolled: 3-line block ×5, first 2 shown]
	v_fmac_f64_e32 v[166:167], v[160:161], v[164:165]
	v_cvt_f64_i32_e32 v[164:165], v151
	v_mul_f64 v[176:177], v[164:165], s[50:51]
	v_fma_f64 v[178:179], v[164:165], s[50:51], -v[176:177]
	v_fmac_f64_e32 v[178:179], s[52:53], v[164:165]
	v_add_f64 v[164:165], v[176:177], v[178:179]
	v_add_f64 v[176:177], v[164:165], -v[176:177]
	v_mul_f64 v[160:161], v[162:163], v[160:161]
	v_add_f64 v[176:177], v[178:179], -v[176:177]
	v_ldexp_f64 v[178:179], v[162:163], 1
	v_mul_f64 v[160:161], v[160:161], v[166:167]
	v_add_f64 v[162:163], v[178:179], v[160:161]
	v_add_f64 v[166:167], v[162:163], -v[178:179]
	v_ldexp_f64 v[148:149], v[148:149], 1
	v_add_f64 v[160:161], v[160:161], -v[166:167]
	v_add_f64 v[148:149], v[148:149], v[160:161]
	v_add_f64 v[160:161], v[162:163], v[148:149]
	v_add_f64 v[162:163], v[160:161], -v[162:163]
	v_add_f64 v[148:149], v[148:149], -v[162:163]
	v_add_f64 v[162:163], v[164:165], v[160:161]
	v_add_f64 v[166:167], v[162:163], -v[164:165]
	v_add_f64 v[178:179], v[162:163], -v[166:167]
	;; [unrolled: 1-line block ×4, first 2 shown]
	v_add_f64 v[160:161], v[160:161], v[164:165]
	v_add_f64 v[164:165], v[176:177], v[148:149]
	v_add_f64 v[166:167], v[164:165], -v[176:177]
	v_add_f64 v[160:161], v[164:165], v[160:161]
	v_add_f64 v[178:179], v[164:165], -v[166:167]
	;; [unrolled: 2-line block ×3, first 2 shown]
	v_add_f64 v[148:149], v[148:149], -v[166:167]
	v_add_f64 v[162:163], v[164:165], -v[162:163]
	v_add_f64 v[148:149], v[148:149], v[176:177]
	v_add_f64 v[160:161], v[160:161], -v[162:163]
	s_mov_b32 s40, 0
	v_add_f64 v[148:149], v[148:149], v[160:161]
	s_mov_b32 s41, 0x7ff00000
	v_add_f64 v[148:149], v[164:165], v[148:149]
	v_cmp_eq_f64_e64 s[40:41], s[40:41], v[146:147]
	v_mov_b32_e32 v151, 0x7ff80000
	s_nop 0
	v_cndmask_b32_e64 v148, v148, v146, s[40:41]
	v_cndmask_b32_e64 v149, v149, v147, s[40:41]
	v_cmp_ngt_f64_e64 s[40:41], -1.0, v[146:147]
	s_nop 1
	v_cndmask_b32_e64 v149, v151, v149, s[40:41]
	v_cmp_nge_f64_e64 s[40:41], -1.0, v[146:147]
	v_mov_b32_e32 v151, 0xfff00000
	s_nop 0
	v_cndmask_b32_e64 v148, 0, v148, s[40:41]
	v_cmp_neq_f64_e64 s[40:41], -1.0, v[146:147]
	s_nop 1
	v_cndmask_b32_e64 v149, v151, v149, s[40:41]
	v_add_f64 v[146:147], v[6:7], v[148:149]
.LBB70_87:
	s_or_b64 exec, exec, s[48:49]
	v_mov_b64_e32 v[6:7], v[146:147]
	v_mov_b32_e32 v148, v146
	v_mov_b32_e32 v149, v147
.LBB70_88:
	s_or_b64 exec, exec, s[46:47]
	v_and_b32_e32 v151, 16, v150
	v_mov_b32_dpp v146, v148 row_bcast:15 row_mask:0xf bank_mask:0xf
	v_mov_b32_dpp v147, v149 row_bcast:15 row_mask:0xf bank_mask:0xf
	v_cmp_ne_u32_e64 s[40:41], 0, v151
	s_and_saveexec_b64 s[46:47], s[40:41]
	s_cbranch_execz .LBB70_92
; %bb.89:
	v_max_f64 v[160:161], v[146:147], v[146:147]
	v_max_f64 v[162:163], v[6:7], v[6:7]
	v_min_f64 v[148:149], v[160:161], v[162:163]
	v_cmp_u_f64_e64 s[40:41], v[146:147], v[146:147]
	v_max_f64 v[160:161], v[160:161], v[162:163]
	v_cmp_u_f64_e64 s[42:43], v[6:7], v[6:7]
	v_cndmask_b32_e64 v148, v148, v146, s[40:41]
	v_cndmask_b32_e64 v149, v149, v147, s[40:41]
	;; [unrolled: 1-line block ×8, first 2 shown]
	s_movk_i32 s42, 0x1f8
	v_cmp_neq_f64_e64 s[40:41], v[148:149], v[6:7]
	v_cmp_class_f64_e64 s[42:43], v[148:149], s42
	s_or_b64 s[40:41], s[40:41], s[42:43]
	s_and_saveexec_b64 s[48:49], s[40:41]
	s_cbranch_execz .LBB70_91
; %bb.90:
	s_mov_b32 s40, 0x652b82fe
	v_add_f64 v[146:147], v[148:149], -v[6:7]
	s_mov_b32 s41, 0x3ff71547
	v_mul_f64 v[148:149], v[146:147], s[40:41]
	v_rndne_f64_e32 v[148:149], v[148:149]
	s_mov_b32 s51, 0xbfe62e42
	s_mov_b32 s50, 0xfefa39ef
	v_fma_f64 v[160:161], s[50:51], v[148:149], v[146:147]
	s_mov_b32 s53, 0xbc7abc9e
	s_mov_b32 s52, 0x3b39803f
	;; [unrolled: 1-line block ×3, first 2 shown]
	v_fmac_f64_e32 v[160:161], s[52:53], v[148:149]
	v_mov_b32_e32 v162, 0xfca7ab0c
	v_mov_b32_e32 v163, 0x3e928af3
	s_mov_b32 s41, 0x3e5ade15
	v_fmac_f64_e32 v[162:163], s[40:41], v[160:161]
	v_mov_b32_e32 v164, 0x623fde64
	v_mov_b32_e32 v165, 0x3ec71dee
	v_fmac_f64_e32 v[164:165], v[160:161], v[162:163]
	v_mov_b32_e32 v162, 0x7c89e6b0
	v_mov_b32_e32 v163, 0x3efa0199
	;; [unrolled: 3-line block ×8, first 2 shown]
	v_fmac_f64_e32 v[162:163], v[160:161], v[164:165]
	v_fma_f64 v[162:163], v[160:161], v[162:163], 1.0
	s_mov_b32 s40, 0
	s_mov_b32 s42, 0
	v_fma_f64 v[160:161], v[160:161], v[162:163], 1.0
	v_cvt_i32_f64_e32 v148, v[148:149]
	s_mov_b32 s41, 0x40900000
	s_mov_b32 s43, 0xc090cc00
	v_ldexp_f64 v[148:149], v[160:161], v148
	v_mov_b32_e32 v151, 0x7ff00000
	v_cmp_nlt_f64_e64 s[40:41], s[40:41], v[146:147]
	v_cmp_ngt_f64_e64 s[42:43], s[42:43], v[146:147]
	s_mov_b32 s51, 0x3fe62e42
	v_cndmask_b32_e64 v149, v151, v149, s[40:41]
	s_and_b64 s[40:41], s[42:43], s[40:41]
	v_cndmask_b32_e64 v147, 0, v149, s[42:43]
	v_cndmask_b32_e64 v146, 0, v148, s[40:41]
	v_add_f64 v[148:149], v[146:147], 1.0
	v_add_f64 v[160:161], v[148:149], -1.0
	v_add_f64 v[162:163], v[160:161], -v[148:149]
	v_add_f64 v[162:163], v[162:163], 1.0
	v_add_f64 v[160:161], v[146:147], -v[160:161]
	s_mov_b32 s40, 0x55555555
	v_add_f64 v[160:161], v[160:161], v[162:163]
	v_frexp_mant_f64_e32 v[162:163], v[148:149]
	s_mov_b32 s41, 0x3fe55555
	v_frexp_exp_i32_f64_e32 v151, v[148:149]
	v_cmp_gt_f64_e64 s[40:41], s[40:41], v[162:163]
	s_mov_b32 s53, 0x3c7abc9e
	s_nop 0
	v_subbrev_co_u32_e64 v151, s[40:41], 0, v151, s[40:41]
	v_sub_u32_e32 v162, 0, v151
	v_ldexp_f64 v[148:149], v[148:149], v162
	v_ldexp_f64 v[160:161], v[160:161], v162
	v_add_f64 v[162:163], v[148:149], -1.0
	v_add_f64 v[176:177], v[148:149], 1.0
	v_add_f64 v[164:165], v[162:163], 1.0
	v_add_f64 v[178:179], v[176:177], -1.0
	v_add_f64 v[164:165], v[148:149], -v[164:165]
	v_add_f64 v[148:149], v[148:149], -v[178:179]
	v_add_f64 v[148:149], v[160:161], v[148:149]
	v_add_f64 v[164:165], v[160:161], v[164:165]
	v_add_f64 v[160:161], v[176:177], v[148:149]
	v_rcp_f64_e32 v[178:179], v[160:161]
	v_add_f64 v[166:167], v[162:163], v[164:165]
	v_add_f64 v[162:163], v[166:167], -v[162:163]
	v_add_f64 v[162:163], v[164:165], -v[162:163]
	v_add_f64 v[164:165], v[160:161], -v[176:177]
	v_add_f64 v[148:149], v[148:149], -v[164:165]
	v_fma_f64 v[164:165], -v[160:161], v[178:179], 1.0
	v_fmac_f64_e32 v[178:179], v[164:165], v[178:179]
	v_fma_f64 v[164:165], -v[160:161], v[178:179], 1.0
	v_fmac_f64_e32 v[178:179], v[164:165], v[178:179]
	v_mul_f64 v[164:165], v[166:167], v[178:179]
	v_mul_f64 v[176:177], v[160:161], v[164:165]
	v_fma_f64 v[180:181], v[164:165], v[160:161], -v[176:177]
	v_fmac_f64_e32 v[180:181], v[164:165], v[148:149]
	v_add_f64 v[182:183], v[176:177], v[180:181]
	v_add_f64 v[192:193], v[166:167], -v[182:183]
	v_add_f64 v[166:167], v[166:167], -v[192:193]
	;; [unrolled: 1-line block ×4, first 2 shown]
	v_add_f64 v[162:163], v[162:163], v[166:167]
	v_add_f64 v[166:167], v[176:177], -v[180:181]
	v_add_f64 v[162:163], v[166:167], v[162:163]
	v_add_f64 v[166:167], v[192:193], v[162:163]
	v_add_f64 v[176:177], v[192:193], -v[166:167]
	v_add_f64 v[162:163], v[162:163], v[176:177]
	v_mul_f64 v[176:177], v[178:179], v[166:167]
	v_mul_f64 v[180:181], v[160:161], v[176:177]
	v_fma_f64 v[160:161], v[176:177], v[160:161], -v[180:181]
	v_fmac_f64_e32 v[160:161], v[176:177], v[148:149]
	v_add_f64 v[148:149], v[180:181], v[160:161]
	v_add_f64 v[182:183], v[166:167], -v[148:149]
	v_add_f64 v[166:167], v[166:167], -v[182:183]
	;; [unrolled: 1-line block ×4, first 2 shown]
	v_add_f64 v[148:149], v[162:163], v[148:149]
	v_add_f64 v[160:161], v[180:181], -v[160:161]
	v_add_f64 v[148:149], v[160:161], v[148:149]
	v_add_f64 v[160:161], v[164:165], v[176:177]
	;; [unrolled: 1-line block ×3, first 2 shown]
	v_add_f64 v[162:163], v[160:161], -v[164:165]
	v_mul_f64 v[148:149], v[178:179], v[148:149]
	v_add_f64 v[162:163], v[176:177], -v[162:163]
	v_add_f64 v[148:149], v[162:163], v[148:149]
	v_add_f64 v[162:163], v[160:161], v[148:149]
	v_add_f64 v[160:161], v[162:163], -v[160:161]
	s_mov_b32 s40, 0xbf559e2b
	v_add_f64 v[148:149], v[148:149], -v[160:161]
	v_mul_f64 v[160:161], v[162:163], v[162:163]
	v_mov_b32_e32 v164, 0x6b47b09a
	v_mov_b32_e32 v165, 0x3fc38538
	s_mov_b32 s41, 0x3fc3ab76
	v_fmac_f64_e32 v[164:165], s[40:41], v[160:161]
	v_mov_b32_e32 v166, 0xd7f4df2e
	v_mov_b32_e32 v167, 0x3fc7474d
	v_fmac_f64_e32 v[166:167], v[160:161], v[164:165]
	v_mov_b32_e32 v164, 0x16291751
	v_mov_b32_e32 v165, 0x3fcc71c0
	;; [unrolled: 3-line block ×5, first 2 shown]
	v_fmac_f64_e32 v[166:167], v[160:161], v[164:165]
	v_cvt_f64_i32_e32 v[164:165], v151
	v_mul_f64 v[176:177], v[164:165], s[50:51]
	v_fma_f64 v[178:179], v[164:165], s[50:51], -v[176:177]
	v_fmac_f64_e32 v[178:179], s[52:53], v[164:165]
	v_add_f64 v[164:165], v[176:177], v[178:179]
	v_add_f64 v[176:177], v[164:165], -v[176:177]
	v_mul_f64 v[160:161], v[162:163], v[160:161]
	v_add_f64 v[176:177], v[178:179], -v[176:177]
	v_ldexp_f64 v[178:179], v[162:163], 1
	v_mul_f64 v[160:161], v[160:161], v[166:167]
	v_add_f64 v[162:163], v[178:179], v[160:161]
	v_add_f64 v[166:167], v[162:163], -v[178:179]
	v_ldexp_f64 v[148:149], v[148:149], 1
	v_add_f64 v[160:161], v[160:161], -v[166:167]
	v_add_f64 v[148:149], v[148:149], v[160:161]
	v_add_f64 v[160:161], v[162:163], v[148:149]
	v_add_f64 v[162:163], v[160:161], -v[162:163]
	v_add_f64 v[148:149], v[148:149], -v[162:163]
	v_add_f64 v[162:163], v[164:165], v[160:161]
	v_add_f64 v[166:167], v[162:163], -v[164:165]
	v_add_f64 v[178:179], v[162:163], -v[166:167]
	;; [unrolled: 1-line block ×4, first 2 shown]
	v_add_f64 v[160:161], v[160:161], v[164:165]
	v_add_f64 v[164:165], v[176:177], v[148:149]
	v_add_f64 v[166:167], v[164:165], -v[176:177]
	v_add_f64 v[160:161], v[164:165], v[160:161]
	v_add_f64 v[178:179], v[164:165], -v[166:167]
	;; [unrolled: 2-line block ×3, first 2 shown]
	v_add_f64 v[148:149], v[148:149], -v[166:167]
	v_add_f64 v[162:163], v[164:165], -v[162:163]
	v_add_f64 v[148:149], v[148:149], v[176:177]
	v_add_f64 v[160:161], v[160:161], -v[162:163]
	s_mov_b32 s40, 0
	v_add_f64 v[148:149], v[148:149], v[160:161]
	s_mov_b32 s41, 0x7ff00000
	v_add_f64 v[148:149], v[164:165], v[148:149]
	v_cmp_eq_f64_e64 s[40:41], s[40:41], v[146:147]
	v_mov_b32_e32 v151, 0x7ff80000
	s_nop 0
	v_cndmask_b32_e64 v148, v148, v146, s[40:41]
	v_cndmask_b32_e64 v149, v149, v147, s[40:41]
	v_cmp_ngt_f64_e64 s[40:41], -1.0, v[146:147]
	s_nop 1
	v_cndmask_b32_e64 v149, v151, v149, s[40:41]
	v_cmp_nge_f64_e64 s[40:41], -1.0, v[146:147]
	v_mov_b32_e32 v151, 0xfff00000
	s_nop 0
	v_cndmask_b32_e64 v148, 0, v148, s[40:41]
	v_cmp_neq_f64_e64 s[40:41], -1.0, v[146:147]
	s_nop 1
	v_cndmask_b32_e64 v149, v151, v149, s[40:41]
	v_add_f64 v[146:147], v[6:7], v[148:149]
.LBB70_91:
	s_or_b64 exec, exec, s[48:49]
	v_mov_b32_e32 v148, v146
	v_mov_b32_e32 v149, v147
	v_mov_b64_e32 v[6:7], v[146:147]
.LBB70_92:
	s_or_b64 exec, exec, s[46:47]
	v_mov_b32_dpp v146, v148 row_bcast:31 row_mask:0xf bank_mask:0xf
	v_mov_b32_dpp v147, v149 row_bcast:31 row_mask:0xf bank_mask:0xf
	v_cmp_lt_u32_e64 s[40:41], 31, v150
	s_and_saveexec_b64 s[46:47], s[40:41]
	s_cbranch_execz .LBB70_96
; %bb.93:
	v_max_f64 v[160:161], v[146:147], v[146:147]
	v_max_f64 v[162:163], v[6:7], v[6:7]
	v_min_f64 v[148:149], v[160:161], v[162:163]
	v_cmp_u_f64_e64 s[40:41], v[146:147], v[146:147]
	v_max_f64 v[160:161], v[160:161], v[162:163]
	v_cmp_u_f64_e64 s[42:43], v[6:7], v[6:7]
	v_cndmask_b32_e64 v148, v148, v146, s[40:41]
	v_cndmask_b32_e64 v149, v149, v147, s[40:41]
	;; [unrolled: 1-line block ×8, first 2 shown]
	s_movk_i32 s42, 0x1f8
	v_cmp_neq_f64_e64 s[40:41], v[148:149], v[6:7]
	v_cmp_class_f64_e64 s[42:43], v[148:149], s42
	s_or_b64 s[40:41], s[40:41], s[42:43]
	s_and_saveexec_b64 s[48:49], s[40:41]
	s_cbranch_execz .LBB70_95
; %bb.94:
	s_mov_b32 s40, 0x652b82fe
	v_add_f64 v[146:147], v[148:149], -v[6:7]
	s_mov_b32 s41, 0x3ff71547
	v_mul_f64 v[148:149], v[146:147], s[40:41]
	v_rndne_f64_e32 v[148:149], v[148:149]
	s_mov_b32 s51, 0xbfe62e42
	s_mov_b32 s50, 0xfefa39ef
	v_fma_f64 v[160:161], s[50:51], v[148:149], v[146:147]
	s_mov_b32 s53, 0xbc7abc9e
	s_mov_b32 s52, 0x3b39803f
	;; [unrolled: 1-line block ×3, first 2 shown]
	v_fmac_f64_e32 v[160:161], s[52:53], v[148:149]
	v_mov_b32_e32 v162, 0xfca7ab0c
	v_mov_b32_e32 v163, 0x3e928af3
	s_mov_b32 s41, 0x3e5ade15
	v_fmac_f64_e32 v[162:163], s[40:41], v[160:161]
	v_mov_b32_e32 v164, 0x623fde64
	v_mov_b32_e32 v165, 0x3ec71dee
	v_fmac_f64_e32 v[164:165], v[160:161], v[162:163]
	v_mov_b32_e32 v162, 0x7c89e6b0
	v_mov_b32_e32 v163, 0x3efa0199
	v_fmac_f64_e32 v[162:163], v[160:161], v[164:165]
	v_mov_b32_e32 v164, 0x14761f6e
	v_mov_b32_e32 v165, 0x3f2a01a0
	v_fmac_f64_e32 v[164:165], v[160:161], v[162:163]
	v_mov_b32_e32 v162, 0x1852b7b0
	v_mov_b32_e32 v163, 0x3f56c16c
	v_fmac_f64_e32 v[162:163], v[160:161], v[164:165]
	v_mov_b32_e32 v164, 0x11122322
	v_mov_b32_e32 v165, 0x3f811111
	v_fmac_f64_e32 v[164:165], v[160:161], v[162:163]
	v_mov_b32_e32 v162, 0x555502a1
	v_mov_b32_e32 v163, 0x3fa55555
	v_fmac_f64_e32 v[162:163], v[160:161], v[164:165]
	v_mov_b32_e32 v164, 0x55555511
	v_mov_b32_e32 v165, 0x3fc55555
	v_fmac_f64_e32 v[164:165], v[160:161], v[162:163]
	v_mov_b32_e32 v162, 11
	v_mov_b32_e32 v163, 0x3fe00000
	v_fmac_f64_e32 v[162:163], v[160:161], v[164:165]
	v_fma_f64 v[162:163], v[160:161], v[162:163], 1.0
	s_mov_b32 s40, 0
	s_mov_b32 s42, 0
	v_fma_f64 v[160:161], v[160:161], v[162:163], 1.0
	v_cvt_i32_f64_e32 v148, v[148:149]
	s_mov_b32 s41, 0x40900000
	s_mov_b32 s43, 0xc090cc00
	v_ldexp_f64 v[148:149], v[160:161], v148
	v_mov_b32_e32 v151, 0x7ff00000
	v_cmp_nlt_f64_e64 s[40:41], s[40:41], v[146:147]
	v_cmp_ngt_f64_e64 s[42:43], s[42:43], v[146:147]
	s_mov_b32 s51, 0x3fe62e42
	v_cndmask_b32_e64 v149, v151, v149, s[40:41]
	s_and_b64 s[40:41], s[42:43], s[40:41]
	v_cndmask_b32_e64 v147, 0, v149, s[42:43]
	v_cndmask_b32_e64 v146, 0, v148, s[40:41]
	v_add_f64 v[148:149], v[146:147], 1.0
	v_add_f64 v[160:161], v[148:149], -1.0
	v_add_f64 v[162:163], v[160:161], -v[148:149]
	v_add_f64 v[162:163], v[162:163], 1.0
	v_add_f64 v[160:161], v[146:147], -v[160:161]
	s_mov_b32 s40, 0x55555555
	v_add_f64 v[160:161], v[160:161], v[162:163]
	v_frexp_mant_f64_e32 v[162:163], v[148:149]
	s_mov_b32 s41, 0x3fe55555
	v_frexp_exp_i32_f64_e32 v151, v[148:149]
	v_cmp_gt_f64_e64 s[40:41], s[40:41], v[162:163]
	s_mov_b32 s53, 0x3c7abc9e
	s_nop 0
	v_subbrev_co_u32_e64 v151, s[40:41], 0, v151, s[40:41]
	v_sub_u32_e32 v162, 0, v151
	v_ldexp_f64 v[148:149], v[148:149], v162
	v_ldexp_f64 v[160:161], v[160:161], v162
	v_add_f64 v[162:163], v[148:149], -1.0
	v_add_f64 v[176:177], v[148:149], 1.0
	v_add_f64 v[164:165], v[162:163], 1.0
	v_add_f64 v[178:179], v[176:177], -1.0
	v_add_f64 v[164:165], v[148:149], -v[164:165]
	v_add_f64 v[148:149], v[148:149], -v[178:179]
	v_add_f64 v[148:149], v[160:161], v[148:149]
	v_add_f64 v[164:165], v[160:161], v[164:165]
	;; [unrolled: 1-line block ×3, first 2 shown]
	v_rcp_f64_e32 v[178:179], v[160:161]
	v_add_f64 v[166:167], v[162:163], v[164:165]
	v_add_f64 v[162:163], v[166:167], -v[162:163]
	v_add_f64 v[162:163], v[164:165], -v[162:163]
	;; [unrolled: 1-line block ×4, first 2 shown]
	v_fma_f64 v[164:165], -v[160:161], v[178:179], 1.0
	v_fmac_f64_e32 v[178:179], v[164:165], v[178:179]
	v_fma_f64 v[164:165], -v[160:161], v[178:179], 1.0
	v_fmac_f64_e32 v[178:179], v[164:165], v[178:179]
	v_mul_f64 v[164:165], v[166:167], v[178:179]
	v_mul_f64 v[176:177], v[160:161], v[164:165]
	v_fma_f64 v[180:181], v[164:165], v[160:161], -v[176:177]
	v_fmac_f64_e32 v[180:181], v[164:165], v[148:149]
	v_add_f64 v[182:183], v[176:177], v[180:181]
	v_add_f64 v[192:193], v[166:167], -v[182:183]
	v_add_f64 v[166:167], v[166:167], -v[192:193]
	;; [unrolled: 1-line block ×4, first 2 shown]
	v_add_f64 v[162:163], v[162:163], v[166:167]
	v_add_f64 v[166:167], v[176:177], -v[180:181]
	v_add_f64 v[162:163], v[166:167], v[162:163]
	v_add_f64 v[166:167], v[192:193], v[162:163]
	v_add_f64 v[176:177], v[192:193], -v[166:167]
	v_add_f64 v[162:163], v[162:163], v[176:177]
	v_mul_f64 v[176:177], v[178:179], v[166:167]
	v_mul_f64 v[180:181], v[160:161], v[176:177]
	v_fma_f64 v[160:161], v[176:177], v[160:161], -v[180:181]
	v_fmac_f64_e32 v[160:161], v[176:177], v[148:149]
	v_add_f64 v[148:149], v[180:181], v[160:161]
	v_add_f64 v[182:183], v[166:167], -v[148:149]
	v_add_f64 v[166:167], v[166:167], -v[182:183]
	v_add_f64 v[180:181], v[148:149], -v[180:181]
	v_add_f64 v[148:149], v[166:167], -v[148:149]
	v_add_f64 v[148:149], v[162:163], v[148:149]
	v_add_f64 v[160:161], v[180:181], -v[160:161]
	v_add_f64 v[148:149], v[160:161], v[148:149]
	v_add_f64 v[160:161], v[164:165], v[176:177]
	v_add_f64 v[148:149], v[182:183], v[148:149]
	v_add_f64 v[162:163], v[160:161], -v[164:165]
	v_mul_f64 v[148:149], v[178:179], v[148:149]
	v_add_f64 v[162:163], v[176:177], -v[162:163]
	v_add_f64 v[148:149], v[162:163], v[148:149]
	v_add_f64 v[162:163], v[160:161], v[148:149]
	v_add_f64 v[160:161], v[162:163], -v[160:161]
	s_mov_b32 s40, 0xbf559e2b
	v_add_f64 v[148:149], v[148:149], -v[160:161]
	v_mul_f64 v[160:161], v[162:163], v[162:163]
	v_mov_b32_e32 v164, 0x6b47b09a
	v_mov_b32_e32 v165, 0x3fc38538
	s_mov_b32 s41, 0x3fc3ab76
	v_fmac_f64_e32 v[164:165], s[40:41], v[160:161]
	v_mov_b32_e32 v166, 0xd7f4df2e
	v_mov_b32_e32 v167, 0x3fc7474d
	v_fmac_f64_e32 v[166:167], v[160:161], v[164:165]
	v_mov_b32_e32 v164, 0x16291751
	v_mov_b32_e32 v165, 0x3fcc71c0
	;; [unrolled: 3-line block ×5, first 2 shown]
	v_fmac_f64_e32 v[166:167], v[160:161], v[164:165]
	v_cvt_f64_i32_e32 v[164:165], v151
	v_mul_f64 v[176:177], v[164:165], s[50:51]
	v_fma_f64 v[178:179], v[164:165], s[50:51], -v[176:177]
	v_fmac_f64_e32 v[178:179], s[52:53], v[164:165]
	v_add_f64 v[164:165], v[176:177], v[178:179]
	v_add_f64 v[176:177], v[164:165], -v[176:177]
	v_mul_f64 v[160:161], v[162:163], v[160:161]
	v_add_f64 v[176:177], v[178:179], -v[176:177]
	v_ldexp_f64 v[178:179], v[162:163], 1
	v_mul_f64 v[160:161], v[160:161], v[166:167]
	v_add_f64 v[162:163], v[178:179], v[160:161]
	v_add_f64 v[166:167], v[162:163], -v[178:179]
	v_ldexp_f64 v[148:149], v[148:149], 1
	v_add_f64 v[160:161], v[160:161], -v[166:167]
	v_add_f64 v[148:149], v[148:149], v[160:161]
	v_add_f64 v[160:161], v[162:163], v[148:149]
	v_add_f64 v[162:163], v[160:161], -v[162:163]
	v_add_f64 v[148:149], v[148:149], -v[162:163]
	v_add_f64 v[162:163], v[164:165], v[160:161]
	v_add_f64 v[166:167], v[162:163], -v[164:165]
	v_add_f64 v[178:179], v[162:163], -v[166:167]
	;; [unrolled: 1-line block ×4, first 2 shown]
	v_add_f64 v[160:161], v[160:161], v[164:165]
	v_add_f64 v[164:165], v[176:177], v[148:149]
	v_add_f64 v[166:167], v[164:165], -v[176:177]
	v_add_f64 v[160:161], v[164:165], v[160:161]
	v_add_f64 v[178:179], v[164:165], -v[166:167]
	;; [unrolled: 2-line block ×3, first 2 shown]
	v_add_f64 v[148:149], v[148:149], -v[166:167]
	v_add_f64 v[162:163], v[164:165], -v[162:163]
	v_add_f64 v[148:149], v[148:149], v[176:177]
	v_add_f64 v[160:161], v[160:161], -v[162:163]
	s_mov_b32 s40, 0
	v_add_f64 v[148:149], v[148:149], v[160:161]
	s_mov_b32 s41, 0x7ff00000
	v_add_f64 v[148:149], v[164:165], v[148:149]
	v_cmp_eq_f64_e64 s[40:41], s[40:41], v[146:147]
	v_mov_b32_e32 v151, 0x7ff80000
	s_nop 0
	v_cndmask_b32_e64 v148, v148, v146, s[40:41]
	v_cndmask_b32_e64 v149, v149, v147, s[40:41]
	v_cmp_ngt_f64_e64 s[40:41], -1.0, v[146:147]
	s_nop 1
	v_cndmask_b32_e64 v149, v151, v149, s[40:41]
	v_cmp_nge_f64_e64 s[40:41], -1.0, v[146:147]
	v_mov_b32_e32 v151, 0xfff00000
	s_nop 0
	v_cndmask_b32_e64 v148, 0, v148, s[40:41]
	v_cmp_neq_f64_e64 s[40:41], -1.0, v[146:147]
	s_nop 1
	v_cndmask_b32_e64 v149, v151, v149, s[40:41]
	v_add_f64 v[146:147], v[6:7], v[148:149]
.LBB70_95:
	s_or_b64 exec, exec, s[48:49]
	v_mov_b64_e32 v[6:7], v[146:147]
.LBB70_96:
	s_or_b64 exec, exec, s[46:47]
	v_add_u32_e32 v146, -1, v150
	v_and_b32_e32 v147, 64, v150
	v_cmp_lt_i32_e64 s[40:41], v146, v147
	s_movk_i32 s50, 0x1f8
	s_nop 0
	v_cndmask_b32_e64 v146, v146, v150, s[40:41]
	v_lshlrev_b32_e32 v146, 2, v146
	ds_bpermute_b32 v6, v146, v6
	ds_bpermute_b32 v7, v146, v7
	s_waitcnt lgkmcnt(0)
	v_max_f64 v[148:149], v[6:7], v[6:7]
	v_min_f64 v[146:147], v[148:149], v[8:9]
	v_cmp_u_f64_e64 s[40:41], v[6:7], v[6:7]
	v_max_f64 v[8:9], v[148:149], v[8:9]
	s_nop 0
	v_cndmask_b32_e64 v146, v146, v6, s[40:41]
	v_cndmask_b32_e64 v147, v147, v7, s[40:41]
	;; [unrolled: 1-line block ×8, first 2 shown]
	v_cmp_neq_f64_e64 s[38:39], v[146:147], v[4:5]
	v_cmp_class_f64_e64 s[40:41], v[146:147], s50
	s_or_b64 s[38:39], s[38:39], s[40:41]
	s_and_saveexec_b64 s[42:43], s[38:39]
	s_cbranch_execz .LBB70_98
; %bb.97:
	s_mov_b32 s38, 0x652b82fe
	v_add_f64 v[6:7], v[146:147], -v[4:5]
	s_mov_b32 s39, 0x3ff71547
	v_mul_f64 v[8:9], v[6:7], s[38:39]
	v_rndne_f64_e32 v[8:9], v[8:9]
	s_mov_b32 s47, 0xbfe62e42
	s_mov_b32 s46, 0xfefa39ef
	v_fma_f64 v[146:147], s[46:47], v[8:9], v[6:7]
	s_mov_b32 s49, 0xbc7abc9e
	s_mov_b32 s48, 0x3b39803f
	;; [unrolled: 1-line block ×3, first 2 shown]
	v_fmac_f64_e32 v[146:147], s[48:49], v[8:9]
	v_mov_b32_e32 v148, 0xfca7ab0c
	v_mov_b32_e32 v149, 0x3e928af3
	s_mov_b32 s39, 0x3e5ade15
	v_fmac_f64_e32 v[148:149], s[38:39], v[146:147]
	v_mov_b32_e32 v150, 0x623fde64
	v_mov_b32_e32 v151, 0x3ec71dee
	v_fmac_f64_e32 v[150:151], v[146:147], v[148:149]
	v_mov_b32_e32 v148, 0x7c89e6b0
	v_mov_b32_e32 v149, 0x3efa0199
	;; [unrolled: 3-line block ×8, first 2 shown]
	v_fmac_f64_e32 v[148:149], v[146:147], v[150:151]
	v_fma_f64 v[148:149], v[146:147], v[148:149], 1.0
	s_mov_b32 s38, 0
	s_mov_b32 s40, 0
	v_fma_f64 v[146:147], v[146:147], v[148:149], 1.0
	v_cvt_i32_f64_e32 v8, v[8:9]
	s_mov_b32 s39, 0x40900000
	s_mov_b32 s41, 0xc090cc00
	v_ldexp_f64 v[8:9], v[146:147], v8
	v_mov_b32_e32 v146, 0x7ff00000
	v_cmp_nlt_f64_e64 s[38:39], s[38:39], v[6:7]
	v_cmp_ngt_f64_e64 s[40:41], s[40:41], v[6:7]
	s_mov_b32 s47, 0x3fe62e42
	v_cndmask_b32_e64 v9, v146, v9, s[38:39]
	s_and_b64 s[38:39], s[40:41], s[38:39]
	v_cndmask_b32_e64 v7, 0, v9, s[40:41]
	v_cndmask_b32_e64 v6, 0, v8, s[38:39]
	v_add_f64 v[8:9], v[6:7], 1.0
	v_add_f64 v[146:147], v[8:9], -1.0
	v_add_f64 v[148:149], v[146:147], -v[8:9]
	v_add_f64 v[148:149], v[148:149], 1.0
	v_add_f64 v[146:147], v[6:7], -v[146:147]
	s_mov_b32 s38, 0x55555555
	v_add_f64 v[146:147], v[146:147], v[148:149]
	v_frexp_mant_f64_e32 v[148:149], v[8:9]
	s_mov_b32 s39, 0x3fe55555
	v_frexp_exp_i32_f64_e32 v150, v[8:9]
	v_cmp_gt_f64_e64 s[38:39], s[38:39], v[148:149]
	s_mov_b32 s49, 0x3c7abc9e
	s_nop 0
	v_subbrev_co_u32_e64 v180, s[38:39], 0, v150, s[38:39]
	v_sub_u32_e32 v148, 0, v180
	v_ldexp_f64 v[8:9], v[8:9], v148
	v_ldexp_f64 v[146:147], v[146:147], v148
	v_add_f64 v[148:149], v[8:9], -1.0
	v_add_f64 v[162:163], v[8:9], 1.0
	v_add_f64 v[150:151], v[148:149], 1.0
	v_add_f64 v[164:165], v[162:163], -1.0
	v_add_f64 v[150:151], v[8:9], -v[150:151]
	v_add_f64 v[8:9], v[8:9], -v[164:165]
	v_add_f64 v[8:9], v[146:147], v[8:9]
	v_add_f64 v[150:151], v[146:147], v[150:151]
	;; [unrolled: 1-line block ×3, first 2 shown]
	v_rcp_f64_e32 v[164:165], v[146:147]
	v_add_f64 v[160:161], v[148:149], v[150:151]
	v_add_f64 v[148:149], v[160:161], -v[148:149]
	v_add_f64 v[148:149], v[150:151], -v[148:149]
	;; [unrolled: 1-line block ×4, first 2 shown]
	v_fma_f64 v[150:151], -v[146:147], v[164:165], 1.0
	v_fmac_f64_e32 v[164:165], v[150:151], v[164:165]
	v_fma_f64 v[150:151], -v[146:147], v[164:165], 1.0
	v_fmac_f64_e32 v[164:165], v[150:151], v[164:165]
	v_mul_f64 v[150:151], v[160:161], v[164:165]
	v_mul_f64 v[162:163], v[146:147], v[150:151]
	v_fma_f64 v[166:167], v[150:151], v[146:147], -v[162:163]
	v_fmac_f64_e32 v[166:167], v[150:151], v[8:9]
	v_add_f64 v[176:177], v[162:163], v[166:167]
	v_add_f64 v[178:179], v[160:161], -v[176:177]
	v_add_f64 v[160:161], v[160:161], -v[178:179]
	;; [unrolled: 1-line block ×4, first 2 shown]
	v_add_f64 v[148:149], v[148:149], v[160:161]
	v_add_f64 v[160:161], v[162:163], -v[166:167]
	v_add_f64 v[148:149], v[160:161], v[148:149]
	v_add_f64 v[160:161], v[178:179], v[148:149]
	v_add_f64 v[162:163], v[178:179], -v[160:161]
	v_add_f64 v[148:149], v[148:149], v[162:163]
	v_mul_f64 v[162:163], v[164:165], v[160:161]
	v_mul_f64 v[166:167], v[146:147], v[162:163]
	v_fma_f64 v[146:147], v[162:163], v[146:147], -v[166:167]
	v_fmac_f64_e32 v[146:147], v[162:163], v[8:9]
	v_add_f64 v[8:9], v[166:167], v[146:147]
	v_add_f64 v[176:177], v[160:161], -v[8:9]
	v_add_f64 v[160:161], v[160:161], -v[176:177]
	;; [unrolled: 1-line block ×4, first 2 shown]
	v_add_f64 v[8:9], v[148:149], v[8:9]
	v_add_f64 v[146:147], v[166:167], -v[146:147]
	v_add_f64 v[8:9], v[146:147], v[8:9]
	v_add_f64 v[146:147], v[150:151], v[162:163]
	;; [unrolled: 1-line block ×3, first 2 shown]
	v_add_f64 v[148:149], v[146:147], -v[150:151]
	v_mul_f64 v[8:9], v[164:165], v[8:9]
	v_add_f64 v[148:149], v[162:163], -v[148:149]
	v_add_f64 v[8:9], v[148:149], v[8:9]
	v_add_f64 v[148:149], v[146:147], v[8:9]
	v_add_f64 v[146:147], v[148:149], -v[146:147]
	s_mov_b32 s38, 0xbf559e2b
	v_add_f64 v[8:9], v[8:9], -v[146:147]
	v_mul_f64 v[146:147], v[148:149], v[148:149]
	v_mov_b32_e32 v150, 0x6b47b09a
	v_mov_b32_e32 v151, 0x3fc38538
	s_mov_b32 s39, 0x3fc3ab76
	v_fmac_f64_e32 v[150:151], s[38:39], v[146:147]
	v_mov_b32_e32 v160, 0xd7f4df2e
	v_mov_b32_e32 v161, 0x3fc7474d
	v_fmac_f64_e32 v[160:161], v[146:147], v[150:151]
	v_mov_b32_e32 v150, 0x16291751
	v_mov_b32_e32 v151, 0x3fcc71c0
	;; [unrolled: 3-line block ×5, first 2 shown]
	v_fmac_f64_e32 v[160:161], v[146:147], v[150:151]
	v_cvt_f64_i32_e32 v[150:151], v180
	v_mul_f64 v[162:163], v[150:151], s[46:47]
	v_fma_f64 v[164:165], v[150:151], s[46:47], -v[162:163]
	v_fmac_f64_e32 v[164:165], s[48:49], v[150:151]
	v_add_f64 v[150:151], v[162:163], v[164:165]
	v_add_f64 v[162:163], v[150:151], -v[162:163]
	v_mul_f64 v[146:147], v[148:149], v[146:147]
	v_add_f64 v[162:163], v[164:165], -v[162:163]
	v_ldexp_f64 v[164:165], v[148:149], 1
	v_mul_f64 v[146:147], v[146:147], v[160:161]
	v_add_f64 v[148:149], v[164:165], v[146:147]
	v_add_f64 v[160:161], v[148:149], -v[164:165]
	v_ldexp_f64 v[8:9], v[8:9], 1
	v_add_f64 v[146:147], v[146:147], -v[160:161]
	v_add_f64 v[8:9], v[8:9], v[146:147]
	v_add_f64 v[146:147], v[148:149], v[8:9]
	v_add_f64 v[148:149], v[146:147], -v[148:149]
	v_add_f64 v[8:9], v[8:9], -v[148:149]
	v_add_f64 v[148:149], v[150:151], v[146:147]
	v_add_f64 v[160:161], v[148:149], -v[150:151]
	v_add_f64 v[164:165], v[148:149], -v[160:161]
	;; [unrolled: 1-line block ×4, first 2 shown]
	v_add_f64 v[146:147], v[146:147], v[150:151]
	v_add_f64 v[150:151], v[162:163], v[8:9]
	v_add_f64 v[160:161], v[150:151], -v[162:163]
	v_add_f64 v[146:147], v[150:151], v[146:147]
	v_add_f64 v[164:165], v[150:151], -v[160:161]
	;; [unrolled: 2-line block ×3, first 2 shown]
	v_add_f64 v[8:9], v[8:9], -v[160:161]
	v_add_f64 v[148:149], v[150:151], -v[148:149]
	v_add_f64 v[8:9], v[8:9], v[162:163]
	v_add_f64 v[146:147], v[146:147], -v[148:149]
	s_mov_b32 s38, 0
	v_add_f64 v[8:9], v[8:9], v[146:147]
	s_mov_b32 s39, 0x7ff00000
	v_add_f64 v[8:9], v[150:151], v[8:9]
	v_cmp_eq_f64_e64 s[38:39], s[38:39], v[6:7]
	v_mov_b32_e32 v146, 0x7ff80000
	s_nop 0
	v_cndmask_b32_e64 v8, v8, v6, s[38:39]
	v_cndmask_b32_e64 v9, v9, v7, s[38:39]
	v_cmp_ngt_f64_e64 s[38:39], -1.0, v[6:7]
	s_nop 1
	v_cndmask_b32_e64 v9, v146, v9, s[38:39]
	v_cmp_nge_f64_e64 s[38:39], -1.0, v[6:7]
	v_mov_b32_e32 v146, 0xfff00000
	s_nop 0
	v_cndmask_b32_e64 v8, 0, v8, s[38:39]
	v_cmp_neq_f64_e64 s[38:39], -1.0, v[6:7]
	s_nop 1
	v_cndmask_b32_e64 v9, v146, v9, s[38:39]
	v_add_f64 v[6:7], v[4:5], v[8:9]
.LBB70_98:
	s_or_b64 exec, exec, s[42:43]
	v_cndmask_b32_e64 v7, v7, v145, s[4:5]
	v_cndmask_b32_e64 v6, v6, v144, s[4:5]
	; wave barrier
	ds_write_b64 v53, v[6:7]
	; wave barrier
	ds_read_b64 v[4:5], v53 offset:8
	v_max_f64 v[146:147], v[6:7], v[6:7]
	v_cmp_u_f64_e64 s[38:39], v[6:7], v[6:7]
	s_waitcnt lgkmcnt(0)
	v_max_f64 v[148:149], v[4:5], v[4:5]
	v_min_f64 v[8:9], v[146:147], v[148:149]
	v_max_f64 v[146:147], v[146:147], v[148:149]
	v_cndmask_b32_e64 v8, v8, v6, s[38:39]
	v_cndmask_b32_e64 v9, v9, v7, s[38:39]
	v_cmp_u_f64_e64 s[40:41], v[4:5], v[4:5]
	v_cndmask_b32_e64 v146, v146, v6, s[38:39]
	v_cndmask_b32_e64 v147, v147, v7, s[38:39]
	;; [unrolled: 1-line block ×6, first 2 shown]
	v_cmp_neq_f64_e64 s[38:39], v[8:9], v[4:5]
	v_cmp_class_f64_e64 s[40:41], v[8:9], s50
	s_or_b64 s[38:39], s[38:39], s[40:41]
	s_and_saveexec_b64 s[42:43], s[38:39]
	s_cbranch_execz .LBB70_100
; %bb.99:
	s_mov_b32 s38, 0x652b82fe
	v_add_f64 v[6:7], v[8:9], -v[4:5]
	s_mov_b32 s39, 0x3ff71547
	v_mul_f64 v[8:9], v[6:7], s[38:39]
	v_rndne_f64_e32 v[8:9], v[8:9]
	s_mov_b32 s47, 0xbfe62e42
	s_mov_b32 s46, 0xfefa39ef
	v_fma_f64 v[146:147], s[46:47], v[8:9], v[6:7]
	s_mov_b32 s49, 0xbc7abc9e
	s_mov_b32 s48, 0x3b39803f
	;; [unrolled: 1-line block ×3, first 2 shown]
	v_fmac_f64_e32 v[146:147], s[48:49], v[8:9]
	v_mov_b32_e32 v148, 0xfca7ab0c
	v_mov_b32_e32 v149, 0x3e928af3
	s_mov_b32 s39, 0x3e5ade15
	v_fmac_f64_e32 v[148:149], s[38:39], v[146:147]
	v_mov_b32_e32 v150, 0x623fde64
	v_mov_b32_e32 v151, 0x3ec71dee
	v_fmac_f64_e32 v[150:151], v[146:147], v[148:149]
	v_mov_b32_e32 v148, 0x7c89e6b0
	v_mov_b32_e32 v149, 0x3efa0199
	v_fmac_f64_e32 v[148:149], v[146:147], v[150:151]
	v_mov_b32_e32 v150, 0x14761f6e
	v_mov_b32_e32 v151, 0x3f2a01a0
	v_fmac_f64_e32 v[150:151], v[146:147], v[148:149]
	v_mov_b32_e32 v148, 0x1852b7b0
	v_mov_b32_e32 v149, 0x3f56c16c
	v_fmac_f64_e32 v[148:149], v[146:147], v[150:151]
	v_mov_b32_e32 v150, 0x11122322
	v_mov_b32_e32 v151, 0x3f811111
	v_fmac_f64_e32 v[150:151], v[146:147], v[148:149]
	v_mov_b32_e32 v148, 0x555502a1
	v_mov_b32_e32 v149, 0x3fa55555
	v_fmac_f64_e32 v[148:149], v[146:147], v[150:151]
	v_mov_b32_e32 v150, 0x55555511
	v_mov_b32_e32 v151, 0x3fc55555
	v_fmac_f64_e32 v[150:151], v[146:147], v[148:149]
	v_mov_b32_e32 v148, 11
	v_mov_b32_e32 v149, 0x3fe00000
	v_fmac_f64_e32 v[148:149], v[146:147], v[150:151]
	v_fma_f64 v[148:149], v[146:147], v[148:149], 1.0
	s_mov_b32 s38, 0
	s_mov_b32 s40, 0
	v_fma_f64 v[146:147], v[146:147], v[148:149], 1.0
	v_cvt_i32_f64_e32 v8, v[8:9]
	s_mov_b32 s39, 0x40900000
	s_mov_b32 s41, 0xc090cc00
	v_ldexp_f64 v[8:9], v[146:147], v8
	v_mov_b32_e32 v146, 0x7ff00000
	v_cmp_nlt_f64_e64 s[38:39], s[38:39], v[6:7]
	v_cmp_ngt_f64_e64 s[40:41], s[40:41], v[6:7]
	s_mov_b32 s47, 0x3fe62e42
	v_cndmask_b32_e64 v9, v146, v9, s[38:39]
	s_and_b64 s[38:39], s[40:41], s[38:39]
	v_cndmask_b32_e64 v7, 0, v9, s[40:41]
	v_cndmask_b32_e64 v6, 0, v8, s[38:39]
	v_add_f64 v[8:9], v[6:7], 1.0
	v_add_f64 v[146:147], v[8:9], -1.0
	v_add_f64 v[148:149], v[146:147], -v[8:9]
	v_add_f64 v[148:149], v[148:149], 1.0
	v_add_f64 v[146:147], v[6:7], -v[146:147]
	s_mov_b32 s38, 0x55555555
	v_add_f64 v[146:147], v[146:147], v[148:149]
	v_frexp_mant_f64_e32 v[148:149], v[8:9]
	s_mov_b32 s39, 0x3fe55555
	v_frexp_exp_i32_f64_e32 v150, v[8:9]
	v_cmp_gt_f64_e64 s[38:39], s[38:39], v[148:149]
	s_mov_b32 s49, 0x3c7abc9e
	s_nop 0
	v_subbrev_co_u32_e64 v180, s[38:39], 0, v150, s[38:39]
	v_sub_u32_e32 v148, 0, v180
	v_ldexp_f64 v[8:9], v[8:9], v148
	v_ldexp_f64 v[146:147], v[146:147], v148
	v_add_f64 v[148:149], v[8:9], -1.0
	v_add_f64 v[162:163], v[8:9], 1.0
	v_add_f64 v[150:151], v[148:149], 1.0
	v_add_f64 v[164:165], v[162:163], -1.0
	v_add_f64 v[150:151], v[8:9], -v[150:151]
	v_add_f64 v[8:9], v[8:9], -v[164:165]
	v_add_f64 v[8:9], v[146:147], v[8:9]
	v_add_f64 v[150:151], v[146:147], v[150:151]
	;; [unrolled: 1-line block ×3, first 2 shown]
	v_rcp_f64_e32 v[164:165], v[146:147]
	v_add_f64 v[160:161], v[148:149], v[150:151]
	v_add_f64 v[148:149], v[160:161], -v[148:149]
	v_add_f64 v[148:149], v[150:151], -v[148:149]
	;; [unrolled: 1-line block ×4, first 2 shown]
	v_fma_f64 v[150:151], -v[146:147], v[164:165], 1.0
	v_fmac_f64_e32 v[164:165], v[150:151], v[164:165]
	v_fma_f64 v[150:151], -v[146:147], v[164:165], 1.0
	v_fmac_f64_e32 v[164:165], v[150:151], v[164:165]
	v_mul_f64 v[150:151], v[160:161], v[164:165]
	v_mul_f64 v[162:163], v[146:147], v[150:151]
	v_fma_f64 v[166:167], v[150:151], v[146:147], -v[162:163]
	v_fmac_f64_e32 v[166:167], v[150:151], v[8:9]
	v_add_f64 v[176:177], v[162:163], v[166:167]
	v_add_f64 v[178:179], v[160:161], -v[176:177]
	v_add_f64 v[160:161], v[160:161], -v[178:179]
	;; [unrolled: 1-line block ×4, first 2 shown]
	v_add_f64 v[148:149], v[148:149], v[160:161]
	v_add_f64 v[160:161], v[162:163], -v[166:167]
	v_add_f64 v[148:149], v[160:161], v[148:149]
	v_add_f64 v[160:161], v[178:179], v[148:149]
	v_add_f64 v[162:163], v[178:179], -v[160:161]
	v_add_f64 v[148:149], v[148:149], v[162:163]
	v_mul_f64 v[162:163], v[164:165], v[160:161]
	v_mul_f64 v[166:167], v[146:147], v[162:163]
	v_fma_f64 v[146:147], v[162:163], v[146:147], -v[166:167]
	v_fmac_f64_e32 v[146:147], v[162:163], v[8:9]
	v_add_f64 v[8:9], v[166:167], v[146:147]
	v_add_f64 v[176:177], v[160:161], -v[8:9]
	v_add_f64 v[160:161], v[160:161], -v[176:177]
	;; [unrolled: 1-line block ×4, first 2 shown]
	v_add_f64 v[8:9], v[148:149], v[8:9]
	v_add_f64 v[146:147], v[166:167], -v[146:147]
	v_add_f64 v[8:9], v[146:147], v[8:9]
	v_add_f64 v[146:147], v[150:151], v[162:163]
	;; [unrolled: 1-line block ×3, first 2 shown]
	v_add_f64 v[148:149], v[146:147], -v[150:151]
	v_mul_f64 v[8:9], v[164:165], v[8:9]
	v_add_f64 v[148:149], v[162:163], -v[148:149]
	v_add_f64 v[8:9], v[148:149], v[8:9]
	v_add_f64 v[148:149], v[146:147], v[8:9]
	v_add_f64 v[146:147], v[148:149], -v[146:147]
	s_mov_b32 s38, 0xbf559e2b
	v_add_f64 v[8:9], v[8:9], -v[146:147]
	v_mul_f64 v[146:147], v[148:149], v[148:149]
	v_mov_b32_e32 v150, 0x6b47b09a
	v_mov_b32_e32 v151, 0x3fc38538
	s_mov_b32 s39, 0x3fc3ab76
	v_fmac_f64_e32 v[150:151], s[38:39], v[146:147]
	v_mov_b32_e32 v160, 0xd7f4df2e
	v_mov_b32_e32 v161, 0x3fc7474d
	v_fmac_f64_e32 v[160:161], v[146:147], v[150:151]
	v_mov_b32_e32 v150, 0x16291751
	v_mov_b32_e32 v151, 0x3fcc71c0
	;; [unrolled: 3-line block ×5, first 2 shown]
	v_fmac_f64_e32 v[160:161], v[146:147], v[150:151]
	v_cvt_f64_i32_e32 v[150:151], v180
	v_mul_f64 v[162:163], v[150:151], s[46:47]
	v_fma_f64 v[164:165], v[150:151], s[46:47], -v[162:163]
	v_fmac_f64_e32 v[164:165], s[48:49], v[150:151]
	v_add_f64 v[150:151], v[162:163], v[164:165]
	v_add_f64 v[162:163], v[150:151], -v[162:163]
	v_mul_f64 v[146:147], v[148:149], v[146:147]
	v_add_f64 v[162:163], v[164:165], -v[162:163]
	v_ldexp_f64 v[164:165], v[148:149], 1
	v_mul_f64 v[146:147], v[146:147], v[160:161]
	v_add_f64 v[148:149], v[164:165], v[146:147]
	v_add_f64 v[160:161], v[148:149], -v[164:165]
	v_ldexp_f64 v[8:9], v[8:9], 1
	v_add_f64 v[146:147], v[146:147], -v[160:161]
	v_add_f64 v[8:9], v[8:9], v[146:147]
	v_add_f64 v[146:147], v[148:149], v[8:9]
	v_add_f64 v[148:149], v[146:147], -v[148:149]
	v_add_f64 v[8:9], v[8:9], -v[148:149]
	v_add_f64 v[148:149], v[150:151], v[146:147]
	v_add_f64 v[160:161], v[148:149], -v[150:151]
	v_add_f64 v[164:165], v[148:149], -v[160:161]
	;; [unrolled: 1-line block ×4, first 2 shown]
	v_add_f64 v[146:147], v[146:147], v[150:151]
	v_add_f64 v[150:151], v[162:163], v[8:9]
	v_add_f64 v[160:161], v[150:151], -v[162:163]
	v_add_f64 v[146:147], v[150:151], v[146:147]
	v_add_f64 v[164:165], v[150:151], -v[160:161]
	;; [unrolled: 2-line block ×3, first 2 shown]
	v_add_f64 v[8:9], v[8:9], -v[160:161]
	v_add_f64 v[148:149], v[150:151], -v[148:149]
	v_add_f64 v[8:9], v[8:9], v[162:163]
	v_add_f64 v[146:147], v[146:147], -v[148:149]
	s_mov_b32 s38, 0
	v_add_f64 v[8:9], v[8:9], v[146:147]
	s_mov_b32 s39, 0x7ff00000
	v_add_f64 v[8:9], v[150:151], v[8:9]
	v_cmp_eq_f64_e64 s[38:39], s[38:39], v[6:7]
	v_mov_b32_e32 v146, 0x7ff80000
	s_nop 0
	v_cndmask_b32_e64 v8, v8, v6, s[38:39]
	v_cndmask_b32_e64 v9, v9, v7, s[38:39]
	v_cmp_ngt_f64_e64 s[38:39], -1.0, v[6:7]
	s_nop 1
	v_cndmask_b32_e64 v9, v146, v9, s[38:39]
	v_cmp_nge_f64_e64 s[38:39], -1.0, v[6:7]
	v_mov_b32_e32 v146, 0xfff00000
	s_nop 0
	v_cndmask_b32_e64 v8, 0, v8, s[38:39]
	v_cmp_neq_f64_e64 s[38:39], -1.0, v[6:7]
	s_nop 1
	v_cndmask_b32_e64 v9, v146, v9, s[38:39]
	v_add_f64 v[6:7], v[4:5], v[8:9]
.LBB70_100:
	s_or_b64 exec, exec, s[42:43]
	ds_read_b64 v[4:5], v53 offset:16
	v_max_f64 v[146:147], v[6:7], v[6:7]
	v_cmp_u_f64_e64 s[38:39], v[6:7], v[6:7]
	ds_write_b64 v53, v[6:7] offset:8
	s_waitcnt lgkmcnt(1)
	v_max_f64 v[148:149], v[4:5], v[4:5]
	v_min_f64 v[8:9], v[146:147], v[148:149]
	v_max_f64 v[146:147], v[146:147], v[148:149]
	v_cndmask_b32_e64 v8, v8, v6, s[38:39]
	v_cndmask_b32_e64 v9, v9, v7, s[38:39]
	v_cmp_u_f64_e64 s[40:41], v[4:5], v[4:5]
	v_cndmask_b32_e64 v146, v146, v6, s[38:39]
	v_cndmask_b32_e64 v147, v147, v7, s[38:39]
	;; [unrolled: 1-line block ×6, first 2 shown]
	v_cmp_neq_f64_e64 s[38:39], v[8:9], v[4:5]
	v_cmp_class_f64_e64 s[40:41], v[8:9], s50
	s_or_b64 s[38:39], s[38:39], s[40:41]
	s_and_saveexec_b64 s[42:43], s[38:39]
	s_cbranch_execz .LBB70_102
; %bb.101:
	s_mov_b32 s38, 0x652b82fe
	v_add_f64 v[6:7], v[8:9], -v[4:5]
	s_mov_b32 s39, 0x3ff71547
	v_mul_f64 v[8:9], v[6:7], s[38:39]
	v_rndne_f64_e32 v[8:9], v[8:9]
	s_mov_b32 s47, 0xbfe62e42
	s_mov_b32 s46, 0xfefa39ef
	v_fma_f64 v[146:147], s[46:47], v[8:9], v[6:7]
	s_mov_b32 s49, 0xbc7abc9e
	s_mov_b32 s48, 0x3b39803f
	;; [unrolled: 1-line block ×3, first 2 shown]
	v_fmac_f64_e32 v[146:147], s[48:49], v[8:9]
	v_mov_b32_e32 v148, 0xfca7ab0c
	v_mov_b32_e32 v149, 0x3e928af3
	s_mov_b32 s39, 0x3e5ade15
	v_fmac_f64_e32 v[148:149], s[38:39], v[146:147]
	v_mov_b32_e32 v150, 0x623fde64
	v_mov_b32_e32 v151, 0x3ec71dee
	v_fmac_f64_e32 v[150:151], v[146:147], v[148:149]
	v_mov_b32_e32 v148, 0x7c89e6b0
	v_mov_b32_e32 v149, 0x3efa0199
	;; [unrolled: 3-line block ×8, first 2 shown]
	v_fmac_f64_e32 v[148:149], v[146:147], v[150:151]
	v_fma_f64 v[148:149], v[146:147], v[148:149], 1.0
	s_mov_b32 s38, 0
	s_mov_b32 s40, 0
	v_fma_f64 v[146:147], v[146:147], v[148:149], 1.0
	v_cvt_i32_f64_e32 v8, v[8:9]
	s_mov_b32 s39, 0x40900000
	s_mov_b32 s41, 0xc090cc00
	v_ldexp_f64 v[8:9], v[146:147], v8
	v_mov_b32_e32 v146, 0x7ff00000
	v_cmp_nlt_f64_e64 s[38:39], s[38:39], v[6:7]
	v_cmp_ngt_f64_e64 s[40:41], s[40:41], v[6:7]
	s_mov_b32 s47, 0x3fe62e42
	v_cndmask_b32_e64 v9, v146, v9, s[38:39]
	s_and_b64 s[38:39], s[40:41], s[38:39]
	v_cndmask_b32_e64 v7, 0, v9, s[40:41]
	v_cndmask_b32_e64 v6, 0, v8, s[38:39]
	v_add_f64 v[8:9], v[6:7], 1.0
	v_add_f64 v[146:147], v[8:9], -1.0
	v_add_f64 v[148:149], v[146:147], -v[8:9]
	v_add_f64 v[148:149], v[148:149], 1.0
	v_add_f64 v[146:147], v[6:7], -v[146:147]
	s_mov_b32 s38, 0x55555555
	v_add_f64 v[146:147], v[146:147], v[148:149]
	v_frexp_mant_f64_e32 v[148:149], v[8:9]
	s_mov_b32 s39, 0x3fe55555
	v_frexp_exp_i32_f64_e32 v150, v[8:9]
	v_cmp_gt_f64_e64 s[38:39], s[38:39], v[148:149]
	s_mov_b32 s49, 0x3c7abc9e
	s_nop 0
	v_subbrev_co_u32_e64 v180, s[38:39], 0, v150, s[38:39]
	v_sub_u32_e32 v148, 0, v180
	v_ldexp_f64 v[8:9], v[8:9], v148
	v_ldexp_f64 v[146:147], v[146:147], v148
	v_add_f64 v[148:149], v[8:9], -1.0
	v_add_f64 v[162:163], v[8:9], 1.0
	v_add_f64 v[150:151], v[148:149], 1.0
	v_add_f64 v[164:165], v[162:163], -1.0
	v_add_f64 v[150:151], v[8:9], -v[150:151]
	v_add_f64 v[8:9], v[8:9], -v[164:165]
	v_add_f64 v[8:9], v[146:147], v[8:9]
	v_add_f64 v[150:151], v[146:147], v[150:151]
	;; [unrolled: 1-line block ×3, first 2 shown]
	v_rcp_f64_e32 v[164:165], v[146:147]
	v_add_f64 v[160:161], v[148:149], v[150:151]
	v_add_f64 v[148:149], v[160:161], -v[148:149]
	v_add_f64 v[148:149], v[150:151], -v[148:149]
	;; [unrolled: 1-line block ×4, first 2 shown]
	v_fma_f64 v[150:151], -v[146:147], v[164:165], 1.0
	v_fmac_f64_e32 v[164:165], v[150:151], v[164:165]
	v_fma_f64 v[150:151], -v[146:147], v[164:165], 1.0
	v_fmac_f64_e32 v[164:165], v[150:151], v[164:165]
	v_mul_f64 v[150:151], v[160:161], v[164:165]
	v_mul_f64 v[162:163], v[146:147], v[150:151]
	v_fma_f64 v[166:167], v[150:151], v[146:147], -v[162:163]
	v_fmac_f64_e32 v[166:167], v[150:151], v[8:9]
	v_add_f64 v[176:177], v[162:163], v[166:167]
	v_add_f64 v[178:179], v[160:161], -v[176:177]
	v_add_f64 v[160:161], v[160:161], -v[178:179]
	;; [unrolled: 1-line block ×4, first 2 shown]
	v_add_f64 v[148:149], v[148:149], v[160:161]
	v_add_f64 v[160:161], v[162:163], -v[166:167]
	v_add_f64 v[148:149], v[160:161], v[148:149]
	v_add_f64 v[160:161], v[178:179], v[148:149]
	v_add_f64 v[162:163], v[178:179], -v[160:161]
	v_add_f64 v[148:149], v[148:149], v[162:163]
	v_mul_f64 v[162:163], v[164:165], v[160:161]
	v_mul_f64 v[166:167], v[146:147], v[162:163]
	v_fma_f64 v[146:147], v[162:163], v[146:147], -v[166:167]
	v_fmac_f64_e32 v[146:147], v[162:163], v[8:9]
	v_add_f64 v[8:9], v[166:167], v[146:147]
	v_add_f64 v[176:177], v[160:161], -v[8:9]
	v_add_f64 v[160:161], v[160:161], -v[176:177]
	;; [unrolled: 1-line block ×4, first 2 shown]
	v_add_f64 v[8:9], v[148:149], v[8:9]
	v_add_f64 v[146:147], v[166:167], -v[146:147]
	v_add_f64 v[8:9], v[146:147], v[8:9]
	v_add_f64 v[146:147], v[150:151], v[162:163]
	;; [unrolled: 1-line block ×3, first 2 shown]
	v_add_f64 v[148:149], v[146:147], -v[150:151]
	v_mul_f64 v[8:9], v[164:165], v[8:9]
	v_add_f64 v[148:149], v[162:163], -v[148:149]
	v_add_f64 v[8:9], v[148:149], v[8:9]
	v_add_f64 v[148:149], v[146:147], v[8:9]
	v_add_f64 v[146:147], v[148:149], -v[146:147]
	s_mov_b32 s38, 0xbf559e2b
	v_add_f64 v[8:9], v[8:9], -v[146:147]
	v_mul_f64 v[146:147], v[148:149], v[148:149]
	v_mov_b32_e32 v150, 0x6b47b09a
	v_mov_b32_e32 v151, 0x3fc38538
	s_mov_b32 s39, 0x3fc3ab76
	v_fmac_f64_e32 v[150:151], s[38:39], v[146:147]
	v_mov_b32_e32 v160, 0xd7f4df2e
	v_mov_b32_e32 v161, 0x3fc7474d
	v_fmac_f64_e32 v[160:161], v[146:147], v[150:151]
	v_mov_b32_e32 v150, 0x16291751
	v_mov_b32_e32 v151, 0x3fcc71c0
	;; [unrolled: 3-line block ×5, first 2 shown]
	v_fmac_f64_e32 v[160:161], v[146:147], v[150:151]
	v_cvt_f64_i32_e32 v[150:151], v180
	v_mul_f64 v[162:163], v[150:151], s[46:47]
	v_fma_f64 v[164:165], v[150:151], s[46:47], -v[162:163]
	v_fmac_f64_e32 v[164:165], s[48:49], v[150:151]
	v_add_f64 v[150:151], v[162:163], v[164:165]
	v_add_f64 v[162:163], v[150:151], -v[162:163]
	v_mul_f64 v[146:147], v[148:149], v[146:147]
	v_add_f64 v[162:163], v[164:165], -v[162:163]
	v_ldexp_f64 v[164:165], v[148:149], 1
	v_mul_f64 v[146:147], v[146:147], v[160:161]
	v_add_f64 v[148:149], v[164:165], v[146:147]
	v_add_f64 v[160:161], v[148:149], -v[164:165]
	v_ldexp_f64 v[8:9], v[8:9], 1
	v_add_f64 v[146:147], v[146:147], -v[160:161]
	v_add_f64 v[8:9], v[8:9], v[146:147]
	v_add_f64 v[146:147], v[148:149], v[8:9]
	v_add_f64 v[148:149], v[146:147], -v[148:149]
	v_add_f64 v[8:9], v[8:9], -v[148:149]
	v_add_f64 v[148:149], v[150:151], v[146:147]
	v_add_f64 v[160:161], v[148:149], -v[150:151]
	v_add_f64 v[164:165], v[148:149], -v[160:161]
	v_add_f64 v[150:151], v[150:151], -v[164:165]
	v_add_f64 v[146:147], v[146:147], -v[160:161]
	v_add_f64 v[146:147], v[146:147], v[150:151]
	v_add_f64 v[150:151], v[162:163], v[8:9]
	v_add_f64 v[160:161], v[150:151], -v[162:163]
	v_add_f64 v[146:147], v[150:151], v[146:147]
	v_add_f64 v[164:165], v[150:151], -v[160:161]
	;; [unrolled: 2-line block ×3, first 2 shown]
	v_add_f64 v[8:9], v[8:9], -v[160:161]
	v_add_f64 v[148:149], v[150:151], -v[148:149]
	v_add_f64 v[8:9], v[8:9], v[162:163]
	v_add_f64 v[146:147], v[146:147], -v[148:149]
	s_mov_b32 s38, 0
	v_add_f64 v[8:9], v[8:9], v[146:147]
	s_mov_b32 s39, 0x7ff00000
	v_add_f64 v[8:9], v[150:151], v[8:9]
	v_cmp_eq_f64_e64 s[38:39], s[38:39], v[6:7]
	v_mov_b32_e32 v146, 0x7ff80000
	s_nop 0
	v_cndmask_b32_e64 v8, v8, v6, s[38:39]
	v_cndmask_b32_e64 v9, v9, v7, s[38:39]
	v_cmp_ngt_f64_e64 s[38:39], -1.0, v[6:7]
	s_nop 1
	v_cndmask_b32_e64 v9, v146, v9, s[38:39]
	v_cmp_nge_f64_e64 s[38:39], -1.0, v[6:7]
	v_mov_b32_e32 v146, 0xfff00000
	s_nop 0
	v_cndmask_b32_e64 v8, 0, v8, s[38:39]
	v_cmp_neq_f64_e64 s[38:39], -1.0, v[6:7]
	s_nop 1
	v_cndmask_b32_e64 v9, v146, v9, s[38:39]
	v_add_f64 v[6:7], v[4:5], v[8:9]
.LBB70_102:
	s_or_b64 exec, exec, s[42:43]
	ds_read_b64 v[4:5], v53 offset:24
	v_max_f64 v[146:147], v[6:7], v[6:7]
	v_cmp_u_f64_e64 s[38:39], v[6:7], v[6:7]
	ds_write_b64 v53, v[6:7] offset:16
	s_waitcnt lgkmcnt(1)
	v_max_f64 v[148:149], v[4:5], v[4:5]
	v_min_f64 v[8:9], v[146:147], v[148:149]
	v_max_f64 v[146:147], v[146:147], v[148:149]
	v_cndmask_b32_e64 v8, v8, v6, s[38:39]
	v_cndmask_b32_e64 v9, v9, v7, s[38:39]
	v_cmp_u_f64_e64 s[40:41], v[4:5], v[4:5]
	v_cndmask_b32_e64 v146, v146, v6, s[38:39]
	v_cndmask_b32_e64 v147, v147, v7, s[38:39]
	;; [unrolled: 1-line block ×6, first 2 shown]
	v_cmp_neq_f64_e64 s[38:39], v[8:9], v[4:5]
	v_cmp_class_f64_e64 s[40:41], v[8:9], s50
	s_or_b64 s[38:39], s[38:39], s[40:41]
	s_and_saveexec_b64 s[42:43], s[38:39]
	s_cbranch_execz .LBB70_104
; %bb.103:
	s_mov_b32 s38, 0x652b82fe
	v_add_f64 v[6:7], v[8:9], -v[4:5]
	s_mov_b32 s39, 0x3ff71547
	v_mul_f64 v[8:9], v[6:7], s[38:39]
	v_rndne_f64_e32 v[8:9], v[8:9]
	s_mov_b32 s47, 0xbfe62e42
	s_mov_b32 s46, 0xfefa39ef
	v_fma_f64 v[146:147], s[46:47], v[8:9], v[6:7]
	s_mov_b32 s49, 0xbc7abc9e
	s_mov_b32 s48, 0x3b39803f
	;; [unrolled: 1-line block ×3, first 2 shown]
	v_fmac_f64_e32 v[146:147], s[48:49], v[8:9]
	v_mov_b32_e32 v148, 0xfca7ab0c
	v_mov_b32_e32 v149, 0x3e928af3
	s_mov_b32 s39, 0x3e5ade15
	v_fmac_f64_e32 v[148:149], s[38:39], v[146:147]
	v_mov_b32_e32 v150, 0x623fde64
	v_mov_b32_e32 v151, 0x3ec71dee
	v_fmac_f64_e32 v[150:151], v[146:147], v[148:149]
	v_mov_b32_e32 v148, 0x7c89e6b0
	v_mov_b32_e32 v149, 0x3efa0199
	;; [unrolled: 3-line block ×8, first 2 shown]
	v_fmac_f64_e32 v[148:149], v[146:147], v[150:151]
	v_fma_f64 v[148:149], v[146:147], v[148:149], 1.0
	s_mov_b32 s38, 0
	s_mov_b32 s40, 0
	v_fma_f64 v[146:147], v[146:147], v[148:149], 1.0
	v_cvt_i32_f64_e32 v8, v[8:9]
	s_mov_b32 s39, 0x40900000
	s_mov_b32 s41, 0xc090cc00
	v_ldexp_f64 v[8:9], v[146:147], v8
	v_mov_b32_e32 v146, 0x7ff00000
	v_cmp_nlt_f64_e64 s[38:39], s[38:39], v[6:7]
	v_cmp_ngt_f64_e64 s[40:41], s[40:41], v[6:7]
	s_mov_b32 s47, 0x3fe62e42
	v_cndmask_b32_e64 v9, v146, v9, s[38:39]
	s_and_b64 s[38:39], s[40:41], s[38:39]
	v_cndmask_b32_e64 v7, 0, v9, s[40:41]
	v_cndmask_b32_e64 v6, 0, v8, s[38:39]
	v_add_f64 v[8:9], v[6:7], 1.0
	v_add_f64 v[146:147], v[8:9], -1.0
	v_add_f64 v[148:149], v[146:147], -v[8:9]
	v_add_f64 v[148:149], v[148:149], 1.0
	v_add_f64 v[146:147], v[6:7], -v[146:147]
	s_mov_b32 s38, 0x55555555
	v_add_f64 v[146:147], v[146:147], v[148:149]
	v_frexp_mant_f64_e32 v[148:149], v[8:9]
	s_mov_b32 s39, 0x3fe55555
	v_frexp_exp_i32_f64_e32 v150, v[8:9]
	v_cmp_gt_f64_e64 s[38:39], s[38:39], v[148:149]
	s_mov_b32 s49, 0x3c7abc9e
	s_nop 0
	v_subbrev_co_u32_e64 v180, s[38:39], 0, v150, s[38:39]
	v_sub_u32_e32 v148, 0, v180
	v_ldexp_f64 v[8:9], v[8:9], v148
	v_ldexp_f64 v[146:147], v[146:147], v148
	v_add_f64 v[148:149], v[8:9], -1.0
	v_add_f64 v[162:163], v[8:9], 1.0
	v_add_f64 v[150:151], v[148:149], 1.0
	v_add_f64 v[164:165], v[162:163], -1.0
	v_add_f64 v[150:151], v[8:9], -v[150:151]
	v_add_f64 v[8:9], v[8:9], -v[164:165]
	v_add_f64 v[8:9], v[146:147], v[8:9]
	v_add_f64 v[150:151], v[146:147], v[150:151]
	;; [unrolled: 1-line block ×3, first 2 shown]
	v_rcp_f64_e32 v[164:165], v[146:147]
	v_add_f64 v[160:161], v[148:149], v[150:151]
	v_add_f64 v[148:149], v[160:161], -v[148:149]
	v_add_f64 v[148:149], v[150:151], -v[148:149]
	;; [unrolled: 1-line block ×4, first 2 shown]
	v_fma_f64 v[150:151], -v[146:147], v[164:165], 1.0
	v_fmac_f64_e32 v[164:165], v[150:151], v[164:165]
	v_fma_f64 v[150:151], -v[146:147], v[164:165], 1.0
	v_fmac_f64_e32 v[164:165], v[150:151], v[164:165]
	v_mul_f64 v[150:151], v[160:161], v[164:165]
	v_mul_f64 v[162:163], v[146:147], v[150:151]
	v_fma_f64 v[166:167], v[150:151], v[146:147], -v[162:163]
	v_fmac_f64_e32 v[166:167], v[150:151], v[8:9]
	v_add_f64 v[176:177], v[162:163], v[166:167]
	v_add_f64 v[178:179], v[160:161], -v[176:177]
	v_add_f64 v[160:161], v[160:161], -v[178:179]
	;; [unrolled: 1-line block ×4, first 2 shown]
	v_add_f64 v[148:149], v[148:149], v[160:161]
	v_add_f64 v[160:161], v[162:163], -v[166:167]
	v_add_f64 v[148:149], v[160:161], v[148:149]
	v_add_f64 v[160:161], v[178:179], v[148:149]
	v_add_f64 v[162:163], v[178:179], -v[160:161]
	v_add_f64 v[148:149], v[148:149], v[162:163]
	v_mul_f64 v[162:163], v[164:165], v[160:161]
	v_mul_f64 v[166:167], v[146:147], v[162:163]
	v_fma_f64 v[146:147], v[162:163], v[146:147], -v[166:167]
	v_fmac_f64_e32 v[146:147], v[162:163], v[8:9]
	v_add_f64 v[8:9], v[166:167], v[146:147]
	v_add_f64 v[176:177], v[160:161], -v[8:9]
	v_add_f64 v[160:161], v[160:161], -v[176:177]
	;; [unrolled: 1-line block ×4, first 2 shown]
	v_add_f64 v[8:9], v[148:149], v[8:9]
	v_add_f64 v[146:147], v[166:167], -v[146:147]
	v_add_f64 v[8:9], v[146:147], v[8:9]
	v_add_f64 v[146:147], v[150:151], v[162:163]
	v_add_f64 v[8:9], v[176:177], v[8:9]
	v_add_f64 v[148:149], v[146:147], -v[150:151]
	v_mul_f64 v[8:9], v[164:165], v[8:9]
	v_add_f64 v[148:149], v[162:163], -v[148:149]
	v_add_f64 v[8:9], v[148:149], v[8:9]
	v_add_f64 v[148:149], v[146:147], v[8:9]
	v_add_f64 v[146:147], v[148:149], -v[146:147]
	s_mov_b32 s38, 0xbf559e2b
	v_add_f64 v[8:9], v[8:9], -v[146:147]
	v_mul_f64 v[146:147], v[148:149], v[148:149]
	v_mov_b32_e32 v150, 0x6b47b09a
	v_mov_b32_e32 v151, 0x3fc38538
	s_mov_b32 s39, 0x3fc3ab76
	v_fmac_f64_e32 v[150:151], s[38:39], v[146:147]
	v_mov_b32_e32 v160, 0xd7f4df2e
	v_mov_b32_e32 v161, 0x3fc7474d
	v_fmac_f64_e32 v[160:161], v[146:147], v[150:151]
	v_mov_b32_e32 v150, 0x16291751
	v_mov_b32_e32 v151, 0x3fcc71c0
	;; [unrolled: 3-line block ×5, first 2 shown]
	v_fmac_f64_e32 v[160:161], v[146:147], v[150:151]
	v_cvt_f64_i32_e32 v[150:151], v180
	v_mul_f64 v[162:163], v[150:151], s[46:47]
	v_fma_f64 v[164:165], v[150:151], s[46:47], -v[162:163]
	v_fmac_f64_e32 v[164:165], s[48:49], v[150:151]
	v_add_f64 v[150:151], v[162:163], v[164:165]
	v_add_f64 v[162:163], v[150:151], -v[162:163]
	v_mul_f64 v[146:147], v[148:149], v[146:147]
	v_add_f64 v[162:163], v[164:165], -v[162:163]
	v_ldexp_f64 v[164:165], v[148:149], 1
	v_mul_f64 v[146:147], v[146:147], v[160:161]
	v_add_f64 v[148:149], v[164:165], v[146:147]
	v_add_f64 v[160:161], v[148:149], -v[164:165]
	v_ldexp_f64 v[8:9], v[8:9], 1
	v_add_f64 v[146:147], v[146:147], -v[160:161]
	v_add_f64 v[8:9], v[8:9], v[146:147]
	v_add_f64 v[146:147], v[148:149], v[8:9]
	v_add_f64 v[148:149], v[146:147], -v[148:149]
	v_add_f64 v[8:9], v[8:9], -v[148:149]
	v_add_f64 v[148:149], v[150:151], v[146:147]
	v_add_f64 v[160:161], v[148:149], -v[150:151]
	v_add_f64 v[164:165], v[148:149], -v[160:161]
	;; [unrolled: 1-line block ×4, first 2 shown]
	v_add_f64 v[146:147], v[146:147], v[150:151]
	v_add_f64 v[150:151], v[162:163], v[8:9]
	v_add_f64 v[160:161], v[150:151], -v[162:163]
	v_add_f64 v[146:147], v[150:151], v[146:147]
	v_add_f64 v[164:165], v[150:151], -v[160:161]
	;; [unrolled: 2-line block ×3, first 2 shown]
	v_add_f64 v[8:9], v[8:9], -v[160:161]
	v_add_f64 v[148:149], v[150:151], -v[148:149]
	v_add_f64 v[8:9], v[8:9], v[162:163]
	v_add_f64 v[146:147], v[146:147], -v[148:149]
	s_mov_b32 s38, 0
	v_add_f64 v[8:9], v[8:9], v[146:147]
	s_mov_b32 s39, 0x7ff00000
	v_add_f64 v[8:9], v[150:151], v[8:9]
	v_cmp_eq_f64_e64 s[38:39], s[38:39], v[6:7]
	v_mov_b32_e32 v146, 0x7ff80000
	s_nop 0
	v_cndmask_b32_e64 v8, v8, v6, s[38:39]
	v_cndmask_b32_e64 v9, v9, v7, s[38:39]
	v_cmp_ngt_f64_e64 s[38:39], -1.0, v[6:7]
	s_nop 1
	v_cndmask_b32_e64 v9, v146, v9, s[38:39]
	v_cmp_nge_f64_e64 s[38:39], -1.0, v[6:7]
	v_mov_b32_e32 v146, 0xfff00000
	s_nop 0
	v_cndmask_b32_e64 v8, 0, v8, s[38:39]
	v_cmp_neq_f64_e64 s[38:39], -1.0, v[6:7]
	s_nop 1
	v_cndmask_b32_e64 v9, v146, v9, s[38:39]
	v_add_f64 v[6:7], v[4:5], v[8:9]
.LBB70_104:
	s_or_b64 exec, exec, s[42:43]
	ds_write_b64 v53, v[6:7] offset:24
.LBB70_105:
	s_or_b64 exec, exec, s[44:45]
	s_waitcnt lgkmcnt(0)
	s_barrier
	s_and_saveexec_b64 s[38:39], s[2:3]
	s_cbranch_execz .LBB70_107
; %bb.106:
	v_add_u32_e32 v4, -1, v70
	v_lshrrev_b32_e32 v5, 5, v4
	v_add_lshl_u32 v4, v5, v4, 3
	ds_read_b64 v[144:145], v4
.LBB70_107:
	s_or_b64 exec, exec, s[38:39]
	s_and_saveexec_b64 s[44:45], vcc
	s_cbranch_execz .LBB70_225
; %bb.108:
	v_mov_b32_e32 v9, 0
	ds_read_b64 v[4:5], v9 offset:2096
	v_mbcnt_lo_u32_b32 v6, -1, 0
	v_mbcnt_hi_u32_b32 v182, -1, v6
	v_cmp_eq_u32_e64 s[38:39], 0, v182
	v_add_u32_e32 v146, 64, v71
	s_and_saveexec_b64 s[40:41], s[38:39]
	s_cbranch_execz .LBB70_117
; %bb.109:
	v_mov_b32_e32 v147, v9
	v_lshl_add_u64 v[148:149], v[146:147], 4, v[116:117]
	s_mov_b64 vcc, src_shared_base
	v_cmp_ne_u32_e32 vcc, vcc_hi, v149
	s_and_saveexec_b64 s[42:43], vcc
	s_xor_b64 s[42:43], exec, s[42:43]
	s_cbranch_execz .LBB70_115
; %bb.110:
	s_mov_b64 vcc, src_private_base
	v_cmp_ne_u32_e32 vcc, vcc_hi, v149
	s_and_saveexec_b64 s[46:47], vcc
	s_xor_b64 vcc, exec, s[46:47]
	s_cbranch_execz .LBB70_112
; %bb.111:
	v_mov_b32_e32 v6, 1
	v_mov_b32_e32 v7, 0
	s_waitcnt lgkmcnt(0)
	;;#ASMSTART
	global_store_dwordx4 v[148:149], v[4:7] off sc1	
s_waitcnt vmcnt(0)
	;;#ASMEND
                                        ; implicit-def: $vgpr148_vgpr149
.LBB70_112:
	s_andn2_saveexec_b64 vcc, vcc
	s_cbranch_execz .LBB70_114
; %bb.113:
	v_mov_b32_e32 v6, 1
	v_mov_b32_e32 v7, 0
	s_waitcnt lgkmcnt(0)
	;;#ASMSTART
	flat_store_dwordx4 v[148:149], v[4:7] sc1	
s_waitcnt vmcnt(0)
	;;#ASMEND
.LBB70_114:
	s_or_b64 exec, exec, vcc
                                        ; implicit-def: $vgpr148_vgpr149
.LBB70_115:
	s_andn2_saveexec_b64 vcc, s[42:43]
	s_cbranch_execz .LBB70_117
; %bb.116:
	v_cmp_ne_u64_e32 vcc, 0, v[148:149]
	v_mov_b32_e32 v6, 1
	v_mov_b32_e32 v7, 0
	v_cndmask_b32_e32 v8, -1, v148, vcc
	s_waitcnt lgkmcnt(0)
	;;#ASMSTART
	ds_write_b128 v8, v[4:7] 	
s_waitcnt lgkmcnt(0)
	;;#ASMEND
.LBB70_117:
	s_or_b64 exec, exec, s[40:41]
	v_xad_u32 v148, v182, -1, v71
	v_add_u32_e32 v8, 64, v148
	v_lshl_add_u64 v[150:151], v[8:9], 4, v[116:117]
	s_mov_b64 vcc, src_shared_base
	v_cmp_ne_u32_e32 vcc, vcc_hi, v151
                                        ; implicit-def: $vgpr8
                                        ; implicit-def: $vgpr180_vgpr181
                                        ; implicit-def: $vgpr178_vgpr179
                                        ; implicit-def: $vgpr176_vgpr177
                                        ; implicit-def: $vgpr166_vgpr167
                                        ; implicit-def: $vgpr164_vgpr165
                                        ; implicit-def: $vgpr162_vgpr163
                                        ; implicit-def: $vgpr160_vgpr161
	s_and_saveexec_b64 s[40:41], vcc
	s_xor_b64 s[42:43], exec, s[40:41]
	s_cbranch_execz .LBB70_123
; %bb.118:
	s_mov_b64 s[40:41], src_private_base
	v_cmp_ne_u32_e64 s[40:41], s41, v151
                                        ; implicit-def: $vgpr8
                                        ; implicit-def: $vgpr180_vgpr181
                                        ; implicit-def: $vgpr178_vgpr179
                                        ; implicit-def: $vgpr176_vgpr177
                                        ; implicit-def: $vgpr166_vgpr167
                                        ; implicit-def: $vgpr164_vgpr165
                                        ; implicit-def: $vgpr162_vgpr163
                                        ; implicit-def: $vgpr160_vgpr161
	s_and_saveexec_b64 s[46:47], s[40:41]
	s_xor_b64 s[40:41], exec, s[46:47]
	s_cbranch_execz .LBB70_120
; %bb.119:
	;;#ASMSTART
	global_load_dwordx4 v[6:9], v[150:151] off sc1	
s_waitcnt vmcnt(0)
	;;#ASMEND
	s_nop 0
	v_lshlrev_b64 v[176:177], 24, v[8:9]
	v_lshrrev_b32_e32 v53, 8, v7
	v_lshlrev_b64 v[178:179], 16, v[8:9]
	v_lshlrev_b64 v[180:181], 8, v[8:9]
	v_lshrrev_b64 v[160:161], 8, v[6:7]
	v_lshrrev_b64 v[162:163], 16, v[6:7]
	;; [unrolled: 1-line block ×3, first 2 shown]
	v_mov_b32_e32 v166, v7
	v_or_b32_e32 v176, v53, v176
	v_or_b32_sdwa v178, v7, v178 dst_sel:DWORD dst_unused:UNUSED_PAD src0_sel:WORD_1 src1_sel:DWORD
	v_or_b32_sdwa v180, v7, v180 dst_sel:DWORD dst_unused:UNUSED_PAD src0_sel:BYTE_3 src1_sel:DWORD
.LBB70_120:
	s_andn2_saveexec_b64 s[40:41], s[40:41]
	s_cbranch_execz .LBB70_122
; %bb.121:
	;;#ASMSTART
	flat_load_dwordx4 v[6:9], v[150:151] sc1	
s_waitcnt vmcnt(0)
	;;#ASMEND
	s_nop 0
	v_lshlrev_b64 v[176:177], 24, v[8:9]
	v_lshrrev_b32_e32 v53, 8, v7
	v_lshlrev_b64 v[178:179], 16, v[8:9]
	v_lshlrev_b64 v[180:181], 8, v[8:9]
	v_lshrrev_b64 v[160:161], 8, v[6:7]
	v_lshrrev_b64 v[162:163], 16, v[6:7]
	;; [unrolled: 1-line block ×3, first 2 shown]
	v_mov_b32_e32 v166, v7
	v_or_b32_e32 v176, v53, v176
	v_or_b32_sdwa v178, v7, v178 dst_sel:DWORD dst_unused:UNUSED_PAD src0_sel:WORD_1 src1_sel:DWORD
	v_or_b32_sdwa v180, v7, v180 dst_sel:DWORD dst_unused:UNUSED_PAD src0_sel:BYTE_3 src1_sel:DWORD
.LBB70_122:
	s_or_b64 exec, exec, s[40:41]
.LBB70_123:
	s_andn2_saveexec_b64 s[42:43], s[42:43]
	s_cbranch_execz .LBB70_125
; %bb.124:
	v_cmp_ne_u64_e64 s[40:41], 0, v[150:151]
	s_nop 1
	v_cndmask_b32_e64 v6, -1, v150, s[40:41]
	;;#ASMSTART
	ds_read_b128 v[6:9], v6 	
s_waitcnt lgkmcnt(0)
	;;#ASMEND
	s_nop 0
	v_lshlrev_b64 v[176:177], 24, v[8:9]
	v_lshrrev_b32_e32 v53, 8, v7
	v_lshlrev_b64 v[178:179], 16, v[8:9]
	v_lshlrev_b64 v[180:181], 8, v[8:9]
	v_lshrrev_b64 v[160:161], 8, v[6:7]
	v_lshrrev_b64 v[162:163], 16, v[6:7]
	;; [unrolled: 1-line block ×3, first 2 shown]
	v_mov_b32_e32 v166, v7
	v_or_b32_e32 v176, v53, v176
	v_or_b32_sdwa v178, v7, v178 dst_sel:DWORD dst_unused:UNUSED_PAD src0_sel:WORD_1 src1_sel:DWORD
	v_or_b32_sdwa v180, v7, v180 dst_sel:DWORD dst_unused:UNUSED_PAD src0_sel:BYTE_3 src1_sel:DWORD
.LBB70_125:
	s_or_b64 exec, exec, s[42:43]
	v_lshlrev_b32_e32 v7, 8, v160
	s_mov_b32 s40, 0xc0c0500
	v_perm_b32 v6, v7, v6, s40
	v_lshlrev_b32_e32 v7, 16, v162
	v_and_b32_e32 v7, 0xff0000, v7
	v_lshlrev_b32_e32 v9, 24, v164
	v_or3_b32 v6, v6, v7, v9
	v_lshlrev_b32_e32 v9, 8, v176
	v_and_b32_e32 v7, 0xff, v166
	v_and_b32_e32 v9, 0xff00, v9
	v_lshlrev_b32_e32 v53, 16, v178
	v_or3_b32 v7, 0, v7, v9
	v_lshlrev_b32_e32 v9, 24, v180
	v_and_b32_e32 v53, 0xff0000, v53
	v_or3_b32 v6, v6, 0, 0
	v_or3_b32 v161, v7, v53, v9
	v_mov_b32_e32 v53, 0
	v_or3_b32 v160, v6, 0, 0
	v_cmp_eq_u16_sdwa s[40:41], v8, v53 src0_sel:BYTE_0 src1_sel:DWORD
	s_and_saveexec_b64 s[46:47], s[40:41]
	s_cbranch_execz .LBB70_138
; %bb.126:
	s_mov_b64 s[40:41], src_private_base
	v_cmp_ne_u64_e64 s[42:43], 0, v[150:151]
	v_cmp_ne_u32_e64 s[40:41], s41, v151
	s_mov_b64 s[48:49], 0
	v_cndmask_b32_e64 v71, -1, v150, s[42:43]
	s_branch .LBB70_128
.LBB70_127:                             ;   in Loop: Header=BB70_128 Depth=1
	s_or_b64 exec, exec, s[42:43]
	v_cmp_ne_u16_sdwa s[42:43], v8, v53 src0_sel:BYTE_0 src1_sel:DWORD
	s_or_b64 s[48:49], s[42:43], s[48:49]
	s_andn2_b64 exec, exec, s[48:49]
	s_cbranch_execz .LBB70_137
.LBB70_128:                             ; =>This Inner Loop Header: Depth=1
                                        ; implicit-def: $vgpr8
                                        ; implicit-def: $vgpr180_vgpr181
                                        ; implicit-def: $vgpr178_vgpr179
                                        ; implicit-def: $vgpr176_vgpr177
                                        ; implicit-def: $vgpr166_vgpr167
                                        ; implicit-def: $vgpr164_vgpr165
                                        ; implicit-def: $vgpr162_vgpr163
                                        ; implicit-def: $vgpr160_vgpr161
	s_and_saveexec_b64 s[42:43], vcc
	s_xor_b64 s[42:43], exec, s[42:43]
	s_cbranch_execz .LBB70_134
; %bb.129:                              ;   in Loop: Header=BB70_128 Depth=1
                                        ; implicit-def: $vgpr8
                                        ; implicit-def: $vgpr180_vgpr181
                                        ; implicit-def: $vgpr178_vgpr179
                                        ; implicit-def: $vgpr176_vgpr177
                                        ; implicit-def: $vgpr166_vgpr167
                                        ; implicit-def: $vgpr164_vgpr165
                                        ; implicit-def: $vgpr162_vgpr163
                                        ; implicit-def: $vgpr160_vgpr161
	s_and_saveexec_b64 s[50:51], s[40:41]
	s_xor_b64 s[50:51], exec, s[50:51]
	s_cbranch_execz .LBB70_131
; %bb.130:                              ;   in Loop: Header=BB70_128 Depth=1
	;;#ASMSTART
	global_load_dwordx4 v[6:9], v[150:151] off sc1	
s_waitcnt vmcnt(0)
	;;#ASMEND
	s_nop 0
	v_lshlrev_b64 v[176:177], 24, v[8:9]
	v_lshrrev_b32_e32 v147, 8, v7
	v_lshlrev_b64 v[178:179], 16, v[8:9]
	v_lshlrev_b64 v[180:181], 8, v[8:9]
	v_lshrrev_b64 v[160:161], 8, v[6:7]
	v_lshrrev_b64 v[162:163], 16, v[6:7]
	;; [unrolled: 1-line block ×3, first 2 shown]
	v_mov_b32_e32 v166, v7
	v_or_b32_e32 v176, v147, v176
	v_or_b32_sdwa v178, v7, v178 dst_sel:DWORD dst_unused:UNUSED_PAD src0_sel:WORD_1 src1_sel:DWORD
	v_or_b32_sdwa v180, v7, v180 dst_sel:DWORD dst_unused:UNUSED_PAD src0_sel:BYTE_3 src1_sel:DWORD
.LBB70_131:                             ;   in Loop: Header=BB70_128 Depth=1
	s_andn2_saveexec_b64 s[50:51], s[50:51]
	s_cbranch_execz .LBB70_133
; %bb.132:                              ;   in Loop: Header=BB70_128 Depth=1
	;;#ASMSTART
	flat_load_dwordx4 v[6:9], v[150:151] sc1	
s_waitcnt vmcnt(0)
	;;#ASMEND
	s_nop 0
	v_lshlrev_b64 v[176:177], 24, v[8:9]
	v_lshrrev_b32_e32 v147, 8, v7
	v_lshlrev_b64 v[178:179], 16, v[8:9]
	v_lshlrev_b64 v[180:181], 8, v[8:9]
	v_lshrrev_b64 v[160:161], 8, v[6:7]
	v_lshrrev_b64 v[162:163], 16, v[6:7]
	;; [unrolled: 1-line block ×3, first 2 shown]
	v_mov_b32_e32 v166, v7
	v_or_b32_e32 v176, v147, v176
	v_or_b32_sdwa v178, v7, v178 dst_sel:DWORD dst_unused:UNUSED_PAD src0_sel:WORD_1 src1_sel:DWORD
	v_or_b32_sdwa v180, v7, v180 dst_sel:DWORD dst_unused:UNUSED_PAD src0_sel:BYTE_3 src1_sel:DWORD
.LBB70_133:                             ;   in Loop: Header=BB70_128 Depth=1
	s_or_b64 exec, exec, s[50:51]
.LBB70_134:                             ;   in Loop: Header=BB70_128 Depth=1
	s_andn2_saveexec_b64 s[42:43], s[42:43]
	s_cbranch_execz .LBB70_127
; %bb.135:                              ;   in Loop: Header=BB70_128 Depth=1
	;;#ASMSTART
	ds_read_b128 v[6:9], v71 	
s_waitcnt lgkmcnt(0)
	;;#ASMEND
	s_nop 0
	v_lshlrev_b64 v[176:177], 24, v[8:9]
	v_lshrrev_b32_e32 v147, 8, v7
	v_lshlrev_b64 v[178:179], 16, v[8:9]
	v_lshlrev_b64 v[180:181], 8, v[8:9]
	v_lshrrev_b64 v[160:161], 8, v[6:7]
	v_lshrrev_b64 v[162:163], 16, v[6:7]
	;; [unrolled: 1-line block ×3, first 2 shown]
	v_mov_b32_e32 v166, v7
	v_or_b32_e32 v176, v147, v176
	v_or_b32_sdwa v178, v7, v178 dst_sel:DWORD dst_unused:UNUSED_PAD src0_sel:WORD_1 src1_sel:DWORD
	v_or_b32_sdwa v180, v7, v180 dst_sel:DWORD dst_unused:UNUSED_PAD src0_sel:BYTE_3 src1_sel:DWORD
	s_branch .LBB70_127
.LBB70_136:
                                        ; implicit-def: $vgpr4_vgpr5_vgpr6_vgpr7_vgpr8_vgpr9_vgpr10_vgpr11_vgpr12_vgpr13_vgpr14_vgpr15_vgpr16_vgpr17_vgpr18_vgpr19_vgpr20_vgpr21_vgpr22_vgpr23_vgpr24_vgpr25_vgpr26_vgpr27_vgpr28_vgpr29_vgpr30_vgpr31_vgpr32_vgpr33_vgpr34_vgpr35
	s_cbranch_execnz .LBB70_260
	s_branch .LBB70_377
.LBB70_137:
	s_or_b64 exec, exec, s[48:49]
	v_lshlrev_b32_e32 v7, 8, v160
	s_mov_b32 vcc_lo, 0xc0c0500
	v_perm_b32 v6, v7, v6, vcc_lo
	v_lshlrev_b32_e32 v7, 16, v162
	v_and_b32_e32 v7, 0xff0000, v7
	v_lshlrev_b32_e32 v9, 24, v164
	v_or3_b32 v6, v6, v7, v9
	v_lshlrev_b32_e32 v9, 8, v176
	v_and_b32_e32 v7, 0xff, v166
	v_and_b32_e32 v9, 0xff00, v9
	v_or3_b32 v7, 0, v7, v9
	v_lshlrev_b32_e32 v9, 16, v178
	v_or3_b32 v6, v6, 0, 0
	v_and_b32_e32 v9, 0xff0000, v9
	v_lshlrev_b32_e32 v53, 24, v180
	v_or3_b32 v161, v7, v9, v53
	v_or3_b32 v160, v6, 0, 0
.LBB70_138:
	s_or_b64 exec, exec, s[46:47]
	v_mov_b32_e32 v6, 2
	v_cmp_eq_u16_sdwa vcc, v8, v6 src0_sel:BYTE_0 src1_sel:DWORD
	v_lshlrev_b64 v[150:151], v182, -1
	v_and_b32_e32 v53, 63, v182
	v_and_b32_e32 v6, vcc_hi, v151
	v_and_b32_e32 v7, vcc_lo, v150
	v_cmp_ne_u32_e32 vcc, 63, v53
	v_or_b32_e32 v6, 0x80000000, v6
	v_ffbl_b32_e32 v6, v6
	v_addc_co_u32_e32 v9, vcc, 0, v182, vcc
	v_lshlrev_b32_e32 v71, 2, v9
	ds_bpermute_b32 v162, v71, v160
	ds_bpermute_b32 v163, v71, v161
	v_add_u32_e32 v6, 32, v6
	v_ffbl_b32_e32 v7, v7
	v_min_u32_e32 v9, v7, v6
	v_cmp_lt_u32_e32 vcc, v53, v9
	v_mov_b64_e32 v[6:7], v[160:161]
	s_and_saveexec_b64 s[42:43], vcc
	s_cbranch_execz .LBB70_142
; %bb.139:
	s_waitcnt lgkmcnt(0)
	v_max_f64 v[6:7], v[162:163], v[162:163]
	v_max_f64 v[166:167], v[160:161], v[160:161]
	v_min_f64 v[164:165], v[6:7], v[166:167]
	v_cmp_u_f64_e32 vcc, v[162:163], v[162:163]
	v_max_f64 v[6:7], v[6:7], v[166:167]
	v_cmp_u_f64_e64 s[40:41], v[160:161], v[160:161]
	v_cndmask_b32_e32 v147, v164, v162, vcc
	v_cndmask_b32_e32 v149, v165, v163, vcc
	;; [unrolled: 1-line block ×4, first 2 shown]
	v_cndmask_b32_e64 v165, v149, v161, s[40:41]
	v_cndmask_b32_e64 v164, v147, v160, s[40:41]
	;; [unrolled: 1-line block ×4, first 2 shown]
	s_movk_i32 s40, 0x1f8
	v_cmp_neq_f64_e32 vcc, v[164:165], v[6:7]
	v_cmp_class_f64_e64 s[40:41], v[164:165], s40
	s_or_b64 vcc, vcc, s[40:41]
	s_and_saveexec_b64 s[46:47], vcc
	s_cbranch_execz .LBB70_141
; %bb.140:
	s_mov_b32 vcc_lo, 0x652b82fe
	v_add_f64 v[160:161], v[164:165], -v[6:7]
	s_mov_b32 vcc_hi, 0x3ff71547
	v_mul_f64 v[162:163], v[160:161], vcc
	v_rndne_f64_e32 v[162:163], v[162:163]
	s_mov_b32 s49, 0xbfe62e42
	s_mov_b32 s48, 0xfefa39ef
	v_fma_f64 v[164:165], s[48:49], v[162:163], v[160:161]
	s_mov_b32 s51, 0xbc7abc9e
	s_mov_b32 s50, 0x3b39803f
	s_mov_b32 vcc_lo, 0x6a5dcb37
	v_fmac_f64_e32 v[164:165], s[50:51], v[162:163]
	v_mov_b32_e32 v166, 0xfca7ab0c
	v_mov_b32_e32 v167, 0x3e928af3
	s_mov_b32 vcc_hi, 0x3e5ade15
	v_fmac_f64_e32 v[166:167], vcc, v[164:165]
	v_mov_b32_e32 v176, 0x623fde64
	v_mov_b32_e32 v177, 0x3ec71dee
	v_fmac_f64_e32 v[176:177], v[164:165], v[166:167]
	v_mov_b32_e32 v166, 0x7c89e6b0
	v_mov_b32_e32 v167, 0x3efa0199
	v_fmac_f64_e32 v[166:167], v[164:165], v[176:177]
	;; [unrolled: 3-line block ×8, first 2 shown]
	v_fma_f64 v[166:167], v[164:165], v[166:167], 1.0
	s_mov_b32 vcc_lo, 0
	s_mov_b32 s40, 0
	v_fma_f64 v[164:165], v[164:165], v[166:167], 1.0
	v_cvt_i32_f64_e32 v147, v[162:163]
	s_mov_b32 vcc_hi, 0x40900000
	s_mov_b32 s41, 0xc090cc00
	v_ldexp_f64 v[162:163], v[164:165], v147
	v_mov_b32_e32 v147, 0x7ff00000
	v_cmp_nlt_f64_e32 vcc, vcc, v[160:161]
	v_cmp_ngt_f64_e64 s[40:41], s[40:41], v[160:161]
	s_mov_b32 s49, 0x3fe62e42
	v_cndmask_b32_e32 v147, v147, v163, vcc
	s_and_b64 vcc, s[40:41], vcc
	v_cndmask_b32_e64 v161, 0, v147, s[40:41]
	v_cndmask_b32_e32 v160, 0, v162, vcc
	v_add_f64 v[162:163], v[160:161], 1.0
	v_add_f64 v[164:165], v[162:163], -1.0
	v_add_f64 v[166:167], v[164:165], -v[162:163]
	v_add_f64 v[166:167], v[166:167], 1.0
	v_add_f64 v[164:165], v[160:161], -v[164:165]
	s_mov_b32 vcc_lo, 0x55555555
	v_add_f64 v[164:165], v[164:165], v[166:167]
	v_frexp_mant_f64_e32 v[166:167], v[162:163]
	s_mov_b32 vcc_hi, 0x3fe55555
	v_frexp_exp_i32_f64_e32 v147, v[162:163]
	v_cmp_gt_f64_e32 vcc, vcc, v[166:167]
	s_mov_b32 s51, 0x3c7abc9e
	s_nop 0
	v_subbrev_co_u32_e32 v147, vcc, 0, v147, vcc
	v_sub_u32_e32 v149, 0, v147
	v_ldexp_f64 v[162:163], v[162:163], v149
	v_add_f64 v[166:167], v[162:163], -1.0
	v_add_f64 v[180:181], v[162:163], 1.0
	v_add_f64 v[176:177], v[166:167], 1.0
	v_add_f64 v[192:193], v[180:181], -1.0
	v_ldexp_f64 v[164:165], v[164:165], v149
	v_add_f64 v[176:177], v[162:163], -v[176:177]
	v_add_f64 v[162:163], v[162:163], -v[192:193]
	v_add_f64 v[162:163], v[164:165], v[162:163]
	v_add_f64 v[176:177], v[164:165], v[176:177]
	v_add_f64 v[164:165], v[180:181], v[162:163]
	v_rcp_f64_e32 v[192:193], v[164:165]
	v_add_f64 v[178:179], v[166:167], v[176:177]
	v_add_f64 v[166:167], v[178:179], -v[166:167]
	v_add_f64 v[166:167], v[176:177], -v[166:167]
	;; [unrolled: 1-line block ×4, first 2 shown]
	v_fma_f64 v[176:177], -v[164:165], v[192:193], 1.0
	v_fmac_f64_e32 v[192:193], v[176:177], v[192:193]
	v_fma_f64 v[176:177], -v[164:165], v[192:193], 1.0
	v_fmac_f64_e32 v[192:193], v[176:177], v[192:193]
	v_mul_f64 v[176:177], v[178:179], v[192:193]
	v_mul_f64 v[180:181], v[164:165], v[176:177]
	v_fma_f64 v[194:195], v[176:177], v[164:165], -v[180:181]
	v_fmac_f64_e32 v[194:195], v[176:177], v[162:163]
	v_add_f64 v[196:197], v[180:181], v[194:195]
	v_add_f64 v[198:199], v[178:179], -v[196:197]
	v_add_f64 v[178:179], v[178:179], -v[198:199]
	;; [unrolled: 1-line block ×4, first 2 shown]
	v_add_f64 v[166:167], v[166:167], v[178:179]
	v_add_f64 v[178:179], v[180:181], -v[194:195]
	v_add_f64 v[166:167], v[178:179], v[166:167]
	v_add_f64 v[178:179], v[198:199], v[166:167]
	v_add_f64 v[180:181], v[198:199], -v[178:179]
	v_add_f64 v[166:167], v[166:167], v[180:181]
	v_mul_f64 v[180:181], v[192:193], v[178:179]
	v_mul_f64 v[194:195], v[164:165], v[180:181]
	v_fma_f64 v[164:165], v[180:181], v[164:165], -v[194:195]
	v_fmac_f64_e32 v[164:165], v[180:181], v[162:163]
	v_add_f64 v[162:163], v[194:195], v[164:165]
	v_add_f64 v[196:197], v[178:179], -v[162:163]
	v_add_f64 v[178:179], v[178:179], -v[196:197]
	;; [unrolled: 1-line block ×4, first 2 shown]
	v_add_f64 v[162:163], v[166:167], v[162:163]
	v_add_f64 v[164:165], v[194:195], -v[164:165]
	v_add_f64 v[162:163], v[164:165], v[162:163]
	v_add_f64 v[164:165], v[176:177], v[180:181]
	;; [unrolled: 1-line block ×3, first 2 shown]
	v_add_f64 v[166:167], v[164:165], -v[176:177]
	v_mul_f64 v[162:163], v[192:193], v[162:163]
	v_add_f64 v[166:167], v[180:181], -v[166:167]
	v_add_f64 v[162:163], v[166:167], v[162:163]
	v_add_f64 v[166:167], v[164:165], v[162:163]
	v_add_f64 v[164:165], v[166:167], -v[164:165]
	s_mov_b32 vcc_lo, 0xbf559e2b
	v_add_f64 v[162:163], v[162:163], -v[164:165]
	v_mul_f64 v[164:165], v[166:167], v[166:167]
	v_mov_b32_e32 v176, 0x6b47b09a
	v_mov_b32_e32 v177, 0x3fc38538
	s_mov_b32 vcc_hi, 0x3fc3ab76
	v_fmac_f64_e32 v[176:177], vcc, v[164:165]
	v_mov_b32_e32 v178, 0xd7f4df2e
	v_mov_b32_e32 v179, 0x3fc7474d
	v_fmac_f64_e32 v[178:179], v[164:165], v[176:177]
	v_mov_b32_e32 v176, 0x16291751
	v_mov_b32_e32 v177, 0x3fcc71c0
	v_fmac_f64_e32 v[176:177], v[164:165], v[178:179]
	;; [unrolled: 3-line block ×5, first 2 shown]
	v_cvt_f64_i32_e32 v[176:177], v147
	v_mul_f64 v[180:181], v[176:177], s[48:49]
	v_fma_f64 v[192:193], v[176:177], s[48:49], -v[180:181]
	v_fmac_f64_e32 v[192:193], s[50:51], v[176:177]
	v_add_f64 v[176:177], v[180:181], v[192:193]
	v_add_f64 v[180:181], v[176:177], -v[180:181]
	v_mul_f64 v[164:165], v[166:167], v[164:165]
	v_add_f64 v[180:181], v[192:193], -v[180:181]
	v_ldexp_f64 v[192:193], v[166:167], 1
	v_mul_f64 v[164:165], v[164:165], v[178:179]
	v_add_f64 v[166:167], v[192:193], v[164:165]
	v_add_f64 v[178:179], v[166:167], -v[192:193]
	v_ldexp_f64 v[162:163], v[162:163], 1
	v_add_f64 v[164:165], v[164:165], -v[178:179]
	v_add_f64 v[162:163], v[162:163], v[164:165]
	v_add_f64 v[164:165], v[166:167], v[162:163]
	v_add_f64 v[166:167], v[164:165], -v[166:167]
	v_add_f64 v[162:163], v[162:163], -v[166:167]
	v_add_f64 v[166:167], v[176:177], v[164:165]
	v_add_f64 v[178:179], v[166:167], -v[176:177]
	v_add_f64 v[192:193], v[166:167], -v[178:179]
	;; [unrolled: 1-line block ×4, first 2 shown]
	v_add_f64 v[164:165], v[164:165], v[176:177]
	v_add_f64 v[176:177], v[180:181], v[162:163]
	v_add_f64 v[178:179], v[176:177], -v[180:181]
	v_add_f64 v[164:165], v[176:177], v[164:165]
	v_add_f64 v[192:193], v[176:177], -v[178:179]
	v_add_f64 v[176:177], v[166:167], v[164:165]
	v_add_f64 v[180:181], v[180:181], -v[192:193]
	v_add_f64 v[162:163], v[162:163], -v[178:179]
	v_add_f64 v[166:167], v[176:177], -v[166:167]
	v_add_f64 v[162:163], v[162:163], v[180:181]
	v_add_f64 v[164:165], v[164:165], -v[166:167]
	s_mov_b32 vcc_lo, 0
	v_add_f64 v[162:163], v[162:163], v[164:165]
	s_mov_b32 vcc_hi, 0x7ff00000
	v_add_f64 v[162:163], v[176:177], v[162:163]
	v_cmp_eq_f64_e32 vcc, vcc, v[160:161]
	s_nop 1
	v_cndmask_b32_e32 v147, v162, v160, vcc
	v_cndmask_b32_e32 v149, v163, v161, vcc
	v_mov_b32_e32 v162, 0x7ff80000
	v_cmp_ngt_f64_e32 vcc, -1.0, v[160:161]
	s_nop 1
	v_cndmask_b32_e32 v149, v162, v149, vcc
	v_cmp_nge_f64_e32 vcc, -1.0, v[160:161]
	s_nop 1
	v_cndmask_b32_e32 v162, 0, v147, vcc
	v_mov_b32_e32 v147, 0xfff00000
	v_cmp_neq_f64_e32 vcc, -1.0, v[160:161]
	s_nop 1
	v_cndmask_b32_e32 v163, v147, v149, vcc
	v_add_f64 v[162:163], v[6:7], v[162:163]
.LBB70_141:
	s_or_b64 exec, exec, s[46:47]
	v_mov_b32_e32 v160, v162
	v_mov_b32_e32 v161, v163
	v_mov_b64_e32 v[6:7], v[162:163]
.LBB70_142:
	s_or_b64 exec, exec, s[42:43]
	v_cmp_gt_u32_e32 vcc, 62, v53
	v_add_u32_e32 v41, 2, v53
	s_nop 0
	v_cndmask_b32_e64 v147, 0, 1, vcc
	v_lshlrev_b32_e32 v147, 1, v147
	v_add_lshl_u32 v147, v147, v182, 2
	s_waitcnt lgkmcnt(1)
	ds_bpermute_b32 v162, v147, v160
	s_waitcnt lgkmcnt(1)
	ds_bpermute_b32 v163, v147, v161
	v_cmp_le_u32_e32 vcc, v41, v9
	s_and_saveexec_b64 s[42:43], vcc
	s_cbranch_execz .LBB70_146
; %bb.143:
	s_waitcnt lgkmcnt(0)
	v_max_f64 v[164:165], v[162:163], v[162:163]
	v_max_f64 v[166:167], v[6:7], v[6:7]
	v_min_f64 v[160:161], v[164:165], v[166:167]
	v_cmp_u_f64_e32 vcc, v[162:163], v[162:163]
	v_cmp_u_f64_e64 s[40:41], v[6:7], v[6:7]
	v_max_f64 v[164:165], v[164:165], v[166:167]
	v_cndmask_b32_e32 v149, v160, v162, vcc
	v_cndmask_b32_e32 v160, v161, v163, vcc
	v_cndmask_b32_e64 v161, v160, v7, s[40:41]
	v_cndmask_b32_e64 v160, v149, v6, s[40:41]
	v_cndmask_b32_e32 v149, v164, v162, vcc
	v_cndmask_b32_e32 v164, v165, v163, vcc
	v_cndmask_b32_e64 v7, v164, v7, s[40:41]
	v_cndmask_b32_e64 v6, v149, v6, s[40:41]
	s_movk_i32 s40, 0x1f8
	v_cmp_neq_f64_e32 vcc, v[160:161], v[6:7]
	v_cmp_class_f64_e64 s[40:41], v[160:161], s40
	s_or_b64 vcc, vcc, s[40:41]
	s_and_saveexec_b64 s[46:47], vcc
	s_cbranch_execz .LBB70_145
; %bb.144:
	s_mov_b32 vcc_lo, 0x652b82fe
	v_add_f64 v[160:161], v[160:161], -v[6:7]
	s_mov_b32 vcc_hi, 0x3ff71547
	v_mul_f64 v[162:163], v[160:161], vcc
	v_rndne_f64_e32 v[162:163], v[162:163]
	s_mov_b32 s49, 0xbfe62e42
	s_mov_b32 s48, 0xfefa39ef
	v_fma_f64 v[164:165], s[48:49], v[162:163], v[160:161]
	s_mov_b32 s51, 0xbc7abc9e
	s_mov_b32 s50, 0x3b39803f
	s_mov_b32 vcc_lo, 0x6a5dcb37
	v_fmac_f64_e32 v[164:165], s[50:51], v[162:163]
	v_mov_b32_e32 v166, 0xfca7ab0c
	v_mov_b32_e32 v167, 0x3e928af3
	s_mov_b32 vcc_hi, 0x3e5ade15
	v_fmac_f64_e32 v[166:167], vcc, v[164:165]
	v_mov_b32_e32 v176, 0x623fde64
	v_mov_b32_e32 v177, 0x3ec71dee
	v_fmac_f64_e32 v[176:177], v[164:165], v[166:167]
	v_mov_b32_e32 v166, 0x7c89e6b0
	v_mov_b32_e32 v167, 0x3efa0199
	v_fmac_f64_e32 v[166:167], v[164:165], v[176:177]
	v_mov_b32_e32 v176, 0x14761f6e
	v_mov_b32_e32 v177, 0x3f2a01a0
	v_fmac_f64_e32 v[176:177], v[164:165], v[166:167]
	v_mov_b32_e32 v166, 0x1852b7b0
	v_mov_b32_e32 v167, 0x3f56c16c
	v_fmac_f64_e32 v[166:167], v[164:165], v[176:177]
	v_mov_b32_e32 v176, 0x11122322
	v_mov_b32_e32 v177, 0x3f811111
	v_fmac_f64_e32 v[176:177], v[164:165], v[166:167]
	v_mov_b32_e32 v166, 0x555502a1
	v_mov_b32_e32 v167, 0x3fa55555
	v_fmac_f64_e32 v[166:167], v[164:165], v[176:177]
	v_mov_b32_e32 v176, 0x55555511
	v_mov_b32_e32 v177, 0x3fc55555
	v_fmac_f64_e32 v[176:177], v[164:165], v[166:167]
	v_mov_b32_e32 v166, 11
	v_mov_b32_e32 v167, 0x3fe00000
	v_fmac_f64_e32 v[166:167], v[164:165], v[176:177]
	v_fma_f64 v[166:167], v[164:165], v[166:167], 1.0
	s_mov_b32 vcc_lo, 0
	s_mov_b32 s40, 0
	v_fma_f64 v[164:165], v[164:165], v[166:167], 1.0
	v_cvt_i32_f64_e32 v149, v[162:163]
	s_mov_b32 vcc_hi, 0x40900000
	s_mov_b32 s41, 0xc090cc00
	v_ldexp_f64 v[162:163], v[164:165], v149
	v_mov_b32_e32 v149, 0x7ff00000
	v_cmp_nlt_f64_e32 vcc, vcc, v[160:161]
	v_cmp_ngt_f64_e64 s[40:41], s[40:41], v[160:161]
	s_mov_b32 s49, 0x3fe62e42
	v_cndmask_b32_e32 v149, v149, v163, vcc
	s_and_b64 vcc, s[40:41], vcc
	v_cndmask_b32_e64 v161, 0, v149, s[40:41]
	v_cndmask_b32_e32 v160, 0, v162, vcc
	v_add_f64 v[162:163], v[160:161], 1.0
	v_add_f64 v[164:165], v[162:163], -1.0
	v_add_f64 v[166:167], v[164:165], -v[162:163]
	v_add_f64 v[166:167], v[166:167], 1.0
	v_add_f64 v[164:165], v[160:161], -v[164:165]
	s_mov_b32 vcc_lo, 0x55555555
	v_add_f64 v[164:165], v[164:165], v[166:167]
	v_frexp_mant_f64_e32 v[166:167], v[162:163]
	s_mov_b32 vcc_hi, 0x3fe55555
	v_frexp_exp_i32_f64_e32 v149, v[162:163]
	v_cmp_gt_f64_e32 vcc, vcc, v[166:167]
	s_mov_b32 s51, 0x3c7abc9e
	s_nop 0
	v_subbrev_co_u32_e32 v149, vcc, 0, v149, vcc
	v_sub_u32_e32 v166, 0, v149
	v_ldexp_f64 v[162:163], v[162:163], v166
	v_ldexp_f64 v[164:165], v[164:165], v166
	v_add_f64 v[166:167], v[162:163], -1.0
	v_add_f64 v[180:181], v[162:163], 1.0
	v_add_f64 v[176:177], v[166:167], 1.0
	v_add_f64 v[192:193], v[180:181], -1.0
	v_add_f64 v[176:177], v[162:163], -v[176:177]
	v_add_f64 v[162:163], v[162:163], -v[192:193]
	v_add_f64 v[162:163], v[164:165], v[162:163]
	v_add_f64 v[176:177], v[164:165], v[176:177]
	;; [unrolled: 1-line block ×3, first 2 shown]
	v_rcp_f64_e32 v[192:193], v[164:165]
	v_add_f64 v[178:179], v[166:167], v[176:177]
	v_add_f64 v[166:167], v[178:179], -v[166:167]
	v_add_f64 v[166:167], v[176:177], -v[166:167]
	;; [unrolled: 1-line block ×4, first 2 shown]
	v_fma_f64 v[176:177], -v[164:165], v[192:193], 1.0
	v_fmac_f64_e32 v[192:193], v[176:177], v[192:193]
	v_fma_f64 v[176:177], -v[164:165], v[192:193], 1.0
	v_fmac_f64_e32 v[192:193], v[176:177], v[192:193]
	v_mul_f64 v[176:177], v[178:179], v[192:193]
	v_mul_f64 v[180:181], v[164:165], v[176:177]
	v_fma_f64 v[194:195], v[176:177], v[164:165], -v[180:181]
	v_fmac_f64_e32 v[194:195], v[176:177], v[162:163]
	v_add_f64 v[196:197], v[180:181], v[194:195]
	v_add_f64 v[198:199], v[178:179], -v[196:197]
	v_add_f64 v[178:179], v[178:179], -v[198:199]
	;; [unrolled: 1-line block ×4, first 2 shown]
	v_add_f64 v[166:167], v[166:167], v[178:179]
	v_add_f64 v[178:179], v[180:181], -v[194:195]
	v_add_f64 v[166:167], v[178:179], v[166:167]
	v_add_f64 v[178:179], v[198:199], v[166:167]
	v_add_f64 v[180:181], v[198:199], -v[178:179]
	v_add_f64 v[166:167], v[166:167], v[180:181]
	v_mul_f64 v[180:181], v[192:193], v[178:179]
	v_mul_f64 v[194:195], v[164:165], v[180:181]
	v_fma_f64 v[164:165], v[180:181], v[164:165], -v[194:195]
	v_fmac_f64_e32 v[164:165], v[180:181], v[162:163]
	v_add_f64 v[162:163], v[194:195], v[164:165]
	v_add_f64 v[196:197], v[178:179], -v[162:163]
	v_add_f64 v[178:179], v[178:179], -v[196:197]
	v_add_f64 v[194:195], v[162:163], -v[194:195]
	v_add_f64 v[162:163], v[178:179], -v[162:163]
	v_add_f64 v[162:163], v[166:167], v[162:163]
	v_add_f64 v[164:165], v[194:195], -v[164:165]
	v_add_f64 v[162:163], v[164:165], v[162:163]
	v_add_f64 v[164:165], v[176:177], v[180:181]
	;; [unrolled: 1-line block ×3, first 2 shown]
	v_add_f64 v[166:167], v[164:165], -v[176:177]
	v_mul_f64 v[162:163], v[192:193], v[162:163]
	v_add_f64 v[166:167], v[180:181], -v[166:167]
	v_add_f64 v[162:163], v[166:167], v[162:163]
	v_add_f64 v[166:167], v[164:165], v[162:163]
	v_add_f64 v[164:165], v[166:167], -v[164:165]
	s_mov_b32 vcc_lo, 0xbf559e2b
	v_add_f64 v[162:163], v[162:163], -v[164:165]
	v_mul_f64 v[164:165], v[166:167], v[166:167]
	v_mov_b32_e32 v176, 0x6b47b09a
	v_mov_b32_e32 v177, 0x3fc38538
	s_mov_b32 vcc_hi, 0x3fc3ab76
	v_fmac_f64_e32 v[176:177], vcc, v[164:165]
	v_mov_b32_e32 v178, 0xd7f4df2e
	v_mov_b32_e32 v179, 0x3fc7474d
	v_fmac_f64_e32 v[178:179], v[164:165], v[176:177]
	v_mov_b32_e32 v176, 0x16291751
	v_mov_b32_e32 v177, 0x3fcc71c0
	v_fmac_f64_e32 v[176:177], v[164:165], v[178:179]
	;; [unrolled: 3-line block ×5, first 2 shown]
	v_cvt_f64_i32_e32 v[176:177], v149
	v_mul_f64 v[180:181], v[176:177], s[48:49]
	v_fma_f64 v[192:193], v[176:177], s[48:49], -v[180:181]
	v_fmac_f64_e32 v[192:193], s[50:51], v[176:177]
	v_add_f64 v[176:177], v[180:181], v[192:193]
	v_add_f64 v[180:181], v[176:177], -v[180:181]
	v_mul_f64 v[164:165], v[166:167], v[164:165]
	v_add_f64 v[180:181], v[192:193], -v[180:181]
	v_ldexp_f64 v[192:193], v[166:167], 1
	v_mul_f64 v[164:165], v[164:165], v[178:179]
	v_add_f64 v[166:167], v[192:193], v[164:165]
	v_add_f64 v[178:179], v[166:167], -v[192:193]
	v_ldexp_f64 v[162:163], v[162:163], 1
	v_add_f64 v[164:165], v[164:165], -v[178:179]
	v_add_f64 v[162:163], v[162:163], v[164:165]
	v_add_f64 v[164:165], v[166:167], v[162:163]
	v_add_f64 v[166:167], v[164:165], -v[166:167]
	v_add_f64 v[162:163], v[162:163], -v[166:167]
	v_add_f64 v[166:167], v[176:177], v[164:165]
	v_add_f64 v[178:179], v[166:167], -v[176:177]
	v_add_f64 v[192:193], v[166:167], -v[178:179]
	;; [unrolled: 1-line block ×4, first 2 shown]
	v_add_f64 v[164:165], v[164:165], v[176:177]
	v_add_f64 v[176:177], v[180:181], v[162:163]
	v_add_f64 v[178:179], v[176:177], -v[180:181]
	v_add_f64 v[164:165], v[176:177], v[164:165]
	v_add_f64 v[192:193], v[176:177], -v[178:179]
	;; [unrolled: 2-line block ×3, first 2 shown]
	v_add_f64 v[162:163], v[162:163], -v[178:179]
	v_add_f64 v[166:167], v[176:177], -v[166:167]
	v_add_f64 v[162:163], v[162:163], v[180:181]
	v_add_f64 v[164:165], v[164:165], -v[166:167]
	s_mov_b32 vcc_lo, 0
	v_add_f64 v[162:163], v[162:163], v[164:165]
	s_mov_b32 vcc_hi, 0x7ff00000
	v_add_f64 v[162:163], v[176:177], v[162:163]
	v_cmp_eq_f64_e32 vcc, vcc, v[160:161]
	s_nop 1
	v_cndmask_b32_e32 v149, v162, v160, vcc
	v_cndmask_b32_e32 v162, v163, v161, vcc
	v_mov_b32_e32 v163, 0x7ff80000
	v_cmp_ngt_f64_e32 vcc, -1.0, v[160:161]
	s_nop 1
	v_cndmask_b32_e32 v163, v163, v162, vcc
	v_cmp_nge_f64_e32 vcc, -1.0, v[160:161]
	s_nop 1
	v_cndmask_b32_e32 v162, 0, v149, vcc
	v_mov_b32_e32 v149, 0xfff00000
	v_cmp_neq_f64_e32 vcc, -1.0, v[160:161]
	s_nop 1
	v_cndmask_b32_e32 v163, v149, v163, vcc
	v_add_f64 v[162:163], v[6:7], v[162:163]
.LBB70_145:
	s_or_b64 exec, exec, s[46:47]
	v_mov_b32_e32 v160, v162
	v_mov_b32_e32 v161, v163
	v_mov_b64_e32 v[6:7], v[162:163]
.LBB70_146:
	s_or_b64 exec, exec, s[42:43]
	v_cmp_gt_u32_e32 vcc, 60, v53
	v_add_u32_e32 v43, 4, v53
	s_nop 0
	v_cndmask_b32_e64 v149, 0, 1, vcc
	v_lshlrev_b32_e32 v149, 2, v149
	v_add_lshl_u32 v42, v149, v182, 2
	s_waitcnt lgkmcnt(1)
	ds_bpermute_b32 v162, v42, v160
	s_waitcnt lgkmcnt(1)
	ds_bpermute_b32 v163, v42, v161
	v_cmp_le_u32_e32 vcc, v43, v9
	s_and_saveexec_b64 s[42:43], vcc
	s_cbranch_execz .LBB70_150
; %bb.147:
	s_waitcnt lgkmcnt(0)
	v_max_f64 v[164:165], v[162:163], v[162:163]
	v_max_f64 v[166:167], v[6:7], v[6:7]
	v_min_f64 v[160:161], v[164:165], v[166:167]
	v_cmp_u_f64_e32 vcc, v[162:163], v[162:163]
	v_cmp_u_f64_e64 s[40:41], v[6:7], v[6:7]
	v_max_f64 v[164:165], v[164:165], v[166:167]
	v_cndmask_b32_e32 v149, v160, v162, vcc
	v_cndmask_b32_e32 v160, v161, v163, vcc
	v_cndmask_b32_e64 v161, v160, v7, s[40:41]
	v_cndmask_b32_e64 v160, v149, v6, s[40:41]
	v_cndmask_b32_e32 v149, v164, v162, vcc
	v_cndmask_b32_e32 v164, v165, v163, vcc
	v_cndmask_b32_e64 v7, v164, v7, s[40:41]
	v_cndmask_b32_e64 v6, v149, v6, s[40:41]
	s_movk_i32 s40, 0x1f8
	v_cmp_neq_f64_e32 vcc, v[160:161], v[6:7]
	v_cmp_class_f64_e64 s[40:41], v[160:161], s40
	s_or_b64 vcc, vcc, s[40:41]
	s_and_saveexec_b64 s[46:47], vcc
	s_cbranch_execz .LBB70_149
; %bb.148:
	s_mov_b32 vcc_lo, 0x652b82fe
	v_add_f64 v[160:161], v[160:161], -v[6:7]
	s_mov_b32 vcc_hi, 0x3ff71547
	v_mul_f64 v[162:163], v[160:161], vcc
	v_rndne_f64_e32 v[162:163], v[162:163]
	s_mov_b32 s49, 0xbfe62e42
	s_mov_b32 s48, 0xfefa39ef
	v_fma_f64 v[164:165], s[48:49], v[162:163], v[160:161]
	s_mov_b32 s51, 0xbc7abc9e
	s_mov_b32 s50, 0x3b39803f
	s_mov_b32 vcc_lo, 0x6a5dcb37
	v_fmac_f64_e32 v[164:165], s[50:51], v[162:163]
	v_mov_b32_e32 v166, 0xfca7ab0c
	v_mov_b32_e32 v167, 0x3e928af3
	s_mov_b32 vcc_hi, 0x3e5ade15
	v_fmac_f64_e32 v[166:167], vcc, v[164:165]
	v_mov_b32_e32 v176, 0x623fde64
	v_mov_b32_e32 v177, 0x3ec71dee
	v_fmac_f64_e32 v[176:177], v[164:165], v[166:167]
	v_mov_b32_e32 v166, 0x7c89e6b0
	v_mov_b32_e32 v167, 0x3efa0199
	v_fmac_f64_e32 v[166:167], v[164:165], v[176:177]
	;; [unrolled: 3-line block ×8, first 2 shown]
	v_fma_f64 v[166:167], v[164:165], v[166:167], 1.0
	s_mov_b32 vcc_lo, 0
	s_mov_b32 s40, 0
	v_fma_f64 v[164:165], v[164:165], v[166:167], 1.0
	v_cvt_i32_f64_e32 v149, v[162:163]
	s_mov_b32 vcc_hi, 0x40900000
	s_mov_b32 s41, 0xc090cc00
	v_ldexp_f64 v[162:163], v[164:165], v149
	v_mov_b32_e32 v149, 0x7ff00000
	v_cmp_nlt_f64_e32 vcc, vcc, v[160:161]
	v_cmp_ngt_f64_e64 s[40:41], s[40:41], v[160:161]
	s_mov_b32 s49, 0x3fe62e42
	v_cndmask_b32_e32 v149, v149, v163, vcc
	s_and_b64 vcc, s[40:41], vcc
	v_cndmask_b32_e64 v161, 0, v149, s[40:41]
	v_cndmask_b32_e32 v160, 0, v162, vcc
	v_add_f64 v[162:163], v[160:161], 1.0
	v_add_f64 v[164:165], v[162:163], -1.0
	v_add_f64 v[166:167], v[164:165], -v[162:163]
	v_add_f64 v[166:167], v[166:167], 1.0
	v_add_f64 v[164:165], v[160:161], -v[164:165]
	s_mov_b32 vcc_lo, 0x55555555
	v_add_f64 v[164:165], v[164:165], v[166:167]
	v_frexp_mant_f64_e32 v[166:167], v[162:163]
	s_mov_b32 vcc_hi, 0x3fe55555
	v_frexp_exp_i32_f64_e32 v149, v[162:163]
	v_cmp_gt_f64_e32 vcc, vcc, v[166:167]
	s_mov_b32 s51, 0x3c7abc9e
	s_nop 0
	v_subbrev_co_u32_e32 v149, vcc, 0, v149, vcc
	v_sub_u32_e32 v166, 0, v149
	v_ldexp_f64 v[162:163], v[162:163], v166
	v_ldexp_f64 v[164:165], v[164:165], v166
	v_add_f64 v[166:167], v[162:163], -1.0
	v_add_f64 v[180:181], v[162:163], 1.0
	v_add_f64 v[176:177], v[166:167], 1.0
	v_add_f64 v[192:193], v[180:181], -1.0
	v_add_f64 v[176:177], v[162:163], -v[176:177]
	v_add_f64 v[162:163], v[162:163], -v[192:193]
	v_add_f64 v[162:163], v[164:165], v[162:163]
	v_add_f64 v[176:177], v[164:165], v[176:177]
	;; [unrolled: 1-line block ×3, first 2 shown]
	v_rcp_f64_e32 v[192:193], v[164:165]
	v_add_f64 v[178:179], v[166:167], v[176:177]
	v_add_f64 v[166:167], v[178:179], -v[166:167]
	v_add_f64 v[166:167], v[176:177], -v[166:167]
	v_add_f64 v[176:177], v[164:165], -v[180:181]
	v_add_f64 v[162:163], v[162:163], -v[176:177]
	v_fma_f64 v[176:177], -v[164:165], v[192:193], 1.0
	v_fmac_f64_e32 v[192:193], v[176:177], v[192:193]
	v_fma_f64 v[176:177], -v[164:165], v[192:193], 1.0
	v_fmac_f64_e32 v[192:193], v[176:177], v[192:193]
	v_mul_f64 v[176:177], v[178:179], v[192:193]
	v_mul_f64 v[180:181], v[164:165], v[176:177]
	v_fma_f64 v[194:195], v[176:177], v[164:165], -v[180:181]
	v_fmac_f64_e32 v[194:195], v[176:177], v[162:163]
	v_add_f64 v[196:197], v[180:181], v[194:195]
	v_add_f64 v[198:199], v[178:179], -v[196:197]
	v_add_f64 v[178:179], v[178:179], -v[198:199]
	;; [unrolled: 1-line block ×4, first 2 shown]
	v_add_f64 v[166:167], v[166:167], v[178:179]
	v_add_f64 v[178:179], v[180:181], -v[194:195]
	v_add_f64 v[166:167], v[178:179], v[166:167]
	v_add_f64 v[178:179], v[198:199], v[166:167]
	v_add_f64 v[180:181], v[198:199], -v[178:179]
	v_add_f64 v[166:167], v[166:167], v[180:181]
	v_mul_f64 v[180:181], v[192:193], v[178:179]
	v_mul_f64 v[194:195], v[164:165], v[180:181]
	v_fma_f64 v[164:165], v[180:181], v[164:165], -v[194:195]
	v_fmac_f64_e32 v[164:165], v[180:181], v[162:163]
	v_add_f64 v[162:163], v[194:195], v[164:165]
	v_add_f64 v[196:197], v[178:179], -v[162:163]
	v_add_f64 v[178:179], v[178:179], -v[196:197]
	;; [unrolled: 1-line block ×4, first 2 shown]
	v_add_f64 v[162:163], v[166:167], v[162:163]
	v_add_f64 v[164:165], v[194:195], -v[164:165]
	v_add_f64 v[162:163], v[164:165], v[162:163]
	v_add_f64 v[164:165], v[176:177], v[180:181]
	;; [unrolled: 1-line block ×3, first 2 shown]
	v_add_f64 v[166:167], v[164:165], -v[176:177]
	v_mul_f64 v[162:163], v[192:193], v[162:163]
	v_add_f64 v[166:167], v[180:181], -v[166:167]
	v_add_f64 v[162:163], v[166:167], v[162:163]
	v_add_f64 v[166:167], v[164:165], v[162:163]
	v_add_f64 v[164:165], v[166:167], -v[164:165]
	s_mov_b32 vcc_lo, 0xbf559e2b
	v_add_f64 v[162:163], v[162:163], -v[164:165]
	v_mul_f64 v[164:165], v[166:167], v[166:167]
	v_mov_b32_e32 v176, 0x6b47b09a
	v_mov_b32_e32 v177, 0x3fc38538
	s_mov_b32 vcc_hi, 0x3fc3ab76
	v_fmac_f64_e32 v[176:177], vcc, v[164:165]
	v_mov_b32_e32 v178, 0xd7f4df2e
	v_mov_b32_e32 v179, 0x3fc7474d
	v_fmac_f64_e32 v[178:179], v[164:165], v[176:177]
	v_mov_b32_e32 v176, 0x16291751
	v_mov_b32_e32 v177, 0x3fcc71c0
	v_fmac_f64_e32 v[176:177], v[164:165], v[178:179]
	;; [unrolled: 3-line block ×5, first 2 shown]
	v_cvt_f64_i32_e32 v[176:177], v149
	v_mul_f64 v[180:181], v[176:177], s[48:49]
	v_fma_f64 v[192:193], v[176:177], s[48:49], -v[180:181]
	v_fmac_f64_e32 v[192:193], s[50:51], v[176:177]
	v_add_f64 v[176:177], v[180:181], v[192:193]
	v_add_f64 v[180:181], v[176:177], -v[180:181]
	v_mul_f64 v[164:165], v[166:167], v[164:165]
	v_add_f64 v[180:181], v[192:193], -v[180:181]
	v_ldexp_f64 v[192:193], v[166:167], 1
	v_mul_f64 v[164:165], v[164:165], v[178:179]
	v_add_f64 v[166:167], v[192:193], v[164:165]
	v_add_f64 v[178:179], v[166:167], -v[192:193]
	v_ldexp_f64 v[162:163], v[162:163], 1
	v_add_f64 v[164:165], v[164:165], -v[178:179]
	v_add_f64 v[162:163], v[162:163], v[164:165]
	v_add_f64 v[164:165], v[166:167], v[162:163]
	v_add_f64 v[166:167], v[164:165], -v[166:167]
	v_add_f64 v[162:163], v[162:163], -v[166:167]
	v_add_f64 v[166:167], v[176:177], v[164:165]
	v_add_f64 v[178:179], v[166:167], -v[176:177]
	v_add_f64 v[192:193], v[166:167], -v[178:179]
	;; [unrolled: 1-line block ×4, first 2 shown]
	v_add_f64 v[164:165], v[164:165], v[176:177]
	v_add_f64 v[176:177], v[180:181], v[162:163]
	v_add_f64 v[178:179], v[176:177], -v[180:181]
	v_add_f64 v[164:165], v[176:177], v[164:165]
	v_add_f64 v[192:193], v[176:177], -v[178:179]
	;; [unrolled: 2-line block ×3, first 2 shown]
	v_add_f64 v[162:163], v[162:163], -v[178:179]
	v_add_f64 v[166:167], v[176:177], -v[166:167]
	v_add_f64 v[162:163], v[162:163], v[180:181]
	v_add_f64 v[164:165], v[164:165], -v[166:167]
	s_mov_b32 vcc_lo, 0
	v_add_f64 v[162:163], v[162:163], v[164:165]
	s_mov_b32 vcc_hi, 0x7ff00000
	v_add_f64 v[162:163], v[176:177], v[162:163]
	v_cmp_eq_f64_e32 vcc, vcc, v[160:161]
	s_nop 1
	v_cndmask_b32_e32 v149, v162, v160, vcc
	v_cndmask_b32_e32 v162, v163, v161, vcc
	v_mov_b32_e32 v163, 0x7ff80000
	v_cmp_ngt_f64_e32 vcc, -1.0, v[160:161]
	s_nop 1
	v_cndmask_b32_e32 v163, v163, v162, vcc
	v_cmp_nge_f64_e32 vcc, -1.0, v[160:161]
	s_nop 1
	v_cndmask_b32_e32 v162, 0, v149, vcc
	v_mov_b32_e32 v149, 0xfff00000
	v_cmp_neq_f64_e32 vcc, -1.0, v[160:161]
	s_nop 1
	v_cndmask_b32_e32 v163, v149, v163, vcc
	v_add_f64 v[162:163], v[6:7], v[162:163]
.LBB70_149:
	s_or_b64 exec, exec, s[46:47]
	v_mov_b32_e32 v160, v162
	v_mov_b32_e32 v161, v163
	v_mov_b64_e32 v[6:7], v[162:163]
.LBB70_150:
	s_or_b64 exec, exec, s[42:43]
	v_cmp_gt_u32_e32 vcc, 56, v53
	v_add_u32_e32 v45, 8, v53
	s_nop 0
	v_cndmask_b32_e64 v149, 0, 1, vcc
	v_lshlrev_b32_e32 v149, 3, v149
	v_add_lshl_u32 v44, v149, v182, 2
	s_waitcnt lgkmcnt(1)
	ds_bpermute_b32 v162, v44, v160
	s_waitcnt lgkmcnt(1)
	ds_bpermute_b32 v163, v44, v161
	v_cmp_le_u32_e32 vcc, v45, v9
	s_and_saveexec_b64 s[42:43], vcc
	s_cbranch_execz .LBB70_154
; %bb.151:
	s_waitcnt lgkmcnt(0)
	v_max_f64 v[164:165], v[162:163], v[162:163]
	v_max_f64 v[166:167], v[6:7], v[6:7]
	v_min_f64 v[160:161], v[164:165], v[166:167]
	v_cmp_u_f64_e32 vcc, v[162:163], v[162:163]
	v_cmp_u_f64_e64 s[40:41], v[6:7], v[6:7]
	v_max_f64 v[164:165], v[164:165], v[166:167]
	v_cndmask_b32_e32 v149, v160, v162, vcc
	v_cndmask_b32_e32 v160, v161, v163, vcc
	v_cndmask_b32_e64 v161, v160, v7, s[40:41]
	v_cndmask_b32_e64 v160, v149, v6, s[40:41]
	v_cndmask_b32_e32 v149, v164, v162, vcc
	v_cndmask_b32_e32 v164, v165, v163, vcc
	v_cndmask_b32_e64 v7, v164, v7, s[40:41]
	v_cndmask_b32_e64 v6, v149, v6, s[40:41]
	s_movk_i32 s40, 0x1f8
	v_cmp_neq_f64_e32 vcc, v[160:161], v[6:7]
	v_cmp_class_f64_e64 s[40:41], v[160:161], s40
	s_or_b64 vcc, vcc, s[40:41]
	s_and_saveexec_b64 s[46:47], vcc
	s_cbranch_execz .LBB70_153
; %bb.152:
	s_mov_b32 vcc_lo, 0x652b82fe
	v_add_f64 v[160:161], v[160:161], -v[6:7]
	s_mov_b32 vcc_hi, 0x3ff71547
	v_mul_f64 v[162:163], v[160:161], vcc
	v_rndne_f64_e32 v[162:163], v[162:163]
	s_mov_b32 s49, 0xbfe62e42
	s_mov_b32 s48, 0xfefa39ef
	v_fma_f64 v[164:165], s[48:49], v[162:163], v[160:161]
	s_mov_b32 s51, 0xbc7abc9e
	s_mov_b32 s50, 0x3b39803f
	s_mov_b32 vcc_lo, 0x6a5dcb37
	v_fmac_f64_e32 v[164:165], s[50:51], v[162:163]
	v_mov_b32_e32 v166, 0xfca7ab0c
	v_mov_b32_e32 v167, 0x3e928af3
	s_mov_b32 vcc_hi, 0x3e5ade15
	v_fmac_f64_e32 v[166:167], vcc, v[164:165]
	v_mov_b32_e32 v176, 0x623fde64
	v_mov_b32_e32 v177, 0x3ec71dee
	v_fmac_f64_e32 v[176:177], v[164:165], v[166:167]
	v_mov_b32_e32 v166, 0x7c89e6b0
	v_mov_b32_e32 v167, 0x3efa0199
	v_fmac_f64_e32 v[166:167], v[164:165], v[176:177]
	;; [unrolled: 3-line block ×8, first 2 shown]
	v_fma_f64 v[166:167], v[164:165], v[166:167], 1.0
	s_mov_b32 vcc_lo, 0
	s_mov_b32 s40, 0
	v_fma_f64 v[164:165], v[164:165], v[166:167], 1.0
	v_cvt_i32_f64_e32 v149, v[162:163]
	s_mov_b32 vcc_hi, 0x40900000
	s_mov_b32 s41, 0xc090cc00
	v_ldexp_f64 v[162:163], v[164:165], v149
	v_mov_b32_e32 v149, 0x7ff00000
	v_cmp_nlt_f64_e32 vcc, vcc, v[160:161]
	v_cmp_ngt_f64_e64 s[40:41], s[40:41], v[160:161]
	s_mov_b32 s49, 0x3fe62e42
	v_cndmask_b32_e32 v149, v149, v163, vcc
	s_and_b64 vcc, s[40:41], vcc
	v_cndmask_b32_e64 v161, 0, v149, s[40:41]
	v_cndmask_b32_e32 v160, 0, v162, vcc
	v_add_f64 v[162:163], v[160:161], 1.0
	v_add_f64 v[164:165], v[162:163], -1.0
	v_add_f64 v[166:167], v[164:165], -v[162:163]
	v_add_f64 v[166:167], v[166:167], 1.0
	v_add_f64 v[164:165], v[160:161], -v[164:165]
	s_mov_b32 vcc_lo, 0x55555555
	v_add_f64 v[164:165], v[164:165], v[166:167]
	v_frexp_mant_f64_e32 v[166:167], v[162:163]
	s_mov_b32 vcc_hi, 0x3fe55555
	v_frexp_exp_i32_f64_e32 v149, v[162:163]
	v_cmp_gt_f64_e32 vcc, vcc, v[166:167]
	s_mov_b32 s51, 0x3c7abc9e
	s_nop 0
	v_subbrev_co_u32_e32 v149, vcc, 0, v149, vcc
	v_sub_u32_e32 v166, 0, v149
	v_ldexp_f64 v[162:163], v[162:163], v166
	v_ldexp_f64 v[164:165], v[164:165], v166
	v_add_f64 v[166:167], v[162:163], -1.0
	v_add_f64 v[180:181], v[162:163], 1.0
	v_add_f64 v[176:177], v[166:167], 1.0
	v_add_f64 v[192:193], v[180:181], -1.0
	v_add_f64 v[176:177], v[162:163], -v[176:177]
	v_add_f64 v[162:163], v[162:163], -v[192:193]
	v_add_f64 v[162:163], v[164:165], v[162:163]
	v_add_f64 v[176:177], v[164:165], v[176:177]
	;; [unrolled: 1-line block ×3, first 2 shown]
	v_rcp_f64_e32 v[192:193], v[164:165]
	v_add_f64 v[178:179], v[166:167], v[176:177]
	v_add_f64 v[166:167], v[178:179], -v[166:167]
	v_add_f64 v[166:167], v[176:177], -v[166:167]
	;; [unrolled: 1-line block ×4, first 2 shown]
	v_fma_f64 v[176:177], -v[164:165], v[192:193], 1.0
	v_fmac_f64_e32 v[192:193], v[176:177], v[192:193]
	v_fma_f64 v[176:177], -v[164:165], v[192:193], 1.0
	v_fmac_f64_e32 v[192:193], v[176:177], v[192:193]
	v_mul_f64 v[176:177], v[178:179], v[192:193]
	v_mul_f64 v[180:181], v[164:165], v[176:177]
	v_fma_f64 v[194:195], v[176:177], v[164:165], -v[180:181]
	v_fmac_f64_e32 v[194:195], v[176:177], v[162:163]
	v_add_f64 v[196:197], v[180:181], v[194:195]
	v_add_f64 v[198:199], v[178:179], -v[196:197]
	v_add_f64 v[178:179], v[178:179], -v[198:199]
	v_add_f64 v[180:181], v[196:197], -v[180:181]
	v_add_f64 v[178:179], v[178:179], -v[196:197]
	v_add_f64 v[166:167], v[166:167], v[178:179]
	v_add_f64 v[178:179], v[180:181], -v[194:195]
	v_add_f64 v[166:167], v[178:179], v[166:167]
	v_add_f64 v[178:179], v[198:199], v[166:167]
	v_add_f64 v[180:181], v[198:199], -v[178:179]
	v_add_f64 v[166:167], v[166:167], v[180:181]
	v_mul_f64 v[180:181], v[192:193], v[178:179]
	v_mul_f64 v[194:195], v[164:165], v[180:181]
	v_fma_f64 v[164:165], v[180:181], v[164:165], -v[194:195]
	v_fmac_f64_e32 v[164:165], v[180:181], v[162:163]
	v_add_f64 v[162:163], v[194:195], v[164:165]
	v_add_f64 v[196:197], v[178:179], -v[162:163]
	v_add_f64 v[178:179], v[178:179], -v[196:197]
	;; [unrolled: 1-line block ×4, first 2 shown]
	v_add_f64 v[162:163], v[166:167], v[162:163]
	v_add_f64 v[164:165], v[194:195], -v[164:165]
	v_add_f64 v[162:163], v[164:165], v[162:163]
	v_add_f64 v[164:165], v[176:177], v[180:181]
	;; [unrolled: 1-line block ×3, first 2 shown]
	v_add_f64 v[166:167], v[164:165], -v[176:177]
	v_mul_f64 v[162:163], v[192:193], v[162:163]
	v_add_f64 v[166:167], v[180:181], -v[166:167]
	v_add_f64 v[162:163], v[166:167], v[162:163]
	v_add_f64 v[166:167], v[164:165], v[162:163]
	v_add_f64 v[164:165], v[166:167], -v[164:165]
	s_mov_b32 vcc_lo, 0xbf559e2b
	v_add_f64 v[162:163], v[162:163], -v[164:165]
	v_mul_f64 v[164:165], v[166:167], v[166:167]
	v_mov_b32_e32 v176, 0x6b47b09a
	v_mov_b32_e32 v177, 0x3fc38538
	s_mov_b32 vcc_hi, 0x3fc3ab76
	v_fmac_f64_e32 v[176:177], vcc, v[164:165]
	v_mov_b32_e32 v178, 0xd7f4df2e
	v_mov_b32_e32 v179, 0x3fc7474d
	v_fmac_f64_e32 v[178:179], v[164:165], v[176:177]
	v_mov_b32_e32 v176, 0x16291751
	v_mov_b32_e32 v177, 0x3fcc71c0
	v_fmac_f64_e32 v[176:177], v[164:165], v[178:179]
	;; [unrolled: 3-line block ×5, first 2 shown]
	v_cvt_f64_i32_e32 v[176:177], v149
	v_mul_f64 v[180:181], v[176:177], s[48:49]
	v_fma_f64 v[192:193], v[176:177], s[48:49], -v[180:181]
	v_fmac_f64_e32 v[192:193], s[50:51], v[176:177]
	v_add_f64 v[176:177], v[180:181], v[192:193]
	v_add_f64 v[180:181], v[176:177], -v[180:181]
	v_mul_f64 v[164:165], v[166:167], v[164:165]
	v_add_f64 v[180:181], v[192:193], -v[180:181]
	v_ldexp_f64 v[192:193], v[166:167], 1
	v_mul_f64 v[164:165], v[164:165], v[178:179]
	v_add_f64 v[166:167], v[192:193], v[164:165]
	v_add_f64 v[178:179], v[166:167], -v[192:193]
	v_ldexp_f64 v[162:163], v[162:163], 1
	v_add_f64 v[164:165], v[164:165], -v[178:179]
	v_add_f64 v[162:163], v[162:163], v[164:165]
	v_add_f64 v[164:165], v[166:167], v[162:163]
	v_add_f64 v[166:167], v[164:165], -v[166:167]
	v_add_f64 v[162:163], v[162:163], -v[166:167]
	v_add_f64 v[166:167], v[176:177], v[164:165]
	v_add_f64 v[178:179], v[166:167], -v[176:177]
	v_add_f64 v[192:193], v[166:167], -v[178:179]
	;; [unrolled: 1-line block ×4, first 2 shown]
	v_add_f64 v[164:165], v[164:165], v[176:177]
	v_add_f64 v[176:177], v[180:181], v[162:163]
	v_add_f64 v[178:179], v[176:177], -v[180:181]
	v_add_f64 v[164:165], v[176:177], v[164:165]
	v_add_f64 v[192:193], v[176:177], -v[178:179]
	;; [unrolled: 2-line block ×3, first 2 shown]
	v_add_f64 v[162:163], v[162:163], -v[178:179]
	v_add_f64 v[166:167], v[176:177], -v[166:167]
	v_add_f64 v[162:163], v[162:163], v[180:181]
	v_add_f64 v[164:165], v[164:165], -v[166:167]
	s_mov_b32 vcc_lo, 0
	v_add_f64 v[162:163], v[162:163], v[164:165]
	s_mov_b32 vcc_hi, 0x7ff00000
	v_add_f64 v[162:163], v[176:177], v[162:163]
	v_cmp_eq_f64_e32 vcc, vcc, v[160:161]
	s_nop 1
	v_cndmask_b32_e32 v149, v162, v160, vcc
	v_cndmask_b32_e32 v162, v163, v161, vcc
	v_mov_b32_e32 v163, 0x7ff80000
	v_cmp_ngt_f64_e32 vcc, -1.0, v[160:161]
	s_nop 1
	v_cndmask_b32_e32 v163, v163, v162, vcc
	v_cmp_nge_f64_e32 vcc, -1.0, v[160:161]
	s_nop 1
	v_cndmask_b32_e32 v162, 0, v149, vcc
	v_mov_b32_e32 v149, 0xfff00000
	v_cmp_neq_f64_e32 vcc, -1.0, v[160:161]
	s_nop 1
	v_cndmask_b32_e32 v163, v149, v163, vcc
	v_add_f64 v[162:163], v[6:7], v[162:163]
.LBB70_153:
	s_or_b64 exec, exec, s[46:47]
	v_mov_b32_e32 v160, v162
	v_mov_b32_e32 v161, v163
	v_mov_b64_e32 v[6:7], v[162:163]
.LBB70_154:
	s_or_b64 exec, exec, s[42:43]
	v_cmp_gt_u32_e32 vcc, 48, v53
	v_add_u32_e32 v47, 16, v53
	s_nop 0
	v_cndmask_b32_e64 v149, 0, 1, vcc
	v_lshlrev_b32_e32 v149, 4, v149
	v_add_lshl_u32 v46, v149, v182, 2
	s_waitcnt lgkmcnt(1)
	ds_bpermute_b32 v162, v46, v160
	s_waitcnt lgkmcnt(1)
	ds_bpermute_b32 v163, v46, v161
	v_cmp_le_u32_e32 vcc, v47, v9
	s_and_saveexec_b64 s[42:43], vcc
	s_cbranch_execz .LBB70_158
; %bb.155:
	s_waitcnt lgkmcnt(0)
	v_max_f64 v[164:165], v[162:163], v[162:163]
	v_max_f64 v[166:167], v[6:7], v[6:7]
	v_min_f64 v[160:161], v[164:165], v[166:167]
	v_cmp_u_f64_e32 vcc, v[162:163], v[162:163]
	v_cmp_u_f64_e64 s[40:41], v[6:7], v[6:7]
	v_max_f64 v[164:165], v[164:165], v[166:167]
	v_cndmask_b32_e32 v149, v160, v162, vcc
	v_cndmask_b32_e32 v160, v161, v163, vcc
	v_cndmask_b32_e64 v161, v160, v7, s[40:41]
	v_cndmask_b32_e64 v160, v149, v6, s[40:41]
	v_cndmask_b32_e32 v149, v164, v162, vcc
	v_cndmask_b32_e32 v164, v165, v163, vcc
	v_cndmask_b32_e64 v7, v164, v7, s[40:41]
	v_cndmask_b32_e64 v6, v149, v6, s[40:41]
	s_movk_i32 s40, 0x1f8
	v_cmp_neq_f64_e32 vcc, v[160:161], v[6:7]
	v_cmp_class_f64_e64 s[40:41], v[160:161], s40
	s_or_b64 vcc, vcc, s[40:41]
	s_and_saveexec_b64 s[46:47], vcc
	s_cbranch_execz .LBB70_157
; %bb.156:
	s_mov_b32 vcc_lo, 0x652b82fe
	v_add_f64 v[160:161], v[160:161], -v[6:7]
	s_mov_b32 vcc_hi, 0x3ff71547
	v_mul_f64 v[162:163], v[160:161], vcc
	v_rndne_f64_e32 v[162:163], v[162:163]
	s_mov_b32 s49, 0xbfe62e42
	s_mov_b32 s48, 0xfefa39ef
	v_fma_f64 v[164:165], s[48:49], v[162:163], v[160:161]
	s_mov_b32 s51, 0xbc7abc9e
	s_mov_b32 s50, 0x3b39803f
	s_mov_b32 vcc_lo, 0x6a5dcb37
	v_fmac_f64_e32 v[164:165], s[50:51], v[162:163]
	v_mov_b32_e32 v166, 0xfca7ab0c
	v_mov_b32_e32 v167, 0x3e928af3
	s_mov_b32 vcc_hi, 0x3e5ade15
	v_fmac_f64_e32 v[166:167], vcc, v[164:165]
	v_mov_b32_e32 v176, 0x623fde64
	v_mov_b32_e32 v177, 0x3ec71dee
	v_fmac_f64_e32 v[176:177], v[164:165], v[166:167]
	v_mov_b32_e32 v166, 0x7c89e6b0
	v_mov_b32_e32 v167, 0x3efa0199
	v_fmac_f64_e32 v[166:167], v[164:165], v[176:177]
	;; [unrolled: 3-line block ×8, first 2 shown]
	v_fma_f64 v[166:167], v[164:165], v[166:167], 1.0
	s_mov_b32 vcc_lo, 0
	s_mov_b32 s40, 0
	v_fma_f64 v[164:165], v[164:165], v[166:167], 1.0
	v_cvt_i32_f64_e32 v149, v[162:163]
	s_mov_b32 vcc_hi, 0x40900000
	s_mov_b32 s41, 0xc090cc00
	v_ldexp_f64 v[162:163], v[164:165], v149
	v_mov_b32_e32 v149, 0x7ff00000
	v_cmp_nlt_f64_e32 vcc, vcc, v[160:161]
	v_cmp_ngt_f64_e64 s[40:41], s[40:41], v[160:161]
	s_mov_b32 s49, 0x3fe62e42
	v_cndmask_b32_e32 v149, v149, v163, vcc
	s_and_b64 vcc, s[40:41], vcc
	v_cndmask_b32_e64 v161, 0, v149, s[40:41]
	v_cndmask_b32_e32 v160, 0, v162, vcc
	v_add_f64 v[162:163], v[160:161], 1.0
	v_add_f64 v[164:165], v[162:163], -1.0
	v_add_f64 v[166:167], v[164:165], -v[162:163]
	v_add_f64 v[166:167], v[166:167], 1.0
	v_add_f64 v[164:165], v[160:161], -v[164:165]
	s_mov_b32 vcc_lo, 0x55555555
	v_add_f64 v[164:165], v[164:165], v[166:167]
	v_frexp_mant_f64_e32 v[166:167], v[162:163]
	s_mov_b32 vcc_hi, 0x3fe55555
	v_frexp_exp_i32_f64_e32 v149, v[162:163]
	v_cmp_gt_f64_e32 vcc, vcc, v[166:167]
	s_mov_b32 s51, 0x3c7abc9e
	s_nop 0
	v_subbrev_co_u32_e32 v149, vcc, 0, v149, vcc
	v_sub_u32_e32 v166, 0, v149
	v_ldexp_f64 v[162:163], v[162:163], v166
	v_ldexp_f64 v[164:165], v[164:165], v166
	v_add_f64 v[166:167], v[162:163], -1.0
	v_add_f64 v[180:181], v[162:163], 1.0
	v_add_f64 v[176:177], v[166:167], 1.0
	v_add_f64 v[192:193], v[180:181], -1.0
	v_add_f64 v[176:177], v[162:163], -v[176:177]
	v_add_f64 v[162:163], v[162:163], -v[192:193]
	v_add_f64 v[162:163], v[164:165], v[162:163]
	v_add_f64 v[176:177], v[164:165], v[176:177]
	;; [unrolled: 1-line block ×3, first 2 shown]
	v_rcp_f64_e32 v[192:193], v[164:165]
	v_add_f64 v[178:179], v[166:167], v[176:177]
	v_add_f64 v[166:167], v[178:179], -v[166:167]
	v_add_f64 v[166:167], v[176:177], -v[166:167]
	;; [unrolled: 1-line block ×4, first 2 shown]
	v_fma_f64 v[176:177], -v[164:165], v[192:193], 1.0
	v_fmac_f64_e32 v[192:193], v[176:177], v[192:193]
	v_fma_f64 v[176:177], -v[164:165], v[192:193], 1.0
	v_fmac_f64_e32 v[192:193], v[176:177], v[192:193]
	v_mul_f64 v[176:177], v[178:179], v[192:193]
	v_mul_f64 v[180:181], v[164:165], v[176:177]
	v_fma_f64 v[194:195], v[176:177], v[164:165], -v[180:181]
	v_fmac_f64_e32 v[194:195], v[176:177], v[162:163]
	v_add_f64 v[196:197], v[180:181], v[194:195]
	v_add_f64 v[198:199], v[178:179], -v[196:197]
	v_add_f64 v[178:179], v[178:179], -v[198:199]
	;; [unrolled: 1-line block ×4, first 2 shown]
	v_add_f64 v[166:167], v[166:167], v[178:179]
	v_add_f64 v[178:179], v[180:181], -v[194:195]
	v_add_f64 v[166:167], v[178:179], v[166:167]
	v_add_f64 v[178:179], v[198:199], v[166:167]
	v_add_f64 v[180:181], v[198:199], -v[178:179]
	v_add_f64 v[166:167], v[166:167], v[180:181]
	v_mul_f64 v[180:181], v[192:193], v[178:179]
	v_mul_f64 v[194:195], v[164:165], v[180:181]
	v_fma_f64 v[164:165], v[180:181], v[164:165], -v[194:195]
	v_fmac_f64_e32 v[164:165], v[180:181], v[162:163]
	v_add_f64 v[162:163], v[194:195], v[164:165]
	v_add_f64 v[196:197], v[178:179], -v[162:163]
	v_add_f64 v[178:179], v[178:179], -v[196:197]
	;; [unrolled: 1-line block ×4, first 2 shown]
	v_add_f64 v[162:163], v[166:167], v[162:163]
	v_add_f64 v[164:165], v[194:195], -v[164:165]
	v_add_f64 v[162:163], v[164:165], v[162:163]
	v_add_f64 v[164:165], v[176:177], v[180:181]
	;; [unrolled: 1-line block ×3, first 2 shown]
	v_add_f64 v[166:167], v[164:165], -v[176:177]
	v_mul_f64 v[162:163], v[192:193], v[162:163]
	v_add_f64 v[166:167], v[180:181], -v[166:167]
	v_add_f64 v[162:163], v[166:167], v[162:163]
	v_add_f64 v[166:167], v[164:165], v[162:163]
	v_add_f64 v[164:165], v[166:167], -v[164:165]
	s_mov_b32 vcc_lo, 0xbf559e2b
	v_add_f64 v[162:163], v[162:163], -v[164:165]
	v_mul_f64 v[164:165], v[166:167], v[166:167]
	v_mov_b32_e32 v176, 0x6b47b09a
	v_mov_b32_e32 v177, 0x3fc38538
	s_mov_b32 vcc_hi, 0x3fc3ab76
	v_fmac_f64_e32 v[176:177], vcc, v[164:165]
	v_mov_b32_e32 v178, 0xd7f4df2e
	v_mov_b32_e32 v179, 0x3fc7474d
	v_fmac_f64_e32 v[178:179], v[164:165], v[176:177]
	v_mov_b32_e32 v176, 0x16291751
	v_mov_b32_e32 v177, 0x3fcc71c0
	v_fmac_f64_e32 v[176:177], v[164:165], v[178:179]
	;; [unrolled: 3-line block ×5, first 2 shown]
	v_cvt_f64_i32_e32 v[176:177], v149
	v_mul_f64 v[180:181], v[176:177], s[48:49]
	v_fma_f64 v[192:193], v[176:177], s[48:49], -v[180:181]
	v_fmac_f64_e32 v[192:193], s[50:51], v[176:177]
	v_add_f64 v[176:177], v[180:181], v[192:193]
	v_add_f64 v[180:181], v[176:177], -v[180:181]
	v_mul_f64 v[164:165], v[166:167], v[164:165]
	v_add_f64 v[180:181], v[192:193], -v[180:181]
	v_ldexp_f64 v[192:193], v[166:167], 1
	v_mul_f64 v[164:165], v[164:165], v[178:179]
	v_add_f64 v[166:167], v[192:193], v[164:165]
	v_add_f64 v[178:179], v[166:167], -v[192:193]
	v_ldexp_f64 v[162:163], v[162:163], 1
	v_add_f64 v[164:165], v[164:165], -v[178:179]
	v_add_f64 v[162:163], v[162:163], v[164:165]
	v_add_f64 v[164:165], v[166:167], v[162:163]
	v_add_f64 v[166:167], v[164:165], -v[166:167]
	v_add_f64 v[162:163], v[162:163], -v[166:167]
	v_add_f64 v[166:167], v[176:177], v[164:165]
	v_add_f64 v[178:179], v[166:167], -v[176:177]
	v_add_f64 v[192:193], v[166:167], -v[178:179]
	;; [unrolled: 1-line block ×4, first 2 shown]
	v_add_f64 v[164:165], v[164:165], v[176:177]
	v_add_f64 v[176:177], v[180:181], v[162:163]
	v_add_f64 v[178:179], v[176:177], -v[180:181]
	v_add_f64 v[164:165], v[176:177], v[164:165]
	v_add_f64 v[192:193], v[176:177], -v[178:179]
	v_add_f64 v[176:177], v[166:167], v[164:165]
	v_add_f64 v[180:181], v[180:181], -v[192:193]
	v_add_f64 v[162:163], v[162:163], -v[178:179]
	v_add_f64 v[166:167], v[176:177], -v[166:167]
	v_add_f64 v[162:163], v[162:163], v[180:181]
	v_add_f64 v[164:165], v[164:165], -v[166:167]
	s_mov_b32 vcc_lo, 0
	v_add_f64 v[162:163], v[162:163], v[164:165]
	s_mov_b32 vcc_hi, 0x7ff00000
	v_add_f64 v[162:163], v[176:177], v[162:163]
	v_cmp_eq_f64_e32 vcc, vcc, v[160:161]
	s_nop 1
	v_cndmask_b32_e32 v149, v162, v160, vcc
	v_cndmask_b32_e32 v162, v163, v161, vcc
	v_mov_b32_e32 v163, 0x7ff80000
	v_cmp_ngt_f64_e32 vcc, -1.0, v[160:161]
	s_nop 1
	v_cndmask_b32_e32 v163, v163, v162, vcc
	v_cmp_nge_f64_e32 vcc, -1.0, v[160:161]
	s_nop 1
	v_cndmask_b32_e32 v162, 0, v149, vcc
	v_mov_b32_e32 v149, 0xfff00000
	v_cmp_neq_f64_e32 vcc, -1.0, v[160:161]
	s_nop 1
	v_cndmask_b32_e32 v163, v149, v163, vcc
	v_add_f64 v[162:163], v[6:7], v[162:163]
.LBB70_157:
	s_or_b64 exec, exec, s[46:47]
	v_mov_b32_e32 v160, v162
	v_mov_b32_e32 v161, v163
	v_mov_b64_e32 v[6:7], v[162:163]
.LBB70_158:
	s_or_b64 exec, exec, s[42:43]
	v_cmp_gt_u32_e32 vcc, 32, v53
	v_add_u32_e32 v57, 32, v53
	s_nop 0
	v_cndmask_b32_e64 v149, 0, 1, vcc
	v_lshlrev_b32_e32 v149, 5, v149
	v_add_lshl_u32 v56, v149, v182, 2
	ds_bpermute_b32 v160, v56, v160
	ds_bpermute_b32 v161, v56, v161
	v_cmp_le_u32_e32 vcc, v57, v9
	s_and_saveexec_b64 s[42:43], vcc
	s_cbranch_execz .LBB70_162
; %bb.159:
	s_waitcnt lgkmcnt(0)
	v_max_f64 v[164:165], v[160:161], v[160:161]
	v_max_f64 v[166:167], v[6:7], v[6:7]
	v_min_f64 v[162:163], v[164:165], v[166:167]
	v_cmp_u_f64_e32 vcc, v[160:161], v[160:161]
	v_cmp_u_f64_e64 s[40:41], v[6:7], v[6:7]
	v_max_f64 v[164:165], v[164:165], v[166:167]
	v_cndmask_b32_e32 v9, v162, v160, vcc
	v_cndmask_b32_e32 v149, v163, v161, vcc
	v_cndmask_b32_e64 v163, v149, v7, s[40:41]
	v_cndmask_b32_e64 v162, v9, v6, s[40:41]
	v_cndmask_b32_e32 v9, v164, v160, vcc
	v_cndmask_b32_e32 v149, v165, v161, vcc
	v_cndmask_b32_e64 v7, v149, v7, s[40:41]
	v_cndmask_b32_e64 v6, v9, v6, s[40:41]
	s_movk_i32 s40, 0x1f8
	v_cmp_neq_f64_e32 vcc, v[162:163], v[6:7]
	v_cmp_class_f64_e64 s[40:41], v[162:163], s40
	s_or_b64 vcc, vcc, s[40:41]
	s_and_saveexec_b64 s[46:47], vcc
	s_cbranch_execz .LBB70_161
; %bb.160:
	s_mov_b32 vcc_lo, 0x652b82fe
	v_add_f64 v[160:161], v[162:163], -v[6:7]
	s_mov_b32 vcc_hi, 0x3ff71547
	v_mul_f64 v[162:163], v[160:161], vcc
	v_rndne_f64_e32 v[162:163], v[162:163]
	s_mov_b32 s49, 0xbfe62e42
	s_mov_b32 s48, 0xfefa39ef
	v_fma_f64 v[164:165], s[48:49], v[162:163], v[160:161]
	s_mov_b32 s51, 0xbc7abc9e
	s_mov_b32 s50, 0x3b39803f
	s_mov_b32 vcc_lo, 0x6a5dcb37
	v_fmac_f64_e32 v[164:165], s[50:51], v[162:163]
	v_mov_b32_e32 v166, 0xfca7ab0c
	v_mov_b32_e32 v167, 0x3e928af3
	s_mov_b32 vcc_hi, 0x3e5ade15
	v_fmac_f64_e32 v[166:167], vcc, v[164:165]
	v_mov_b32_e32 v176, 0x623fde64
	v_mov_b32_e32 v177, 0x3ec71dee
	v_fmac_f64_e32 v[176:177], v[164:165], v[166:167]
	v_mov_b32_e32 v166, 0x7c89e6b0
	v_mov_b32_e32 v167, 0x3efa0199
	v_fmac_f64_e32 v[166:167], v[164:165], v[176:177]
	;; [unrolled: 3-line block ×8, first 2 shown]
	v_fma_f64 v[166:167], v[164:165], v[166:167], 1.0
	s_mov_b32 vcc_lo, 0
	s_mov_b32 s40, 0
	v_fma_f64 v[164:165], v[164:165], v[166:167], 1.0
	v_cvt_i32_f64_e32 v9, v[162:163]
	s_mov_b32 vcc_hi, 0x40900000
	s_mov_b32 s41, 0xc090cc00
	v_ldexp_f64 v[162:163], v[164:165], v9
	v_mov_b32_e32 v9, 0x7ff00000
	v_cmp_nlt_f64_e32 vcc, vcc, v[160:161]
	v_cmp_ngt_f64_e64 s[40:41], s[40:41], v[160:161]
	s_mov_b32 s49, 0x3fe62e42
	v_cndmask_b32_e32 v9, v9, v163, vcc
	s_and_b64 vcc, s[40:41], vcc
	v_cndmask_b32_e64 v161, 0, v9, s[40:41]
	v_cndmask_b32_e32 v160, 0, v162, vcc
	v_add_f64 v[162:163], v[160:161], 1.0
	v_add_f64 v[164:165], v[162:163], -1.0
	v_add_f64 v[166:167], v[164:165], -v[162:163]
	v_add_f64 v[166:167], v[166:167], 1.0
	v_add_f64 v[164:165], v[160:161], -v[164:165]
	s_mov_b32 vcc_lo, 0x55555555
	v_add_f64 v[164:165], v[164:165], v[166:167]
	v_frexp_mant_f64_e32 v[166:167], v[162:163]
	s_mov_b32 vcc_hi, 0x3fe55555
	v_frexp_exp_i32_f64_e32 v9, v[162:163]
	v_cmp_gt_f64_e32 vcc, vcc, v[166:167]
	s_mov_b32 s51, 0x3c7abc9e
	s_nop 0
	v_subbrev_co_u32_e32 v9, vcc, 0, v9, vcc
	v_sub_u32_e32 v149, 0, v9
	v_ldexp_f64 v[162:163], v[162:163], v149
	v_add_f64 v[166:167], v[162:163], -1.0
	v_add_f64 v[180:181], v[162:163], 1.0
	v_add_f64 v[176:177], v[166:167], 1.0
	v_add_f64 v[182:183], v[180:181], -1.0
	v_ldexp_f64 v[164:165], v[164:165], v149
	v_add_f64 v[176:177], v[162:163], -v[176:177]
	v_add_f64 v[162:163], v[162:163], -v[182:183]
	v_add_f64 v[162:163], v[164:165], v[162:163]
	v_add_f64 v[176:177], v[164:165], v[176:177]
	;; [unrolled: 1-line block ×3, first 2 shown]
	v_rcp_f64_e32 v[182:183], v[164:165]
	v_add_f64 v[178:179], v[166:167], v[176:177]
	v_add_f64 v[166:167], v[178:179], -v[166:167]
	v_add_f64 v[166:167], v[176:177], -v[166:167]
	;; [unrolled: 1-line block ×4, first 2 shown]
	v_fma_f64 v[176:177], -v[164:165], v[182:183], 1.0
	v_fmac_f64_e32 v[182:183], v[176:177], v[182:183]
	v_fma_f64 v[176:177], -v[164:165], v[182:183], 1.0
	v_fmac_f64_e32 v[182:183], v[176:177], v[182:183]
	v_mul_f64 v[176:177], v[178:179], v[182:183]
	v_mul_f64 v[180:181], v[164:165], v[176:177]
	v_fma_f64 v[192:193], v[176:177], v[164:165], -v[180:181]
	v_fmac_f64_e32 v[192:193], v[176:177], v[162:163]
	v_add_f64 v[194:195], v[180:181], v[192:193]
	v_add_f64 v[196:197], v[178:179], -v[194:195]
	v_add_f64 v[178:179], v[178:179], -v[196:197]
	;; [unrolled: 1-line block ×4, first 2 shown]
	v_add_f64 v[166:167], v[166:167], v[178:179]
	v_add_f64 v[178:179], v[180:181], -v[192:193]
	v_add_f64 v[166:167], v[178:179], v[166:167]
	v_add_f64 v[178:179], v[196:197], v[166:167]
	v_add_f64 v[180:181], v[196:197], -v[178:179]
	v_add_f64 v[166:167], v[166:167], v[180:181]
	v_mul_f64 v[180:181], v[182:183], v[178:179]
	v_mul_f64 v[192:193], v[164:165], v[180:181]
	v_fma_f64 v[164:165], v[180:181], v[164:165], -v[192:193]
	v_fmac_f64_e32 v[164:165], v[180:181], v[162:163]
	v_add_f64 v[162:163], v[192:193], v[164:165]
	v_add_f64 v[194:195], v[178:179], -v[162:163]
	v_add_f64 v[178:179], v[178:179], -v[194:195]
	;; [unrolled: 1-line block ×4, first 2 shown]
	v_add_f64 v[162:163], v[166:167], v[162:163]
	v_add_f64 v[164:165], v[192:193], -v[164:165]
	v_add_f64 v[162:163], v[164:165], v[162:163]
	v_add_f64 v[164:165], v[176:177], v[180:181]
	;; [unrolled: 1-line block ×3, first 2 shown]
	v_add_f64 v[166:167], v[164:165], -v[176:177]
	v_mul_f64 v[162:163], v[182:183], v[162:163]
	v_add_f64 v[166:167], v[180:181], -v[166:167]
	v_add_f64 v[162:163], v[166:167], v[162:163]
	v_add_f64 v[166:167], v[164:165], v[162:163]
	v_add_f64 v[164:165], v[166:167], -v[164:165]
	s_mov_b32 vcc_lo, 0xbf559e2b
	v_add_f64 v[162:163], v[162:163], -v[164:165]
	v_mul_f64 v[164:165], v[166:167], v[166:167]
	v_mov_b32_e32 v176, 0x6b47b09a
	v_mov_b32_e32 v177, 0x3fc38538
	s_mov_b32 vcc_hi, 0x3fc3ab76
	v_fmac_f64_e32 v[176:177], vcc, v[164:165]
	v_mov_b32_e32 v178, 0xd7f4df2e
	v_mov_b32_e32 v179, 0x3fc7474d
	v_fmac_f64_e32 v[178:179], v[164:165], v[176:177]
	v_mov_b32_e32 v176, 0x16291751
	v_mov_b32_e32 v177, 0x3fcc71c0
	v_fmac_f64_e32 v[176:177], v[164:165], v[178:179]
	;; [unrolled: 3-line block ×5, first 2 shown]
	v_cvt_f64_i32_e32 v[176:177], v9
	v_mul_f64 v[180:181], v[176:177], s[48:49]
	v_fma_f64 v[182:183], v[176:177], s[48:49], -v[180:181]
	v_fmac_f64_e32 v[182:183], s[50:51], v[176:177]
	v_add_f64 v[176:177], v[180:181], v[182:183]
	v_add_f64 v[180:181], v[176:177], -v[180:181]
	v_mul_f64 v[164:165], v[166:167], v[164:165]
	v_add_f64 v[180:181], v[182:183], -v[180:181]
	v_ldexp_f64 v[182:183], v[166:167], 1
	v_mul_f64 v[164:165], v[164:165], v[178:179]
	v_add_f64 v[166:167], v[182:183], v[164:165]
	v_add_f64 v[178:179], v[166:167], -v[182:183]
	v_ldexp_f64 v[162:163], v[162:163], 1
	v_add_f64 v[164:165], v[164:165], -v[178:179]
	v_add_f64 v[162:163], v[162:163], v[164:165]
	v_add_f64 v[164:165], v[166:167], v[162:163]
	v_add_f64 v[166:167], v[164:165], -v[166:167]
	v_add_f64 v[162:163], v[162:163], -v[166:167]
	v_add_f64 v[166:167], v[176:177], v[164:165]
	v_add_f64 v[178:179], v[166:167], -v[176:177]
	v_add_f64 v[182:183], v[166:167], -v[178:179]
	v_add_f64 v[176:177], v[176:177], -v[182:183]
	v_add_f64 v[164:165], v[164:165], -v[178:179]
	v_add_f64 v[164:165], v[164:165], v[176:177]
	v_add_f64 v[176:177], v[180:181], v[162:163]
	v_add_f64 v[178:179], v[176:177], -v[180:181]
	v_add_f64 v[164:165], v[176:177], v[164:165]
	v_add_f64 v[182:183], v[176:177], -v[178:179]
	;; [unrolled: 2-line block ×3, first 2 shown]
	v_add_f64 v[162:163], v[162:163], -v[178:179]
	v_add_f64 v[166:167], v[176:177], -v[166:167]
	v_add_f64 v[162:163], v[162:163], v[180:181]
	v_add_f64 v[164:165], v[164:165], -v[166:167]
	s_mov_b32 vcc_lo, 0
	v_add_f64 v[162:163], v[162:163], v[164:165]
	s_mov_b32 vcc_hi, 0x7ff00000
	v_add_f64 v[162:163], v[176:177], v[162:163]
	v_cmp_eq_f64_e32 vcc, vcc, v[160:161]
	s_nop 1
	v_cndmask_b32_e32 v9, v162, v160, vcc
	v_cndmask_b32_e32 v149, v163, v161, vcc
	v_mov_b32_e32 v162, 0x7ff80000
	v_cmp_ngt_f64_e32 vcc, -1.0, v[160:161]
	s_nop 1
	v_cndmask_b32_e32 v149, v162, v149, vcc
	v_cmp_nge_f64_e32 vcc, -1.0, v[160:161]
	s_nop 1
	v_cndmask_b32_e32 v162, 0, v9, vcc
	v_mov_b32_e32 v9, 0xfff00000
	v_cmp_neq_f64_e32 vcc, -1.0, v[160:161]
	s_nop 1
	v_cndmask_b32_e32 v163, v9, v149, vcc
	v_add_f64 v[160:161], v[6:7], v[162:163]
.LBB70_161:
	s_or_b64 exec, exec, s[46:47]
	v_mov_b64_e32 v[6:7], v[160:161]
.LBB70_162:
	s_or_b64 exec, exec, s[42:43]
	s_mov_b64 s[46:47], src_shared_base
	s_mov_b64 s[48:49], src_private_base
	s_mov_b32 s50, 0x652b82fe
	s_mov_b32 s52, 0xfefa39ef
	;; [unrolled: 1-line block ×9, first 2 shown]
	v_mov_b32_e32 v149, 0
	s_mov_b32 s46, 0xc0c0500
	s_movk_i32 s48, 0x1f8
	s_mov_b32 s51, 0x3ff71547
	s_mov_b32 s53, 0xbfe62e42
	;; [unrolled: 1-line block ×11, first 2 shown]
	v_mov_b32_e32 v58, 2
	s_waitcnt lgkmcnt(3)
	v_mov_b32_e32 v162, 0xfca7ab0c
	s_waitcnt lgkmcnt(2)
	v_mov_b32_e32 v163, 0x3e928af3
	v_mov_b32_e32 v164, 0x623fde64
	;; [unrolled: 1-line block ×32, first 2 shown]
	s_branch .LBB70_164
.LBB70_163:                             ;   in Loop: Header=BB70_164 Depth=1
	s_or_b64 exec, exec, s[42:43]
	v_subrev_u32_e32 v148, 64, v148
.LBB70_164:                             ; =>This Loop Header: Depth=1
                                        ;     Child Loop BB70_176 Depth 2
	v_cmp_ne_u16_sdwa vcc, v8, v58 src0_sel:BYTE_0 src1_sel:DWORD
	s_waitcnt lgkmcnt(0)
	v_mov_b64_e32 v[160:161], v[6:7]
	v_cndmask_b32_e64 v8, 0, 1, vcc
	;;#ASMSTART
	;;#ASMEND
	s_nop 0
	v_cmp_ne_u32_e32 vcc, 0, v8
	s_cmp_lg_u64 vcc, exec
	s_cbranch_scc1 .LBB70_184
; %bb.165:                              ;   in Loop: Header=BB70_164 Depth=1
	v_lshl_add_u64 v[224:225], v[148:149], 4, v[116:117]
	v_cmp_ne_u32_e32 vcc, s47, v225
                                        ; implicit-def: $vgpr8
                                        ; implicit-def: $vgpr246_vgpr247
                                        ; implicit-def: $vgpr244_vgpr245
                                        ; implicit-def: $vgpr242_vgpr243
                                        ; implicit-def: $vgpr240_vgpr241
                                        ; implicit-def: $vgpr230_vgpr231
                                        ; implicit-def: $vgpr228_vgpr229
                                        ; implicit-def: $vgpr226_vgpr227
	s_and_saveexec_b64 s[40:41], vcc
	s_xor_b64 s[42:43], exec, s[40:41]
	s_cbranch_execz .LBB70_171
; %bb.166:                              ;   in Loop: Header=BB70_164 Depth=1
	v_cmp_ne_u32_e64 s[40:41], s49, v225
                                        ; implicit-def: $vgpr8
                                        ; implicit-def: $vgpr246_vgpr247
                                        ; implicit-def: $vgpr244_vgpr245
                                        ; implicit-def: $vgpr242_vgpr243
                                        ; implicit-def: $vgpr240_vgpr241
                                        ; implicit-def: $vgpr230_vgpr231
                                        ; implicit-def: $vgpr228_vgpr229
                                        ; implicit-def: $vgpr226_vgpr227
	s_and_saveexec_b64 s[72:73], s[40:41]
	s_xor_b64 s[40:41], exec, s[72:73]
	s_cbranch_execz .LBB70_168
; %bb.167:                              ;   in Loop: Header=BB70_164 Depth=1
	;;#ASMSTART
	global_load_dwordx4 v[6:9], v[224:225] off sc1	
s_waitcnt vmcnt(0)
	;;#ASMEND
	s_nop 0
	v_lshrrev_b64 v[226:227], 8, v[6:7]
	v_lshlrev_b64 v[242:243], 24, v[8:9]
	v_lshrrev_b32_e32 v227, 8, v7
	v_lshlrev_b64 v[244:245], 16, v[8:9]
	v_lshlrev_b64 v[246:247], 8, v[8:9]
	v_lshrrev_b64 v[228:229], 16, v[6:7]
	v_lshrrev_b64 v[230:231], 24, v[6:7]
	v_mov_b32_e32 v240, v7
	v_or_b32_e32 v242, v227, v242
	v_or_b32_sdwa v244, v7, v244 dst_sel:DWORD dst_unused:UNUSED_PAD src0_sel:WORD_1 src1_sel:DWORD
	v_or_b32_sdwa v246, v7, v246 dst_sel:DWORD dst_unused:UNUSED_PAD src0_sel:BYTE_3 src1_sel:DWORD
.LBB70_168:                             ;   in Loop: Header=BB70_164 Depth=1
	s_andn2_saveexec_b64 s[40:41], s[40:41]
	s_cbranch_execz .LBB70_170
; %bb.169:                              ;   in Loop: Header=BB70_164 Depth=1
	;;#ASMSTART
	flat_load_dwordx4 v[6:9], v[224:225] sc1	
s_waitcnt vmcnt(0)
	;;#ASMEND
	s_nop 0
	v_lshrrev_b64 v[226:227], 8, v[6:7]
	v_lshlrev_b64 v[242:243], 24, v[8:9]
	v_lshrrev_b32_e32 v227, 8, v7
	v_lshlrev_b64 v[244:245], 16, v[8:9]
	v_lshlrev_b64 v[246:247], 8, v[8:9]
	v_lshrrev_b64 v[228:229], 16, v[6:7]
	v_lshrrev_b64 v[230:231], 24, v[6:7]
	v_mov_b32_e32 v240, v7
	v_or_b32_e32 v242, v227, v242
	v_or_b32_sdwa v244, v7, v244 dst_sel:DWORD dst_unused:UNUSED_PAD src0_sel:WORD_1 src1_sel:DWORD
	v_or_b32_sdwa v246, v7, v246 dst_sel:DWORD dst_unused:UNUSED_PAD src0_sel:BYTE_3 src1_sel:DWORD
.LBB70_170:                             ;   in Loop: Header=BB70_164 Depth=1
	s_or_b64 exec, exec, s[40:41]
.LBB70_171:                             ;   in Loop: Header=BB70_164 Depth=1
	s_andn2_saveexec_b64 s[42:43], s[42:43]
	s_cbranch_execz .LBB70_173
; %bb.172:                              ;   in Loop: Header=BB70_164 Depth=1
	v_cmp_ne_u64_e64 s[40:41], 0, v[224:225]
	s_nop 1
	v_cndmask_b32_e64 v6, -1, v224, s[40:41]
	;;#ASMSTART
	ds_read_b128 v[6:9], v6 	
s_waitcnt lgkmcnt(0)
	;;#ASMEND
	s_nop 0
	v_lshrrev_b64 v[226:227], 8, v[6:7]
	v_lshlrev_b64 v[242:243], 24, v[8:9]
	v_lshrrev_b32_e32 v227, 8, v7
	v_lshlrev_b64 v[244:245], 16, v[8:9]
	v_lshlrev_b64 v[246:247], 8, v[8:9]
	v_lshrrev_b64 v[228:229], 16, v[6:7]
	v_lshrrev_b64 v[230:231], 24, v[6:7]
	v_mov_b32_e32 v240, v7
	v_or_b32_e32 v242, v227, v242
	v_or_b32_sdwa v244, v7, v244 dst_sel:DWORD dst_unused:UNUSED_PAD src0_sel:WORD_1 src1_sel:DWORD
	v_or_b32_sdwa v246, v7, v246 dst_sel:DWORD dst_unused:UNUSED_PAD src0_sel:BYTE_3 src1_sel:DWORD
.LBB70_173:                             ;   in Loop: Header=BB70_164 Depth=1
	s_or_b64 exec, exec, s[42:43]
	v_lshlrev_b32_e32 v7, 8, v226
	v_perm_b32 v6, v7, v6, s46
	v_lshlrev_b32_e32 v7, 16, v228
	v_and_b32_e32 v7, 0xff0000, v7
	v_lshlrev_b32_e32 v9, 24, v230
	v_or3_b32 v6, v6, v7, v9
	v_lshlrev_b32_e32 v9, 8, v242
	v_and_b32_e32 v7, 0xff, v240
	v_and_b32_e32 v9, 0xff00, v9
	v_lshlrev_b32_e32 v226, 16, v244
	v_or3_b32 v7, 0, v7, v9
	v_or3_b32 v6, v6, 0, 0
	v_lshlrev_b32_e32 v9, 24, v246
	v_and_b32_e32 v226, 0xff0000, v226
	v_or3_b32 v227, v7, v226, v9
	v_or3_b32 v226, v6, 0, 0
	v_cmp_eq_u16_sdwa s[40:41], v8, v149 src0_sel:BYTE_0 src1_sel:DWORD
	s_and_saveexec_b64 s[72:73], s[40:41]
	s_cbranch_execz .LBB70_186
; %bb.174:                              ;   in Loop: Header=BB70_164 Depth=1
	v_cmp_ne_u64_e64 s[42:43], 0, v[224:225]
	v_cmp_ne_u32_e64 s[40:41], s49, v225
	s_mov_b64 s[74:75], 0
	v_cndmask_b32_e64 v62, -1, v224, s[42:43]
	s_branch .LBB70_176
.LBB70_175:                             ;   in Loop: Header=BB70_176 Depth=2
	s_or_b64 exec, exec, s[42:43]
	v_cmp_ne_u16_sdwa s[42:43], v8, v149 src0_sel:BYTE_0 src1_sel:DWORD
	s_or_b64 s[74:75], s[42:43], s[74:75]
	s_andn2_b64 exec, exec, s[74:75]
	s_cbranch_execz .LBB70_185
.LBB70_176:                             ;   Parent Loop BB70_164 Depth=1
                                        ; =>  This Inner Loop Header: Depth=2
                                        ; implicit-def: $vgpr8
                                        ; implicit-def: $vgpr246_vgpr247
                                        ; implicit-def: $vgpr244_vgpr245
                                        ; implicit-def: $vgpr242_vgpr243
                                        ; implicit-def: $vgpr240_vgpr241
                                        ; implicit-def: $vgpr230_vgpr231
                                        ; implicit-def: $vgpr228_vgpr229
                                        ; implicit-def: $vgpr226_vgpr227
	s_and_saveexec_b64 s[42:43], vcc
	s_xor_b64 s[42:43], exec, s[42:43]
	s_cbranch_execz .LBB70_182
; %bb.177:                              ;   in Loop: Header=BB70_176 Depth=2
                                        ; implicit-def: $vgpr8
                                        ; implicit-def: $vgpr246_vgpr247
                                        ; implicit-def: $vgpr244_vgpr245
                                        ; implicit-def: $vgpr242_vgpr243
                                        ; implicit-def: $vgpr240_vgpr241
                                        ; implicit-def: $vgpr230_vgpr231
                                        ; implicit-def: $vgpr228_vgpr229
                                        ; implicit-def: $vgpr226_vgpr227
	s_and_saveexec_b64 s[76:77], s[40:41]
	s_xor_b64 s[76:77], exec, s[76:77]
	s_cbranch_execz .LBB70_179
; %bb.178:                              ;   in Loop: Header=BB70_176 Depth=2
	;;#ASMSTART
	global_load_dwordx4 v[6:9], v[224:225] off sc1	
s_waitcnt vmcnt(0)
	;;#ASMEND
	s_nop 0
	v_lshrrev_b64 v[226:227], 8, v[6:7]
	v_lshlrev_b64 v[242:243], 24, v[8:9]
	v_lshrrev_b32_e32 v227, 8, v7
	v_lshlrev_b64 v[244:245], 16, v[8:9]
	v_lshlrev_b64 v[246:247], 8, v[8:9]
	v_lshrrev_b64 v[228:229], 16, v[6:7]
	v_lshrrev_b64 v[230:231], 24, v[6:7]
	v_mov_b32_e32 v240, v7
	v_or_b32_e32 v242, v227, v242
	v_or_b32_sdwa v244, v7, v244 dst_sel:DWORD dst_unused:UNUSED_PAD src0_sel:WORD_1 src1_sel:DWORD
	v_or_b32_sdwa v246, v7, v246 dst_sel:DWORD dst_unused:UNUSED_PAD src0_sel:BYTE_3 src1_sel:DWORD
.LBB70_179:                             ;   in Loop: Header=BB70_176 Depth=2
	s_andn2_saveexec_b64 s[76:77], s[76:77]
	s_cbranch_execz .LBB70_181
; %bb.180:                              ;   in Loop: Header=BB70_176 Depth=2
	;;#ASMSTART
	flat_load_dwordx4 v[6:9], v[224:225] sc1	
s_waitcnt vmcnt(0)
	;;#ASMEND
	s_nop 0
	v_lshrrev_b64 v[226:227], 8, v[6:7]
	v_lshlrev_b64 v[242:243], 24, v[8:9]
	v_lshrrev_b32_e32 v227, 8, v7
	v_lshlrev_b64 v[244:245], 16, v[8:9]
	v_lshlrev_b64 v[246:247], 8, v[8:9]
	v_lshrrev_b64 v[228:229], 16, v[6:7]
	v_lshrrev_b64 v[230:231], 24, v[6:7]
	v_mov_b32_e32 v240, v7
	v_or_b32_e32 v242, v227, v242
	v_or_b32_sdwa v244, v7, v244 dst_sel:DWORD dst_unused:UNUSED_PAD src0_sel:WORD_1 src1_sel:DWORD
	v_or_b32_sdwa v246, v7, v246 dst_sel:DWORD dst_unused:UNUSED_PAD src0_sel:BYTE_3 src1_sel:DWORD
.LBB70_181:                             ;   in Loop: Header=BB70_176 Depth=2
	s_or_b64 exec, exec, s[76:77]
.LBB70_182:                             ;   in Loop: Header=BB70_176 Depth=2
	s_andn2_saveexec_b64 s[42:43], s[42:43]
	s_cbranch_execz .LBB70_175
; %bb.183:                              ;   in Loop: Header=BB70_176 Depth=2
	;;#ASMSTART
	ds_read_b128 v[6:9], v62 	
s_waitcnt lgkmcnt(0)
	;;#ASMEND
	s_nop 0
	v_lshrrev_b64 v[226:227], 8, v[6:7]
	v_lshlrev_b64 v[242:243], 24, v[8:9]
	v_lshrrev_b32_e32 v227, 8, v7
	v_lshlrev_b64 v[244:245], 16, v[8:9]
	v_lshlrev_b64 v[246:247], 8, v[8:9]
	v_lshrrev_b64 v[228:229], 16, v[6:7]
	v_lshrrev_b64 v[230:231], 24, v[6:7]
	v_mov_b32_e32 v240, v7
	v_or_b32_e32 v242, v227, v242
	v_or_b32_sdwa v244, v7, v244 dst_sel:DWORD dst_unused:UNUSED_PAD src0_sel:WORD_1 src1_sel:DWORD
	v_or_b32_sdwa v246, v7, v246 dst_sel:DWORD dst_unused:UNUSED_PAD src0_sel:BYTE_3 src1_sel:DWORD
	s_branch .LBB70_175
.LBB70_184:                             ;   in Loop: Header=BB70_164 Depth=1
                                        ; implicit-def: $vgpr6_vgpr7
                                        ; implicit-def: $vgpr8
	s_cbranch_execz .LBB70_164
	s_branch .LBB70_212
.LBB70_185:                             ;   in Loop: Header=BB70_164 Depth=1
	s_or_b64 exec, exec, s[74:75]
	v_lshlrev_b32_e32 v7, 8, v226
	v_perm_b32 v6, v7, v6, s46
	v_lshlrev_b32_e32 v7, 16, v228
	v_and_b32_e32 v7, 0xff0000, v7
	v_lshlrev_b32_e32 v9, 24, v230
	v_or3_b32 v6, v6, v7, v9
	v_lshlrev_b32_e32 v9, 8, v242
	v_and_b32_e32 v7, 0xff, v240
	v_and_b32_e32 v9, 0xff00, v9
	v_or3_b32 v7, 0, v7, v9
	v_lshlrev_b32_e32 v9, 16, v244
	v_or3_b32 v6, v6, 0, 0
	v_and_b32_e32 v9, 0xff0000, v9
	v_lshlrev_b32_e32 v224, 24, v246
	v_or3_b32 v227, v7, v9, v224
	v_or3_b32 v226, v6, 0, 0
.LBB70_186:                             ;   in Loop: Header=BB70_164 Depth=1
	s_or_b64 exec, exec, s[72:73]
	v_cmp_eq_u16_sdwa vcc, v8, v58 src0_sel:BYTE_0 src1_sel:DWORD
	ds_bpermute_b32 v224, v71, v226
	ds_bpermute_b32 v225, v71, v227
	v_and_b32_e32 v6, vcc_hi, v151
	v_or_b32_e32 v6, 0x80000000, v6
	v_and_b32_e32 v7, vcc_lo, v150
	v_ffbl_b32_e32 v6, v6
	v_add_u32_e32 v6, 32, v6
	v_ffbl_b32_e32 v7, v7
	v_min_u32_e32 v9, v7, v6
	v_cmp_lt_u32_e32 vcc, v53, v9
	v_mov_b64_e32 v[6:7], v[226:227]
	s_and_saveexec_b64 s[42:43], vcc
	s_cbranch_execz .LBB70_190
; %bb.187:                              ;   in Loop: Header=BB70_164 Depth=1
	s_waitcnt lgkmcnt(0)
	v_max_f64 v[6:7], v[224:225], v[224:225]
	v_max_f64 v[230:231], v[226:227], v[226:227]
	v_min_f64 v[228:229], v[6:7], v[230:231]
	v_cmp_u_f64_e32 vcc, v[224:225], v[224:225]
	v_max_f64 v[6:7], v[6:7], v[230:231]
	v_cmp_u_f64_e64 s[40:41], v[226:227], v[226:227]
	v_cndmask_b32_e32 v228, v228, v224, vcc
	v_cndmask_b32_e32 v229, v229, v225, vcc
	v_cndmask_b32_e32 v6, v6, v224, vcc
	v_cndmask_b32_e32 v7, v7, v225, vcc
	v_cndmask_b32_e64 v229, v229, v227, s[40:41]
	v_cndmask_b32_e64 v228, v228, v226, s[40:41]
	;; [unrolled: 1-line block ×4, first 2 shown]
	v_cmp_neq_f64_e32 vcc, v[228:229], v[6:7]
	v_cmp_class_f64_e64 s[40:41], v[228:229], s48
	s_or_b64 vcc, vcc, s[40:41]
	s_and_saveexec_b64 s[72:73], vcc
	s_cbranch_execz .LBB70_189
; %bb.188:                              ;   in Loop: Header=BB70_164 Depth=1
	v_add_f64 v[224:225], v[228:229], -v[6:7]
	v_mul_f64 v[226:227], v[224:225], s[50:51]
	v_rndne_f64_e32 v[226:227], v[226:227]
	v_fma_f64 v[228:229], s[52:53], v[226:227], v[224:225]
	v_fmac_f64_e32 v[228:229], s[54:55], v[226:227]
	v_mov_b64_e32 v[230:231], v[162:163]
	v_fmac_f64_e32 v[230:231], s[56:57], v[228:229]
	v_mov_b64_e32 v[240:241], v[164:165]
	;; [unrolled: 2-line block ×9, first 2 shown]
	v_fmac_f64_e32 v[230:231], v[228:229], v[240:241]
	v_fma_f64 v[230:231], v[228:229], v[230:231], 1.0
	v_fma_f64 v[228:229], v[228:229], v[230:231], 1.0
	v_cvt_i32_f64_e32 v226, v[226:227]
	v_ldexp_f64 v[226:227], v[228:229], v226
	v_cmp_nlt_f64_e32 vcc, s[58:59], v[224:225]
	v_cmp_ngt_f64_e64 s[40:41], s[60:61], v[224:225]
	s_mov_b32 s66, s52
	v_cndmask_b32_e32 v227, v59, v227, vcc
	s_and_b64 vcc, s[40:41], vcc
	v_cndmask_b32_e64 v225, 0, v227, s[40:41]
	v_cndmask_b32_e32 v224, 0, v226, vcc
	v_add_f64 v[226:227], v[224:225], 1.0
	v_add_f64 v[228:229], v[226:227], -1.0
	v_add_f64 v[230:231], v[228:229], -v[226:227]
	v_add_f64 v[230:231], v[230:231], 1.0
	v_add_f64 v[228:229], v[224:225], -v[228:229]
	v_add_f64 v[228:229], v[228:229], v[230:231]
	v_frexp_mant_f64_e32 v[230:231], v[226:227]
	v_frexp_exp_i32_f64_e32 v240, v[226:227]
	v_cmp_gt_f64_e32 vcc, s[62:63], v[230:231]
	s_mov_b32 s68, s54
	s_nop 0
	v_subbrev_co_u32_e32 v76, vcc, 0, v240, vcc
	v_sub_u32_e32 v230, 0, v76
	v_ldexp_f64 v[226:227], v[226:227], v230
	v_ldexp_f64 v[228:229], v[228:229], v230
	v_add_f64 v[230:231], v[226:227], -1.0
	v_add_f64 v[244:245], v[226:227], 1.0
	v_add_f64 v[240:241], v[230:231], 1.0
	v_add_f64 v[246:247], v[244:245], -1.0
	v_add_f64 v[240:241], v[226:227], -v[240:241]
	v_add_f64 v[226:227], v[226:227], -v[246:247]
	v_add_f64 v[226:227], v[228:229], v[226:227]
	v_add_f64 v[240:241], v[228:229], v[240:241]
	;; [unrolled: 1-line block ×3, first 2 shown]
	v_rcp_f64_e32 v[246:247], v[228:229]
	v_add_f64 v[242:243], v[230:231], v[240:241]
	v_add_f64 v[230:231], v[242:243], -v[230:231]
	v_add_f64 v[230:231], v[240:241], -v[230:231]
	;; [unrolled: 1-line block ×4, first 2 shown]
	v_fma_f64 v[240:241], -v[228:229], v[246:247], 1.0
	v_fmac_f64_e32 v[246:247], v[240:241], v[246:247]
	v_fma_f64 v[240:241], -v[228:229], v[246:247], 1.0
	v_fmac_f64_e32 v[246:247], v[240:241], v[246:247]
	v_mul_f64 v[240:241], v[242:243], v[246:247]
	v_mul_f64 v[244:245], v[228:229], v[240:241]
	v_fma_f64 v[62:63], v[240:241], v[228:229], -v[244:245]
	v_fmac_f64_e32 v[62:63], v[240:241], v[226:227]
	v_add_f64 v[72:73], v[244:245], v[62:63]
	v_add_f64 v[74:75], v[242:243], -v[72:73]
	v_add_f64 v[242:243], v[242:243], -v[74:75]
	;; [unrolled: 1-line block ×4, first 2 shown]
	v_add_f64 v[230:231], v[230:231], v[242:243]
	v_add_f64 v[242:243], v[244:245], -v[62:63]
	v_add_f64 v[230:231], v[242:243], v[230:231]
	v_add_f64 v[242:243], v[74:75], v[230:231]
	v_add_f64 v[244:245], v[74:75], -v[242:243]
	v_add_f64 v[230:231], v[230:231], v[244:245]
	v_mul_f64 v[244:245], v[246:247], v[242:243]
	v_mul_f64 v[62:63], v[228:229], v[244:245]
	v_fma_f64 v[228:229], v[244:245], v[228:229], -v[62:63]
	v_fmac_f64_e32 v[228:229], v[244:245], v[226:227]
	v_add_f64 v[226:227], v[62:63], v[228:229]
	v_add_f64 v[72:73], v[242:243], -v[226:227]
	v_add_f64 v[242:243], v[242:243], -v[72:73]
	;; [unrolled: 1-line block ×4, first 2 shown]
	v_add_f64 v[226:227], v[230:231], v[226:227]
	v_add_f64 v[228:229], v[62:63], -v[228:229]
	v_add_f64 v[226:227], v[228:229], v[226:227]
	v_add_f64 v[228:229], v[240:241], v[244:245]
	;; [unrolled: 1-line block ×3, first 2 shown]
	v_add_f64 v[230:231], v[228:229], -v[240:241]
	v_mul_f64 v[226:227], v[246:247], v[226:227]
	v_add_f64 v[230:231], v[244:245], -v[230:231]
	v_add_f64 v[226:227], v[230:231], v[226:227]
	v_add_f64 v[230:231], v[228:229], v[226:227]
	v_add_f64 v[228:229], v[230:231], -v[228:229]
	v_add_f64 v[226:227], v[226:227], -v[228:229]
	v_mul_f64 v[228:229], v[230:231], v[230:231]
	v_mov_b64_e32 v[240:241], v[196:197]
	v_fmac_f64_e32 v[240:241], s[64:65], v[228:229]
	v_mov_b64_e32 v[242:243], v[198:199]
	v_fmac_f64_e32 v[242:243], v[228:229], v[240:241]
	;; [unrolled: 2-line block ×6, first 2 shown]
	v_cvt_f64_i32_e32 v[240:241], v76
	v_mul_f64 v[244:245], v[240:241], s[66:67]
	v_fma_f64 v[246:247], v[240:241], s[66:67], -v[244:245]
	v_fmac_f64_e32 v[246:247], s[68:69], v[240:241]
	v_add_f64 v[240:241], v[244:245], v[246:247]
	v_add_f64 v[244:245], v[240:241], -v[244:245]
	v_mul_f64 v[228:229], v[230:231], v[228:229]
	v_add_f64 v[244:245], v[246:247], -v[244:245]
	v_ldexp_f64 v[246:247], v[230:231], 1
	v_mul_f64 v[228:229], v[228:229], v[242:243]
	v_add_f64 v[230:231], v[246:247], v[228:229]
	v_add_f64 v[242:243], v[230:231], -v[246:247]
	v_ldexp_f64 v[226:227], v[226:227], 1
	v_add_f64 v[228:229], v[228:229], -v[242:243]
	v_add_f64 v[226:227], v[226:227], v[228:229]
	v_add_f64 v[228:229], v[230:231], v[226:227]
	v_add_f64 v[230:231], v[228:229], -v[230:231]
	v_add_f64 v[226:227], v[226:227], -v[230:231]
	v_add_f64 v[230:231], v[240:241], v[228:229]
	v_add_f64 v[242:243], v[230:231], -v[240:241]
	v_add_f64 v[246:247], v[230:231], -v[242:243]
	;; [unrolled: 1-line block ×4, first 2 shown]
	v_add_f64 v[228:229], v[228:229], v[240:241]
	v_add_f64 v[240:241], v[244:245], v[226:227]
	v_add_f64 v[242:243], v[240:241], -v[244:245]
	v_add_f64 v[228:229], v[240:241], v[228:229]
	v_add_f64 v[246:247], v[240:241], -v[242:243]
	v_add_f64 v[240:241], v[230:231], v[228:229]
	v_add_f64 v[244:245], v[244:245], -v[246:247]
	v_add_f64 v[226:227], v[226:227], -v[242:243]
	v_add_f64 v[230:231], v[240:241], -v[230:231]
	v_add_f64 v[226:227], v[226:227], v[244:245]
	v_add_f64 v[228:229], v[228:229], -v[230:231]
	v_add_f64 v[226:227], v[226:227], v[228:229]
	v_add_f64 v[226:227], v[240:241], v[226:227]
	v_cmp_eq_f64_e32 vcc, s[70:71], v[224:225]
	s_nop 1
	v_cndmask_b32_e32 v226, v226, v224, vcc
	v_cndmask_b32_e32 v227, v227, v225, vcc
	v_cmp_ngt_f64_e32 vcc, -1.0, v[224:225]
	s_nop 1
	v_cndmask_b32_e32 v227, v60, v227, vcc
	v_cmp_nge_f64_e32 vcc, -1.0, v[224:225]
	s_nop 1
	v_cndmask_b32_e32 v226, 0, v226, vcc
	v_cmp_neq_f64_e32 vcc, -1.0, v[224:225]
	s_nop 1
	v_cndmask_b32_e32 v227, v61, v227, vcc
	v_add_f64 v[224:225], v[6:7], v[226:227]
.LBB70_189:                             ;   in Loop: Header=BB70_164 Depth=1
	s_or_b64 exec, exec, s[72:73]
	v_mov_b32_e32 v226, v224
	v_mov_b32_e32 v227, v225
	v_mov_b64_e32 v[6:7], v[224:225]
.LBB70_190:                             ;   in Loop: Header=BB70_164 Depth=1
	s_or_b64 exec, exec, s[42:43]
	s_waitcnt lgkmcnt(1)
	ds_bpermute_b32 v224, v147, v226
	s_waitcnt lgkmcnt(1)
	ds_bpermute_b32 v225, v147, v227
	v_cmp_le_u32_e32 vcc, v41, v9
	s_and_saveexec_b64 s[42:43], vcc
	s_cbranch_execz .LBB70_194
; %bb.191:                              ;   in Loop: Header=BB70_164 Depth=1
	s_waitcnt lgkmcnt(0)
	v_max_f64 v[228:229], v[224:225], v[224:225]
	v_max_f64 v[230:231], v[6:7], v[6:7]
	v_min_f64 v[226:227], v[228:229], v[230:231]
	v_cmp_u_f64_e32 vcc, v[224:225], v[224:225]
	v_max_f64 v[228:229], v[228:229], v[230:231]
	v_cmp_u_f64_e64 s[40:41], v[6:7], v[6:7]
	v_cndmask_b32_e32 v226, v226, v224, vcc
	v_cndmask_b32_e32 v227, v227, v225, vcc
	;; [unrolled: 1-line block ×4, first 2 shown]
	v_cndmask_b32_e64 v227, v227, v7, s[40:41]
	v_cndmask_b32_e64 v226, v226, v6, s[40:41]
	;; [unrolled: 1-line block ×4, first 2 shown]
	v_cmp_neq_f64_e32 vcc, v[226:227], v[6:7]
	v_cmp_class_f64_e64 s[40:41], v[226:227], s48
	s_or_b64 vcc, vcc, s[40:41]
	s_and_saveexec_b64 s[72:73], vcc
	s_cbranch_execz .LBB70_193
; %bb.192:                              ;   in Loop: Header=BB70_164 Depth=1
	v_add_f64 v[224:225], v[226:227], -v[6:7]
	v_mul_f64 v[226:227], v[224:225], s[50:51]
	v_rndne_f64_e32 v[226:227], v[226:227]
	v_fma_f64 v[228:229], s[52:53], v[226:227], v[224:225]
	v_fmac_f64_e32 v[228:229], s[54:55], v[226:227]
	v_mov_b64_e32 v[230:231], v[162:163]
	v_fmac_f64_e32 v[230:231], s[56:57], v[228:229]
	v_mov_b64_e32 v[240:241], v[164:165]
	;; [unrolled: 2-line block ×9, first 2 shown]
	v_fmac_f64_e32 v[230:231], v[228:229], v[240:241]
	v_fma_f64 v[230:231], v[228:229], v[230:231], 1.0
	v_fma_f64 v[228:229], v[228:229], v[230:231], 1.0
	v_cvt_i32_f64_e32 v226, v[226:227]
	v_ldexp_f64 v[226:227], v[228:229], v226
	v_cmp_nlt_f64_e32 vcc, s[58:59], v[224:225]
	v_cmp_ngt_f64_e64 s[40:41], s[60:61], v[224:225]
	s_mov_b32 s66, s52
	v_cndmask_b32_e32 v227, v59, v227, vcc
	s_and_b64 vcc, s[40:41], vcc
	v_cndmask_b32_e64 v225, 0, v227, s[40:41]
	v_cndmask_b32_e32 v224, 0, v226, vcc
	v_add_f64 v[226:227], v[224:225], 1.0
	v_add_f64 v[228:229], v[226:227], -1.0
	v_add_f64 v[230:231], v[228:229], -v[226:227]
	v_add_f64 v[230:231], v[230:231], 1.0
	v_add_f64 v[228:229], v[224:225], -v[228:229]
	v_add_f64 v[228:229], v[228:229], v[230:231]
	v_frexp_mant_f64_e32 v[230:231], v[226:227]
	v_frexp_exp_i32_f64_e32 v240, v[226:227]
	v_cmp_gt_f64_e32 vcc, s[62:63], v[230:231]
	s_mov_b32 s68, s54
	s_nop 0
	v_subbrev_co_u32_e32 v76, vcc, 0, v240, vcc
	v_sub_u32_e32 v230, 0, v76
	v_ldexp_f64 v[226:227], v[226:227], v230
	v_ldexp_f64 v[228:229], v[228:229], v230
	v_add_f64 v[230:231], v[226:227], -1.0
	v_add_f64 v[244:245], v[226:227], 1.0
	v_add_f64 v[240:241], v[230:231], 1.0
	v_add_f64 v[246:247], v[244:245], -1.0
	v_add_f64 v[240:241], v[226:227], -v[240:241]
	v_add_f64 v[226:227], v[226:227], -v[246:247]
	v_add_f64 v[226:227], v[228:229], v[226:227]
	v_add_f64 v[240:241], v[228:229], v[240:241]
	;; [unrolled: 1-line block ×3, first 2 shown]
	v_rcp_f64_e32 v[246:247], v[228:229]
	v_add_f64 v[242:243], v[230:231], v[240:241]
	v_add_f64 v[230:231], v[242:243], -v[230:231]
	v_add_f64 v[230:231], v[240:241], -v[230:231]
	v_add_f64 v[240:241], v[228:229], -v[244:245]
	v_add_f64 v[226:227], v[226:227], -v[240:241]
	v_fma_f64 v[240:241], -v[228:229], v[246:247], 1.0
	v_fmac_f64_e32 v[246:247], v[240:241], v[246:247]
	v_fma_f64 v[240:241], -v[228:229], v[246:247], 1.0
	v_fmac_f64_e32 v[246:247], v[240:241], v[246:247]
	v_mul_f64 v[240:241], v[242:243], v[246:247]
	v_mul_f64 v[244:245], v[228:229], v[240:241]
	v_fma_f64 v[62:63], v[240:241], v[228:229], -v[244:245]
	v_fmac_f64_e32 v[62:63], v[240:241], v[226:227]
	v_add_f64 v[72:73], v[244:245], v[62:63]
	v_add_f64 v[74:75], v[242:243], -v[72:73]
	v_add_f64 v[242:243], v[242:243], -v[74:75]
	v_add_f64 v[244:245], v[72:73], -v[244:245]
	v_add_f64 v[242:243], v[242:243], -v[72:73]
	v_add_f64 v[230:231], v[230:231], v[242:243]
	v_add_f64 v[242:243], v[244:245], -v[62:63]
	v_add_f64 v[230:231], v[242:243], v[230:231]
	v_add_f64 v[242:243], v[74:75], v[230:231]
	v_add_f64 v[244:245], v[74:75], -v[242:243]
	v_add_f64 v[230:231], v[230:231], v[244:245]
	v_mul_f64 v[244:245], v[246:247], v[242:243]
	v_mul_f64 v[62:63], v[228:229], v[244:245]
	v_fma_f64 v[228:229], v[244:245], v[228:229], -v[62:63]
	v_fmac_f64_e32 v[228:229], v[244:245], v[226:227]
	v_add_f64 v[226:227], v[62:63], v[228:229]
	v_add_f64 v[72:73], v[242:243], -v[226:227]
	v_add_f64 v[242:243], v[242:243], -v[72:73]
	;; [unrolled: 1-line block ×4, first 2 shown]
	v_add_f64 v[226:227], v[230:231], v[226:227]
	v_add_f64 v[228:229], v[62:63], -v[228:229]
	v_add_f64 v[226:227], v[228:229], v[226:227]
	v_add_f64 v[228:229], v[240:241], v[244:245]
	;; [unrolled: 1-line block ×3, first 2 shown]
	v_add_f64 v[230:231], v[228:229], -v[240:241]
	v_mul_f64 v[226:227], v[246:247], v[226:227]
	v_add_f64 v[230:231], v[244:245], -v[230:231]
	v_add_f64 v[226:227], v[230:231], v[226:227]
	v_add_f64 v[230:231], v[228:229], v[226:227]
	v_add_f64 v[228:229], v[230:231], -v[228:229]
	v_add_f64 v[226:227], v[226:227], -v[228:229]
	v_mul_f64 v[228:229], v[230:231], v[230:231]
	v_mov_b64_e32 v[240:241], v[196:197]
	v_fmac_f64_e32 v[240:241], s[64:65], v[228:229]
	v_mov_b64_e32 v[242:243], v[198:199]
	v_fmac_f64_e32 v[242:243], v[228:229], v[240:241]
	;; [unrolled: 2-line block ×6, first 2 shown]
	v_cvt_f64_i32_e32 v[240:241], v76
	v_mul_f64 v[244:245], v[240:241], s[66:67]
	v_fma_f64 v[246:247], v[240:241], s[66:67], -v[244:245]
	v_fmac_f64_e32 v[246:247], s[68:69], v[240:241]
	v_add_f64 v[240:241], v[244:245], v[246:247]
	v_add_f64 v[244:245], v[240:241], -v[244:245]
	v_mul_f64 v[228:229], v[230:231], v[228:229]
	v_add_f64 v[244:245], v[246:247], -v[244:245]
	v_ldexp_f64 v[246:247], v[230:231], 1
	v_mul_f64 v[228:229], v[228:229], v[242:243]
	v_add_f64 v[230:231], v[246:247], v[228:229]
	v_add_f64 v[242:243], v[230:231], -v[246:247]
	v_ldexp_f64 v[226:227], v[226:227], 1
	v_add_f64 v[228:229], v[228:229], -v[242:243]
	v_add_f64 v[226:227], v[226:227], v[228:229]
	v_add_f64 v[228:229], v[230:231], v[226:227]
	v_add_f64 v[230:231], v[228:229], -v[230:231]
	v_add_f64 v[226:227], v[226:227], -v[230:231]
	v_add_f64 v[230:231], v[240:241], v[228:229]
	v_add_f64 v[242:243], v[230:231], -v[240:241]
	v_add_f64 v[246:247], v[230:231], -v[242:243]
	;; [unrolled: 1-line block ×4, first 2 shown]
	v_add_f64 v[228:229], v[228:229], v[240:241]
	v_add_f64 v[240:241], v[244:245], v[226:227]
	v_add_f64 v[242:243], v[240:241], -v[244:245]
	v_add_f64 v[228:229], v[240:241], v[228:229]
	v_add_f64 v[246:247], v[240:241], -v[242:243]
	;; [unrolled: 2-line block ×3, first 2 shown]
	v_add_f64 v[226:227], v[226:227], -v[242:243]
	v_add_f64 v[230:231], v[240:241], -v[230:231]
	v_add_f64 v[226:227], v[226:227], v[244:245]
	v_add_f64 v[228:229], v[228:229], -v[230:231]
	v_add_f64 v[226:227], v[226:227], v[228:229]
	v_add_f64 v[226:227], v[240:241], v[226:227]
	v_cmp_eq_f64_e32 vcc, s[70:71], v[224:225]
	s_nop 1
	v_cndmask_b32_e32 v226, v226, v224, vcc
	v_cndmask_b32_e32 v227, v227, v225, vcc
	v_cmp_ngt_f64_e32 vcc, -1.0, v[224:225]
	s_nop 1
	v_cndmask_b32_e32 v227, v60, v227, vcc
	v_cmp_nge_f64_e32 vcc, -1.0, v[224:225]
	s_nop 1
	v_cndmask_b32_e32 v226, 0, v226, vcc
	v_cmp_neq_f64_e32 vcc, -1.0, v[224:225]
	s_nop 1
	v_cndmask_b32_e32 v227, v61, v227, vcc
	v_add_f64 v[224:225], v[6:7], v[226:227]
.LBB70_193:                             ;   in Loop: Header=BB70_164 Depth=1
	s_or_b64 exec, exec, s[72:73]
	v_mov_b32_e32 v226, v224
	v_mov_b32_e32 v227, v225
	v_mov_b64_e32 v[6:7], v[224:225]
.LBB70_194:                             ;   in Loop: Header=BB70_164 Depth=1
	s_or_b64 exec, exec, s[42:43]
	s_waitcnt lgkmcnt(1)
	ds_bpermute_b32 v224, v42, v226
	s_waitcnt lgkmcnt(1)
	ds_bpermute_b32 v225, v42, v227
	v_cmp_le_u32_e32 vcc, v43, v9
	s_and_saveexec_b64 s[42:43], vcc
	s_cbranch_execz .LBB70_198
; %bb.195:                              ;   in Loop: Header=BB70_164 Depth=1
	s_waitcnt lgkmcnt(0)
	v_max_f64 v[228:229], v[224:225], v[224:225]
	v_max_f64 v[230:231], v[6:7], v[6:7]
	v_min_f64 v[226:227], v[228:229], v[230:231]
	v_cmp_u_f64_e32 vcc, v[224:225], v[224:225]
	v_max_f64 v[228:229], v[228:229], v[230:231]
	v_cmp_u_f64_e64 s[40:41], v[6:7], v[6:7]
	v_cndmask_b32_e32 v226, v226, v224, vcc
	v_cndmask_b32_e32 v227, v227, v225, vcc
	;; [unrolled: 1-line block ×4, first 2 shown]
	v_cndmask_b32_e64 v227, v227, v7, s[40:41]
	v_cndmask_b32_e64 v226, v226, v6, s[40:41]
	;; [unrolled: 1-line block ×4, first 2 shown]
	v_cmp_neq_f64_e32 vcc, v[226:227], v[6:7]
	v_cmp_class_f64_e64 s[40:41], v[226:227], s48
	s_or_b64 vcc, vcc, s[40:41]
	s_and_saveexec_b64 s[72:73], vcc
	s_cbranch_execz .LBB70_197
; %bb.196:                              ;   in Loop: Header=BB70_164 Depth=1
	v_add_f64 v[224:225], v[226:227], -v[6:7]
	v_mul_f64 v[226:227], v[224:225], s[50:51]
	v_rndne_f64_e32 v[226:227], v[226:227]
	v_fma_f64 v[228:229], s[52:53], v[226:227], v[224:225]
	v_fmac_f64_e32 v[228:229], s[54:55], v[226:227]
	v_mov_b64_e32 v[230:231], v[162:163]
	v_fmac_f64_e32 v[230:231], s[56:57], v[228:229]
	v_mov_b64_e32 v[240:241], v[164:165]
	;; [unrolled: 2-line block ×9, first 2 shown]
	v_fmac_f64_e32 v[230:231], v[228:229], v[240:241]
	v_fma_f64 v[230:231], v[228:229], v[230:231], 1.0
	v_fma_f64 v[228:229], v[228:229], v[230:231], 1.0
	v_cvt_i32_f64_e32 v226, v[226:227]
	v_ldexp_f64 v[226:227], v[228:229], v226
	v_cmp_nlt_f64_e32 vcc, s[58:59], v[224:225]
	v_cmp_ngt_f64_e64 s[40:41], s[60:61], v[224:225]
	s_mov_b32 s66, s52
	v_cndmask_b32_e32 v227, v59, v227, vcc
	s_and_b64 vcc, s[40:41], vcc
	v_cndmask_b32_e64 v225, 0, v227, s[40:41]
	v_cndmask_b32_e32 v224, 0, v226, vcc
	v_add_f64 v[226:227], v[224:225], 1.0
	v_add_f64 v[228:229], v[226:227], -1.0
	v_add_f64 v[230:231], v[228:229], -v[226:227]
	v_add_f64 v[230:231], v[230:231], 1.0
	v_add_f64 v[228:229], v[224:225], -v[228:229]
	v_add_f64 v[228:229], v[228:229], v[230:231]
	v_frexp_mant_f64_e32 v[230:231], v[226:227]
	v_frexp_exp_i32_f64_e32 v240, v[226:227]
	v_cmp_gt_f64_e32 vcc, s[62:63], v[230:231]
	s_mov_b32 s68, s54
	s_nop 0
	v_subbrev_co_u32_e32 v76, vcc, 0, v240, vcc
	v_sub_u32_e32 v230, 0, v76
	v_ldexp_f64 v[226:227], v[226:227], v230
	v_ldexp_f64 v[228:229], v[228:229], v230
	v_add_f64 v[230:231], v[226:227], -1.0
	v_add_f64 v[244:245], v[226:227], 1.0
	v_add_f64 v[240:241], v[230:231], 1.0
	v_add_f64 v[246:247], v[244:245], -1.0
	v_add_f64 v[240:241], v[226:227], -v[240:241]
	v_add_f64 v[226:227], v[226:227], -v[246:247]
	v_add_f64 v[226:227], v[228:229], v[226:227]
	v_add_f64 v[240:241], v[228:229], v[240:241]
	;; [unrolled: 1-line block ×3, first 2 shown]
	v_rcp_f64_e32 v[246:247], v[228:229]
	v_add_f64 v[242:243], v[230:231], v[240:241]
	v_add_f64 v[230:231], v[242:243], -v[230:231]
	v_add_f64 v[230:231], v[240:241], -v[230:231]
	;; [unrolled: 1-line block ×4, first 2 shown]
	v_fma_f64 v[240:241], -v[228:229], v[246:247], 1.0
	v_fmac_f64_e32 v[246:247], v[240:241], v[246:247]
	v_fma_f64 v[240:241], -v[228:229], v[246:247], 1.0
	v_fmac_f64_e32 v[246:247], v[240:241], v[246:247]
	v_mul_f64 v[240:241], v[242:243], v[246:247]
	v_mul_f64 v[244:245], v[228:229], v[240:241]
	v_fma_f64 v[62:63], v[240:241], v[228:229], -v[244:245]
	v_fmac_f64_e32 v[62:63], v[240:241], v[226:227]
	v_add_f64 v[72:73], v[244:245], v[62:63]
	v_add_f64 v[74:75], v[242:243], -v[72:73]
	v_add_f64 v[242:243], v[242:243], -v[74:75]
	;; [unrolled: 1-line block ×4, first 2 shown]
	v_add_f64 v[230:231], v[230:231], v[242:243]
	v_add_f64 v[242:243], v[244:245], -v[62:63]
	v_add_f64 v[230:231], v[242:243], v[230:231]
	v_add_f64 v[242:243], v[74:75], v[230:231]
	v_add_f64 v[244:245], v[74:75], -v[242:243]
	v_add_f64 v[230:231], v[230:231], v[244:245]
	v_mul_f64 v[244:245], v[246:247], v[242:243]
	v_mul_f64 v[62:63], v[228:229], v[244:245]
	v_fma_f64 v[228:229], v[244:245], v[228:229], -v[62:63]
	v_fmac_f64_e32 v[228:229], v[244:245], v[226:227]
	v_add_f64 v[226:227], v[62:63], v[228:229]
	v_add_f64 v[72:73], v[242:243], -v[226:227]
	v_add_f64 v[242:243], v[242:243], -v[72:73]
	;; [unrolled: 1-line block ×4, first 2 shown]
	v_add_f64 v[226:227], v[230:231], v[226:227]
	v_add_f64 v[228:229], v[62:63], -v[228:229]
	v_add_f64 v[226:227], v[228:229], v[226:227]
	v_add_f64 v[228:229], v[240:241], v[244:245]
	;; [unrolled: 1-line block ×3, first 2 shown]
	v_add_f64 v[230:231], v[228:229], -v[240:241]
	v_mul_f64 v[226:227], v[246:247], v[226:227]
	v_add_f64 v[230:231], v[244:245], -v[230:231]
	v_add_f64 v[226:227], v[230:231], v[226:227]
	v_add_f64 v[230:231], v[228:229], v[226:227]
	v_add_f64 v[228:229], v[230:231], -v[228:229]
	v_add_f64 v[226:227], v[226:227], -v[228:229]
	v_mul_f64 v[228:229], v[230:231], v[230:231]
	v_mov_b64_e32 v[240:241], v[196:197]
	v_fmac_f64_e32 v[240:241], s[64:65], v[228:229]
	v_mov_b64_e32 v[242:243], v[198:199]
	v_fmac_f64_e32 v[242:243], v[228:229], v[240:241]
	;; [unrolled: 2-line block ×6, first 2 shown]
	v_cvt_f64_i32_e32 v[240:241], v76
	v_mul_f64 v[244:245], v[240:241], s[66:67]
	v_fma_f64 v[246:247], v[240:241], s[66:67], -v[244:245]
	v_fmac_f64_e32 v[246:247], s[68:69], v[240:241]
	v_add_f64 v[240:241], v[244:245], v[246:247]
	v_add_f64 v[244:245], v[240:241], -v[244:245]
	v_mul_f64 v[228:229], v[230:231], v[228:229]
	v_add_f64 v[244:245], v[246:247], -v[244:245]
	v_ldexp_f64 v[246:247], v[230:231], 1
	v_mul_f64 v[228:229], v[228:229], v[242:243]
	v_add_f64 v[230:231], v[246:247], v[228:229]
	v_add_f64 v[242:243], v[230:231], -v[246:247]
	v_ldexp_f64 v[226:227], v[226:227], 1
	v_add_f64 v[228:229], v[228:229], -v[242:243]
	v_add_f64 v[226:227], v[226:227], v[228:229]
	v_add_f64 v[228:229], v[230:231], v[226:227]
	v_add_f64 v[230:231], v[228:229], -v[230:231]
	v_add_f64 v[226:227], v[226:227], -v[230:231]
	v_add_f64 v[230:231], v[240:241], v[228:229]
	v_add_f64 v[242:243], v[230:231], -v[240:241]
	v_add_f64 v[246:247], v[230:231], -v[242:243]
	;; [unrolled: 1-line block ×4, first 2 shown]
	v_add_f64 v[228:229], v[228:229], v[240:241]
	v_add_f64 v[240:241], v[244:245], v[226:227]
	v_add_f64 v[242:243], v[240:241], -v[244:245]
	v_add_f64 v[228:229], v[240:241], v[228:229]
	v_add_f64 v[246:247], v[240:241], -v[242:243]
	v_add_f64 v[240:241], v[230:231], v[228:229]
	v_add_f64 v[244:245], v[244:245], -v[246:247]
	v_add_f64 v[226:227], v[226:227], -v[242:243]
	v_add_f64 v[230:231], v[240:241], -v[230:231]
	v_add_f64 v[226:227], v[226:227], v[244:245]
	v_add_f64 v[228:229], v[228:229], -v[230:231]
	v_add_f64 v[226:227], v[226:227], v[228:229]
	v_add_f64 v[226:227], v[240:241], v[226:227]
	v_cmp_eq_f64_e32 vcc, s[70:71], v[224:225]
	s_nop 1
	v_cndmask_b32_e32 v226, v226, v224, vcc
	v_cndmask_b32_e32 v227, v227, v225, vcc
	v_cmp_ngt_f64_e32 vcc, -1.0, v[224:225]
	s_nop 1
	v_cndmask_b32_e32 v227, v60, v227, vcc
	v_cmp_nge_f64_e32 vcc, -1.0, v[224:225]
	s_nop 1
	v_cndmask_b32_e32 v226, 0, v226, vcc
	v_cmp_neq_f64_e32 vcc, -1.0, v[224:225]
	s_nop 1
	v_cndmask_b32_e32 v227, v61, v227, vcc
	v_add_f64 v[224:225], v[6:7], v[226:227]
.LBB70_197:                             ;   in Loop: Header=BB70_164 Depth=1
	s_or_b64 exec, exec, s[72:73]
	v_mov_b32_e32 v226, v224
	v_mov_b32_e32 v227, v225
	v_mov_b64_e32 v[6:7], v[224:225]
.LBB70_198:                             ;   in Loop: Header=BB70_164 Depth=1
	s_or_b64 exec, exec, s[42:43]
	s_waitcnt lgkmcnt(1)
	ds_bpermute_b32 v224, v44, v226
	s_waitcnt lgkmcnt(1)
	ds_bpermute_b32 v225, v44, v227
	v_cmp_le_u32_e32 vcc, v45, v9
	s_and_saveexec_b64 s[42:43], vcc
	s_cbranch_execz .LBB70_202
; %bb.199:                              ;   in Loop: Header=BB70_164 Depth=1
	s_waitcnt lgkmcnt(0)
	v_max_f64 v[228:229], v[224:225], v[224:225]
	v_max_f64 v[230:231], v[6:7], v[6:7]
	v_min_f64 v[226:227], v[228:229], v[230:231]
	v_cmp_u_f64_e32 vcc, v[224:225], v[224:225]
	v_max_f64 v[228:229], v[228:229], v[230:231]
	v_cmp_u_f64_e64 s[40:41], v[6:7], v[6:7]
	v_cndmask_b32_e32 v226, v226, v224, vcc
	v_cndmask_b32_e32 v227, v227, v225, vcc
	;; [unrolled: 1-line block ×4, first 2 shown]
	v_cndmask_b32_e64 v227, v227, v7, s[40:41]
	v_cndmask_b32_e64 v226, v226, v6, s[40:41]
	;; [unrolled: 1-line block ×4, first 2 shown]
	v_cmp_neq_f64_e32 vcc, v[226:227], v[6:7]
	v_cmp_class_f64_e64 s[40:41], v[226:227], s48
	s_or_b64 vcc, vcc, s[40:41]
	s_and_saveexec_b64 s[72:73], vcc
	s_cbranch_execz .LBB70_201
; %bb.200:                              ;   in Loop: Header=BB70_164 Depth=1
	v_add_f64 v[224:225], v[226:227], -v[6:7]
	v_mul_f64 v[226:227], v[224:225], s[50:51]
	v_rndne_f64_e32 v[226:227], v[226:227]
	v_fma_f64 v[228:229], s[52:53], v[226:227], v[224:225]
	v_fmac_f64_e32 v[228:229], s[54:55], v[226:227]
	v_mov_b64_e32 v[230:231], v[162:163]
	v_fmac_f64_e32 v[230:231], s[56:57], v[228:229]
	v_mov_b64_e32 v[240:241], v[164:165]
	;; [unrolled: 2-line block ×9, first 2 shown]
	v_fmac_f64_e32 v[230:231], v[228:229], v[240:241]
	v_fma_f64 v[230:231], v[228:229], v[230:231], 1.0
	v_fma_f64 v[228:229], v[228:229], v[230:231], 1.0
	v_cvt_i32_f64_e32 v226, v[226:227]
	v_ldexp_f64 v[226:227], v[228:229], v226
	v_cmp_nlt_f64_e32 vcc, s[58:59], v[224:225]
	v_cmp_ngt_f64_e64 s[40:41], s[60:61], v[224:225]
	s_mov_b32 s66, s52
	v_cndmask_b32_e32 v227, v59, v227, vcc
	s_and_b64 vcc, s[40:41], vcc
	v_cndmask_b32_e64 v225, 0, v227, s[40:41]
	v_cndmask_b32_e32 v224, 0, v226, vcc
	v_add_f64 v[226:227], v[224:225], 1.0
	v_add_f64 v[228:229], v[226:227], -1.0
	v_add_f64 v[230:231], v[228:229], -v[226:227]
	v_add_f64 v[230:231], v[230:231], 1.0
	v_add_f64 v[228:229], v[224:225], -v[228:229]
	v_add_f64 v[228:229], v[228:229], v[230:231]
	v_frexp_mant_f64_e32 v[230:231], v[226:227]
	v_frexp_exp_i32_f64_e32 v240, v[226:227]
	v_cmp_gt_f64_e32 vcc, s[62:63], v[230:231]
	s_mov_b32 s68, s54
	s_nop 0
	v_subbrev_co_u32_e32 v76, vcc, 0, v240, vcc
	v_sub_u32_e32 v230, 0, v76
	v_ldexp_f64 v[226:227], v[226:227], v230
	v_ldexp_f64 v[228:229], v[228:229], v230
	v_add_f64 v[230:231], v[226:227], -1.0
	v_add_f64 v[244:245], v[226:227], 1.0
	v_add_f64 v[240:241], v[230:231], 1.0
	v_add_f64 v[246:247], v[244:245], -1.0
	v_add_f64 v[240:241], v[226:227], -v[240:241]
	v_add_f64 v[226:227], v[226:227], -v[246:247]
	v_add_f64 v[226:227], v[228:229], v[226:227]
	v_add_f64 v[240:241], v[228:229], v[240:241]
	;; [unrolled: 1-line block ×3, first 2 shown]
	v_rcp_f64_e32 v[246:247], v[228:229]
	v_add_f64 v[242:243], v[230:231], v[240:241]
	v_add_f64 v[230:231], v[242:243], -v[230:231]
	v_add_f64 v[230:231], v[240:241], -v[230:231]
	;; [unrolled: 1-line block ×4, first 2 shown]
	v_fma_f64 v[240:241], -v[228:229], v[246:247], 1.0
	v_fmac_f64_e32 v[246:247], v[240:241], v[246:247]
	v_fma_f64 v[240:241], -v[228:229], v[246:247], 1.0
	v_fmac_f64_e32 v[246:247], v[240:241], v[246:247]
	v_mul_f64 v[240:241], v[242:243], v[246:247]
	v_mul_f64 v[244:245], v[228:229], v[240:241]
	v_fma_f64 v[62:63], v[240:241], v[228:229], -v[244:245]
	v_fmac_f64_e32 v[62:63], v[240:241], v[226:227]
	v_add_f64 v[72:73], v[244:245], v[62:63]
	v_add_f64 v[74:75], v[242:243], -v[72:73]
	v_add_f64 v[242:243], v[242:243], -v[74:75]
	;; [unrolled: 1-line block ×4, first 2 shown]
	v_add_f64 v[230:231], v[230:231], v[242:243]
	v_add_f64 v[242:243], v[244:245], -v[62:63]
	v_add_f64 v[230:231], v[242:243], v[230:231]
	v_add_f64 v[242:243], v[74:75], v[230:231]
	v_add_f64 v[244:245], v[74:75], -v[242:243]
	v_add_f64 v[230:231], v[230:231], v[244:245]
	v_mul_f64 v[244:245], v[246:247], v[242:243]
	v_mul_f64 v[62:63], v[228:229], v[244:245]
	v_fma_f64 v[228:229], v[244:245], v[228:229], -v[62:63]
	v_fmac_f64_e32 v[228:229], v[244:245], v[226:227]
	v_add_f64 v[226:227], v[62:63], v[228:229]
	v_add_f64 v[72:73], v[242:243], -v[226:227]
	v_add_f64 v[242:243], v[242:243], -v[72:73]
	;; [unrolled: 1-line block ×4, first 2 shown]
	v_add_f64 v[226:227], v[230:231], v[226:227]
	v_add_f64 v[228:229], v[62:63], -v[228:229]
	v_add_f64 v[226:227], v[228:229], v[226:227]
	v_add_f64 v[228:229], v[240:241], v[244:245]
	;; [unrolled: 1-line block ×3, first 2 shown]
	v_add_f64 v[230:231], v[228:229], -v[240:241]
	v_mul_f64 v[226:227], v[246:247], v[226:227]
	v_add_f64 v[230:231], v[244:245], -v[230:231]
	v_add_f64 v[226:227], v[230:231], v[226:227]
	v_add_f64 v[230:231], v[228:229], v[226:227]
	v_add_f64 v[228:229], v[230:231], -v[228:229]
	v_add_f64 v[226:227], v[226:227], -v[228:229]
	v_mul_f64 v[228:229], v[230:231], v[230:231]
	v_mov_b64_e32 v[240:241], v[196:197]
	v_fmac_f64_e32 v[240:241], s[64:65], v[228:229]
	v_mov_b64_e32 v[242:243], v[198:199]
	v_fmac_f64_e32 v[242:243], v[228:229], v[240:241]
	;; [unrolled: 2-line block ×6, first 2 shown]
	v_cvt_f64_i32_e32 v[240:241], v76
	v_mul_f64 v[244:245], v[240:241], s[66:67]
	v_fma_f64 v[246:247], v[240:241], s[66:67], -v[244:245]
	v_fmac_f64_e32 v[246:247], s[68:69], v[240:241]
	v_add_f64 v[240:241], v[244:245], v[246:247]
	v_add_f64 v[244:245], v[240:241], -v[244:245]
	v_mul_f64 v[228:229], v[230:231], v[228:229]
	v_add_f64 v[244:245], v[246:247], -v[244:245]
	v_ldexp_f64 v[246:247], v[230:231], 1
	v_mul_f64 v[228:229], v[228:229], v[242:243]
	v_add_f64 v[230:231], v[246:247], v[228:229]
	v_add_f64 v[242:243], v[230:231], -v[246:247]
	v_ldexp_f64 v[226:227], v[226:227], 1
	v_add_f64 v[228:229], v[228:229], -v[242:243]
	v_add_f64 v[226:227], v[226:227], v[228:229]
	v_add_f64 v[228:229], v[230:231], v[226:227]
	v_add_f64 v[230:231], v[228:229], -v[230:231]
	v_add_f64 v[226:227], v[226:227], -v[230:231]
	v_add_f64 v[230:231], v[240:241], v[228:229]
	v_add_f64 v[242:243], v[230:231], -v[240:241]
	v_add_f64 v[246:247], v[230:231], -v[242:243]
	v_add_f64 v[240:241], v[240:241], -v[246:247]
	v_add_f64 v[228:229], v[228:229], -v[242:243]
	v_add_f64 v[228:229], v[228:229], v[240:241]
	v_add_f64 v[240:241], v[244:245], v[226:227]
	v_add_f64 v[242:243], v[240:241], -v[244:245]
	v_add_f64 v[228:229], v[240:241], v[228:229]
	v_add_f64 v[246:247], v[240:241], -v[242:243]
	;; [unrolled: 2-line block ×3, first 2 shown]
	v_add_f64 v[226:227], v[226:227], -v[242:243]
	v_add_f64 v[230:231], v[240:241], -v[230:231]
	v_add_f64 v[226:227], v[226:227], v[244:245]
	v_add_f64 v[228:229], v[228:229], -v[230:231]
	v_add_f64 v[226:227], v[226:227], v[228:229]
	v_add_f64 v[226:227], v[240:241], v[226:227]
	v_cmp_eq_f64_e32 vcc, s[70:71], v[224:225]
	s_nop 1
	v_cndmask_b32_e32 v226, v226, v224, vcc
	v_cndmask_b32_e32 v227, v227, v225, vcc
	v_cmp_ngt_f64_e32 vcc, -1.0, v[224:225]
	s_nop 1
	v_cndmask_b32_e32 v227, v60, v227, vcc
	v_cmp_nge_f64_e32 vcc, -1.0, v[224:225]
	s_nop 1
	v_cndmask_b32_e32 v226, 0, v226, vcc
	v_cmp_neq_f64_e32 vcc, -1.0, v[224:225]
	s_nop 1
	v_cndmask_b32_e32 v227, v61, v227, vcc
	v_add_f64 v[224:225], v[6:7], v[226:227]
.LBB70_201:                             ;   in Loop: Header=BB70_164 Depth=1
	s_or_b64 exec, exec, s[72:73]
	v_mov_b32_e32 v226, v224
	v_mov_b32_e32 v227, v225
	v_mov_b64_e32 v[6:7], v[224:225]
.LBB70_202:                             ;   in Loop: Header=BB70_164 Depth=1
	s_or_b64 exec, exec, s[42:43]
	s_waitcnt lgkmcnt(1)
	ds_bpermute_b32 v224, v46, v226
	s_waitcnt lgkmcnt(1)
	ds_bpermute_b32 v225, v46, v227
	v_cmp_le_u32_e32 vcc, v47, v9
	s_and_saveexec_b64 s[42:43], vcc
	s_cbranch_execz .LBB70_206
; %bb.203:                              ;   in Loop: Header=BB70_164 Depth=1
	s_waitcnt lgkmcnt(0)
	v_max_f64 v[228:229], v[224:225], v[224:225]
	v_max_f64 v[230:231], v[6:7], v[6:7]
	v_min_f64 v[226:227], v[228:229], v[230:231]
	v_cmp_u_f64_e32 vcc, v[224:225], v[224:225]
	v_max_f64 v[228:229], v[228:229], v[230:231]
	v_cmp_u_f64_e64 s[40:41], v[6:7], v[6:7]
	v_cndmask_b32_e32 v226, v226, v224, vcc
	v_cndmask_b32_e32 v227, v227, v225, vcc
	;; [unrolled: 1-line block ×4, first 2 shown]
	v_cndmask_b32_e64 v227, v227, v7, s[40:41]
	v_cndmask_b32_e64 v226, v226, v6, s[40:41]
	;; [unrolled: 1-line block ×4, first 2 shown]
	v_cmp_neq_f64_e32 vcc, v[226:227], v[6:7]
	v_cmp_class_f64_e64 s[40:41], v[226:227], s48
	s_or_b64 vcc, vcc, s[40:41]
	s_and_saveexec_b64 s[72:73], vcc
	s_cbranch_execz .LBB70_205
; %bb.204:                              ;   in Loop: Header=BB70_164 Depth=1
	v_add_f64 v[224:225], v[226:227], -v[6:7]
	v_mul_f64 v[226:227], v[224:225], s[50:51]
	v_rndne_f64_e32 v[226:227], v[226:227]
	v_fma_f64 v[228:229], s[52:53], v[226:227], v[224:225]
	v_fmac_f64_e32 v[228:229], s[54:55], v[226:227]
	v_mov_b64_e32 v[230:231], v[162:163]
	v_fmac_f64_e32 v[230:231], s[56:57], v[228:229]
	v_mov_b64_e32 v[240:241], v[164:165]
	;; [unrolled: 2-line block ×9, first 2 shown]
	v_fmac_f64_e32 v[230:231], v[228:229], v[240:241]
	v_fma_f64 v[230:231], v[228:229], v[230:231], 1.0
	v_fma_f64 v[228:229], v[228:229], v[230:231], 1.0
	v_cvt_i32_f64_e32 v226, v[226:227]
	v_ldexp_f64 v[226:227], v[228:229], v226
	v_cmp_nlt_f64_e32 vcc, s[58:59], v[224:225]
	v_cmp_ngt_f64_e64 s[40:41], s[60:61], v[224:225]
	s_mov_b32 s66, s52
	v_cndmask_b32_e32 v227, v59, v227, vcc
	s_and_b64 vcc, s[40:41], vcc
	v_cndmask_b32_e64 v225, 0, v227, s[40:41]
	v_cndmask_b32_e32 v224, 0, v226, vcc
	v_add_f64 v[226:227], v[224:225], 1.0
	v_add_f64 v[228:229], v[226:227], -1.0
	v_add_f64 v[230:231], v[228:229], -v[226:227]
	v_add_f64 v[230:231], v[230:231], 1.0
	v_add_f64 v[228:229], v[224:225], -v[228:229]
	v_add_f64 v[228:229], v[228:229], v[230:231]
	v_frexp_mant_f64_e32 v[230:231], v[226:227]
	v_frexp_exp_i32_f64_e32 v240, v[226:227]
	v_cmp_gt_f64_e32 vcc, s[62:63], v[230:231]
	s_mov_b32 s68, s54
	s_nop 0
	v_subbrev_co_u32_e32 v76, vcc, 0, v240, vcc
	v_sub_u32_e32 v230, 0, v76
	v_ldexp_f64 v[226:227], v[226:227], v230
	v_ldexp_f64 v[228:229], v[228:229], v230
	v_add_f64 v[230:231], v[226:227], -1.0
	v_add_f64 v[244:245], v[226:227], 1.0
	v_add_f64 v[240:241], v[230:231], 1.0
	v_add_f64 v[246:247], v[244:245], -1.0
	v_add_f64 v[240:241], v[226:227], -v[240:241]
	v_add_f64 v[226:227], v[226:227], -v[246:247]
	v_add_f64 v[226:227], v[228:229], v[226:227]
	v_add_f64 v[240:241], v[228:229], v[240:241]
	;; [unrolled: 1-line block ×3, first 2 shown]
	v_rcp_f64_e32 v[246:247], v[228:229]
	v_add_f64 v[242:243], v[230:231], v[240:241]
	v_add_f64 v[230:231], v[242:243], -v[230:231]
	v_add_f64 v[230:231], v[240:241], -v[230:231]
	;; [unrolled: 1-line block ×4, first 2 shown]
	v_fma_f64 v[240:241], -v[228:229], v[246:247], 1.0
	v_fmac_f64_e32 v[246:247], v[240:241], v[246:247]
	v_fma_f64 v[240:241], -v[228:229], v[246:247], 1.0
	v_fmac_f64_e32 v[246:247], v[240:241], v[246:247]
	v_mul_f64 v[240:241], v[242:243], v[246:247]
	v_mul_f64 v[244:245], v[228:229], v[240:241]
	v_fma_f64 v[62:63], v[240:241], v[228:229], -v[244:245]
	v_fmac_f64_e32 v[62:63], v[240:241], v[226:227]
	v_add_f64 v[72:73], v[244:245], v[62:63]
	v_add_f64 v[74:75], v[242:243], -v[72:73]
	v_add_f64 v[242:243], v[242:243], -v[74:75]
	;; [unrolled: 1-line block ×4, first 2 shown]
	v_add_f64 v[230:231], v[230:231], v[242:243]
	v_add_f64 v[242:243], v[244:245], -v[62:63]
	v_add_f64 v[230:231], v[242:243], v[230:231]
	v_add_f64 v[242:243], v[74:75], v[230:231]
	v_add_f64 v[244:245], v[74:75], -v[242:243]
	v_add_f64 v[230:231], v[230:231], v[244:245]
	v_mul_f64 v[244:245], v[246:247], v[242:243]
	v_mul_f64 v[62:63], v[228:229], v[244:245]
	v_fma_f64 v[228:229], v[244:245], v[228:229], -v[62:63]
	v_fmac_f64_e32 v[228:229], v[244:245], v[226:227]
	v_add_f64 v[226:227], v[62:63], v[228:229]
	v_add_f64 v[72:73], v[242:243], -v[226:227]
	v_add_f64 v[242:243], v[242:243], -v[72:73]
	;; [unrolled: 1-line block ×4, first 2 shown]
	v_add_f64 v[226:227], v[230:231], v[226:227]
	v_add_f64 v[228:229], v[62:63], -v[228:229]
	v_add_f64 v[226:227], v[228:229], v[226:227]
	v_add_f64 v[228:229], v[240:241], v[244:245]
	;; [unrolled: 1-line block ×3, first 2 shown]
	v_add_f64 v[230:231], v[228:229], -v[240:241]
	v_mul_f64 v[226:227], v[246:247], v[226:227]
	v_add_f64 v[230:231], v[244:245], -v[230:231]
	v_add_f64 v[226:227], v[230:231], v[226:227]
	v_add_f64 v[230:231], v[228:229], v[226:227]
	v_add_f64 v[228:229], v[230:231], -v[228:229]
	v_add_f64 v[226:227], v[226:227], -v[228:229]
	v_mul_f64 v[228:229], v[230:231], v[230:231]
	v_mov_b64_e32 v[240:241], v[196:197]
	v_fmac_f64_e32 v[240:241], s[64:65], v[228:229]
	v_mov_b64_e32 v[242:243], v[198:199]
	v_fmac_f64_e32 v[242:243], v[228:229], v[240:241]
	;; [unrolled: 2-line block ×6, first 2 shown]
	v_cvt_f64_i32_e32 v[240:241], v76
	v_mul_f64 v[244:245], v[240:241], s[66:67]
	v_fma_f64 v[246:247], v[240:241], s[66:67], -v[244:245]
	v_fmac_f64_e32 v[246:247], s[68:69], v[240:241]
	v_add_f64 v[240:241], v[244:245], v[246:247]
	v_add_f64 v[244:245], v[240:241], -v[244:245]
	v_mul_f64 v[228:229], v[230:231], v[228:229]
	v_add_f64 v[244:245], v[246:247], -v[244:245]
	v_ldexp_f64 v[246:247], v[230:231], 1
	v_mul_f64 v[228:229], v[228:229], v[242:243]
	v_add_f64 v[230:231], v[246:247], v[228:229]
	v_add_f64 v[242:243], v[230:231], -v[246:247]
	v_ldexp_f64 v[226:227], v[226:227], 1
	v_add_f64 v[228:229], v[228:229], -v[242:243]
	v_add_f64 v[226:227], v[226:227], v[228:229]
	v_add_f64 v[228:229], v[230:231], v[226:227]
	v_add_f64 v[230:231], v[228:229], -v[230:231]
	v_add_f64 v[226:227], v[226:227], -v[230:231]
	v_add_f64 v[230:231], v[240:241], v[228:229]
	v_add_f64 v[242:243], v[230:231], -v[240:241]
	v_add_f64 v[246:247], v[230:231], -v[242:243]
	;; [unrolled: 1-line block ×4, first 2 shown]
	v_add_f64 v[228:229], v[228:229], v[240:241]
	v_add_f64 v[240:241], v[244:245], v[226:227]
	v_add_f64 v[242:243], v[240:241], -v[244:245]
	v_add_f64 v[228:229], v[240:241], v[228:229]
	v_add_f64 v[246:247], v[240:241], -v[242:243]
	;; [unrolled: 2-line block ×3, first 2 shown]
	v_add_f64 v[226:227], v[226:227], -v[242:243]
	v_add_f64 v[230:231], v[240:241], -v[230:231]
	v_add_f64 v[226:227], v[226:227], v[244:245]
	v_add_f64 v[228:229], v[228:229], -v[230:231]
	v_add_f64 v[226:227], v[226:227], v[228:229]
	v_add_f64 v[226:227], v[240:241], v[226:227]
	v_cmp_eq_f64_e32 vcc, s[70:71], v[224:225]
	s_nop 1
	v_cndmask_b32_e32 v226, v226, v224, vcc
	v_cndmask_b32_e32 v227, v227, v225, vcc
	v_cmp_ngt_f64_e32 vcc, -1.0, v[224:225]
	s_nop 1
	v_cndmask_b32_e32 v227, v60, v227, vcc
	v_cmp_nge_f64_e32 vcc, -1.0, v[224:225]
	s_nop 1
	v_cndmask_b32_e32 v226, 0, v226, vcc
	v_cmp_neq_f64_e32 vcc, -1.0, v[224:225]
	s_nop 1
	v_cndmask_b32_e32 v227, v61, v227, vcc
	v_add_f64 v[224:225], v[6:7], v[226:227]
.LBB70_205:                             ;   in Loop: Header=BB70_164 Depth=1
	s_or_b64 exec, exec, s[72:73]
	v_mov_b32_e32 v226, v224
	v_mov_b32_e32 v227, v225
	v_mov_b64_e32 v[6:7], v[224:225]
.LBB70_206:                             ;   in Loop: Header=BB70_164 Depth=1
	s_or_b64 exec, exec, s[42:43]
	s_waitcnt lgkmcnt(1)
	ds_bpermute_b32 v224, v56, v226
	s_waitcnt lgkmcnt(1)
	ds_bpermute_b32 v225, v56, v227
	v_cmp_le_u32_e32 vcc, v57, v9
	s_and_saveexec_b64 s[42:43], vcc
	s_cbranch_execz .LBB70_210
; %bb.207:                              ;   in Loop: Header=BB70_164 Depth=1
	s_waitcnt lgkmcnt(0)
	v_max_f64 v[228:229], v[224:225], v[224:225]
	v_max_f64 v[230:231], v[6:7], v[6:7]
	v_min_f64 v[226:227], v[228:229], v[230:231]
	v_cmp_u_f64_e32 vcc, v[224:225], v[224:225]
	v_cmp_u_f64_e64 s[40:41], v[6:7], v[6:7]
	v_max_f64 v[228:229], v[228:229], v[230:231]
	v_cndmask_b32_e32 v9, v226, v224, vcc
	v_cndmask_b32_e32 v226, v227, v225, vcc
	v_cndmask_b32_e64 v227, v226, v7, s[40:41]
	v_cndmask_b32_e64 v226, v9, v6, s[40:41]
	v_cndmask_b32_e32 v9, v228, v224, vcc
	v_cndmask_b32_e32 v228, v229, v225, vcc
	v_cndmask_b32_e64 v7, v228, v7, s[40:41]
	v_cndmask_b32_e64 v6, v9, v6, s[40:41]
	v_cmp_neq_f64_e32 vcc, v[226:227], v[6:7]
	v_cmp_class_f64_e64 s[40:41], v[226:227], s48
	s_or_b64 vcc, vcc, s[40:41]
	s_and_saveexec_b64 s[72:73], vcc
	s_cbranch_execz .LBB70_209
; %bb.208:                              ;   in Loop: Header=BB70_164 Depth=1
	v_add_f64 v[224:225], v[226:227], -v[6:7]
	v_mul_f64 v[226:227], v[224:225], s[50:51]
	v_rndne_f64_e32 v[226:227], v[226:227]
	v_fma_f64 v[228:229], s[52:53], v[226:227], v[224:225]
	v_fmac_f64_e32 v[228:229], s[54:55], v[226:227]
	v_mov_b64_e32 v[230:231], v[162:163]
	v_fmac_f64_e32 v[230:231], s[56:57], v[228:229]
	v_mov_b64_e32 v[240:241], v[164:165]
	;; [unrolled: 2-line block ×9, first 2 shown]
	v_fmac_f64_e32 v[230:231], v[228:229], v[240:241]
	v_fma_f64 v[230:231], v[228:229], v[230:231], 1.0
	v_fma_f64 v[228:229], v[228:229], v[230:231], 1.0
	v_cvt_i32_f64_e32 v9, v[226:227]
	v_ldexp_f64 v[226:227], v[228:229], v9
	v_cmp_nlt_f64_e32 vcc, s[58:59], v[224:225]
	v_cmp_ngt_f64_e64 s[40:41], s[60:61], v[224:225]
	s_mov_b32 s66, s52
	v_cndmask_b32_e32 v9, v59, v227, vcc
	s_and_b64 vcc, s[40:41], vcc
	v_cndmask_b32_e64 v225, 0, v9, s[40:41]
	v_cndmask_b32_e32 v224, 0, v226, vcc
	v_add_f64 v[226:227], v[224:225], 1.0
	v_add_f64 v[228:229], v[226:227], -1.0
	v_add_f64 v[230:231], v[228:229], -v[226:227]
	v_add_f64 v[230:231], v[230:231], 1.0
	v_add_f64 v[228:229], v[224:225], -v[228:229]
	v_add_f64 v[228:229], v[228:229], v[230:231]
	v_frexp_mant_f64_e32 v[230:231], v[226:227]
	v_frexp_exp_i32_f64_e32 v9, v[226:227]
	v_cmp_gt_f64_e32 vcc, s[62:63], v[230:231]
	s_mov_b32 s68, s54
	s_nop 0
	v_subbrev_co_u32_e32 v9, vcc, 0, v9, vcc
	v_sub_u32_e32 v230, 0, v9
	v_ldexp_f64 v[226:227], v[226:227], v230
	v_ldexp_f64 v[228:229], v[228:229], v230
	v_add_f64 v[230:231], v[226:227], -1.0
	v_add_f64 v[244:245], v[226:227], 1.0
	v_add_f64 v[240:241], v[230:231], 1.0
	v_add_f64 v[246:247], v[244:245], -1.0
	v_add_f64 v[240:241], v[226:227], -v[240:241]
	v_add_f64 v[226:227], v[226:227], -v[246:247]
	v_add_f64 v[226:227], v[228:229], v[226:227]
	v_add_f64 v[240:241], v[228:229], v[240:241]
	;; [unrolled: 1-line block ×3, first 2 shown]
	v_rcp_f64_e32 v[246:247], v[228:229]
	v_add_f64 v[242:243], v[230:231], v[240:241]
	v_add_f64 v[230:231], v[242:243], -v[230:231]
	v_add_f64 v[230:231], v[240:241], -v[230:231]
	;; [unrolled: 1-line block ×4, first 2 shown]
	v_fma_f64 v[240:241], -v[228:229], v[246:247], 1.0
	v_fmac_f64_e32 v[246:247], v[240:241], v[246:247]
	v_fma_f64 v[240:241], -v[228:229], v[246:247], 1.0
	v_fmac_f64_e32 v[246:247], v[240:241], v[246:247]
	v_mul_f64 v[240:241], v[242:243], v[246:247]
	v_mul_f64 v[244:245], v[228:229], v[240:241]
	v_fma_f64 v[62:63], v[240:241], v[228:229], -v[244:245]
	v_fmac_f64_e32 v[62:63], v[240:241], v[226:227]
	v_add_f64 v[72:73], v[244:245], v[62:63]
	v_add_f64 v[74:75], v[242:243], -v[72:73]
	v_add_f64 v[242:243], v[242:243], -v[74:75]
	;; [unrolled: 1-line block ×4, first 2 shown]
	v_add_f64 v[230:231], v[230:231], v[242:243]
	v_add_f64 v[242:243], v[244:245], -v[62:63]
	v_add_f64 v[230:231], v[242:243], v[230:231]
	v_add_f64 v[242:243], v[74:75], v[230:231]
	v_add_f64 v[244:245], v[74:75], -v[242:243]
	v_add_f64 v[230:231], v[230:231], v[244:245]
	v_mul_f64 v[244:245], v[246:247], v[242:243]
	v_mul_f64 v[62:63], v[228:229], v[244:245]
	v_fma_f64 v[228:229], v[244:245], v[228:229], -v[62:63]
	v_fmac_f64_e32 v[228:229], v[244:245], v[226:227]
	v_add_f64 v[226:227], v[62:63], v[228:229]
	v_add_f64 v[72:73], v[242:243], -v[226:227]
	v_add_f64 v[242:243], v[242:243], -v[72:73]
	v_add_f64 v[62:63], v[226:227], -v[62:63]
	v_add_f64 v[226:227], v[242:243], -v[226:227]
	v_add_f64 v[226:227], v[230:231], v[226:227]
	v_add_f64 v[228:229], v[62:63], -v[228:229]
	v_add_f64 v[226:227], v[228:229], v[226:227]
	v_add_f64 v[228:229], v[240:241], v[244:245]
	;; [unrolled: 1-line block ×3, first 2 shown]
	v_add_f64 v[230:231], v[228:229], -v[240:241]
	v_mul_f64 v[226:227], v[246:247], v[226:227]
	v_add_f64 v[230:231], v[244:245], -v[230:231]
	v_add_f64 v[226:227], v[230:231], v[226:227]
	v_add_f64 v[230:231], v[228:229], v[226:227]
	v_add_f64 v[228:229], v[230:231], -v[228:229]
	v_add_f64 v[226:227], v[226:227], -v[228:229]
	v_mul_f64 v[228:229], v[230:231], v[230:231]
	v_mov_b64_e32 v[240:241], v[196:197]
	v_fmac_f64_e32 v[240:241], s[64:65], v[228:229]
	v_mov_b64_e32 v[242:243], v[198:199]
	v_fmac_f64_e32 v[242:243], v[228:229], v[240:241]
	v_mov_b64_e32 v[240:241], v[208:209]
	v_fmac_f64_e32 v[240:241], v[228:229], v[242:243]
	v_mov_b64_e32 v[242:243], v[210:211]
	v_fmac_f64_e32 v[242:243], v[228:229], v[240:241]
	v_mov_b64_e32 v[240:241], v[212:213]
	v_fmac_f64_e32 v[240:241], v[228:229], v[242:243]
	v_mov_b64_e32 v[242:243], v[214:215]
	v_fmac_f64_e32 v[242:243], v[228:229], v[240:241]
	v_cvt_f64_i32_e32 v[240:241], v9
	v_mul_f64 v[244:245], v[240:241], s[66:67]
	v_fma_f64 v[246:247], v[240:241], s[66:67], -v[244:245]
	v_fmac_f64_e32 v[246:247], s[68:69], v[240:241]
	v_add_f64 v[240:241], v[244:245], v[246:247]
	v_add_f64 v[244:245], v[240:241], -v[244:245]
	v_mul_f64 v[228:229], v[230:231], v[228:229]
	v_add_f64 v[244:245], v[246:247], -v[244:245]
	v_ldexp_f64 v[246:247], v[230:231], 1
	v_mul_f64 v[228:229], v[228:229], v[242:243]
	v_add_f64 v[230:231], v[246:247], v[228:229]
	v_add_f64 v[242:243], v[230:231], -v[246:247]
	v_ldexp_f64 v[226:227], v[226:227], 1
	v_add_f64 v[228:229], v[228:229], -v[242:243]
	v_add_f64 v[226:227], v[226:227], v[228:229]
	v_add_f64 v[228:229], v[230:231], v[226:227]
	v_add_f64 v[230:231], v[228:229], -v[230:231]
	v_add_f64 v[226:227], v[226:227], -v[230:231]
	v_add_f64 v[230:231], v[240:241], v[228:229]
	v_add_f64 v[242:243], v[230:231], -v[240:241]
	v_add_f64 v[246:247], v[230:231], -v[242:243]
	;; [unrolled: 1-line block ×4, first 2 shown]
	v_add_f64 v[228:229], v[228:229], v[240:241]
	v_add_f64 v[240:241], v[244:245], v[226:227]
	v_add_f64 v[242:243], v[240:241], -v[244:245]
	v_add_f64 v[228:229], v[240:241], v[228:229]
	v_add_f64 v[246:247], v[240:241], -v[242:243]
	;; [unrolled: 2-line block ×3, first 2 shown]
	v_add_f64 v[226:227], v[226:227], -v[242:243]
	v_add_f64 v[230:231], v[240:241], -v[230:231]
	v_add_f64 v[226:227], v[226:227], v[244:245]
	v_add_f64 v[228:229], v[228:229], -v[230:231]
	v_add_f64 v[226:227], v[226:227], v[228:229]
	v_add_f64 v[226:227], v[240:241], v[226:227]
	v_cmp_eq_f64_e32 vcc, s[70:71], v[224:225]
	s_nop 1
	v_cndmask_b32_e32 v9, v226, v224, vcc
	v_cndmask_b32_e32 v226, v227, v225, vcc
	v_cmp_ngt_f64_e32 vcc, -1.0, v[224:225]
	s_nop 1
	v_cndmask_b32_e32 v227, v60, v226, vcc
	v_cmp_nge_f64_e32 vcc, -1.0, v[224:225]
	s_nop 1
	v_cndmask_b32_e32 v226, 0, v9, vcc
	v_cmp_neq_f64_e32 vcc, -1.0, v[224:225]
	s_nop 1
	v_cndmask_b32_e32 v227, v61, v227, vcc
	v_add_f64 v[224:225], v[6:7], v[226:227]
.LBB70_209:                             ;   in Loop: Header=BB70_164 Depth=1
	s_or_b64 exec, exec, s[72:73]
	v_mov_b64_e32 v[6:7], v[224:225]
.LBB70_210:                             ;   in Loop: Header=BB70_164 Depth=1
	s_or_b64 exec, exec, s[42:43]
	s_waitcnt lgkmcnt(0)
	v_max_f64 v[224:225], v[160:161], v[160:161]
	v_max_f64 v[228:229], v[6:7], v[6:7]
	v_min_f64 v[226:227], v[228:229], v[224:225]
	v_cmp_u_f64_e32 vcc, v[6:7], v[6:7]
	v_cmp_u_f64_e64 s[40:41], v[160:161], v[160:161]
	v_max_f64 v[224:225], v[228:229], v[224:225]
	v_cndmask_b32_e32 v9, v226, v6, vcc
	v_cndmask_b32_e32 v226, v227, v7, vcc
	v_cndmask_b32_e64 v227, v226, v161, s[40:41]
	v_cndmask_b32_e64 v226, v9, v160, s[40:41]
	v_cndmask_b32_e32 v9, v224, v6, vcc
	v_cndmask_b32_e32 v224, v225, v7, vcc
	v_cndmask_b32_e64 v225, v224, v161, s[40:41]
	v_cndmask_b32_e64 v224, v9, v160, s[40:41]
	v_cmp_neq_f64_e32 vcc, v[226:227], v[224:225]
	v_cmp_class_f64_e64 s[40:41], v[226:227], s48
	s_or_b64 vcc, vcc, s[40:41]
	s_and_saveexec_b64 s[40:41], vcc
	s_xor_b64 s[42:43], exec, s[40:41]
	s_cbranch_execz .LBB70_163
; %bb.211:                              ;   in Loop: Header=BB70_164 Depth=1
	v_add_f64 v[6:7], v[226:227], -v[224:225]
	v_mul_f64 v[226:227], v[6:7], s[50:51]
	v_rndne_f64_e32 v[226:227], v[226:227]
	v_fma_f64 v[228:229], s[52:53], v[226:227], v[6:7]
	v_fmac_f64_e32 v[228:229], s[54:55], v[226:227]
	v_mov_b64_e32 v[230:231], v[162:163]
	v_fmac_f64_e32 v[230:231], s[56:57], v[228:229]
	v_mov_b64_e32 v[240:241], v[164:165]
	;; [unrolled: 2-line block ×9, first 2 shown]
	v_fmac_f64_e32 v[230:231], v[228:229], v[240:241]
	v_fma_f64 v[230:231], v[228:229], v[230:231], 1.0
	v_fma_f64 v[228:229], v[228:229], v[230:231], 1.0
	v_cvt_i32_f64_e32 v9, v[226:227]
	v_ldexp_f64 v[226:227], v[228:229], v9
	v_cmp_nlt_f64_e32 vcc, s[58:59], v[6:7]
	v_cmp_ngt_f64_e64 s[40:41], s[60:61], v[6:7]
	s_mov_b32 s66, s52
	v_cndmask_b32_e32 v9, v59, v227, vcc
	s_and_b64 vcc, s[40:41], vcc
	v_cndmask_b32_e64 v7, 0, v9, s[40:41]
	v_cndmask_b32_e32 v6, 0, v226, vcc
	v_add_f64 v[226:227], v[6:7], 1.0
	v_add_f64 v[228:229], v[226:227], -1.0
	v_add_f64 v[230:231], v[228:229], -v[226:227]
	v_add_f64 v[230:231], v[230:231], 1.0
	v_add_f64 v[228:229], v[6:7], -v[228:229]
	v_add_f64 v[228:229], v[228:229], v[230:231]
	v_frexp_mant_f64_e32 v[230:231], v[226:227]
	v_frexp_exp_i32_f64_e32 v9, v[226:227]
	v_cmp_gt_f64_e32 vcc, s[62:63], v[230:231]
	s_mov_b32 s68, s54
	s_nop 0
	v_subbrev_co_u32_e32 v9, vcc, 0, v9, vcc
	v_sub_u32_e32 v230, 0, v9
	v_ldexp_f64 v[226:227], v[226:227], v230
	v_ldexp_f64 v[228:229], v[228:229], v230
	v_add_f64 v[230:231], v[226:227], -1.0
	v_add_f64 v[244:245], v[226:227], 1.0
	v_add_f64 v[240:241], v[230:231], 1.0
	v_add_f64 v[246:247], v[244:245], -1.0
	v_add_f64 v[240:241], v[226:227], -v[240:241]
	v_add_f64 v[226:227], v[226:227], -v[246:247]
	v_add_f64 v[226:227], v[228:229], v[226:227]
	v_add_f64 v[240:241], v[228:229], v[240:241]
	;; [unrolled: 1-line block ×3, first 2 shown]
	v_rcp_f64_e32 v[246:247], v[228:229]
	v_add_f64 v[242:243], v[230:231], v[240:241]
	v_add_f64 v[230:231], v[242:243], -v[230:231]
	v_add_f64 v[230:231], v[240:241], -v[230:231]
	;; [unrolled: 1-line block ×4, first 2 shown]
	v_fma_f64 v[240:241], -v[228:229], v[246:247], 1.0
	v_fmac_f64_e32 v[246:247], v[240:241], v[246:247]
	v_fma_f64 v[240:241], -v[228:229], v[246:247], 1.0
	v_fmac_f64_e32 v[246:247], v[240:241], v[246:247]
	v_mul_f64 v[240:241], v[242:243], v[246:247]
	v_mul_f64 v[244:245], v[228:229], v[240:241]
	v_fma_f64 v[62:63], v[240:241], v[228:229], -v[244:245]
	v_fmac_f64_e32 v[62:63], v[240:241], v[226:227]
	v_add_f64 v[72:73], v[244:245], v[62:63]
	v_add_f64 v[74:75], v[242:243], -v[72:73]
	v_add_f64 v[242:243], v[242:243], -v[74:75]
	;; [unrolled: 1-line block ×4, first 2 shown]
	v_add_f64 v[230:231], v[230:231], v[242:243]
	v_add_f64 v[242:243], v[244:245], -v[62:63]
	v_add_f64 v[230:231], v[242:243], v[230:231]
	v_add_f64 v[242:243], v[74:75], v[230:231]
	v_add_f64 v[244:245], v[74:75], -v[242:243]
	v_add_f64 v[230:231], v[230:231], v[244:245]
	v_mul_f64 v[244:245], v[246:247], v[242:243]
	v_mul_f64 v[62:63], v[228:229], v[244:245]
	v_fma_f64 v[228:229], v[244:245], v[228:229], -v[62:63]
	v_fmac_f64_e32 v[228:229], v[244:245], v[226:227]
	v_add_f64 v[226:227], v[62:63], v[228:229]
	v_add_f64 v[72:73], v[242:243], -v[226:227]
	v_add_f64 v[242:243], v[242:243], -v[72:73]
	;; [unrolled: 1-line block ×4, first 2 shown]
	v_add_f64 v[226:227], v[230:231], v[226:227]
	v_add_f64 v[228:229], v[62:63], -v[228:229]
	v_add_f64 v[226:227], v[228:229], v[226:227]
	v_add_f64 v[228:229], v[240:241], v[244:245]
	;; [unrolled: 1-line block ×3, first 2 shown]
	v_add_f64 v[230:231], v[228:229], -v[240:241]
	v_mul_f64 v[226:227], v[246:247], v[226:227]
	v_add_f64 v[230:231], v[244:245], -v[230:231]
	v_add_f64 v[226:227], v[230:231], v[226:227]
	v_add_f64 v[230:231], v[228:229], v[226:227]
	v_add_f64 v[228:229], v[230:231], -v[228:229]
	v_add_f64 v[226:227], v[226:227], -v[228:229]
	v_mul_f64 v[228:229], v[230:231], v[230:231]
	v_mov_b64_e32 v[240:241], v[196:197]
	v_fmac_f64_e32 v[240:241], s[64:65], v[228:229]
	v_mov_b64_e32 v[242:243], v[198:199]
	v_fmac_f64_e32 v[242:243], v[228:229], v[240:241]
	;; [unrolled: 2-line block ×6, first 2 shown]
	v_cvt_f64_i32_e32 v[240:241], v9
	v_mul_f64 v[244:245], v[240:241], s[66:67]
	v_fma_f64 v[246:247], v[240:241], s[66:67], -v[244:245]
	v_fmac_f64_e32 v[246:247], s[68:69], v[240:241]
	v_add_f64 v[240:241], v[244:245], v[246:247]
	v_add_f64 v[244:245], v[240:241], -v[244:245]
	v_mul_f64 v[228:229], v[230:231], v[228:229]
	v_add_f64 v[244:245], v[246:247], -v[244:245]
	v_ldexp_f64 v[246:247], v[230:231], 1
	v_mul_f64 v[228:229], v[228:229], v[242:243]
	v_add_f64 v[230:231], v[246:247], v[228:229]
	v_add_f64 v[242:243], v[230:231], -v[246:247]
	v_ldexp_f64 v[226:227], v[226:227], 1
	v_add_f64 v[228:229], v[228:229], -v[242:243]
	v_add_f64 v[226:227], v[226:227], v[228:229]
	v_add_f64 v[228:229], v[230:231], v[226:227]
	v_add_f64 v[230:231], v[228:229], -v[230:231]
	v_add_f64 v[226:227], v[226:227], -v[230:231]
	v_add_f64 v[230:231], v[240:241], v[228:229]
	v_add_f64 v[242:243], v[230:231], -v[240:241]
	v_add_f64 v[246:247], v[230:231], -v[242:243]
	;; [unrolled: 1-line block ×4, first 2 shown]
	v_add_f64 v[228:229], v[228:229], v[240:241]
	v_add_f64 v[240:241], v[244:245], v[226:227]
	v_add_f64 v[242:243], v[240:241], -v[244:245]
	v_add_f64 v[228:229], v[240:241], v[228:229]
	v_add_f64 v[246:247], v[240:241], -v[242:243]
	;; [unrolled: 2-line block ×3, first 2 shown]
	v_add_f64 v[226:227], v[226:227], -v[242:243]
	v_add_f64 v[230:231], v[240:241], -v[230:231]
	v_add_f64 v[226:227], v[226:227], v[244:245]
	v_add_f64 v[228:229], v[228:229], -v[230:231]
	v_add_f64 v[226:227], v[226:227], v[228:229]
	v_add_f64 v[226:227], v[240:241], v[226:227]
	v_cmp_eq_f64_e32 vcc, s[70:71], v[6:7]
	s_nop 1
	v_cndmask_b32_e32 v9, v226, v6, vcc
	v_cndmask_b32_e32 v226, v227, v7, vcc
	v_cmp_ngt_f64_e32 vcc, -1.0, v[6:7]
	s_nop 1
	v_cndmask_b32_e32 v227, v60, v226, vcc
	v_cmp_nge_f64_e32 vcc, -1.0, v[6:7]
	s_nop 1
	v_cndmask_b32_e32 v226, 0, v9, vcc
	v_cmp_neq_f64_e32 vcc, -1.0, v[6:7]
	s_nop 1
	v_cndmask_b32_e32 v227, v61, v227, vcc
	v_add_f64 v[6:7], v[224:225], v[226:227]
	s_branch .LBB70_163
.LBB70_212:
	s_and_saveexec_b64 s[40:41], s[38:39]
	s_cbranch_execz .LBB70_223
; %bb.213:
	v_max_f64 v[6:7], v[4:5], v[4:5]
	v_max_f64 v[148:149], v[160:161], v[160:161]
	v_min_f64 v[8:9], v[148:149], v[6:7]
	v_cmp_u_f64_e32 vcc, v[160:161], v[160:161]
	v_max_f64 v[6:7], v[148:149], v[6:7]
	v_cmp_u_f64_e64 s[38:39], v[4:5], v[4:5]
	v_cndmask_b32_e32 v8, v8, v160, vcc
	v_cndmask_b32_e32 v9, v9, v161, vcc
	;; [unrolled: 1-line block ×4, first 2 shown]
	v_cndmask_b32_e64 v9, v9, v5, s[38:39]
	v_cndmask_b32_e64 v8, v8, v4, s[38:39]
	;; [unrolled: 1-line block ×4, first 2 shown]
	s_movk_i32 s38, 0x1f8
	v_cmp_neq_f64_e32 vcc, v[8:9], v[6:7]
	v_cmp_class_f64_e64 s[38:39], v[8:9], s38
	s_or_b64 vcc, vcc, s[38:39]
	v_mov_b64_e32 v[4:5], v[160:161]
	s_and_saveexec_b64 s[42:43], vcc
	s_cbranch_execz .LBB70_215
; %bb.214:
	s_mov_b32 vcc_lo, 0x652b82fe
	v_add_f64 v[4:5], v[8:9], -v[6:7]
	s_mov_b32 vcc_hi, 0x3ff71547
	v_mul_f64 v[8:9], v[4:5], vcc
	v_rndne_f64_e32 v[8:9], v[8:9]
	s_mov_b32 s47, 0xbfe62e42
	s_mov_b32 s46, 0xfefa39ef
	v_fma_f64 v[148:149], s[46:47], v[8:9], v[4:5]
	s_mov_b32 s49, 0xbc7abc9e
	s_mov_b32 s48, 0x3b39803f
	s_mov_b32 vcc_lo, 0x6a5dcb37
	v_fmac_f64_e32 v[148:149], s[48:49], v[8:9]
	v_mov_b32_e32 v150, 0xfca7ab0c
	v_mov_b32_e32 v151, 0x3e928af3
	s_mov_b32 vcc_hi, 0x3e5ade15
	v_fmac_f64_e32 v[150:151], vcc, v[148:149]
	v_mov_b32_e32 v162, 0x623fde64
	v_mov_b32_e32 v163, 0x3ec71dee
	v_fmac_f64_e32 v[162:163], v[148:149], v[150:151]
	v_mov_b32_e32 v150, 0x7c89e6b0
	v_mov_b32_e32 v151, 0x3efa0199
	v_fmac_f64_e32 v[150:151], v[148:149], v[162:163]
	;; [unrolled: 3-line block ×8, first 2 shown]
	v_fma_f64 v[150:151], v[148:149], v[150:151], 1.0
	s_mov_b32 vcc_lo, 0
	s_mov_b32 s38, 0
	v_fma_f64 v[148:149], v[148:149], v[150:151], 1.0
	v_cvt_i32_f64_e32 v8, v[8:9]
	s_mov_b32 vcc_hi, 0x40900000
	s_mov_b32 s39, 0xc090cc00
	v_ldexp_f64 v[8:9], v[148:149], v8
	v_mov_b32_e32 v53, 0x7ff00000
	v_cmp_nlt_f64_e32 vcc, vcc, v[4:5]
	v_cmp_ngt_f64_e64 s[38:39], s[38:39], v[4:5]
	s_mov_b32 s47, 0x3fe62e42
	v_cndmask_b32_e32 v9, v53, v9, vcc
	s_and_b64 vcc, s[38:39], vcc
	v_cndmask_b32_e64 v5, 0, v9, s[38:39]
	v_cndmask_b32_e32 v4, 0, v8, vcc
	v_add_f64 v[8:9], v[4:5], 1.0
	v_add_f64 v[148:149], v[8:9], -1.0
	v_add_f64 v[150:151], v[148:149], -v[8:9]
	v_add_f64 v[150:151], v[150:151], 1.0
	v_add_f64 v[148:149], v[4:5], -v[148:149]
	s_mov_b32 vcc_lo, 0x55555555
	v_add_f64 v[148:149], v[148:149], v[150:151]
	v_frexp_mant_f64_e32 v[150:151], v[8:9]
	s_mov_b32 vcc_hi, 0x3fe55555
	v_frexp_exp_i32_f64_e32 v53, v[8:9]
	v_cmp_gt_f64_e32 vcc, vcc, v[150:151]
	s_mov_b32 s49, 0x3c7abc9e
	s_nop 0
	v_subbrev_co_u32_e32 v53, vcc, 0, v53, vcc
	v_sub_u32_e32 v71, 0, v53
	v_ldexp_f64 v[8:9], v[8:9], v71
	v_add_f64 v[150:151], v[8:9], -1.0
	v_add_f64 v[166:167], v[8:9], 1.0
	v_add_f64 v[162:163], v[150:151], 1.0
	v_add_f64 v[176:177], v[166:167], -1.0
	v_ldexp_f64 v[148:149], v[148:149], v71
	v_add_f64 v[162:163], v[8:9], -v[162:163]
	v_add_f64 v[8:9], v[8:9], -v[176:177]
	v_add_f64 v[8:9], v[148:149], v[8:9]
	v_add_f64 v[162:163], v[148:149], v[162:163]
	v_add_f64 v[148:149], v[166:167], v[8:9]
	v_rcp_f64_e32 v[176:177], v[148:149]
	v_add_f64 v[164:165], v[150:151], v[162:163]
	v_add_f64 v[150:151], v[164:165], -v[150:151]
	v_add_f64 v[150:151], v[162:163], -v[150:151]
	;; [unrolled: 1-line block ×4, first 2 shown]
	v_fma_f64 v[162:163], -v[148:149], v[176:177], 1.0
	v_fmac_f64_e32 v[176:177], v[162:163], v[176:177]
	v_fma_f64 v[162:163], -v[148:149], v[176:177], 1.0
	v_fmac_f64_e32 v[176:177], v[162:163], v[176:177]
	v_mul_f64 v[162:163], v[164:165], v[176:177]
	v_mul_f64 v[166:167], v[148:149], v[162:163]
	v_fma_f64 v[178:179], v[162:163], v[148:149], -v[166:167]
	v_fmac_f64_e32 v[178:179], v[162:163], v[8:9]
	v_add_f64 v[180:181], v[166:167], v[178:179]
	v_add_f64 v[182:183], v[164:165], -v[180:181]
	v_add_f64 v[164:165], v[164:165], -v[182:183]
	;; [unrolled: 1-line block ×4, first 2 shown]
	v_add_f64 v[150:151], v[150:151], v[164:165]
	v_add_f64 v[164:165], v[166:167], -v[178:179]
	v_add_f64 v[150:151], v[164:165], v[150:151]
	v_add_f64 v[164:165], v[182:183], v[150:151]
	v_add_f64 v[166:167], v[182:183], -v[164:165]
	v_add_f64 v[150:151], v[150:151], v[166:167]
	v_mul_f64 v[166:167], v[176:177], v[164:165]
	v_mul_f64 v[178:179], v[148:149], v[166:167]
	v_fma_f64 v[148:149], v[166:167], v[148:149], -v[178:179]
	v_fmac_f64_e32 v[148:149], v[166:167], v[8:9]
	v_add_f64 v[8:9], v[178:179], v[148:149]
	v_add_f64 v[180:181], v[164:165], -v[8:9]
	v_add_f64 v[164:165], v[164:165], -v[180:181]
	;; [unrolled: 1-line block ×4, first 2 shown]
	v_add_f64 v[8:9], v[150:151], v[8:9]
	v_add_f64 v[148:149], v[178:179], -v[148:149]
	v_add_f64 v[8:9], v[148:149], v[8:9]
	v_add_f64 v[148:149], v[162:163], v[166:167]
	;; [unrolled: 1-line block ×3, first 2 shown]
	v_add_f64 v[150:151], v[148:149], -v[162:163]
	v_mul_f64 v[8:9], v[176:177], v[8:9]
	v_add_f64 v[150:151], v[166:167], -v[150:151]
	v_add_f64 v[8:9], v[150:151], v[8:9]
	v_add_f64 v[150:151], v[148:149], v[8:9]
	v_add_f64 v[148:149], v[150:151], -v[148:149]
	s_mov_b32 vcc_lo, 0xbf559e2b
	v_add_f64 v[8:9], v[8:9], -v[148:149]
	v_mul_f64 v[148:149], v[150:151], v[150:151]
	v_mov_b32_e32 v162, 0x6b47b09a
	v_mov_b32_e32 v163, 0x3fc38538
	s_mov_b32 vcc_hi, 0x3fc3ab76
	v_fmac_f64_e32 v[162:163], vcc, v[148:149]
	v_mov_b32_e32 v164, 0xd7f4df2e
	v_mov_b32_e32 v165, 0x3fc7474d
	v_fmac_f64_e32 v[164:165], v[148:149], v[162:163]
	v_mov_b32_e32 v162, 0x16291751
	v_mov_b32_e32 v163, 0x3fcc71c0
	v_fmac_f64_e32 v[162:163], v[148:149], v[164:165]
	;; [unrolled: 3-line block ×5, first 2 shown]
	v_cvt_f64_i32_e32 v[162:163], v53
	v_mul_f64 v[166:167], v[162:163], s[46:47]
	v_fma_f64 v[176:177], v[162:163], s[46:47], -v[166:167]
	v_fmac_f64_e32 v[176:177], s[48:49], v[162:163]
	v_add_f64 v[162:163], v[166:167], v[176:177]
	v_add_f64 v[166:167], v[162:163], -v[166:167]
	v_mul_f64 v[148:149], v[150:151], v[148:149]
	v_add_f64 v[166:167], v[176:177], -v[166:167]
	v_ldexp_f64 v[176:177], v[150:151], 1
	v_mul_f64 v[148:149], v[148:149], v[164:165]
	v_add_f64 v[150:151], v[176:177], v[148:149]
	v_add_f64 v[164:165], v[150:151], -v[176:177]
	v_ldexp_f64 v[8:9], v[8:9], 1
	v_add_f64 v[148:149], v[148:149], -v[164:165]
	v_add_f64 v[8:9], v[8:9], v[148:149]
	v_add_f64 v[148:149], v[150:151], v[8:9]
	v_add_f64 v[150:151], v[148:149], -v[150:151]
	v_add_f64 v[8:9], v[8:9], -v[150:151]
	v_add_f64 v[150:151], v[162:163], v[148:149]
	v_add_f64 v[164:165], v[150:151], -v[162:163]
	v_add_f64 v[176:177], v[150:151], -v[164:165]
	;; [unrolled: 1-line block ×4, first 2 shown]
	v_add_f64 v[148:149], v[148:149], v[162:163]
	v_add_f64 v[162:163], v[166:167], v[8:9]
	v_add_f64 v[164:165], v[162:163], -v[166:167]
	v_add_f64 v[148:149], v[162:163], v[148:149]
	v_add_f64 v[176:177], v[162:163], -v[164:165]
	;; [unrolled: 2-line block ×3, first 2 shown]
	v_add_f64 v[8:9], v[8:9], -v[164:165]
	v_add_f64 v[150:151], v[162:163], -v[150:151]
	v_add_f64 v[8:9], v[8:9], v[166:167]
	v_add_f64 v[148:149], v[148:149], -v[150:151]
	s_mov_b32 vcc_lo, 0
	v_add_f64 v[8:9], v[8:9], v[148:149]
	s_mov_b32 vcc_hi, 0x7ff00000
	v_add_f64 v[8:9], v[162:163], v[8:9]
	v_cmp_eq_f64_e32 vcc, vcc, v[4:5]
	v_mov_b32_e32 v53, 0x7ff80000
	s_nop 0
	v_cndmask_b32_e32 v8, v8, v4, vcc
	v_cndmask_b32_e32 v9, v9, v5, vcc
	v_cmp_ngt_f64_e32 vcc, -1.0, v[4:5]
	s_nop 1
	v_cndmask_b32_e32 v9, v53, v9, vcc
	v_cmp_nge_f64_e32 vcc, -1.0, v[4:5]
	v_mov_b32_e32 v53, 0xfff00000
	s_nop 0
	v_cndmask_b32_e32 v8, 0, v8, vcc
	v_cmp_neq_f64_e32 vcc, -1.0, v[4:5]
	s_nop 1
	v_cndmask_b32_e32 v9, v53, v9, vcc
	v_add_f64 v[4:5], v[6:7], v[8:9]
.LBB70_215:
	s_or_b64 exec, exec, s[42:43]
	v_mov_b32_e32 v147, 0
	v_lshl_add_u64 v[8:9], v[146:147], 4, v[116:117]
	s_mov_b64 vcc, src_shared_base
	v_cmp_ne_u32_e32 vcc, vcc_hi, v9
	s_and_saveexec_b64 s[38:39], vcc
	s_xor_b64 s[38:39], exec, s[38:39]
	s_cbranch_execz .LBB70_221
; %bb.216:
	s_mov_b64 vcc, src_private_base
	v_cmp_ne_u32_e32 vcc, vcc_hi, v9
	s_and_saveexec_b64 s[42:43], vcc
	s_xor_b64 vcc, exec, s[42:43]
	s_cbranch_execz .LBB70_218
; %bb.217:
	v_mov_b32_e32 v7, 0
	v_mov_b32_e32 v6, 2
	;;#ASMSTART
	global_store_dwordx4 v[8:9], v[4:7] off sc1	
s_waitcnt vmcnt(0)
	;;#ASMEND
                                        ; implicit-def: $vgpr4_vgpr5
                                        ; implicit-def: $vgpr8_vgpr9
.LBB70_218:
	s_andn2_saveexec_b64 vcc, vcc
	s_cbranch_execz .LBB70_220
; %bb.219:
	v_mov_b32_e32 v7, 0
	v_mov_b32_e32 v6, 2
	;;#ASMSTART
	flat_store_dwordx4 v[8:9], v[4:7] sc1	
s_waitcnt vmcnt(0)
	;;#ASMEND
.LBB70_220:
	s_or_b64 exec, exec, vcc
                                        ; implicit-def: $vgpr8_vgpr9
                                        ; implicit-def: $vgpr4_vgpr5
.LBB70_221:
	s_andn2_saveexec_b64 vcc, s[38:39]
	s_cbranch_execz .LBB70_223
; %bb.222:
	v_cmp_ne_u64_e32 vcc, 0, v[8:9]
	v_mov_b32_e32 v7, 0
	v_mov_b32_e32 v6, 2
	v_cndmask_b32_e32 v8, -1, v8, vcc
	;;#ASMSTART
	ds_write_b128 v8, v[4:7] 	
s_waitcnt lgkmcnt(0)
	;;#ASMEND
.LBB70_223:
	s_or_b64 exec, exec, s[40:41]
	s_and_b64 exec, exec, s[4:5]
	s_cbranch_execz .LBB70_225
; %bb.224:
	v_mov_b32_e32 v4, 0
	ds_write_b64 v4, v[160:161]
.LBB70_225:
	s_or_b64 exec, exec, s[44:45]
	v_mov_b32_e32 v4, 0
	s_waitcnt lgkmcnt(0)
	s_barrier
	ds_read_b64 v[4:5], v4
	v_mov_b64_e32 v[6:7], v[0:1]
	s_and_saveexec_b64 s[38:39], s[2:3]
	s_cbranch_execz .LBB70_229
; %bb.226:
	v_max_f64 v[6:7], v[144:145], v[144:145]
	v_min_f64 v[8:9], v[6:7], v[134:135]
	v_cmp_u_f64_e32 vcc, v[144:145], v[144:145]
	v_max_f64 v[6:7], v[6:7], v[134:135]
	s_nop 0
	v_cndmask_b32_e32 v8, v8, v144, vcc
	v_cndmask_b32_e32 v9, v9, v145, vcc
	;; [unrolled: 1-line block ×4, first 2 shown]
	v_cndmask_b32_e64 v9, v9, v1, s[36:37]
	v_cndmask_b32_e64 v8, v8, v0, s[36:37]
	;; [unrolled: 1-line block ×4, first 2 shown]
	s_movk_i32 s36, 0x1f8
	v_cmp_neq_f64_e32 vcc, v[8:9], v[6:7]
	v_cmp_class_f64_e64 s[36:37], v[8:9], s36
	s_or_b64 vcc, vcc, s[36:37]
	s_and_saveexec_b64 s[40:41], vcc
	s_cbranch_execz .LBB70_228
; %bb.227:
	s_mov_b32 vcc_lo, 0x652b82fe
	v_add_f64 v[8:9], v[8:9], -v[6:7]
	s_mov_b32 vcc_hi, 0x3ff71547
	v_mul_f64 v[134:135], v[8:9], vcc
	v_rndne_f64_e32 v[134:135], v[134:135]
	s_mov_b32 s43, 0xbfe62e42
	s_mov_b32 s42, 0xfefa39ef
	v_fma_f64 v[144:145], s[42:43], v[134:135], v[8:9]
	s_mov_b32 s45, 0xbc7abc9e
	s_mov_b32 s44, 0x3b39803f
	s_mov_b32 vcc_lo, 0x6a5dcb37
	v_fmac_f64_e32 v[144:145], s[44:45], v[134:135]
	v_mov_b32_e32 v146, 0xfca7ab0c
	v_mov_b32_e32 v147, 0x3e928af3
	s_mov_b32 vcc_hi, 0x3e5ade15
	v_fmac_f64_e32 v[146:147], vcc, v[144:145]
	v_mov_b32_e32 v148, 0x623fde64
	v_mov_b32_e32 v149, 0x3ec71dee
	v_fmac_f64_e32 v[148:149], v[144:145], v[146:147]
	v_mov_b32_e32 v146, 0x7c89e6b0
	v_mov_b32_e32 v147, 0x3efa0199
	v_fmac_f64_e32 v[146:147], v[144:145], v[148:149]
	v_mov_b32_e32 v148, 0x14761f6e
	v_mov_b32_e32 v149, 0x3f2a01a0
	v_fmac_f64_e32 v[148:149], v[144:145], v[146:147]
	v_mov_b32_e32 v146, 0x1852b7b0
	v_mov_b32_e32 v147, 0x3f56c16c
	v_fmac_f64_e32 v[146:147], v[144:145], v[148:149]
	v_mov_b32_e32 v148, 0x11122322
	v_mov_b32_e32 v149, 0x3f811111
	v_fmac_f64_e32 v[148:149], v[144:145], v[146:147]
	v_mov_b32_e32 v146, 0x555502a1
	v_mov_b32_e32 v147, 0x3fa55555
	v_fmac_f64_e32 v[146:147], v[144:145], v[148:149]
	v_mov_b32_e32 v148, 0x55555511
	v_mov_b32_e32 v149, 0x3fc55555
	v_fmac_f64_e32 v[148:149], v[144:145], v[146:147]
	v_mov_b32_e32 v146, 11
	v_mov_b32_e32 v147, 0x3fe00000
	v_fmac_f64_e32 v[146:147], v[144:145], v[148:149]
	v_fma_f64 v[146:147], v[144:145], v[146:147], 1.0
	s_mov_b32 vcc_lo, 0
	s_mov_b32 s36, 0
	v_fma_f64 v[144:145], v[144:145], v[146:147], 1.0
	v_cvt_i32_f64_e32 v53, v[134:135]
	s_mov_b32 vcc_hi, 0x40900000
	s_mov_b32 s37, 0xc090cc00
	v_ldexp_f64 v[134:135], v[144:145], v53
	v_mov_b32_e32 v53, 0x7ff00000
	v_cmp_nlt_f64_e32 vcc, vcc, v[8:9]
	v_cmp_ngt_f64_e64 s[36:37], s[36:37], v[8:9]
	s_mov_b32 s43, 0x3fe62e42
	v_cndmask_b32_e32 v53, v53, v135, vcc
	s_and_b64 vcc, s[36:37], vcc
	v_cndmask_b32_e64 v9, 0, v53, s[36:37]
	v_cndmask_b32_e32 v8, 0, v134, vcc
	v_add_f64 v[134:135], v[8:9], 1.0
	v_add_f64 v[144:145], v[134:135], -1.0
	v_add_f64 v[146:147], v[144:145], -v[134:135]
	v_add_f64 v[146:147], v[146:147], 1.0
	v_add_f64 v[144:145], v[8:9], -v[144:145]
	s_mov_b32 vcc_lo, 0x55555555
	v_add_f64 v[144:145], v[144:145], v[146:147]
	v_frexp_mant_f64_e32 v[146:147], v[134:135]
	s_mov_b32 vcc_hi, 0x3fe55555
	v_frexp_exp_i32_f64_e32 v53, v[134:135]
	v_cmp_gt_f64_e32 vcc, vcc, v[146:147]
	s_mov_b32 s45, 0x3c7abc9e
	s_nop 0
	v_subbrev_co_u32_e32 v53, vcc, 0, v53, vcc
	v_sub_u32_e32 v71, 0, v53
	v_ldexp_f64 v[134:135], v[134:135], v71
	v_add_f64 v[146:147], v[134:135], -1.0
	v_add_f64 v[160:161], v[134:135], 1.0
	v_add_f64 v[148:149], v[146:147], 1.0
	v_add_f64 v[162:163], v[160:161], -1.0
	v_ldexp_f64 v[144:145], v[144:145], v71
	v_add_f64 v[148:149], v[134:135], -v[148:149]
	v_add_f64 v[134:135], v[134:135], -v[162:163]
	v_add_f64 v[134:135], v[144:145], v[134:135]
	v_add_f64 v[148:149], v[144:145], v[148:149]
	;; [unrolled: 1-line block ×3, first 2 shown]
	v_rcp_f64_e32 v[162:163], v[144:145]
	v_add_f64 v[150:151], v[146:147], v[148:149]
	v_add_f64 v[146:147], v[150:151], -v[146:147]
	v_add_f64 v[146:147], v[148:149], -v[146:147]
	;; [unrolled: 1-line block ×4, first 2 shown]
	v_fma_f64 v[148:149], -v[144:145], v[162:163], 1.0
	v_fmac_f64_e32 v[162:163], v[148:149], v[162:163]
	v_fma_f64 v[148:149], -v[144:145], v[162:163], 1.0
	v_fmac_f64_e32 v[162:163], v[148:149], v[162:163]
	v_mul_f64 v[148:149], v[150:151], v[162:163]
	v_mul_f64 v[160:161], v[144:145], v[148:149]
	v_fma_f64 v[164:165], v[148:149], v[144:145], -v[160:161]
	v_fmac_f64_e32 v[164:165], v[148:149], v[134:135]
	v_add_f64 v[166:167], v[160:161], v[164:165]
	v_add_f64 v[176:177], v[150:151], -v[166:167]
	v_add_f64 v[150:151], v[150:151], -v[176:177]
	;; [unrolled: 1-line block ×4, first 2 shown]
	v_add_f64 v[146:147], v[146:147], v[150:151]
	v_add_f64 v[150:151], v[160:161], -v[164:165]
	v_add_f64 v[146:147], v[150:151], v[146:147]
	v_add_f64 v[150:151], v[176:177], v[146:147]
	v_add_f64 v[160:161], v[176:177], -v[150:151]
	v_add_f64 v[146:147], v[146:147], v[160:161]
	v_mul_f64 v[160:161], v[162:163], v[150:151]
	v_mul_f64 v[164:165], v[144:145], v[160:161]
	v_fma_f64 v[144:145], v[160:161], v[144:145], -v[164:165]
	v_fmac_f64_e32 v[144:145], v[160:161], v[134:135]
	v_add_f64 v[134:135], v[164:165], v[144:145]
	v_add_f64 v[166:167], v[150:151], -v[134:135]
	v_add_f64 v[150:151], v[150:151], -v[166:167]
	;; [unrolled: 1-line block ×4, first 2 shown]
	v_add_f64 v[134:135], v[146:147], v[134:135]
	v_add_f64 v[144:145], v[164:165], -v[144:145]
	v_add_f64 v[134:135], v[144:145], v[134:135]
	v_add_f64 v[144:145], v[148:149], v[160:161]
	;; [unrolled: 1-line block ×3, first 2 shown]
	v_add_f64 v[146:147], v[144:145], -v[148:149]
	v_mul_f64 v[134:135], v[162:163], v[134:135]
	v_add_f64 v[146:147], v[160:161], -v[146:147]
	v_add_f64 v[134:135], v[146:147], v[134:135]
	v_add_f64 v[146:147], v[144:145], v[134:135]
	v_add_f64 v[144:145], v[146:147], -v[144:145]
	s_mov_b32 vcc_lo, 0xbf559e2b
	v_add_f64 v[134:135], v[134:135], -v[144:145]
	v_mul_f64 v[144:145], v[146:147], v[146:147]
	v_mov_b32_e32 v148, 0x6b47b09a
	v_mov_b32_e32 v149, 0x3fc38538
	s_mov_b32 vcc_hi, 0x3fc3ab76
	v_fmac_f64_e32 v[148:149], vcc, v[144:145]
	v_mov_b32_e32 v150, 0xd7f4df2e
	v_mov_b32_e32 v151, 0x3fc7474d
	v_fmac_f64_e32 v[150:151], v[144:145], v[148:149]
	v_mov_b32_e32 v148, 0x16291751
	v_mov_b32_e32 v149, 0x3fcc71c0
	v_fmac_f64_e32 v[148:149], v[144:145], v[150:151]
	;; [unrolled: 3-line block ×5, first 2 shown]
	v_cvt_f64_i32_e32 v[148:149], v53
	v_mul_f64 v[160:161], v[148:149], s[42:43]
	v_fma_f64 v[162:163], v[148:149], s[42:43], -v[160:161]
	v_fmac_f64_e32 v[162:163], s[44:45], v[148:149]
	v_add_f64 v[148:149], v[160:161], v[162:163]
	v_add_f64 v[160:161], v[148:149], -v[160:161]
	v_mul_f64 v[144:145], v[146:147], v[144:145]
	v_add_f64 v[160:161], v[162:163], -v[160:161]
	v_ldexp_f64 v[162:163], v[146:147], 1
	v_mul_f64 v[144:145], v[144:145], v[150:151]
	v_add_f64 v[146:147], v[162:163], v[144:145]
	v_add_f64 v[150:151], v[146:147], -v[162:163]
	v_ldexp_f64 v[134:135], v[134:135], 1
	v_add_f64 v[144:145], v[144:145], -v[150:151]
	v_add_f64 v[134:135], v[134:135], v[144:145]
	v_add_f64 v[144:145], v[146:147], v[134:135]
	v_add_f64 v[146:147], v[144:145], -v[146:147]
	v_add_f64 v[134:135], v[134:135], -v[146:147]
	v_add_f64 v[146:147], v[148:149], v[144:145]
	v_add_f64 v[150:151], v[146:147], -v[148:149]
	v_add_f64 v[162:163], v[146:147], -v[150:151]
	;; [unrolled: 1-line block ×4, first 2 shown]
	v_add_f64 v[144:145], v[144:145], v[148:149]
	v_add_f64 v[148:149], v[160:161], v[134:135]
	v_add_f64 v[150:151], v[148:149], -v[160:161]
	v_add_f64 v[144:145], v[148:149], v[144:145]
	v_add_f64 v[162:163], v[148:149], -v[150:151]
	;; [unrolled: 2-line block ×3, first 2 shown]
	v_add_f64 v[134:135], v[134:135], -v[150:151]
	v_add_f64 v[146:147], v[148:149], -v[146:147]
	v_add_f64 v[134:135], v[134:135], v[160:161]
	v_add_f64 v[144:145], v[144:145], -v[146:147]
	s_mov_b32 vcc_lo, 0
	v_add_f64 v[134:135], v[134:135], v[144:145]
	s_mov_b32 vcc_hi, 0x7ff00000
	v_add_f64 v[134:135], v[148:149], v[134:135]
	v_cmp_eq_f64_e32 vcc, vcc, v[8:9]
	s_nop 1
	v_cndmask_b32_e32 v53, v134, v8, vcc
	v_cndmask_b32_e32 v71, v135, v9, vcc
	v_mov_b32_e32 v134, 0x7ff80000
	v_cmp_ngt_f64_e32 vcc, -1.0, v[8:9]
	s_nop 1
	v_cndmask_b32_e32 v71, v134, v71, vcc
	v_cmp_nge_f64_e32 vcc, -1.0, v[8:9]
	s_nop 1
	v_cndmask_b32_e32 v134, 0, v53, vcc
	v_mov_b32_e32 v53, 0xfff00000
	v_cmp_neq_f64_e32 vcc, -1.0, v[8:9]
	s_nop 1
	v_cndmask_b32_e32 v135, v53, v71, vcc
	v_add_f64 v[144:145], v[6:7], v[134:135]
.LBB70_228:
	s_or_b64 exec, exec, s[40:41]
	v_mov_b64_e32 v[6:7], v[144:145]
.LBB70_229:
	s_or_b64 exec, exec, s[38:39]
	v_max_f64 v[134:135], v[6:7], v[6:7]
	s_waitcnt lgkmcnt(0)
	v_max_f64 v[144:145], v[4:5], v[4:5]
	v_min_f64 v[8:9], v[144:145], v[134:135]
	v_cmp_u_f64_e32 vcc, v[4:5], v[4:5]
	v_max_f64 v[134:135], v[144:145], v[134:135]
	v_cmp_u_f64_e64 s[36:37], v[6:7], v[6:7]
	v_cndmask_b32_e32 v8, v8, v4, vcc
	v_cndmask_b32_e32 v9, v9, v5, vcc
	;; [unrolled: 1-line block ×4, first 2 shown]
	v_cndmask_b32_e64 v9, v9, v7, s[36:37]
	v_cndmask_b32_e64 v8, v8, v6, s[36:37]
	;; [unrolled: 1-line block ×4, first 2 shown]
	s_movk_i32 s44, 0x1f8
	v_cmp_neq_f64_e32 vcc, v[8:9], v[6:7]
	v_cmp_class_f64_e64 s[36:37], v[8:9], s44
	s_or_b64 vcc, vcc, s[36:37]
	s_and_saveexec_b64 s[38:39], vcc
	s_cbranch_execz .LBB70_231
; %bb.230:
	s_mov_b32 vcc_lo, 0x652b82fe
	v_add_f64 v[4:5], v[8:9], -v[6:7]
	s_mov_b32 vcc_hi, 0x3ff71547
	v_mul_f64 v[8:9], v[4:5], vcc
	v_rndne_f64_e32 v[8:9], v[8:9]
	s_mov_b32 s41, 0xbfe62e42
	s_mov_b32 s40, 0xfefa39ef
	v_fma_f64 v[134:135], s[40:41], v[8:9], v[4:5]
	s_mov_b32 s43, 0xbc7abc9e
	s_mov_b32 s42, 0x3b39803f
	s_mov_b32 vcc_lo, 0x6a5dcb37
	v_fmac_f64_e32 v[134:135], s[42:43], v[8:9]
	v_mov_b32_e32 v144, 0xfca7ab0c
	v_mov_b32_e32 v145, 0x3e928af3
	s_mov_b32 vcc_hi, 0x3e5ade15
	v_fmac_f64_e32 v[144:145], vcc, v[134:135]
	v_mov_b32_e32 v146, 0x623fde64
	v_mov_b32_e32 v147, 0x3ec71dee
	v_fmac_f64_e32 v[146:147], v[134:135], v[144:145]
	v_mov_b32_e32 v144, 0x7c89e6b0
	v_mov_b32_e32 v145, 0x3efa0199
	v_fmac_f64_e32 v[144:145], v[134:135], v[146:147]
	;; [unrolled: 3-line block ×8, first 2 shown]
	v_fma_f64 v[144:145], v[134:135], v[144:145], 1.0
	s_mov_b32 vcc_lo, 0
	s_mov_b32 s36, 0
	v_fma_f64 v[134:135], v[134:135], v[144:145], 1.0
	v_cvt_i32_f64_e32 v8, v[8:9]
	s_mov_b32 vcc_hi, 0x40900000
	s_mov_b32 s37, 0xc090cc00
	v_ldexp_f64 v[8:9], v[134:135], v8
	v_mov_b32_e32 v53, 0x7ff00000
	v_cmp_nlt_f64_e32 vcc, vcc, v[4:5]
	v_cmp_ngt_f64_e64 s[36:37], s[36:37], v[4:5]
	s_mov_b32 s41, 0x3fe62e42
	v_cndmask_b32_e32 v9, v53, v9, vcc
	s_and_b64 vcc, s[36:37], vcc
	v_cndmask_b32_e64 v5, 0, v9, s[36:37]
	v_cndmask_b32_e32 v4, 0, v8, vcc
	v_add_f64 v[8:9], v[4:5], 1.0
	v_add_f64 v[134:135], v[8:9], -1.0
	v_add_f64 v[144:145], v[134:135], -v[8:9]
	v_add_f64 v[144:145], v[144:145], 1.0
	v_add_f64 v[134:135], v[4:5], -v[134:135]
	s_mov_b32 vcc_lo, 0x55555555
	v_add_f64 v[134:135], v[134:135], v[144:145]
	v_frexp_mant_f64_e32 v[144:145], v[8:9]
	s_mov_b32 vcc_hi, 0x3fe55555
	v_frexp_exp_i32_f64_e32 v53, v[8:9]
	v_cmp_gt_f64_e32 vcc, vcc, v[144:145]
	s_mov_b32 s43, 0x3c7abc9e
	s_nop 0
	v_subbrev_co_u32_e32 v53, vcc, 0, v53, vcc
	v_sub_u32_e32 v71, 0, v53
	v_ldexp_f64 v[8:9], v[8:9], v71
	v_add_f64 v[144:145], v[8:9], -1.0
	v_add_f64 v[150:151], v[8:9], 1.0
	v_add_f64 v[146:147], v[144:145], 1.0
	v_add_f64 v[160:161], v[150:151], -1.0
	v_ldexp_f64 v[134:135], v[134:135], v71
	v_add_f64 v[146:147], v[8:9], -v[146:147]
	v_add_f64 v[8:9], v[8:9], -v[160:161]
	v_add_f64 v[8:9], v[134:135], v[8:9]
	v_add_f64 v[146:147], v[134:135], v[146:147]
	;; [unrolled: 1-line block ×3, first 2 shown]
	v_rcp_f64_e32 v[160:161], v[134:135]
	v_add_f64 v[148:149], v[144:145], v[146:147]
	v_add_f64 v[144:145], v[148:149], -v[144:145]
	v_add_f64 v[144:145], v[146:147], -v[144:145]
	;; [unrolled: 1-line block ×4, first 2 shown]
	v_fma_f64 v[146:147], -v[134:135], v[160:161], 1.0
	v_fmac_f64_e32 v[160:161], v[146:147], v[160:161]
	v_fma_f64 v[146:147], -v[134:135], v[160:161], 1.0
	v_fmac_f64_e32 v[160:161], v[146:147], v[160:161]
	v_mul_f64 v[146:147], v[148:149], v[160:161]
	v_mul_f64 v[150:151], v[134:135], v[146:147]
	v_fma_f64 v[162:163], v[146:147], v[134:135], -v[150:151]
	v_fmac_f64_e32 v[162:163], v[146:147], v[8:9]
	v_add_f64 v[164:165], v[150:151], v[162:163]
	v_add_f64 v[166:167], v[148:149], -v[164:165]
	v_add_f64 v[148:149], v[148:149], -v[166:167]
	;; [unrolled: 1-line block ×4, first 2 shown]
	v_add_f64 v[144:145], v[144:145], v[148:149]
	v_add_f64 v[148:149], v[150:151], -v[162:163]
	v_add_f64 v[144:145], v[148:149], v[144:145]
	v_add_f64 v[148:149], v[166:167], v[144:145]
	v_add_f64 v[150:151], v[166:167], -v[148:149]
	v_add_f64 v[144:145], v[144:145], v[150:151]
	v_mul_f64 v[150:151], v[160:161], v[148:149]
	v_mul_f64 v[162:163], v[134:135], v[150:151]
	v_fma_f64 v[134:135], v[150:151], v[134:135], -v[162:163]
	v_fmac_f64_e32 v[134:135], v[150:151], v[8:9]
	v_add_f64 v[8:9], v[162:163], v[134:135]
	v_add_f64 v[164:165], v[148:149], -v[8:9]
	v_add_f64 v[148:149], v[148:149], -v[164:165]
	;; [unrolled: 1-line block ×4, first 2 shown]
	v_add_f64 v[8:9], v[144:145], v[8:9]
	v_add_f64 v[134:135], v[162:163], -v[134:135]
	v_add_f64 v[8:9], v[134:135], v[8:9]
	v_add_f64 v[134:135], v[146:147], v[150:151]
	;; [unrolled: 1-line block ×3, first 2 shown]
	v_add_f64 v[144:145], v[134:135], -v[146:147]
	v_mul_f64 v[8:9], v[160:161], v[8:9]
	v_add_f64 v[144:145], v[150:151], -v[144:145]
	v_add_f64 v[8:9], v[144:145], v[8:9]
	v_add_f64 v[144:145], v[134:135], v[8:9]
	v_add_f64 v[134:135], v[144:145], -v[134:135]
	s_mov_b32 vcc_lo, 0xbf559e2b
	v_add_f64 v[8:9], v[8:9], -v[134:135]
	v_mul_f64 v[134:135], v[144:145], v[144:145]
	v_mov_b32_e32 v146, 0x6b47b09a
	v_mov_b32_e32 v147, 0x3fc38538
	s_mov_b32 vcc_hi, 0x3fc3ab76
	v_fmac_f64_e32 v[146:147], vcc, v[134:135]
	v_mov_b32_e32 v148, 0xd7f4df2e
	v_mov_b32_e32 v149, 0x3fc7474d
	v_fmac_f64_e32 v[148:149], v[134:135], v[146:147]
	v_mov_b32_e32 v146, 0x16291751
	v_mov_b32_e32 v147, 0x3fcc71c0
	v_fmac_f64_e32 v[146:147], v[134:135], v[148:149]
	;; [unrolled: 3-line block ×5, first 2 shown]
	v_cvt_f64_i32_e32 v[146:147], v53
	v_mul_f64 v[150:151], v[146:147], s[40:41]
	v_fma_f64 v[160:161], v[146:147], s[40:41], -v[150:151]
	v_fmac_f64_e32 v[160:161], s[42:43], v[146:147]
	v_add_f64 v[146:147], v[150:151], v[160:161]
	v_add_f64 v[150:151], v[146:147], -v[150:151]
	v_mul_f64 v[134:135], v[144:145], v[134:135]
	v_add_f64 v[150:151], v[160:161], -v[150:151]
	v_ldexp_f64 v[160:161], v[144:145], 1
	v_mul_f64 v[134:135], v[134:135], v[148:149]
	v_add_f64 v[144:145], v[160:161], v[134:135]
	v_add_f64 v[148:149], v[144:145], -v[160:161]
	v_ldexp_f64 v[8:9], v[8:9], 1
	v_add_f64 v[134:135], v[134:135], -v[148:149]
	v_add_f64 v[8:9], v[8:9], v[134:135]
	v_add_f64 v[134:135], v[144:145], v[8:9]
	v_add_f64 v[144:145], v[134:135], -v[144:145]
	v_add_f64 v[8:9], v[8:9], -v[144:145]
	v_add_f64 v[144:145], v[146:147], v[134:135]
	v_add_f64 v[148:149], v[144:145], -v[146:147]
	v_add_f64 v[160:161], v[144:145], -v[148:149]
	v_add_f64 v[146:147], v[146:147], -v[160:161]
	v_add_f64 v[134:135], v[134:135], -v[148:149]
	v_add_f64 v[134:135], v[134:135], v[146:147]
	v_add_f64 v[146:147], v[150:151], v[8:9]
	v_add_f64 v[148:149], v[146:147], -v[150:151]
	v_add_f64 v[134:135], v[146:147], v[134:135]
	v_add_f64 v[160:161], v[146:147], -v[148:149]
	;; [unrolled: 2-line block ×3, first 2 shown]
	v_add_f64 v[8:9], v[8:9], -v[148:149]
	v_add_f64 v[144:145], v[146:147], -v[144:145]
	v_add_f64 v[8:9], v[8:9], v[150:151]
	v_add_f64 v[134:135], v[134:135], -v[144:145]
	s_mov_b32 vcc_lo, 0
	v_add_f64 v[8:9], v[8:9], v[134:135]
	s_mov_b32 vcc_hi, 0x7ff00000
	v_add_f64 v[8:9], v[146:147], v[8:9]
	v_cmp_eq_f64_e32 vcc, vcc, v[4:5]
	v_mov_b32_e32 v53, 0x7ff80000
	s_nop 0
	v_cndmask_b32_e32 v8, v8, v4, vcc
	v_cndmask_b32_e32 v9, v9, v5, vcc
	v_cmp_ngt_f64_e32 vcc, -1.0, v[4:5]
	s_nop 1
	v_cndmask_b32_e32 v9, v53, v9, vcc
	v_cmp_nge_f64_e32 vcc, -1.0, v[4:5]
	v_mov_b32_e32 v53, 0xfff00000
	s_nop 0
	v_cndmask_b32_e32 v8, 0, v8, vcc
	v_cmp_neq_f64_e32 vcc, -1.0, v[4:5]
	s_nop 1
	v_cndmask_b32_e32 v9, v53, v9, vcc
	v_add_f64 v[4:5], v[6:7], v[8:9]
.LBB70_231:
	s_or_b64 exec, exec, s[38:39]
	v_max_f64 v[6:7], v[4:5], v[4:5]
	v_min_f64 v[8:9], v[6:7], v[132:133]
	v_cmp_u_f64_e32 vcc, v[4:5], v[4:5]
	v_max_f64 v[6:7], v[6:7], v[132:133]
	s_nop 0
	v_cndmask_b32_e32 v8, v8, v4, vcc
	v_cndmask_b32_e32 v9, v9, v5, vcc
	v_cndmask_b32_e32 v6, v6, v4, vcc
	v_cndmask_b32_e32 v7, v7, v5, vcc
	v_cndmask_b32_e64 v135, v9, v3, s[6:7]
	v_cndmask_b32_e64 v134, v8, v2, s[6:7]
	;; [unrolled: 1-line block ×4, first 2 shown]
	v_cmp_neq_f64_e32 vcc, v[134:135], v[8:9]
	v_cmp_class_f64_e64 s[6:7], v[134:135], s44
	s_or_b64 s[6:7], vcc, s[6:7]
	v_mov_b64_e32 v[6:7], v[4:5]
	s_and_saveexec_b64 s[36:37], s[6:7]
	s_cbranch_execz .LBB70_233
; %bb.232:
	s_mov_b32 s6, 0x652b82fe
	v_add_f64 v[6:7], v[134:135], -v[8:9]
	s_mov_b32 s7, 0x3ff71547
	v_mul_f64 v[134:135], v[6:7], s[6:7]
	v_rndne_f64_e32 v[134:135], v[134:135]
	s_mov_b32 s39, 0xbfe62e42
	s_mov_b32 s38, 0xfefa39ef
	v_fma_f64 v[144:145], s[38:39], v[134:135], v[6:7]
	s_mov_b32 s41, 0xbc7abc9e
	s_mov_b32 s40, 0x3b39803f
	;; [unrolled: 1-line block ×3, first 2 shown]
	v_fmac_f64_e32 v[144:145], s[40:41], v[134:135]
	v_mov_b32_e32 v146, 0xfca7ab0c
	v_mov_b32_e32 v147, 0x3e928af3
	s_mov_b32 s7, 0x3e5ade15
	v_fmac_f64_e32 v[146:147], s[6:7], v[144:145]
	v_mov_b32_e32 v148, 0x623fde64
	v_mov_b32_e32 v149, 0x3ec71dee
	v_fmac_f64_e32 v[148:149], v[144:145], v[146:147]
	v_mov_b32_e32 v146, 0x7c89e6b0
	v_mov_b32_e32 v147, 0x3efa0199
	;; [unrolled: 3-line block ×8, first 2 shown]
	s_mov_b32 s6, 0
	v_fmac_f64_e32 v[146:147], v[144:145], v[148:149]
	s_mov_b32 s7, 0x40900000
	v_fma_f64 v[146:147], v[144:145], v[146:147], 1.0
	v_cmp_nlt_f64_e32 vcc, s[6:7], v[6:7]
	s_mov_b32 s6, 0
	v_fma_f64 v[144:145], v[144:145], v[146:147], 1.0
	v_cvt_i32_f64_e32 v53, v[134:135]
	s_mov_b32 s7, 0xc090cc00
	v_ldexp_f64 v[134:135], v[144:145], v53
	v_mov_b32_e32 v53, 0x7ff00000
	v_cmp_ngt_f64_e64 s[6:7], s[6:7], v[6:7]
	v_cndmask_b32_e32 v53, v53, v135, vcc
	s_and_b64 vcc, s[6:7], vcc
	v_cndmask_b32_e64 v7, 0, v53, s[6:7]
	v_cndmask_b32_e32 v6, 0, v134, vcc
	v_add_f64 v[134:135], v[6:7], 1.0
	v_add_f64 v[144:145], v[134:135], -1.0
	v_add_f64 v[146:147], v[144:145], -v[134:135]
	v_add_f64 v[146:147], v[146:147], 1.0
	v_add_f64 v[144:145], v[6:7], -v[144:145]
	s_mov_b32 s6, 0x55555555
	v_add_f64 v[144:145], v[144:145], v[146:147]
	v_frexp_mant_f64_e32 v[146:147], v[134:135]
	s_mov_b32 s7, 0x3fe55555
	v_frexp_exp_i32_f64_e32 v53, v[134:135]
	v_cmp_gt_f64_e32 vcc, s[6:7], v[146:147]
	s_mov_b32 s6, 0xbf559e2b
	s_mov_b32 s7, 0x3fc3ab76
	v_subbrev_co_u32_e32 v53, vcc, 0, v53, vcc
	v_sub_u32_e32 v71, 0, v53
	v_ldexp_f64 v[134:135], v[134:135], v71
	v_add_f64 v[146:147], v[134:135], -1.0
	v_add_f64 v[160:161], v[134:135], 1.0
	v_add_f64 v[148:149], v[146:147], 1.0
	v_add_f64 v[162:163], v[160:161], -1.0
	v_ldexp_f64 v[144:145], v[144:145], v71
	v_add_f64 v[148:149], v[134:135], -v[148:149]
	v_add_f64 v[134:135], v[134:135], -v[162:163]
	v_add_f64 v[134:135], v[144:145], v[134:135]
	v_add_f64 v[148:149], v[144:145], v[148:149]
	;; [unrolled: 1-line block ×3, first 2 shown]
	v_rcp_f64_e32 v[162:163], v[144:145]
	v_add_f64 v[150:151], v[146:147], v[148:149]
	v_add_f64 v[146:147], v[150:151], -v[146:147]
	v_add_f64 v[146:147], v[148:149], -v[146:147]
	;; [unrolled: 1-line block ×4, first 2 shown]
	v_fma_f64 v[148:149], -v[144:145], v[162:163], 1.0
	v_fmac_f64_e32 v[162:163], v[148:149], v[162:163]
	v_fma_f64 v[148:149], -v[144:145], v[162:163], 1.0
	v_fmac_f64_e32 v[162:163], v[148:149], v[162:163]
	v_mul_f64 v[148:149], v[150:151], v[162:163]
	v_mul_f64 v[160:161], v[144:145], v[148:149]
	v_fma_f64 v[164:165], v[148:149], v[144:145], -v[160:161]
	v_fmac_f64_e32 v[164:165], v[148:149], v[134:135]
	v_add_f64 v[166:167], v[160:161], v[164:165]
	v_add_f64 v[176:177], v[150:151], -v[166:167]
	v_add_f64 v[150:151], v[150:151], -v[176:177]
	;; [unrolled: 1-line block ×4, first 2 shown]
	v_add_f64 v[146:147], v[146:147], v[150:151]
	v_add_f64 v[150:151], v[160:161], -v[164:165]
	v_add_f64 v[146:147], v[150:151], v[146:147]
	v_add_f64 v[150:151], v[176:177], v[146:147]
	v_add_f64 v[160:161], v[176:177], -v[150:151]
	v_add_f64 v[146:147], v[146:147], v[160:161]
	v_mul_f64 v[160:161], v[162:163], v[150:151]
	v_mul_f64 v[164:165], v[144:145], v[160:161]
	v_fma_f64 v[144:145], v[160:161], v[144:145], -v[164:165]
	v_fmac_f64_e32 v[144:145], v[160:161], v[134:135]
	v_add_f64 v[134:135], v[164:165], v[144:145]
	v_add_f64 v[166:167], v[150:151], -v[134:135]
	v_add_f64 v[150:151], v[150:151], -v[166:167]
	;; [unrolled: 1-line block ×4, first 2 shown]
	v_add_f64 v[134:135], v[146:147], v[134:135]
	v_add_f64 v[144:145], v[164:165], -v[144:145]
	v_add_f64 v[134:135], v[144:145], v[134:135]
	v_add_f64 v[144:145], v[148:149], v[160:161]
	;; [unrolled: 1-line block ×3, first 2 shown]
	v_add_f64 v[146:147], v[144:145], -v[148:149]
	v_mul_f64 v[134:135], v[162:163], v[134:135]
	v_add_f64 v[146:147], v[160:161], -v[146:147]
	v_add_f64 v[134:135], v[146:147], v[134:135]
	v_add_f64 v[146:147], v[144:145], v[134:135]
	v_add_f64 v[144:145], v[146:147], -v[144:145]
	v_add_f64 v[134:135], v[134:135], -v[144:145]
	v_mul_f64 v[144:145], v[146:147], v[146:147]
	v_mov_b32_e32 v148, 0x6b47b09a
	v_mov_b32_e32 v149, 0x3fc38538
	v_fmac_f64_e32 v[148:149], s[6:7], v[144:145]
	v_mov_b32_e32 v150, 0xd7f4df2e
	v_mov_b32_e32 v151, 0x3fc7474d
	v_fmac_f64_e32 v[150:151], v[144:145], v[148:149]
	;; [unrolled: 3-line block ×6, first 2 shown]
	v_cvt_f64_i32_e32 v[148:149], v53
	s_mov_b32 s39, 0x3fe62e42
	v_mul_f64 v[160:161], v[148:149], s[38:39]
	v_fma_f64 v[162:163], v[148:149], s[38:39], -v[160:161]
	s_mov_b32 s41, 0x3c7abc9e
	v_fmac_f64_e32 v[162:163], s[40:41], v[148:149]
	v_add_f64 v[148:149], v[160:161], v[162:163]
	v_add_f64 v[160:161], v[148:149], -v[160:161]
	v_mul_f64 v[144:145], v[146:147], v[144:145]
	v_add_f64 v[160:161], v[162:163], -v[160:161]
	v_ldexp_f64 v[162:163], v[146:147], 1
	v_mul_f64 v[144:145], v[144:145], v[150:151]
	v_add_f64 v[146:147], v[162:163], v[144:145]
	v_add_f64 v[150:151], v[146:147], -v[162:163]
	v_ldexp_f64 v[134:135], v[134:135], 1
	v_add_f64 v[144:145], v[144:145], -v[150:151]
	v_add_f64 v[134:135], v[134:135], v[144:145]
	v_add_f64 v[144:145], v[146:147], v[134:135]
	v_add_f64 v[146:147], v[144:145], -v[146:147]
	v_add_f64 v[134:135], v[134:135], -v[146:147]
	v_add_f64 v[146:147], v[148:149], v[144:145]
	v_add_f64 v[150:151], v[146:147], -v[148:149]
	v_add_f64 v[162:163], v[146:147], -v[150:151]
	;; [unrolled: 1-line block ×4, first 2 shown]
	v_add_f64 v[144:145], v[144:145], v[148:149]
	v_add_f64 v[148:149], v[160:161], v[134:135]
	v_add_f64 v[150:151], v[148:149], -v[160:161]
	v_add_f64 v[144:145], v[148:149], v[144:145]
	v_add_f64 v[162:163], v[148:149], -v[150:151]
	;; [unrolled: 2-line block ×3, first 2 shown]
	v_add_f64 v[134:135], v[134:135], -v[150:151]
	v_add_f64 v[146:147], v[148:149], -v[146:147]
	v_add_f64 v[134:135], v[134:135], v[160:161]
	v_add_f64 v[144:145], v[144:145], -v[146:147]
	s_mov_b32 s6, 0
	v_add_f64 v[134:135], v[134:135], v[144:145]
	s_mov_b32 s7, 0x7ff00000
	v_add_f64 v[134:135], v[148:149], v[134:135]
	v_cmp_eq_f64_e32 vcc, s[6:7], v[6:7]
	s_nop 1
	v_cndmask_b32_e32 v53, v134, v6, vcc
	v_cndmask_b32_e32 v71, v135, v7, vcc
	v_mov_b32_e32 v134, 0x7ff80000
	v_cmp_ngt_f64_e32 vcc, -1.0, v[6:7]
	s_nop 1
	v_cndmask_b32_e32 v71, v134, v71, vcc
	v_cmp_nge_f64_e32 vcc, -1.0, v[6:7]
	s_nop 1
	v_cndmask_b32_e32 v134, 0, v53, vcc
	v_mov_b32_e32 v53, 0xfff00000
	v_cmp_neq_f64_e32 vcc, -1.0, v[6:7]
	s_nop 1
	v_cndmask_b32_e32 v135, v53, v71, vcc
	v_add_f64 v[6:7], v[8:9], v[134:135]
.LBB70_233:
	s_or_b64 exec, exec, s[36:37]
	v_max_f64 v[8:9], v[6:7], v[6:7]
	v_min_f64 v[134:135], v[8:9], v[10:11]
	v_cmp_u_f64_e32 vcc, v[6:7], v[6:7]
	v_max_f64 v[8:9], v[8:9], v[10:11]
	s_movk_i32 s40, 0x1f8
	v_cndmask_b32_e32 v53, v134, v6, vcc
	v_cndmask_b32_e32 v71, v135, v7, vcc
	v_cndmask_b32_e32 v8, v8, v6, vcc
	v_cndmask_b32_e32 v9, v9, v7, vcc
	v_cndmask_b32_e64 v135, v71, v113, s[8:9]
	v_cndmask_b32_e64 v134, v53, v112, s[8:9]
	;; [unrolled: 1-line block ×4, first 2 shown]
	v_cmp_neq_f64_e32 vcc, v[134:135], v[10:11]
	v_cmp_class_f64_e64 s[6:7], v[134:135], s40
	s_or_b64 s[6:7], vcc, s[6:7]
	v_mov_b64_e32 v[8:9], v[6:7]
	s_and_saveexec_b64 s[8:9], s[6:7]
	s_cbranch_execz .LBB70_235
; %bb.234:
	s_mov_b32 s6, 0x652b82fe
	v_add_f64 v[8:9], v[134:135], -v[10:11]
	s_mov_b32 s7, 0x3ff71547
	v_mul_f64 v[134:135], v[8:9], s[6:7]
	v_rndne_f64_e32 v[134:135], v[134:135]
	s_mov_b32 s37, 0xbfe62e42
	s_mov_b32 s36, 0xfefa39ef
	v_fma_f64 v[144:145], s[36:37], v[134:135], v[8:9]
	s_mov_b32 s39, 0xbc7abc9e
	s_mov_b32 s38, 0x3b39803f
	;; [unrolled: 1-line block ×3, first 2 shown]
	v_fmac_f64_e32 v[144:145], s[38:39], v[134:135]
	v_mov_b32_e32 v146, 0xfca7ab0c
	v_mov_b32_e32 v147, 0x3e928af3
	s_mov_b32 s7, 0x3e5ade15
	v_fmac_f64_e32 v[146:147], s[6:7], v[144:145]
	v_mov_b32_e32 v148, 0x623fde64
	v_mov_b32_e32 v149, 0x3ec71dee
	v_fmac_f64_e32 v[148:149], v[144:145], v[146:147]
	v_mov_b32_e32 v146, 0x7c89e6b0
	v_mov_b32_e32 v147, 0x3efa0199
	;; [unrolled: 3-line block ×8, first 2 shown]
	s_mov_b32 s6, 0
	v_fmac_f64_e32 v[146:147], v[144:145], v[148:149]
	s_mov_b32 s7, 0x40900000
	v_fma_f64 v[146:147], v[144:145], v[146:147], 1.0
	v_cmp_nlt_f64_e32 vcc, s[6:7], v[8:9]
	s_mov_b32 s6, 0
	v_fma_f64 v[144:145], v[144:145], v[146:147], 1.0
	v_cvt_i32_f64_e32 v53, v[134:135]
	s_mov_b32 s7, 0xc090cc00
	v_ldexp_f64 v[134:135], v[144:145], v53
	v_mov_b32_e32 v53, 0x7ff00000
	v_cmp_ngt_f64_e64 s[6:7], s[6:7], v[8:9]
	v_cndmask_b32_e32 v53, v53, v135, vcc
	s_and_b64 vcc, s[6:7], vcc
	v_cndmask_b32_e64 v9, 0, v53, s[6:7]
	v_cndmask_b32_e32 v8, 0, v134, vcc
	v_add_f64 v[134:135], v[8:9], 1.0
	v_add_f64 v[144:145], v[134:135], -1.0
	v_add_f64 v[146:147], v[144:145], -v[134:135]
	v_add_f64 v[146:147], v[146:147], 1.0
	v_add_f64 v[144:145], v[8:9], -v[144:145]
	s_mov_b32 s6, 0x55555555
	v_add_f64 v[144:145], v[144:145], v[146:147]
	v_frexp_mant_f64_e32 v[146:147], v[134:135]
	s_mov_b32 s7, 0x3fe55555
	v_frexp_exp_i32_f64_e32 v53, v[134:135]
	v_cmp_gt_f64_e32 vcc, s[6:7], v[146:147]
	s_mov_b32 s6, 0xbf559e2b
	s_mov_b32 s7, 0x3fc3ab76
	v_subbrev_co_u32_e32 v53, vcc, 0, v53, vcc
	v_sub_u32_e32 v71, 0, v53
	v_ldexp_f64 v[134:135], v[134:135], v71
	v_add_f64 v[146:147], v[134:135], -1.0
	v_add_f64 v[160:161], v[134:135], 1.0
	v_add_f64 v[148:149], v[146:147], 1.0
	v_add_f64 v[162:163], v[160:161], -1.0
	v_ldexp_f64 v[144:145], v[144:145], v71
	v_add_f64 v[148:149], v[134:135], -v[148:149]
	v_add_f64 v[134:135], v[134:135], -v[162:163]
	v_add_f64 v[134:135], v[144:145], v[134:135]
	v_add_f64 v[148:149], v[144:145], v[148:149]
	;; [unrolled: 1-line block ×3, first 2 shown]
	v_rcp_f64_e32 v[162:163], v[144:145]
	v_add_f64 v[150:151], v[146:147], v[148:149]
	v_add_f64 v[146:147], v[150:151], -v[146:147]
	v_add_f64 v[146:147], v[148:149], -v[146:147]
	;; [unrolled: 1-line block ×4, first 2 shown]
	v_fma_f64 v[148:149], -v[144:145], v[162:163], 1.0
	v_fmac_f64_e32 v[162:163], v[148:149], v[162:163]
	v_fma_f64 v[148:149], -v[144:145], v[162:163], 1.0
	v_fmac_f64_e32 v[162:163], v[148:149], v[162:163]
	v_mul_f64 v[148:149], v[150:151], v[162:163]
	v_mul_f64 v[160:161], v[144:145], v[148:149]
	v_fma_f64 v[164:165], v[148:149], v[144:145], -v[160:161]
	v_fmac_f64_e32 v[164:165], v[148:149], v[134:135]
	v_add_f64 v[166:167], v[160:161], v[164:165]
	v_add_f64 v[176:177], v[150:151], -v[166:167]
	v_add_f64 v[150:151], v[150:151], -v[176:177]
	;; [unrolled: 1-line block ×4, first 2 shown]
	v_add_f64 v[146:147], v[146:147], v[150:151]
	v_add_f64 v[150:151], v[160:161], -v[164:165]
	v_add_f64 v[146:147], v[150:151], v[146:147]
	v_add_f64 v[150:151], v[176:177], v[146:147]
	v_add_f64 v[160:161], v[176:177], -v[150:151]
	v_add_f64 v[146:147], v[146:147], v[160:161]
	v_mul_f64 v[160:161], v[162:163], v[150:151]
	v_mul_f64 v[164:165], v[144:145], v[160:161]
	v_fma_f64 v[144:145], v[160:161], v[144:145], -v[164:165]
	v_fmac_f64_e32 v[144:145], v[160:161], v[134:135]
	v_add_f64 v[134:135], v[164:165], v[144:145]
	v_add_f64 v[166:167], v[150:151], -v[134:135]
	v_add_f64 v[150:151], v[150:151], -v[166:167]
	;; [unrolled: 1-line block ×4, first 2 shown]
	v_add_f64 v[134:135], v[146:147], v[134:135]
	v_add_f64 v[144:145], v[164:165], -v[144:145]
	v_add_f64 v[134:135], v[144:145], v[134:135]
	v_add_f64 v[144:145], v[148:149], v[160:161]
	;; [unrolled: 1-line block ×3, first 2 shown]
	v_add_f64 v[146:147], v[144:145], -v[148:149]
	v_mul_f64 v[134:135], v[162:163], v[134:135]
	v_add_f64 v[146:147], v[160:161], -v[146:147]
	v_add_f64 v[134:135], v[146:147], v[134:135]
	v_add_f64 v[146:147], v[144:145], v[134:135]
	v_add_f64 v[144:145], v[146:147], -v[144:145]
	v_add_f64 v[134:135], v[134:135], -v[144:145]
	v_mul_f64 v[144:145], v[146:147], v[146:147]
	v_mov_b32_e32 v148, 0x6b47b09a
	v_mov_b32_e32 v149, 0x3fc38538
	v_fmac_f64_e32 v[148:149], s[6:7], v[144:145]
	v_mov_b32_e32 v150, 0xd7f4df2e
	v_mov_b32_e32 v151, 0x3fc7474d
	v_fmac_f64_e32 v[150:151], v[144:145], v[148:149]
	;; [unrolled: 3-line block ×6, first 2 shown]
	v_cvt_f64_i32_e32 v[148:149], v53
	s_mov_b32 s37, 0x3fe62e42
	v_mul_f64 v[160:161], v[148:149], s[36:37]
	v_fma_f64 v[162:163], v[148:149], s[36:37], -v[160:161]
	s_mov_b32 s39, 0x3c7abc9e
	v_fmac_f64_e32 v[162:163], s[38:39], v[148:149]
	v_add_f64 v[148:149], v[160:161], v[162:163]
	v_add_f64 v[160:161], v[148:149], -v[160:161]
	v_mul_f64 v[144:145], v[146:147], v[144:145]
	v_add_f64 v[160:161], v[162:163], -v[160:161]
	v_ldexp_f64 v[162:163], v[146:147], 1
	v_mul_f64 v[144:145], v[144:145], v[150:151]
	v_add_f64 v[146:147], v[162:163], v[144:145]
	v_add_f64 v[150:151], v[146:147], -v[162:163]
	v_ldexp_f64 v[134:135], v[134:135], 1
	v_add_f64 v[144:145], v[144:145], -v[150:151]
	v_add_f64 v[134:135], v[134:135], v[144:145]
	v_add_f64 v[144:145], v[146:147], v[134:135]
	v_add_f64 v[146:147], v[144:145], -v[146:147]
	v_add_f64 v[134:135], v[134:135], -v[146:147]
	v_add_f64 v[146:147], v[148:149], v[144:145]
	v_add_f64 v[150:151], v[146:147], -v[148:149]
	v_add_f64 v[162:163], v[146:147], -v[150:151]
	;; [unrolled: 1-line block ×4, first 2 shown]
	v_add_f64 v[144:145], v[144:145], v[148:149]
	v_add_f64 v[148:149], v[160:161], v[134:135]
	v_add_f64 v[150:151], v[148:149], -v[160:161]
	v_add_f64 v[144:145], v[148:149], v[144:145]
	v_add_f64 v[162:163], v[148:149], -v[150:151]
	;; [unrolled: 2-line block ×3, first 2 shown]
	v_add_f64 v[134:135], v[134:135], -v[150:151]
	v_add_f64 v[146:147], v[148:149], -v[146:147]
	v_add_f64 v[134:135], v[134:135], v[160:161]
	v_add_f64 v[144:145], v[144:145], -v[146:147]
	s_mov_b32 s6, 0
	v_add_f64 v[134:135], v[134:135], v[144:145]
	s_mov_b32 s7, 0x7ff00000
	v_add_f64 v[134:135], v[148:149], v[134:135]
	v_cmp_eq_f64_e32 vcc, s[6:7], v[8:9]
	s_nop 1
	v_cndmask_b32_e32 v53, v134, v8, vcc
	v_cndmask_b32_e32 v71, v135, v9, vcc
	v_mov_b32_e32 v134, 0x7ff80000
	v_cmp_ngt_f64_e32 vcc, -1.0, v[8:9]
	s_nop 1
	v_cndmask_b32_e32 v71, v134, v71, vcc
	v_cmp_nge_f64_e32 vcc, -1.0, v[8:9]
	s_nop 1
	v_cndmask_b32_e32 v134, 0, v53, vcc
	v_mov_b32_e32 v53, 0xfff00000
	v_cmp_neq_f64_e32 vcc, -1.0, v[8:9]
	s_nop 1
	v_cndmask_b32_e32 v135, v53, v71, vcc
	v_add_f64 v[8:9], v[10:11], v[134:135]
.LBB70_235:
	s_or_b64 exec, exec, s[8:9]
	v_max_f64 v[10:11], v[8:9], v[8:9]
	v_min_f64 v[134:135], v[10:11], v[12:13]
	v_cmp_u_f64_e32 vcc, v[8:9], v[8:9]
	v_max_f64 v[10:11], v[10:11], v[12:13]
	s_nop 0
	v_cndmask_b32_e32 v53, v134, v8, vcc
	v_cndmask_b32_e32 v71, v135, v9, vcc
	;; [unrolled: 1-line block ×4, first 2 shown]
	v_cndmask_b32_e64 v135, v71, v115, s[10:11]
	v_cndmask_b32_e64 v134, v53, v114, s[10:11]
	v_cndmask_b32_e64 v13, v11, v115, s[10:11]
	v_cndmask_b32_e64 v12, v10, v114, s[10:11]
	v_cmp_neq_f64_e32 vcc, v[134:135], v[12:13]
	v_cmp_class_f64_e64 s[6:7], v[134:135], s40
	s_or_b64 s[6:7], vcc, s[6:7]
	v_mov_b64_e32 v[10:11], v[8:9]
	s_and_saveexec_b64 s[8:9], s[6:7]
	s_cbranch_execz .LBB70_237
; %bb.236:
	s_mov_b32 s6, 0x652b82fe
	v_add_f64 v[10:11], v[134:135], -v[12:13]
	s_mov_b32 s7, 0x3ff71547
	v_mul_f64 v[134:135], v[10:11], s[6:7]
	v_rndne_f64_e32 v[134:135], v[134:135]
	s_mov_b32 s11, 0xbfe62e42
	s_mov_b32 s10, 0xfefa39ef
	v_fma_f64 v[144:145], s[10:11], v[134:135], v[10:11]
	s_mov_b32 s37, 0xbc7abc9e
	s_mov_b32 s36, 0x3b39803f
	;; [unrolled: 1-line block ×3, first 2 shown]
	v_fmac_f64_e32 v[144:145], s[36:37], v[134:135]
	v_mov_b32_e32 v146, 0xfca7ab0c
	v_mov_b32_e32 v147, 0x3e928af3
	s_mov_b32 s7, 0x3e5ade15
	v_fmac_f64_e32 v[146:147], s[6:7], v[144:145]
	v_mov_b32_e32 v148, 0x623fde64
	v_mov_b32_e32 v149, 0x3ec71dee
	v_fmac_f64_e32 v[148:149], v[144:145], v[146:147]
	v_mov_b32_e32 v146, 0x7c89e6b0
	v_mov_b32_e32 v147, 0x3efa0199
	;; [unrolled: 3-line block ×8, first 2 shown]
	s_mov_b32 s6, 0
	v_fmac_f64_e32 v[146:147], v[144:145], v[148:149]
	s_mov_b32 s7, 0x40900000
	v_fma_f64 v[146:147], v[144:145], v[146:147], 1.0
	v_cmp_nlt_f64_e32 vcc, s[6:7], v[10:11]
	s_mov_b32 s6, 0
	v_fma_f64 v[144:145], v[144:145], v[146:147], 1.0
	v_cvt_i32_f64_e32 v53, v[134:135]
	s_mov_b32 s7, 0xc090cc00
	v_ldexp_f64 v[134:135], v[144:145], v53
	v_mov_b32_e32 v53, 0x7ff00000
	v_cmp_ngt_f64_e64 s[6:7], s[6:7], v[10:11]
	v_cndmask_b32_e32 v53, v53, v135, vcc
	s_and_b64 vcc, s[6:7], vcc
	v_cndmask_b32_e64 v11, 0, v53, s[6:7]
	v_cndmask_b32_e32 v10, 0, v134, vcc
	v_add_f64 v[134:135], v[10:11], 1.0
	v_add_f64 v[144:145], v[134:135], -1.0
	v_add_f64 v[146:147], v[144:145], -v[134:135]
	v_add_f64 v[146:147], v[146:147], 1.0
	v_add_f64 v[144:145], v[10:11], -v[144:145]
	s_mov_b32 s6, 0x55555555
	v_add_f64 v[144:145], v[144:145], v[146:147]
	v_frexp_mant_f64_e32 v[146:147], v[134:135]
	s_mov_b32 s7, 0x3fe55555
	v_frexp_exp_i32_f64_e32 v53, v[134:135]
	v_cmp_gt_f64_e32 vcc, s[6:7], v[146:147]
	s_mov_b32 s6, 0xbf559e2b
	s_mov_b32 s7, 0x3fc3ab76
	v_subbrev_co_u32_e32 v53, vcc, 0, v53, vcc
	v_sub_u32_e32 v71, 0, v53
	v_ldexp_f64 v[134:135], v[134:135], v71
	v_add_f64 v[146:147], v[134:135], -1.0
	v_add_f64 v[160:161], v[134:135], 1.0
	v_add_f64 v[148:149], v[146:147], 1.0
	v_add_f64 v[162:163], v[160:161], -1.0
	v_ldexp_f64 v[144:145], v[144:145], v71
	v_add_f64 v[148:149], v[134:135], -v[148:149]
	v_add_f64 v[134:135], v[134:135], -v[162:163]
	v_add_f64 v[134:135], v[144:145], v[134:135]
	v_add_f64 v[148:149], v[144:145], v[148:149]
	;; [unrolled: 1-line block ×3, first 2 shown]
	v_rcp_f64_e32 v[162:163], v[144:145]
	v_add_f64 v[150:151], v[146:147], v[148:149]
	v_add_f64 v[146:147], v[150:151], -v[146:147]
	v_add_f64 v[146:147], v[148:149], -v[146:147]
	;; [unrolled: 1-line block ×4, first 2 shown]
	v_fma_f64 v[148:149], -v[144:145], v[162:163], 1.0
	v_fmac_f64_e32 v[162:163], v[148:149], v[162:163]
	v_fma_f64 v[148:149], -v[144:145], v[162:163], 1.0
	v_fmac_f64_e32 v[162:163], v[148:149], v[162:163]
	v_mul_f64 v[148:149], v[150:151], v[162:163]
	v_mul_f64 v[160:161], v[144:145], v[148:149]
	v_fma_f64 v[164:165], v[148:149], v[144:145], -v[160:161]
	v_fmac_f64_e32 v[164:165], v[148:149], v[134:135]
	v_add_f64 v[166:167], v[160:161], v[164:165]
	v_add_f64 v[176:177], v[150:151], -v[166:167]
	v_add_f64 v[150:151], v[150:151], -v[176:177]
	;; [unrolled: 1-line block ×4, first 2 shown]
	v_add_f64 v[146:147], v[146:147], v[150:151]
	v_add_f64 v[150:151], v[160:161], -v[164:165]
	v_add_f64 v[146:147], v[150:151], v[146:147]
	v_add_f64 v[150:151], v[176:177], v[146:147]
	v_add_f64 v[160:161], v[176:177], -v[150:151]
	v_add_f64 v[146:147], v[146:147], v[160:161]
	v_mul_f64 v[160:161], v[162:163], v[150:151]
	v_mul_f64 v[164:165], v[144:145], v[160:161]
	v_fma_f64 v[144:145], v[160:161], v[144:145], -v[164:165]
	v_fmac_f64_e32 v[144:145], v[160:161], v[134:135]
	v_add_f64 v[134:135], v[164:165], v[144:145]
	v_add_f64 v[166:167], v[150:151], -v[134:135]
	v_add_f64 v[150:151], v[150:151], -v[166:167]
	;; [unrolled: 1-line block ×4, first 2 shown]
	v_add_f64 v[134:135], v[146:147], v[134:135]
	v_add_f64 v[144:145], v[164:165], -v[144:145]
	v_add_f64 v[134:135], v[144:145], v[134:135]
	v_add_f64 v[144:145], v[148:149], v[160:161]
	;; [unrolled: 1-line block ×3, first 2 shown]
	v_add_f64 v[146:147], v[144:145], -v[148:149]
	v_mul_f64 v[134:135], v[162:163], v[134:135]
	v_add_f64 v[146:147], v[160:161], -v[146:147]
	v_add_f64 v[134:135], v[146:147], v[134:135]
	v_add_f64 v[146:147], v[144:145], v[134:135]
	v_add_f64 v[144:145], v[146:147], -v[144:145]
	v_add_f64 v[134:135], v[134:135], -v[144:145]
	v_mul_f64 v[144:145], v[146:147], v[146:147]
	v_mov_b32_e32 v148, 0x6b47b09a
	v_mov_b32_e32 v149, 0x3fc38538
	v_fmac_f64_e32 v[148:149], s[6:7], v[144:145]
	v_mov_b32_e32 v150, 0xd7f4df2e
	v_mov_b32_e32 v151, 0x3fc7474d
	v_fmac_f64_e32 v[150:151], v[144:145], v[148:149]
	;; [unrolled: 3-line block ×6, first 2 shown]
	v_cvt_f64_i32_e32 v[148:149], v53
	s_mov_b32 s11, 0x3fe62e42
	v_mul_f64 v[160:161], v[148:149], s[10:11]
	v_fma_f64 v[162:163], v[148:149], s[10:11], -v[160:161]
	s_mov_b32 s37, 0x3c7abc9e
	v_fmac_f64_e32 v[162:163], s[36:37], v[148:149]
	v_add_f64 v[148:149], v[160:161], v[162:163]
	v_add_f64 v[160:161], v[148:149], -v[160:161]
	v_mul_f64 v[144:145], v[146:147], v[144:145]
	v_add_f64 v[160:161], v[162:163], -v[160:161]
	v_ldexp_f64 v[162:163], v[146:147], 1
	v_mul_f64 v[144:145], v[144:145], v[150:151]
	v_add_f64 v[146:147], v[162:163], v[144:145]
	v_add_f64 v[150:151], v[146:147], -v[162:163]
	v_ldexp_f64 v[134:135], v[134:135], 1
	v_add_f64 v[144:145], v[144:145], -v[150:151]
	v_add_f64 v[134:135], v[134:135], v[144:145]
	v_add_f64 v[144:145], v[146:147], v[134:135]
	v_add_f64 v[146:147], v[144:145], -v[146:147]
	v_add_f64 v[134:135], v[134:135], -v[146:147]
	v_add_f64 v[146:147], v[148:149], v[144:145]
	v_add_f64 v[150:151], v[146:147], -v[148:149]
	v_add_f64 v[162:163], v[146:147], -v[150:151]
	;; [unrolled: 1-line block ×4, first 2 shown]
	v_add_f64 v[144:145], v[144:145], v[148:149]
	v_add_f64 v[148:149], v[160:161], v[134:135]
	v_add_f64 v[150:151], v[148:149], -v[160:161]
	v_add_f64 v[144:145], v[148:149], v[144:145]
	v_add_f64 v[162:163], v[148:149], -v[150:151]
	;; [unrolled: 2-line block ×3, first 2 shown]
	v_add_f64 v[134:135], v[134:135], -v[150:151]
	v_add_f64 v[146:147], v[148:149], -v[146:147]
	v_add_f64 v[134:135], v[134:135], v[160:161]
	v_add_f64 v[144:145], v[144:145], -v[146:147]
	s_mov_b32 s6, 0
	v_add_f64 v[134:135], v[134:135], v[144:145]
	s_mov_b32 s7, 0x7ff00000
	v_add_f64 v[134:135], v[148:149], v[134:135]
	v_cmp_eq_f64_e32 vcc, s[6:7], v[10:11]
	s_nop 1
	v_cndmask_b32_e32 v53, v134, v10, vcc
	v_cndmask_b32_e32 v71, v135, v11, vcc
	v_mov_b32_e32 v134, 0x7ff80000
	v_cmp_ngt_f64_e32 vcc, -1.0, v[10:11]
	s_nop 1
	v_cndmask_b32_e32 v71, v134, v71, vcc
	v_cmp_nge_f64_e32 vcc, -1.0, v[10:11]
	s_nop 1
	v_cndmask_b32_e32 v134, 0, v53, vcc
	v_mov_b32_e32 v53, 0xfff00000
	v_cmp_neq_f64_e32 vcc, -1.0, v[10:11]
	s_nop 1
	v_cndmask_b32_e32 v135, v53, v71, vcc
	v_add_f64 v[10:11], v[12:13], v[134:135]
.LBB70_237:
	s_or_b64 exec, exec, s[8:9]
	v_max_f64 v[12:13], v[10:11], v[10:11]
	v_min_f64 v[134:135], v[12:13], v[14:15]
	v_cmp_u_f64_e32 vcc, v[10:11], v[10:11]
	v_max_f64 v[12:13], v[12:13], v[14:15]
	s_movk_i32 s36, 0x1f8
	v_cndmask_b32_e32 v53, v134, v10, vcc
	v_cndmask_b32_e32 v71, v135, v11, vcc
	;; [unrolled: 1-line block ×4, first 2 shown]
	v_cndmask_b32_e64 v135, v71, v101, s[12:13]
	v_cndmask_b32_e64 v134, v53, v100, s[12:13]
	;; [unrolled: 1-line block ×4, first 2 shown]
	v_cmp_neq_f64_e32 vcc, v[134:135], v[14:15]
	v_cmp_class_f64_e64 s[6:7], v[134:135], s36
	s_or_b64 s[6:7], vcc, s[6:7]
	v_mov_b64_e32 v[12:13], v[10:11]
	s_and_saveexec_b64 s[8:9], s[6:7]
	s_cbranch_execz .LBB70_239
; %bb.238:
	s_mov_b32 s6, 0x652b82fe
	v_add_f64 v[12:13], v[134:135], -v[14:15]
	s_mov_b32 s7, 0x3ff71547
	v_mul_f64 v[134:135], v[12:13], s[6:7]
	v_rndne_f64_e32 v[134:135], v[134:135]
	s_mov_b32 s11, 0xbfe62e42
	s_mov_b32 s10, 0xfefa39ef
	v_fma_f64 v[144:145], s[10:11], v[134:135], v[12:13]
	s_mov_b32 s13, 0xbc7abc9e
	s_mov_b32 s12, 0x3b39803f
	s_mov_b32 s6, 0x6a5dcb37
	v_fmac_f64_e32 v[144:145], s[12:13], v[134:135]
	v_mov_b32_e32 v146, 0xfca7ab0c
	v_mov_b32_e32 v147, 0x3e928af3
	s_mov_b32 s7, 0x3e5ade15
	v_fmac_f64_e32 v[146:147], s[6:7], v[144:145]
	v_mov_b32_e32 v148, 0x623fde64
	v_mov_b32_e32 v149, 0x3ec71dee
	v_fmac_f64_e32 v[148:149], v[144:145], v[146:147]
	v_mov_b32_e32 v146, 0x7c89e6b0
	v_mov_b32_e32 v147, 0x3efa0199
	;; [unrolled: 3-line block ×8, first 2 shown]
	s_mov_b32 s6, 0
	v_fmac_f64_e32 v[146:147], v[144:145], v[148:149]
	s_mov_b32 s7, 0x40900000
	v_fma_f64 v[146:147], v[144:145], v[146:147], 1.0
	v_cmp_nlt_f64_e32 vcc, s[6:7], v[12:13]
	s_mov_b32 s6, 0
	v_fma_f64 v[144:145], v[144:145], v[146:147], 1.0
	v_cvt_i32_f64_e32 v53, v[134:135]
	s_mov_b32 s7, 0xc090cc00
	v_ldexp_f64 v[134:135], v[144:145], v53
	v_mov_b32_e32 v53, 0x7ff00000
	v_cmp_ngt_f64_e64 s[6:7], s[6:7], v[12:13]
	v_cndmask_b32_e32 v53, v53, v135, vcc
	s_and_b64 vcc, s[6:7], vcc
	v_cndmask_b32_e64 v13, 0, v53, s[6:7]
	v_cndmask_b32_e32 v12, 0, v134, vcc
	v_add_f64 v[134:135], v[12:13], 1.0
	v_add_f64 v[144:145], v[134:135], -1.0
	v_add_f64 v[146:147], v[144:145], -v[134:135]
	v_add_f64 v[146:147], v[146:147], 1.0
	v_add_f64 v[144:145], v[12:13], -v[144:145]
	s_mov_b32 s6, 0x55555555
	v_add_f64 v[144:145], v[144:145], v[146:147]
	v_frexp_mant_f64_e32 v[146:147], v[134:135]
	s_mov_b32 s7, 0x3fe55555
	v_frexp_exp_i32_f64_e32 v53, v[134:135]
	v_cmp_gt_f64_e32 vcc, s[6:7], v[146:147]
	s_mov_b32 s6, 0xbf559e2b
	s_mov_b32 s7, 0x3fc3ab76
	v_subbrev_co_u32_e32 v53, vcc, 0, v53, vcc
	v_sub_u32_e32 v71, 0, v53
	v_ldexp_f64 v[134:135], v[134:135], v71
	v_add_f64 v[146:147], v[134:135], -1.0
	v_add_f64 v[160:161], v[134:135], 1.0
	v_add_f64 v[148:149], v[146:147], 1.0
	v_add_f64 v[162:163], v[160:161], -1.0
	v_ldexp_f64 v[144:145], v[144:145], v71
	v_add_f64 v[148:149], v[134:135], -v[148:149]
	v_add_f64 v[134:135], v[134:135], -v[162:163]
	v_add_f64 v[134:135], v[144:145], v[134:135]
	v_add_f64 v[148:149], v[144:145], v[148:149]
	v_add_f64 v[144:145], v[160:161], v[134:135]
	v_rcp_f64_e32 v[162:163], v[144:145]
	v_add_f64 v[150:151], v[146:147], v[148:149]
	v_add_f64 v[146:147], v[150:151], -v[146:147]
	v_add_f64 v[146:147], v[148:149], -v[146:147]
	;; [unrolled: 1-line block ×4, first 2 shown]
	v_fma_f64 v[148:149], -v[144:145], v[162:163], 1.0
	v_fmac_f64_e32 v[162:163], v[148:149], v[162:163]
	v_fma_f64 v[148:149], -v[144:145], v[162:163], 1.0
	v_fmac_f64_e32 v[162:163], v[148:149], v[162:163]
	v_mul_f64 v[148:149], v[150:151], v[162:163]
	v_mul_f64 v[160:161], v[144:145], v[148:149]
	v_fma_f64 v[164:165], v[148:149], v[144:145], -v[160:161]
	v_fmac_f64_e32 v[164:165], v[148:149], v[134:135]
	v_add_f64 v[166:167], v[160:161], v[164:165]
	v_add_f64 v[176:177], v[150:151], -v[166:167]
	v_add_f64 v[150:151], v[150:151], -v[176:177]
	;; [unrolled: 1-line block ×4, first 2 shown]
	v_add_f64 v[146:147], v[146:147], v[150:151]
	v_add_f64 v[150:151], v[160:161], -v[164:165]
	v_add_f64 v[146:147], v[150:151], v[146:147]
	v_add_f64 v[150:151], v[176:177], v[146:147]
	v_add_f64 v[160:161], v[176:177], -v[150:151]
	v_add_f64 v[146:147], v[146:147], v[160:161]
	v_mul_f64 v[160:161], v[162:163], v[150:151]
	v_mul_f64 v[164:165], v[144:145], v[160:161]
	v_fma_f64 v[144:145], v[160:161], v[144:145], -v[164:165]
	v_fmac_f64_e32 v[144:145], v[160:161], v[134:135]
	v_add_f64 v[134:135], v[164:165], v[144:145]
	v_add_f64 v[166:167], v[150:151], -v[134:135]
	v_add_f64 v[150:151], v[150:151], -v[166:167]
	v_add_f64 v[164:165], v[134:135], -v[164:165]
	v_add_f64 v[134:135], v[150:151], -v[134:135]
	v_add_f64 v[134:135], v[146:147], v[134:135]
	v_add_f64 v[144:145], v[164:165], -v[144:145]
	v_add_f64 v[134:135], v[144:145], v[134:135]
	v_add_f64 v[144:145], v[148:149], v[160:161]
	;; [unrolled: 1-line block ×3, first 2 shown]
	v_add_f64 v[146:147], v[144:145], -v[148:149]
	v_mul_f64 v[134:135], v[162:163], v[134:135]
	v_add_f64 v[146:147], v[160:161], -v[146:147]
	v_add_f64 v[134:135], v[146:147], v[134:135]
	v_add_f64 v[146:147], v[144:145], v[134:135]
	v_add_f64 v[144:145], v[146:147], -v[144:145]
	v_add_f64 v[134:135], v[134:135], -v[144:145]
	v_mul_f64 v[144:145], v[146:147], v[146:147]
	v_mov_b32_e32 v148, 0x6b47b09a
	v_mov_b32_e32 v149, 0x3fc38538
	v_fmac_f64_e32 v[148:149], s[6:7], v[144:145]
	v_mov_b32_e32 v150, 0xd7f4df2e
	v_mov_b32_e32 v151, 0x3fc7474d
	v_fmac_f64_e32 v[150:151], v[144:145], v[148:149]
	;; [unrolled: 3-line block ×6, first 2 shown]
	v_cvt_f64_i32_e32 v[148:149], v53
	s_mov_b32 s11, 0x3fe62e42
	v_mul_f64 v[160:161], v[148:149], s[10:11]
	v_fma_f64 v[162:163], v[148:149], s[10:11], -v[160:161]
	s_mov_b32 s13, 0x3c7abc9e
	v_fmac_f64_e32 v[162:163], s[12:13], v[148:149]
	v_add_f64 v[148:149], v[160:161], v[162:163]
	v_add_f64 v[160:161], v[148:149], -v[160:161]
	v_mul_f64 v[144:145], v[146:147], v[144:145]
	v_add_f64 v[160:161], v[162:163], -v[160:161]
	v_ldexp_f64 v[162:163], v[146:147], 1
	v_mul_f64 v[144:145], v[144:145], v[150:151]
	v_add_f64 v[146:147], v[162:163], v[144:145]
	v_add_f64 v[150:151], v[146:147], -v[162:163]
	v_ldexp_f64 v[134:135], v[134:135], 1
	v_add_f64 v[144:145], v[144:145], -v[150:151]
	v_add_f64 v[134:135], v[134:135], v[144:145]
	v_add_f64 v[144:145], v[146:147], v[134:135]
	v_add_f64 v[146:147], v[144:145], -v[146:147]
	v_add_f64 v[134:135], v[134:135], -v[146:147]
	v_add_f64 v[146:147], v[148:149], v[144:145]
	v_add_f64 v[150:151], v[146:147], -v[148:149]
	v_add_f64 v[162:163], v[146:147], -v[150:151]
	;; [unrolled: 1-line block ×4, first 2 shown]
	v_add_f64 v[144:145], v[144:145], v[148:149]
	v_add_f64 v[148:149], v[160:161], v[134:135]
	v_add_f64 v[150:151], v[148:149], -v[160:161]
	v_add_f64 v[144:145], v[148:149], v[144:145]
	v_add_f64 v[162:163], v[148:149], -v[150:151]
	;; [unrolled: 2-line block ×3, first 2 shown]
	v_add_f64 v[134:135], v[134:135], -v[150:151]
	v_add_f64 v[146:147], v[148:149], -v[146:147]
	v_add_f64 v[134:135], v[134:135], v[160:161]
	v_add_f64 v[144:145], v[144:145], -v[146:147]
	s_mov_b32 s6, 0
	v_add_f64 v[134:135], v[134:135], v[144:145]
	s_mov_b32 s7, 0x7ff00000
	v_add_f64 v[134:135], v[148:149], v[134:135]
	v_cmp_eq_f64_e32 vcc, s[6:7], v[12:13]
	s_nop 1
	v_cndmask_b32_e32 v53, v134, v12, vcc
	v_cndmask_b32_e32 v71, v135, v13, vcc
	v_mov_b32_e32 v134, 0x7ff80000
	v_cmp_ngt_f64_e32 vcc, -1.0, v[12:13]
	s_nop 1
	v_cndmask_b32_e32 v71, v134, v71, vcc
	v_cmp_nge_f64_e32 vcc, -1.0, v[12:13]
	s_nop 1
	v_cndmask_b32_e32 v134, 0, v53, vcc
	v_mov_b32_e32 v53, 0xfff00000
	v_cmp_neq_f64_e32 vcc, -1.0, v[12:13]
	s_nop 1
	v_cndmask_b32_e32 v135, v53, v71, vcc
	v_add_f64 v[12:13], v[14:15], v[134:135]
.LBB70_239:
	s_or_b64 exec, exec, s[8:9]
	v_max_f64 v[14:15], v[12:13], v[12:13]
	v_min_f64 v[134:135], v[14:15], v[16:17]
	v_cmp_u_f64_e32 vcc, v[12:13], v[12:13]
	v_max_f64 v[14:15], v[14:15], v[16:17]
	s_nop 0
	v_cndmask_b32_e32 v53, v134, v12, vcc
	v_cndmask_b32_e32 v71, v135, v13, vcc
	v_cndmask_b32_e32 v14, v14, v12, vcc
	v_cndmask_b32_e32 v15, v15, v13, vcc
	v_cndmask_b32_e64 v135, v71, v103, s[14:15]
	v_cndmask_b32_e64 v134, v53, v102, s[14:15]
	;; [unrolled: 1-line block ×4, first 2 shown]
	v_cmp_neq_f64_e32 vcc, v[134:135], v[16:17]
	v_cmp_class_f64_e64 s[6:7], v[134:135], s36
	s_or_b64 s[6:7], vcc, s[6:7]
	v_mov_b64_e32 v[14:15], v[12:13]
	s_and_saveexec_b64 s[8:9], s[6:7]
	s_cbranch_execz .LBB70_241
; %bb.240:
	s_mov_b32 s6, 0x652b82fe
	v_add_f64 v[14:15], v[134:135], -v[16:17]
	s_mov_b32 s7, 0x3ff71547
	v_mul_f64 v[134:135], v[14:15], s[6:7]
	v_rndne_f64_e32 v[134:135], v[134:135]
	s_mov_b32 s11, 0xbfe62e42
	s_mov_b32 s10, 0xfefa39ef
	v_fma_f64 v[144:145], s[10:11], v[134:135], v[14:15]
	s_mov_b32 s13, 0xbc7abc9e
	s_mov_b32 s12, 0x3b39803f
	;; [unrolled: 1-line block ×3, first 2 shown]
	v_fmac_f64_e32 v[144:145], s[12:13], v[134:135]
	v_mov_b32_e32 v146, 0xfca7ab0c
	v_mov_b32_e32 v147, 0x3e928af3
	s_mov_b32 s7, 0x3e5ade15
	v_fmac_f64_e32 v[146:147], s[6:7], v[144:145]
	v_mov_b32_e32 v148, 0x623fde64
	v_mov_b32_e32 v149, 0x3ec71dee
	v_fmac_f64_e32 v[148:149], v[144:145], v[146:147]
	v_mov_b32_e32 v146, 0x7c89e6b0
	v_mov_b32_e32 v147, 0x3efa0199
	;; [unrolled: 3-line block ×8, first 2 shown]
	s_mov_b32 s6, 0
	v_fmac_f64_e32 v[146:147], v[144:145], v[148:149]
	s_mov_b32 s7, 0x40900000
	v_fma_f64 v[146:147], v[144:145], v[146:147], 1.0
	v_cmp_nlt_f64_e32 vcc, s[6:7], v[14:15]
	s_mov_b32 s6, 0
	v_fma_f64 v[144:145], v[144:145], v[146:147], 1.0
	v_cvt_i32_f64_e32 v53, v[134:135]
	s_mov_b32 s7, 0xc090cc00
	v_ldexp_f64 v[134:135], v[144:145], v53
	v_mov_b32_e32 v53, 0x7ff00000
	v_cmp_ngt_f64_e64 s[6:7], s[6:7], v[14:15]
	v_cndmask_b32_e32 v53, v53, v135, vcc
	s_and_b64 vcc, s[6:7], vcc
	v_cndmask_b32_e64 v15, 0, v53, s[6:7]
	v_cndmask_b32_e32 v14, 0, v134, vcc
	v_add_f64 v[134:135], v[14:15], 1.0
	v_add_f64 v[144:145], v[134:135], -1.0
	v_add_f64 v[146:147], v[144:145], -v[134:135]
	v_add_f64 v[146:147], v[146:147], 1.0
	v_add_f64 v[144:145], v[14:15], -v[144:145]
	s_mov_b32 s6, 0x55555555
	v_add_f64 v[144:145], v[144:145], v[146:147]
	v_frexp_mant_f64_e32 v[146:147], v[134:135]
	s_mov_b32 s7, 0x3fe55555
	v_frexp_exp_i32_f64_e32 v53, v[134:135]
	v_cmp_gt_f64_e32 vcc, s[6:7], v[146:147]
	s_mov_b32 s6, 0xbf559e2b
	s_mov_b32 s7, 0x3fc3ab76
	v_subbrev_co_u32_e32 v53, vcc, 0, v53, vcc
	v_sub_u32_e32 v71, 0, v53
	v_ldexp_f64 v[134:135], v[134:135], v71
	v_add_f64 v[146:147], v[134:135], -1.0
	v_add_f64 v[160:161], v[134:135], 1.0
	v_add_f64 v[148:149], v[146:147], 1.0
	v_add_f64 v[162:163], v[160:161], -1.0
	v_ldexp_f64 v[144:145], v[144:145], v71
	v_add_f64 v[148:149], v[134:135], -v[148:149]
	v_add_f64 v[134:135], v[134:135], -v[162:163]
	v_add_f64 v[134:135], v[144:145], v[134:135]
	v_add_f64 v[148:149], v[144:145], v[148:149]
	;; [unrolled: 1-line block ×3, first 2 shown]
	v_rcp_f64_e32 v[162:163], v[144:145]
	v_add_f64 v[150:151], v[146:147], v[148:149]
	v_add_f64 v[146:147], v[150:151], -v[146:147]
	v_add_f64 v[146:147], v[148:149], -v[146:147]
	v_add_f64 v[148:149], v[144:145], -v[160:161]
	v_add_f64 v[134:135], v[134:135], -v[148:149]
	v_fma_f64 v[148:149], -v[144:145], v[162:163], 1.0
	v_fmac_f64_e32 v[162:163], v[148:149], v[162:163]
	v_fma_f64 v[148:149], -v[144:145], v[162:163], 1.0
	v_fmac_f64_e32 v[162:163], v[148:149], v[162:163]
	v_mul_f64 v[148:149], v[150:151], v[162:163]
	v_mul_f64 v[160:161], v[144:145], v[148:149]
	v_fma_f64 v[164:165], v[148:149], v[144:145], -v[160:161]
	v_fmac_f64_e32 v[164:165], v[148:149], v[134:135]
	v_add_f64 v[166:167], v[160:161], v[164:165]
	v_add_f64 v[176:177], v[150:151], -v[166:167]
	v_add_f64 v[150:151], v[150:151], -v[176:177]
	;; [unrolled: 1-line block ×4, first 2 shown]
	v_add_f64 v[146:147], v[146:147], v[150:151]
	v_add_f64 v[150:151], v[160:161], -v[164:165]
	v_add_f64 v[146:147], v[150:151], v[146:147]
	v_add_f64 v[150:151], v[176:177], v[146:147]
	v_add_f64 v[160:161], v[176:177], -v[150:151]
	v_add_f64 v[146:147], v[146:147], v[160:161]
	v_mul_f64 v[160:161], v[162:163], v[150:151]
	v_mul_f64 v[164:165], v[144:145], v[160:161]
	v_fma_f64 v[144:145], v[160:161], v[144:145], -v[164:165]
	v_fmac_f64_e32 v[144:145], v[160:161], v[134:135]
	v_add_f64 v[134:135], v[164:165], v[144:145]
	v_add_f64 v[166:167], v[150:151], -v[134:135]
	v_add_f64 v[150:151], v[150:151], -v[166:167]
	;; [unrolled: 1-line block ×4, first 2 shown]
	v_add_f64 v[134:135], v[146:147], v[134:135]
	v_add_f64 v[144:145], v[164:165], -v[144:145]
	v_add_f64 v[134:135], v[144:145], v[134:135]
	v_add_f64 v[144:145], v[148:149], v[160:161]
	v_add_f64 v[134:135], v[166:167], v[134:135]
	v_add_f64 v[146:147], v[144:145], -v[148:149]
	v_mul_f64 v[134:135], v[162:163], v[134:135]
	v_add_f64 v[146:147], v[160:161], -v[146:147]
	v_add_f64 v[134:135], v[146:147], v[134:135]
	v_add_f64 v[146:147], v[144:145], v[134:135]
	v_add_f64 v[144:145], v[146:147], -v[144:145]
	v_add_f64 v[134:135], v[134:135], -v[144:145]
	v_mul_f64 v[144:145], v[146:147], v[146:147]
	v_mov_b32_e32 v148, 0x6b47b09a
	v_mov_b32_e32 v149, 0x3fc38538
	v_fmac_f64_e32 v[148:149], s[6:7], v[144:145]
	v_mov_b32_e32 v150, 0xd7f4df2e
	v_mov_b32_e32 v151, 0x3fc7474d
	v_fmac_f64_e32 v[150:151], v[144:145], v[148:149]
	;; [unrolled: 3-line block ×6, first 2 shown]
	v_cvt_f64_i32_e32 v[148:149], v53
	s_mov_b32 s11, 0x3fe62e42
	v_mul_f64 v[160:161], v[148:149], s[10:11]
	v_fma_f64 v[162:163], v[148:149], s[10:11], -v[160:161]
	s_mov_b32 s13, 0x3c7abc9e
	v_fmac_f64_e32 v[162:163], s[12:13], v[148:149]
	v_add_f64 v[148:149], v[160:161], v[162:163]
	v_add_f64 v[160:161], v[148:149], -v[160:161]
	v_mul_f64 v[144:145], v[146:147], v[144:145]
	v_add_f64 v[160:161], v[162:163], -v[160:161]
	v_ldexp_f64 v[162:163], v[146:147], 1
	v_mul_f64 v[144:145], v[144:145], v[150:151]
	v_add_f64 v[146:147], v[162:163], v[144:145]
	v_add_f64 v[150:151], v[146:147], -v[162:163]
	v_ldexp_f64 v[134:135], v[134:135], 1
	v_add_f64 v[144:145], v[144:145], -v[150:151]
	v_add_f64 v[134:135], v[134:135], v[144:145]
	v_add_f64 v[144:145], v[146:147], v[134:135]
	v_add_f64 v[146:147], v[144:145], -v[146:147]
	v_add_f64 v[134:135], v[134:135], -v[146:147]
	v_add_f64 v[146:147], v[148:149], v[144:145]
	v_add_f64 v[150:151], v[146:147], -v[148:149]
	v_add_f64 v[162:163], v[146:147], -v[150:151]
	;; [unrolled: 1-line block ×4, first 2 shown]
	v_add_f64 v[144:145], v[144:145], v[148:149]
	v_add_f64 v[148:149], v[160:161], v[134:135]
	v_add_f64 v[150:151], v[148:149], -v[160:161]
	v_add_f64 v[144:145], v[148:149], v[144:145]
	v_add_f64 v[162:163], v[148:149], -v[150:151]
	;; [unrolled: 2-line block ×3, first 2 shown]
	v_add_f64 v[134:135], v[134:135], -v[150:151]
	v_add_f64 v[146:147], v[148:149], -v[146:147]
	v_add_f64 v[134:135], v[134:135], v[160:161]
	v_add_f64 v[144:145], v[144:145], -v[146:147]
	s_mov_b32 s6, 0
	v_add_f64 v[134:135], v[134:135], v[144:145]
	s_mov_b32 s7, 0x7ff00000
	v_add_f64 v[134:135], v[148:149], v[134:135]
	v_cmp_eq_f64_e32 vcc, s[6:7], v[14:15]
	s_nop 1
	v_cndmask_b32_e32 v53, v134, v14, vcc
	v_cndmask_b32_e32 v71, v135, v15, vcc
	v_mov_b32_e32 v134, 0x7ff80000
	v_cmp_ngt_f64_e32 vcc, -1.0, v[14:15]
	s_nop 1
	v_cndmask_b32_e32 v71, v134, v71, vcc
	v_cmp_nge_f64_e32 vcc, -1.0, v[14:15]
	s_nop 1
	v_cndmask_b32_e32 v134, 0, v53, vcc
	v_mov_b32_e32 v53, 0xfff00000
	v_cmp_neq_f64_e32 vcc, -1.0, v[14:15]
	s_nop 1
	v_cndmask_b32_e32 v135, v53, v71, vcc
	v_add_f64 v[14:15], v[16:17], v[134:135]
.LBB70_241:
	s_or_b64 exec, exec, s[8:9]
	v_max_f64 v[16:17], v[14:15], v[14:15]
	v_min_f64 v[134:135], v[16:17], v[18:19]
	v_cmp_u_f64_e32 vcc, v[14:15], v[14:15]
	v_max_f64 v[16:17], v[16:17], v[18:19]
	s_movk_i32 s14, 0x1f8
	v_cndmask_b32_e32 v53, v134, v14, vcc
	v_cndmask_b32_e32 v71, v135, v15, vcc
	v_cndmask_b32_e32 v16, v16, v14, vcc
	v_cndmask_b32_e32 v17, v17, v15, vcc
	v_cndmask_b32_e64 v135, v71, v97, s[16:17]
	v_cndmask_b32_e64 v134, v53, v96, s[16:17]
	;; [unrolled: 1-line block ×4, first 2 shown]
	v_cmp_neq_f64_e32 vcc, v[134:135], v[18:19]
	v_cmp_class_f64_e64 s[6:7], v[134:135], s14
	s_or_b64 s[6:7], vcc, s[6:7]
	v_mov_b64_e32 v[16:17], v[14:15]
	s_and_saveexec_b64 s[8:9], s[6:7]
	s_cbranch_execz .LBB70_243
; %bb.242:
	s_mov_b32 s6, 0x652b82fe
	v_add_f64 v[16:17], v[134:135], -v[18:19]
	s_mov_b32 s7, 0x3ff71547
	v_mul_f64 v[134:135], v[16:17], s[6:7]
	v_rndne_f64_e32 v[134:135], v[134:135]
	s_mov_b32 s11, 0xbfe62e42
	s_mov_b32 s10, 0xfefa39ef
	v_fma_f64 v[144:145], s[10:11], v[134:135], v[16:17]
	s_mov_b32 s13, 0xbc7abc9e
	s_mov_b32 s12, 0x3b39803f
	;; [unrolled: 1-line block ×3, first 2 shown]
	v_fmac_f64_e32 v[144:145], s[12:13], v[134:135]
	v_mov_b32_e32 v146, 0xfca7ab0c
	v_mov_b32_e32 v147, 0x3e928af3
	s_mov_b32 s7, 0x3e5ade15
	v_fmac_f64_e32 v[146:147], s[6:7], v[144:145]
	v_mov_b32_e32 v148, 0x623fde64
	v_mov_b32_e32 v149, 0x3ec71dee
	v_fmac_f64_e32 v[148:149], v[144:145], v[146:147]
	v_mov_b32_e32 v146, 0x7c89e6b0
	v_mov_b32_e32 v147, 0x3efa0199
	;; [unrolled: 3-line block ×8, first 2 shown]
	s_mov_b32 s6, 0
	v_fmac_f64_e32 v[146:147], v[144:145], v[148:149]
	s_mov_b32 s7, 0x40900000
	v_fma_f64 v[146:147], v[144:145], v[146:147], 1.0
	v_cmp_nlt_f64_e32 vcc, s[6:7], v[16:17]
	s_mov_b32 s6, 0
	v_fma_f64 v[144:145], v[144:145], v[146:147], 1.0
	v_cvt_i32_f64_e32 v53, v[134:135]
	s_mov_b32 s7, 0xc090cc00
	v_ldexp_f64 v[134:135], v[144:145], v53
	v_mov_b32_e32 v53, 0x7ff00000
	v_cmp_ngt_f64_e64 s[6:7], s[6:7], v[16:17]
	v_cndmask_b32_e32 v53, v53, v135, vcc
	s_and_b64 vcc, s[6:7], vcc
	v_cndmask_b32_e64 v17, 0, v53, s[6:7]
	v_cndmask_b32_e32 v16, 0, v134, vcc
	v_add_f64 v[134:135], v[16:17], 1.0
	v_add_f64 v[144:145], v[134:135], -1.0
	v_add_f64 v[146:147], v[144:145], -v[134:135]
	v_add_f64 v[146:147], v[146:147], 1.0
	v_add_f64 v[144:145], v[16:17], -v[144:145]
	s_mov_b32 s6, 0x55555555
	v_add_f64 v[144:145], v[144:145], v[146:147]
	v_frexp_mant_f64_e32 v[146:147], v[134:135]
	s_mov_b32 s7, 0x3fe55555
	v_frexp_exp_i32_f64_e32 v53, v[134:135]
	v_cmp_gt_f64_e32 vcc, s[6:7], v[146:147]
	s_mov_b32 s6, 0xbf559e2b
	s_mov_b32 s7, 0x3fc3ab76
	v_subbrev_co_u32_e32 v53, vcc, 0, v53, vcc
	v_sub_u32_e32 v71, 0, v53
	v_ldexp_f64 v[134:135], v[134:135], v71
	v_add_f64 v[146:147], v[134:135], -1.0
	v_add_f64 v[160:161], v[134:135], 1.0
	v_add_f64 v[148:149], v[146:147], 1.0
	v_add_f64 v[162:163], v[160:161], -1.0
	v_ldexp_f64 v[144:145], v[144:145], v71
	v_add_f64 v[148:149], v[134:135], -v[148:149]
	v_add_f64 v[134:135], v[134:135], -v[162:163]
	v_add_f64 v[134:135], v[144:145], v[134:135]
	v_add_f64 v[148:149], v[144:145], v[148:149]
	;; [unrolled: 1-line block ×3, first 2 shown]
	v_rcp_f64_e32 v[162:163], v[144:145]
	v_add_f64 v[150:151], v[146:147], v[148:149]
	v_add_f64 v[146:147], v[150:151], -v[146:147]
	v_add_f64 v[146:147], v[148:149], -v[146:147]
	;; [unrolled: 1-line block ×4, first 2 shown]
	v_fma_f64 v[148:149], -v[144:145], v[162:163], 1.0
	v_fmac_f64_e32 v[162:163], v[148:149], v[162:163]
	v_fma_f64 v[148:149], -v[144:145], v[162:163], 1.0
	v_fmac_f64_e32 v[162:163], v[148:149], v[162:163]
	v_mul_f64 v[148:149], v[150:151], v[162:163]
	v_mul_f64 v[160:161], v[144:145], v[148:149]
	v_fma_f64 v[164:165], v[148:149], v[144:145], -v[160:161]
	v_fmac_f64_e32 v[164:165], v[148:149], v[134:135]
	v_add_f64 v[166:167], v[160:161], v[164:165]
	v_add_f64 v[176:177], v[150:151], -v[166:167]
	v_add_f64 v[150:151], v[150:151], -v[176:177]
	;; [unrolled: 1-line block ×4, first 2 shown]
	v_add_f64 v[146:147], v[146:147], v[150:151]
	v_add_f64 v[150:151], v[160:161], -v[164:165]
	v_add_f64 v[146:147], v[150:151], v[146:147]
	v_add_f64 v[150:151], v[176:177], v[146:147]
	v_add_f64 v[160:161], v[176:177], -v[150:151]
	v_add_f64 v[146:147], v[146:147], v[160:161]
	v_mul_f64 v[160:161], v[162:163], v[150:151]
	v_mul_f64 v[164:165], v[144:145], v[160:161]
	v_fma_f64 v[144:145], v[160:161], v[144:145], -v[164:165]
	v_fmac_f64_e32 v[144:145], v[160:161], v[134:135]
	v_add_f64 v[134:135], v[164:165], v[144:145]
	v_add_f64 v[166:167], v[150:151], -v[134:135]
	v_add_f64 v[150:151], v[150:151], -v[166:167]
	;; [unrolled: 1-line block ×4, first 2 shown]
	v_add_f64 v[134:135], v[146:147], v[134:135]
	v_add_f64 v[144:145], v[164:165], -v[144:145]
	v_add_f64 v[134:135], v[144:145], v[134:135]
	v_add_f64 v[144:145], v[148:149], v[160:161]
	;; [unrolled: 1-line block ×3, first 2 shown]
	v_add_f64 v[146:147], v[144:145], -v[148:149]
	v_mul_f64 v[134:135], v[162:163], v[134:135]
	v_add_f64 v[146:147], v[160:161], -v[146:147]
	v_add_f64 v[134:135], v[146:147], v[134:135]
	v_add_f64 v[146:147], v[144:145], v[134:135]
	v_add_f64 v[144:145], v[146:147], -v[144:145]
	v_add_f64 v[134:135], v[134:135], -v[144:145]
	v_mul_f64 v[144:145], v[146:147], v[146:147]
	v_mov_b32_e32 v148, 0x6b47b09a
	v_mov_b32_e32 v149, 0x3fc38538
	v_fmac_f64_e32 v[148:149], s[6:7], v[144:145]
	v_mov_b32_e32 v150, 0xd7f4df2e
	v_mov_b32_e32 v151, 0x3fc7474d
	v_fmac_f64_e32 v[150:151], v[144:145], v[148:149]
	;; [unrolled: 3-line block ×6, first 2 shown]
	v_cvt_f64_i32_e32 v[148:149], v53
	s_mov_b32 s11, 0x3fe62e42
	v_mul_f64 v[160:161], v[148:149], s[10:11]
	v_fma_f64 v[162:163], v[148:149], s[10:11], -v[160:161]
	s_mov_b32 s13, 0x3c7abc9e
	v_fmac_f64_e32 v[162:163], s[12:13], v[148:149]
	v_add_f64 v[148:149], v[160:161], v[162:163]
	v_add_f64 v[160:161], v[148:149], -v[160:161]
	v_mul_f64 v[144:145], v[146:147], v[144:145]
	v_add_f64 v[160:161], v[162:163], -v[160:161]
	v_ldexp_f64 v[162:163], v[146:147], 1
	v_mul_f64 v[144:145], v[144:145], v[150:151]
	v_add_f64 v[146:147], v[162:163], v[144:145]
	v_add_f64 v[150:151], v[146:147], -v[162:163]
	v_ldexp_f64 v[134:135], v[134:135], 1
	v_add_f64 v[144:145], v[144:145], -v[150:151]
	v_add_f64 v[134:135], v[134:135], v[144:145]
	v_add_f64 v[144:145], v[146:147], v[134:135]
	v_add_f64 v[146:147], v[144:145], -v[146:147]
	v_add_f64 v[134:135], v[134:135], -v[146:147]
	v_add_f64 v[146:147], v[148:149], v[144:145]
	v_add_f64 v[150:151], v[146:147], -v[148:149]
	v_add_f64 v[162:163], v[146:147], -v[150:151]
	;; [unrolled: 1-line block ×4, first 2 shown]
	v_add_f64 v[144:145], v[144:145], v[148:149]
	v_add_f64 v[148:149], v[160:161], v[134:135]
	v_add_f64 v[150:151], v[148:149], -v[160:161]
	v_add_f64 v[144:145], v[148:149], v[144:145]
	v_add_f64 v[162:163], v[148:149], -v[150:151]
	;; [unrolled: 2-line block ×3, first 2 shown]
	v_add_f64 v[134:135], v[134:135], -v[150:151]
	v_add_f64 v[146:147], v[148:149], -v[146:147]
	v_add_f64 v[134:135], v[134:135], v[160:161]
	v_add_f64 v[144:145], v[144:145], -v[146:147]
	s_mov_b32 s6, 0
	v_add_f64 v[134:135], v[134:135], v[144:145]
	s_mov_b32 s7, 0x7ff00000
	v_add_f64 v[134:135], v[148:149], v[134:135]
	v_cmp_eq_f64_e32 vcc, s[6:7], v[16:17]
	s_nop 1
	v_cndmask_b32_e32 v53, v134, v16, vcc
	v_cndmask_b32_e32 v71, v135, v17, vcc
	v_mov_b32_e32 v134, 0x7ff80000
	v_cmp_ngt_f64_e32 vcc, -1.0, v[16:17]
	s_nop 1
	v_cndmask_b32_e32 v71, v134, v71, vcc
	v_cmp_nge_f64_e32 vcc, -1.0, v[16:17]
	s_nop 1
	v_cndmask_b32_e32 v134, 0, v53, vcc
	v_mov_b32_e32 v53, 0xfff00000
	v_cmp_neq_f64_e32 vcc, -1.0, v[16:17]
	s_nop 1
	v_cndmask_b32_e32 v135, v53, v71, vcc
	v_add_f64 v[16:17], v[18:19], v[134:135]
.LBB70_243:
	s_or_b64 exec, exec, s[8:9]
	v_max_f64 v[18:19], v[16:17], v[16:17]
	v_min_f64 v[134:135], v[18:19], v[20:21]
	v_cmp_u_f64_e32 vcc, v[16:17], v[16:17]
	v_max_f64 v[18:19], v[18:19], v[20:21]
	s_nop 0
	v_cndmask_b32_e32 v53, v134, v16, vcc
	v_cndmask_b32_e32 v71, v135, v17, vcc
	;; [unrolled: 1-line block ×4, first 2 shown]
	v_cndmask_b32_e64 v135, v71, v99, s[18:19]
	v_cndmask_b32_e64 v134, v53, v98, s[18:19]
	;; [unrolled: 1-line block ×4, first 2 shown]
	v_cmp_neq_f64_e32 vcc, v[134:135], v[20:21]
	v_cmp_class_f64_e64 s[6:7], v[134:135], s14
	s_or_b64 s[6:7], vcc, s[6:7]
	v_mov_b64_e32 v[18:19], v[16:17]
	s_and_saveexec_b64 s[8:9], s[6:7]
	s_cbranch_execz .LBB70_245
; %bb.244:
	s_mov_b32 s6, 0x652b82fe
	v_add_f64 v[18:19], v[134:135], -v[20:21]
	s_mov_b32 s7, 0x3ff71547
	v_mul_f64 v[134:135], v[18:19], s[6:7]
	v_rndne_f64_e32 v[134:135], v[134:135]
	s_mov_b32 s11, 0xbfe62e42
	s_mov_b32 s10, 0xfefa39ef
	v_fma_f64 v[144:145], s[10:11], v[134:135], v[18:19]
	s_mov_b32 s13, 0xbc7abc9e
	s_mov_b32 s12, 0x3b39803f
	;; [unrolled: 1-line block ×3, first 2 shown]
	v_fmac_f64_e32 v[144:145], s[12:13], v[134:135]
	v_mov_b32_e32 v146, 0xfca7ab0c
	v_mov_b32_e32 v147, 0x3e928af3
	s_mov_b32 s7, 0x3e5ade15
	v_fmac_f64_e32 v[146:147], s[6:7], v[144:145]
	v_mov_b32_e32 v148, 0x623fde64
	v_mov_b32_e32 v149, 0x3ec71dee
	v_fmac_f64_e32 v[148:149], v[144:145], v[146:147]
	v_mov_b32_e32 v146, 0x7c89e6b0
	v_mov_b32_e32 v147, 0x3efa0199
	;; [unrolled: 3-line block ×8, first 2 shown]
	s_mov_b32 s6, 0
	v_fmac_f64_e32 v[146:147], v[144:145], v[148:149]
	s_mov_b32 s7, 0x40900000
	v_fma_f64 v[146:147], v[144:145], v[146:147], 1.0
	v_cmp_nlt_f64_e32 vcc, s[6:7], v[18:19]
	s_mov_b32 s6, 0
	v_fma_f64 v[144:145], v[144:145], v[146:147], 1.0
	v_cvt_i32_f64_e32 v53, v[134:135]
	s_mov_b32 s7, 0xc090cc00
	v_ldexp_f64 v[134:135], v[144:145], v53
	v_mov_b32_e32 v53, 0x7ff00000
	v_cmp_ngt_f64_e64 s[6:7], s[6:7], v[18:19]
	v_cndmask_b32_e32 v53, v53, v135, vcc
	s_and_b64 vcc, s[6:7], vcc
	v_cndmask_b32_e64 v19, 0, v53, s[6:7]
	v_cndmask_b32_e32 v18, 0, v134, vcc
	v_add_f64 v[134:135], v[18:19], 1.0
	v_add_f64 v[144:145], v[134:135], -1.0
	v_add_f64 v[146:147], v[144:145], -v[134:135]
	v_add_f64 v[146:147], v[146:147], 1.0
	v_add_f64 v[144:145], v[18:19], -v[144:145]
	s_mov_b32 s6, 0x55555555
	v_add_f64 v[144:145], v[144:145], v[146:147]
	v_frexp_mant_f64_e32 v[146:147], v[134:135]
	s_mov_b32 s7, 0x3fe55555
	v_frexp_exp_i32_f64_e32 v53, v[134:135]
	v_cmp_gt_f64_e32 vcc, s[6:7], v[146:147]
	s_mov_b32 s6, 0xbf559e2b
	s_mov_b32 s7, 0x3fc3ab76
	v_subbrev_co_u32_e32 v53, vcc, 0, v53, vcc
	v_sub_u32_e32 v71, 0, v53
	v_ldexp_f64 v[134:135], v[134:135], v71
	v_add_f64 v[146:147], v[134:135], -1.0
	v_add_f64 v[160:161], v[134:135], 1.0
	v_add_f64 v[148:149], v[146:147], 1.0
	v_add_f64 v[162:163], v[160:161], -1.0
	v_ldexp_f64 v[144:145], v[144:145], v71
	v_add_f64 v[148:149], v[134:135], -v[148:149]
	v_add_f64 v[134:135], v[134:135], -v[162:163]
	v_add_f64 v[134:135], v[144:145], v[134:135]
	v_add_f64 v[148:149], v[144:145], v[148:149]
	;; [unrolled: 1-line block ×3, first 2 shown]
	v_rcp_f64_e32 v[162:163], v[144:145]
	v_add_f64 v[150:151], v[146:147], v[148:149]
	v_add_f64 v[146:147], v[150:151], -v[146:147]
	v_add_f64 v[146:147], v[148:149], -v[146:147]
	;; [unrolled: 1-line block ×4, first 2 shown]
	v_fma_f64 v[148:149], -v[144:145], v[162:163], 1.0
	v_fmac_f64_e32 v[162:163], v[148:149], v[162:163]
	v_fma_f64 v[148:149], -v[144:145], v[162:163], 1.0
	v_fmac_f64_e32 v[162:163], v[148:149], v[162:163]
	v_mul_f64 v[148:149], v[150:151], v[162:163]
	v_mul_f64 v[160:161], v[144:145], v[148:149]
	v_fma_f64 v[164:165], v[148:149], v[144:145], -v[160:161]
	v_fmac_f64_e32 v[164:165], v[148:149], v[134:135]
	v_add_f64 v[166:167], v[160:161], v[164:165]
	v_add_f64 v[176:177], v[150:151], -v[166:167]
	v_add_f64 v[150:151], v[150:151], -v[176:177]
	v_add_f64 v[160:161], v[166:167], -v[160:161]
	v_add_f64 v[150:151], v[150:151], -v[166:167]
	v_add_f64 v[146:147], v[146:147], v[150:151]
	v_add_f64 v[150:151], v[160:161], -v[164:165]
	v_add_f64 v[146:147], v[150:151], v[146:147]
	v_add_f64 v[150:151], v[176:177], v[146:147]
	v_add_f64 v[160:161], v[176:177], -v[150:151]
	v_add_f64 v[146:147], v[146:147], v[160:161]
	v_mul_f64 v[160:161], v[162:163], v[150:151]
	v_mul_f64 v[164:165], v[144:145], v[160:161]
	v_fma_f64 v[144:145], v[160:161], v[144:145], -v[164:165]
	v_fmac_f64_e32 v[144:145], v[160:161], v[134:135]
	v_add_f64 v[134:135], v[164:165], v[144:145]
	v_add_f64 v[166:167], v[150:151], -v[134:135]
	v_add_f64 v[150:151], v[150:151], -v[166:167]
	;; [unrolled: 1-line block ×4, first 2 shown]
	v_add_f64 v[134:135], v[146:147], v[134:135]
	v_add_f64 v[144:145], v[164:165], -v[144:145]
	v_add_f64 v[134:135], v[144:145], v[134:135]
	v_add_f64 v[144:145], v[148:149], v[160:161]
	;; [unrolled: 1-line block ×3, first 2 shown]
	v_add_f64 v[146:147], v[144:145], -v[148:149]
	v_mul_f64 v[134:135], v[162:163], v[134:135]
	v_add_f64 v[146:147], v[160:161], -v[146:147]
	v_add_f64 v[134:135], v[146:147], v[134:135]
	v_add_f64 v[146:147], v[144:145], v[134:135]
	v_add_f64 v[144:145], v[146:147], -v[144:145]
	v_add_f64 v[134:135], v[134:135], -v[144:145]
	v_mul_f64 v[144:145], v[146:147], v[146:147]
	v_mov_b32_e32 v148, 0x6b47b09a
	v_mov_b32_e32 v149, 0x3fc38538
	v_fmac_f64_e32 v[148:149], s[6:7], v[144:145]
	v_mov_b32_e32 v150, 0xd7f4df2e
	v_mov_b32_e32 v151, 0x3fc7474d
	v_fmac_f64_e32 v[150:151], v[144:145], v[148:149]
	;; [unrolled: 3-line block ×6, first 2 shown]
	v_cvt_f64_i32_e32 v[148:149], v53
	s_mov_b32 s11, 0x3fe62e42
	v_mul_f64 v[160:161], v[148:149], s[10:11]
	v_fma_f64 v[162:163], v[148:149], s[10:11], -v[160:161]
	s_mov_b32 s13, 0x3c7abc9e
	v_fmac_f64_e32 v[162:163], s[12:13], v[148:149]
	v_add_f64 v[148:149], v[160:161], v[162:163]
	v_add_f64 v[160:161], v[148:149], -v[160:161]
	v_mul_f64 v[144:145], v[146:147], v[144:145]
	v_add_f64 v[160:161], v[162:163], -v[160:161]
	v_ldexp_f64 v[162:163], v[146:147], 1
	v_mul_f64 v[144:145], v[144:145], v[150:151]
	v_add_f64 v[146:147], v[162:163], v[144:145]
	v_add_f64 v[150:151], v[146:147], -v[162:163]
	v_ldexp_f64 v[134:135], v[134:135], 1
	v_add_f64 v[144:145], v[144:145], -v[150:151]
	v_add_f64 v[134:135], v[134:135], v[144:145]
	v_add_f64 v[144:145], v[146:147], v[134:135]
	v_add_f64 v[146:147], v[144:145], -v[146:147]
	v_add_f64 v[134:135], v[134:135], -v[146:147]
	v_add_f64 v[146:147], v[148:149], v[144:145]
	v_add_f64 v[150:151], v[146:147], -v[148:149]
	v_add_f64 v[162:163], v[146:147], -v[150:151]
	;; [unrolled: 1-line block ×4, first 2 shown]
	v_add_f64 v[144:145], v[144:145], v[148:149]
	v_add_f64 v[148:149], v[160:161], v[134:135]
	v_add_f64 v[150:151], v[148:149], -v[160:161]
	v_add_f64 v[144:145], v[148:149], v[144:145]
	v_add_f64 v[162:163], v[148:149], -v[150:151]
	v_add_f64 v[148:149], v[146:147], v[144:145]
	v_add_f64 v[160:161], v[160:161], -v[162:163]
	v_add_f64 v[134:135], v[134:135], -v[150:151]
	v_add_f64 v[146:147], v[148:149], -v[146:147]
	v_add_f64 v[134:135], v[134:135], v[160:161]
	v_add_f64 v[144:145], v[144:145], -v[146:147]
	s_mov_b32 s6, 0
	v_add_f64 v[134:135], v[134:135], v[144:145]
	s_mov_b32 s7, 0x7ff00000
	v_add_f64 v[134:135], v[148:149], v[134:135]
	v_cmp_eq_f64_e32 vcc, s[6:7], v[18:19]
	s_nop 1
	v_cndmask_b32_e32 v53, v134, v18, vcc
	v_cndmask_b32_e32 v71, v135, v19, vcc
	v_mov_b32_e32 v134, 0x7ff80000
	v_cmp_ngt_f64_e32 vcc, -1.0, v[18:19]
	s_nop 1
	v_cndmask_b32_e32 v71, v134, v71, vcc
	v_cmp_nge_f64_e32 vcc, -1.0, v[18:19]
	s_nop 1
	v_cndmask_b32_e32 v134, 0, v53, vcc
	v_mov_b32_e32 v53, 0xfff00000
	v_cmp_neq_f64_e32 vcc, -1.0, v[18:19]
	s_nop 1
	v_cndmask_b32_e32 v135, v53, v71, vcc
	v_add_f64 v[18:19], v[20:21], v[134:135]
.LBB70_245:
	s_or_b64 exec, exec, s[8:9]
	v_max_f64 v[20:21], v[18:19], v[18:19]
	v_min_f64 v[134:135], v[20:21], v[22:23]
	v_cmp_u_f64_e32 vcc, v[18:19], v[18:19]
	v_max_f64 v[20:21], v[20:21], v[22:23]
	s_nop 0
	v_cndmask_b32_e32 v53, v134, v18, vcc
	v_cndmask_b32_e32 v71, v135, v19, vcc
	;; [unrolled: 1-line block ×4, first 2 shown]
	v_cndmask_b32_e64 v135, v71, v85, s[20:21]
	v_cndmask_b32_e64 v134, v53, v84, s[20:21]
	;; [unrolled: 1-line block ×4, first 2 shown]
	v_cmp_neq_f64_e32 vcc, v[134:135], v[22:23]
	v_cmp_class_f64_e64 s[6:7], v[134:135], s14
	s_or_b64 s[6:7], vcc, s[6:7]
	v_mov_b64_e32 v[20:21], v[18:19]
	s_and_saveexec_b64 s[8:9], s[6:7]
	s_cbranch_execz .LBB70_247
; %bb.246:
	s_mov_b32 s6, 0x652b82fe
	v_add_f64 v[20:21], v[134:135], -v[22:23]
	s_mov_b32 s7, 0x3ff71547
	v_mul_f64 v[134:135], v[20:21], s[6:7]
	v_rndne_f64_e32 v[134:135], v[134:135]
	s_mov_b32 s11, 0xbfe62e42
	s_mov_b32 s10, 0xfefa39ef
	v_fma_f64 v[144:145], s[10:11], v[134:135], v[20:21]
	s_mov_b32 s13, 0xbc7abc9e
	s_mov_b32 s12, 0x3b39803f
	;; [unrolled: 1-line block ×3, first 2 shown]
	v_fmac_f64_e32 v[144:145], s[12:13], v[134:135]
	v_mov_b32_e32 v146, 0xfca7ab0c
	v_mov_b32_e32 v147, 0x3e928af3
	s_mov_b32 s7, 0x3e5ade15
	v_fmac_f64_e32 v[146:147], s[6:7], v[144:145]
	v_mov_b32_e32 v148, 0x623fde64
	v_mov_b32_e32 v149, 0x3ec71dee
	v_fmac_f64_e32 v[148:149], v[144:145], v[146:147]
	v_mov_b32_e32 v146, 0x7c89e6b0
	v_mov_b32_e32 v147, 0x3efa0199
	v_fmac_f64_e32 v[146:147], v[144:145], v[148:149]
	v_mov_b32_e32 v148, 0x14761f6e
	v_mov_b32_e32 v149, 0x3f2a01a0
	v_fmac_f64_e32 v[148:149], v[144:145], v[146:147]
	v_mov_b32_e32 v146, 0x1852b7b0
	v_mov_b32_e32 v147, 0x3f56c16c
	v_fmac_f64_e32 v[146:147], v[144:145], v[148:149]
	v_mov_b32_e32 v148, 0x11122322
	v_mov_b32_e32 v149, 0x3f811111
	v_fmac_f64_e32 v[148:149], v[144:145], v[146:147]
	v_mov_b32_e32 v146, 0x555502a1
	v_mov_b32_e32 v147, 0x3fa55555
	v_fmac_f64_e32 v[146:147], v[144:145], v[148:149]
	v_mov_b32_e32 v148, 0x55555511
	v_mov_b32_e32 v149, 0x3fc55555
	v_fmac_f64_e32 v[148:149], v[144:145], v[146:147]
	v_mov_b32_e32 v146, 11
	v_mov_b32_e32 v147, 0x3fe00000
	s_mov_b32 s6, 0
	v_fmac_f64_e32 v[146:147], v[144:145], v[148:149]
	s_mov_b32 s7, 0x40900000
	v_fma_f64 v[146:147], v[144:145], v[146:147], 1.0
	v_cmp_nlt_f64_e32 vcc, s[6:7], v[20:21]
	s_mov_b32 s6, 0
	v_fma_f64 v[144:145], v[144:145], v[146:147], 1.0
	v_cvt_i32_f64_e32 v53, v[134:135]
	s_mov_b32 s7, 0xc090cc00
	v_ldexp_f64 v[134:135], v[144:145], v53
	v_mov_b32_e32 v53, 0x7ff00000
	v_cmp_ngt_f64_e64 s[6:7], s[6:7], v[20:21]
	v_cndmask_b32_e32 v53, v53, v135, vcc
	s_and_b64 vcc, s[6:7], vcc
	v_cndmask_b32_e64 v21, 0, v53, s[6:7]
	v_cndmask_b32_e32 v20, 0, v134, vcc
	v_add_f64 v[134:135], v[20:21], 1.0
	v_add_f64 v[144:145], v[134:135], -1.0
	v_add_f64 v[146:147], v[144:145], -v[134:135]
	v_add_f64 v[146:147], v[146:147], 1.0
	v_add_f64 v[144:145], v[20:21], -v[144:145]
	s_mov_b32 s6, 0x55555555
	v_add_f64 v[144:145], v[144:145], v[146:147]
	v_frexp_mant_f64_e32 v[146:147], v[134:135]
	s_mov_b32 s7, 0x3fe55555
	v_frexp_exp_i32_f64_e32 v53, v[134:135]
	v_cmp_gt_f64_e32 vcc, s[6:7], v[146:147]
	s_mov_b32 s6, 0xbf559e2b
	s_mov_b32 s7, 0x3fc3ab76
	v_subbrev_co_u32_e32 v53, vcc, 0, v53, vcc
	v_sub_u32_e32 v71, 0, v53
	v_ldexp_f64 v[134:135], v[134:135], v71
	v_add_f64 v[146:147], v[134:135], -1.0
	v_add_f64 v[160:161], v[134:135], 1.0
	v_add_f64 v[148:149], v[146:147], 1.0
	v_add_f64 v[162:163], v[160:161], -1.0
	v_ldexp_f64 v[144:145], v[144:145], v71
	v_add_f64 v[148:149], v[134:135], -v[148:149]
	v_add_f64 v[134:135], v[134:135], -v[162:163]
	v_add_f64 v[134:135], v[144:145], v[134:135]
	v_add_f64 v[148:149], v[144:145], v[148:149]
	;; [unrolled: 1-line block ×3, first 2 shown]
	v_rcp_f64_e32 v[162:163], v[144:145]
	v_add_f64 v[150:151], v[146:147], v[148:149]
	v_add_f64 v[146:147], v[150:151], -v[146:147]
	v_add_f64 v[146:147], v[148:149], -v[146:147]
	;; [unrolled: 1-line block ×4, first 2 shown]
	v_fma_f64 v[148:149], -v[144:145], v[162:163], 1.0
	v_fmac_f64_e32 v[162:163], v[148:149], v[162:163]
	v_fma_f64 v[148:149], -v[144:145], v[162:163], 1.0
	v_fmac_f64_e32 v[162:163], v[148:149], v[162:163]
	v_mul_f64 v[148:149], v[150:151], v[162:163]
	v_mul_f64 v[160:161], v[144:145], v[148:149]
	v_fma_f64 v[164:165], v[148:149], v[144:145], -v[160:161]
	v_fmac_f64_e32 v[164:165], v[148:149], v[134:135]
	v_add_f64 v[166:167], v[160:161], v[164:165]
	v_add_f64 v[176:177], v[150:151], -v[166:167]
	v_add_f64 v[150:151], v[150:151], -v[176:177]
	;; [unrolled: 1-line block ×4, first 2 shown]
	v_add_f64 v[146:147], v[146:147], v[150:151]
	v_add_f64 v[150:151], v[160:161], -v[164:165]
	v_add_f64 v[146:147], v[150:151], v[146:147]
	v_add_f64 v[150:151], v[176:177], v[146:147]
	v_add_f64 v[160:161], v[176:177], -v[150:151]
	v_add_f64 v[146:147], v[146:147], v[160:161]
	v_mul_f64 v[160:161], v[162:163], v[150:151]
	v_mul_f64 v[164:165], v[144:145], v[160:161]
	v_fma_f64 v[144:145], v[160:161], v[144:145], -v[164:165]
	v_fmac_f64_e32 v[144:145], v[160:161], v[134:135]
	v_add_f64 v[134:135], v[164:165], v[144:145]
	v_add_f64 v[166:167], v[150:151], -v[134:135]
	v_add_f64 v[150:151], v[150:151], -v[166:167]
	;; [unrolled: 1-line block ×4, first 2 shown]
	v_add_f64 v[134:135], v[146:147], v[134:135]
	v_add_f64 v[144:145], v[164:165], -v[144:145]
	v_add_f64 v[134:135], v[144:145], v[134:135]
	v_add_f64 v[144:145], v[148:149], v[160:161]
	;; [unrolled: 1-line block ×3, first 2 shown]
	v_add_f64 v[146:147], v[144:145], -v[148:149]
	v_mul_f64 v[134:135], v[162:163], v[134:135]
	v_add_f64 v[146:147], v[160:161], -v[146:147]
	v_add_f64 v[134:135], v[146:147], v[134:135]
	v_add_f64 v[146:147], v[144:145], v[134:135]
	v_add_f64 v[144:145], v[146:147], -v[144:145]
	v_add_f64 v[134:135], v[134:135], -v[144:145]
	v_mul_f64 v[144:145], v[146:147], v[146:147]
	v_mov_b32_e32 v148, 0x6b47b09a
	v_mov_b32_e32 v149, 0x3fc38538
	v_fmac_f64_e32 v[148:149], s[6:7], v[144:145]
	v_mov_b32_e32 v150, 0xd7f4df2e
	v_mov_b32_e32 v151, 0x3fc7474d
	v_fmac_f64_e32 v[150:151], v[144:145], v[148:149]
	;; [unrolled: 3-line block ×6, first 2 shown]
	v_cvt_f64_i32_e32 v[148:149], v53
	s_mov_b32 s11, 0x3fe62e42
	v_mul_f64 v[160:161], v[148:149], s[10:11]
	v_fma_f64 v[162:163], v[148:149], s[10:11], -v[160:161]
	s_mov_b32 s13, 0x3c7abc9e
	v_fmac_f64_e32 v[162:163], s[12:13], v[148:149]
	v_add_f64 v[148:149], v[160:161], v[162:163]
	v_add_f64 v[160:161], v[148:149], -v[160:161]
	v_mul_f64 v[144:145], v[146:147], v[144:145]
	v_add_f64 v[160:161], v[162:163], -v[160:161]
	v_ldexp_f64 v[162:163], v[146:147], 1
	v_mul_f64 v[144:145], v[144:145], v[150:151]
	v_add_f64 v[146:147], v[162:163], v[144:145]
	v_add_f64 v[150:151], v[146:147], -v[162:163]
	v_ldexp_f64 v[134:135], v[134:135], 1
	v_add_f64 v[144:145], v[144:145], -v[150:151]
	v_add_f64 v[134:135], v[134:135], v[144:145]
	v_add_f64 v[144:145], v[146:147], v[134:135]
	v_add_f64 v[146:147], v[144:145], -v[146:147]
	v_add_f64 v[134:135], v[134:135], -v[146:147]
	v_add_f64 v[146:147], v[148:149], v[144:145]
	v_add_f64 v[150:151], v[146:147], -v[148:149]
	v_add_f64 v[162:163], v[146:147], -v[150:151]
	;; [unrolled: 1-line block ×4, first 2 shown]
	v_add_f64 v[144:145], v[144:145], v[148:149]
	v_add_f64 v[148:149], v[160:161], v[134:135]
	v_add_f64 v[150:151], v[148:149], -v[160:161]
	v_add_f64 v[144:145], v[148:149], v[144:145]
	v_add_f64 v[162:163], v[148:149], -v[150:151]
	;; [unrolled: 2-line block ×3, first 2 shown]
	v_add_f64 v[134:135], v[134:135], -v[150:151]
	v_add_f64 v[146:147], v[148:149], -v[146:147]
	v_add_f64 v[134:135], v[134:135], v[160:161]
	v_add_f64 v[144:145], v[144:145], -v[146:147]
	s_mov_b32 s6, 0
	v_add_f64 v[134:135], v[134:135], v[144:145]
	s_mov_b32 s7, 0x7ff00000
	v_add_f64 v[134:135], v[148:149], v[134:135]
	v_cmp_eq_f64_e32 vcc, s[6:7], v[20:21]
	s_nop 1
	v_cndmask_b32_e32 v53, v134, v20, vcc
	v_cndmask_b32_e32 v71, v135, v21, vcc
	v_mov_b32_e32 v134, 0x7ff80000
	v_cmp_ngt_f64_e32 vcc, -1.0, v[20:21]
	s_nop 1
	v_cndmask_b32_e32 v71, v134, v71, vcc
	v_cmp_nge_f64_e32 vcc, -1.0, v[20:21]
	s_nop 1
	v_cndmask_b32_e32 v134, 0, v53, vcc
	v_mov_b32_e32 v53, 0xfff00000
	v_cmp_neq_f64_e32 vcc, -1.0, v[20:21]
	s_nop 1
	v_cndmask_b32_e32 v135, v53, v71, vcc
	v_add_f64 v[20:21], v[22:23], v[134:135]
.LBB70_247:
	s_or_b64 exec, exec, s[8:9]
	v_max_f64 v[22:23], v[20:21], v[20:21]
	v_min_f64 v[134:135], v[22:23], v[24:25]
	v_cmp_u_f64_e32 vcc, v[20:21], v[20:21]
	v_max_f64 v[22:23], v[22:23], v[24:25]
	s_nop 0
	v_cndmask_b32_e32 v53, v134, v20, vcc
	v_cndmask_b32_e32 v71, v135, v21, vcc
	;; [unrolled: 1-line block ×4, first 2 shown]
	v_cndmask_b32_e64 v135, v71, v87, s[22:23]
	v_cndmask_b32_e64 v134, v53, v86, s[22:23]
	;; [unrolled: 1-line block ×4, first 2 shown]
	v_cmp_neq_f64_e32 vcc, v[134:135], v[24:25]
	v_cmp_class_f64_e64 s[6:7], v[134:135], s14
	s_or_b64 s[6:7], vcc, s[6:7]
	v_mov_b64_e32 v[22:23], v[20:21]
	s_and_saveexec_b64 s[8:9], s[6:7]
	s_cbranch_execz .LBB70_249
; %bb.248:
	s_mov_b32 s6, 0x652b82fe
	v_add_f64 v[22:23], v[134:135], -v[24:25]
	s_mov_b32 s7, 0x3ff71547
	v_mul_f64 v[134:135], v[22:23], s[6:7]
	v_rndne_f64_e32 v[134:135], v[134:135]
	s_mov_b32 s11, 0xbfe62e42
	s_mov_b32 s10, 0xfefa39ef
	v_fma_f64 v[144:145], s[10:11], v[134:135], v[22:23]
	s_mov_b32 s13, 0xbc7abc9e
	s_mov_b32 s12, 0x3b39803f
	;; [unrolled: 1-line block ×3, first 2 shown]
	v_fmac_f64_e32 v[144:145], s[12:13], v[134:135]
	v_mov_b32_e32 v146, 0xfca7ab0c
	v_mov_b32_e32 v147, 0x3e928af3
	s_mov_b32 s7, 0x3e5ade15
	v_fmac_f64_e32 v[146:147], s[6:7], v[144:145]
	v_mov_b32_e32 v148, 0x623fde64
	v_mov_b32_e32 v149, 0x3ec71dee
	v_fmac_f64_e32 v[148:149], v[144:145], v[146:147]
	v_mov_b32_e32 v146, 0x7c89e6b0
	v_mov_b32_e32 v147, 0x3efa0199
	;; [unrolled: 3-line block ×8, first 2 shown]
	s_mov_b32 s6, 0
	v_fmac_f64_e32 v[146:147], v[144:145], v[148:149]
	s_mov_b32 s7, 0x40900000
	v_fma_f64 v[146:147], v[144:145], v[146:147], 1.0
	v_cmp_nlt_f64_e32 vcc, s[6:7], v[22:23]
	s_mov_b32 s6, 0
	v_fma_f64 v[144:145], v[144:145], v[146:147], 1.0
	v_cvt_i32_f64_e32 v53, v[134:135]
	s_mov_b32 s7, 0xc090cc00
	v_ldexp_f64 v[134:135], v[144:145], v53
	v_mov_b32_e32 v53, 0x7ff00000
	v_cmp_ngt_f64_e64 s[6:7], s[6:7], v[22:23]
	v_cndmask_b32_e32 v53, v53, v135, vcc
	s_and_b64 vcc, s[6:7], vcc
	v_cndmask_b32_e64 v23, 0, v53, s[6:7]
	v_cndmask_b32_e32 v22, 0, v134, vcc
	v_add_f64 v[134:135], v[22:23], 1.0
	v_add_f64 v[144:145], v[134:135], -1.0
	v_add_f64 v[146:147], v[144:145], -v[134:135]
	v_add_f64 v[146:147], v[146:147], 1.0
	v_add_f64 v[144:145], v[22:23], -v[144:145]
	s_mov_b32 s6, 0x55555555
	v_add_f64 v[144:145], v[144:145], v[146:147]
	v_frexp_mant_f64_e32 v[146:147], v[134:135]
	s_mov_b32 s7, 0x3fe55555
	v_frexp_exp_i32_f64_e32 v53, v[134:135]
	v_cmp_gt_f64_e32 vcc, s[6:7], v[146:147]
	s_mov_b32 s6, 0xbf559e2b
	s_mov_b32 s7, 0x3fc3ab76
	v_subbrev_co_u32_e32 v53, vcc, 0, v53, vcc
	v_sub_u32_e32 v71, 0, v53
	v_ldexp_f64 v[134:135], v[134:135], v71
	v_add_f64 v[146:147], v[134:135], -1.0
	v_add_f64 v[160:161], v[134:135], 1.0
	v_add_f64 v[148:149], v[146:147], 1.0
	v_add_f64 v[162:163], v[160:161], -1.0
	v_ldexp_f64 v[144:145], v[144:145], v71
	v_add_f64 v[148:149], v[134:135], -v[148:149]
	v_add_f64 v[134:135], v[134:135], -v[162:163]
	v_add_f64 v[134:135], v[144:145], v[134:135]
	v_add_f64 v[148:149], v[144:145], v[148:149]
	;; [unrolled: 1-line block ×3, first 2 shown]
	v_rcp_f64_e32 v[162:163], v[144:145]
	v_add_f64 v[150:151], v[146:147], v[148:149]
	v_add_f64 v[146:147], v[150:151], -v[146:147]
	v_add_f64 v[146:147], v[148:149], -v[146:147]
	;; [unrolled: 1-line block ×4, first 2 shown]
	v_fma_f64 v[148:149], -v[144:145], v[162:163], 1.0
	v_fmac_f64_e32 v[162:163], v[148:149], v[162:163]
	v_fma_f64 v[148:149], -v[144:145], v[162:163], 1.0
	v_fmac_f64_e32 v[162:163], v[148:149], v[162:163]
	v_mul_f64 v[148:149], v[150:151], v[162:163]
	v_mul_f64 v[160:161], v[144:145], v[148:149]
	v_fma_f64 v[164:165], v[148:149], v[144:145], -v[160:161]
	v_fmac_f64_e32 v[164:165], v[148:149], v[134:135]
	v_add_f64 v[166:167], v[160:161], v[164:165]
	v_add_f64 v[176:177], v[150:151], -v[166:167]
	v_add_f64 v[150:151], v[150:151], -v[176:177]
	;; [unrolled: 1-line block ×4, first 2 shown]
	v_add_f64 v[146:147], v[146:147], v[150:151]
	v_add_f64 v[150:151], v[160:161], -v[164:165]
	v_add_f64 v[146:147], v[150:151], v[146:147]
	v_add_f64 v[150:151], v[176:177], v[146:147]
	v_add_f64 v[160:161], v[176:177], -v[150:151]
	v_add_f64 v[146:147], v[146:147], v[160:161]
	v_mul_f64 v[160:161], v[162:163], v[150:151]
	v_mul_f64 v[164:165], v[144:145], v[160:161]
	v_fma_f64 v[144:145], v[160:161], v[144:145], -v[164:165]
	v_fmac_f64_e32 v[144:145], v[160:161], v[134:135]
	v_add_f64 v[134:135], v[164:165], v[144:145]
	v_add_f64 v[166:167], v[150:151], -v[134:135]
	v_add_f64 v[150:151], v[150:151], -v[166:167]
	;; [unrolled: 1-line block ×4, first 2 shown]
	v_add_f64 v[134:135], v[146:147], v[134:135]
	v_add_f64 v[144:145], v[164:165], -v[144:145]
	v_add_f64 v[134:135], v[144:145], v[134:135]
	v_add_f64 v[144:145], v[148:149], v[160:161]
	;; [unrolled: 1-line block ×3, first 2 shown]
	v_add_f64 v[146:147], v[144:145], -v[148:149]
	v_mul_f64 v[134:135], v[162:163], v[134:135]
	v_add_f64 v[146:147], v[160:161], -v[146:147]
	v_add_f64 v[134:135], v[146:147], v[134:135]
	v_add_f64 v[146:147], v[144:145], v[134:135]
	v_add_f64 v[144:145], v[146:147], -v[144:145]
	v_add_f64 v[134:135], v[134:135], -v[144:145]
	v_mul_f64 v[144:145], v[146:147], v[146:147]
	v_mov_b32_e32 v148, 0x6b47b09a
	v_mov_b32_e32 v149, 0x3fc38538
	v_fmac_f64_e32 v[148:149], s[6:7], v[144:145]
	v_mov_b32_e32 v150, 0xd7f4df2e
	v_mov_b32_e32 v151, 0x3fc7474d
	v_fmac_f64_e32 v[150:151], v[144:145], v[148:149]
	;; [unrolled: 3-line block ×6, first 2 shown]
	v_cvt_f64_i32_e32 v[148:149], v53
	s_mov_b32 s11, 0x3fe62e42
	v_mul_f64 v[160:161], v[148:149], s[10:11]
	v_fma_f64 v[162:163], v[148:149], s[10:11], -v[160:161]
	s_mov_b32 s13, 0x3c7abc9e
	v_fmac_f64_e32 v[162:163], s[12:13], v[148:149]
	v_add_f64 v[148:149], v[160:161], v[162:163]
	v_add_f64 v[160:161], v[148:149], -v[160:161]
	v_mul_f64 v[144:145], v[146:147], v[144:145]
	v_add_f64 v[160:161], v[162:163], -v[160:161]
	v_ldexp_f64 v[162:163], v[146:147], 1
	v_mul_f64 v[144:145], v[144:145], v[150:151]
	v_add_f64 v[146:147], v[162:163], v[144:145]
	v_add_f64 v[150:151], v[146:147], -v[162:163]
	v_ldexp_f64 v[134:135], v[134:135], 1
	v_add_f64 v[144:145], v[144:145], -v[150:151]
	v_add_f64 v[134:135], v[134:135], v[144:145]
	v_add_f64 v[144:145], v[146:147], v[134:135]
	v_add_f64 v[146:147], v[144:145], -v[146:147]
	v_add_f64 v[134:135], v[134:135], -v[146:147]
	v_add_f64 v[146:147], v[148:149], v[144:145]
	v_add_f64 v[150:151], v[146:147], -v[148:149]
	v_add_f64 v[162:163], v[146:147], -v[150:151]
	v_add_f64 v[148:149], v[148:149], -v[162:163]
	v_add_f64 v[144:145], v[144:145], -v[150:151]
	v_add_f64 v[144:145], v[144:145], v[148:149]
	v_add_f64 v[148:149], v[160:161], v[134:135]
	v_add_f64 v[150:151], v[148:149], -v[160:161]
	v_add_f64 v[144:145], v[148:149], v[144:145]
	v_add_f64 v[162:163], v[148:149], -v[150:151]
	;; [unrolled: 2-line block ×3, first 2 shown]
	v_add_f64 v[134:135], v[134:135], -v[150:151]
	v_add_f64 v[146:147], v[148:149], -v[146:147]
	v_add_f64 v[134:135], v[134:135], v[160:161]
	v_add_f64 v[144:145], v[144:145], -v[146:147]
	s_mov_b32 s6, 0
	v_add_f64 v[134:135], v[134:135], v[144:145]
	s_mov_b32 s7, 0x7ff00000
	v_add_f64 v[134:135], v[148:149], v[134:135]
	v_cmp_eq_f64_e32 vcc, s[6:7], v[22:23]
	s_nop 1
	v_cndmask_b32_e32 v53, v134, v22, vcc
	v_cndmask_b32_e32 v71, v135, v23, vcc
	v_mov_b32_e32 v134, 0x7ff80000
	v_cmp_ngt_f64_e32 vcc, -1.0, v[22:23]
	s_nop 1
	v_cndmask_b32_e32 v71, v134, v71, vcc
	v_cmp_nge_f64_e32 vcc, -1.0, v[22:23]
	s_nop 1
	v_cndmask_b32_e32 v134, 0, v53, vcc
	v_mov_b32_e32 v53, 0xfff00000
	v_cmp_neq_f64_e32 vcc, -1.0, v[22:23]
	s_nop 1
	v_cndmask_b32_e32 v135, v53, v71, vcc
	v_add_f64 v[22:23], v[24:25], v[134:135]
.LBB70_249:
	s_or_b64 exec, exec, s[8:9]
	v_max_f64 v[24:25], v[22:23], v[22:23]
	v_min_f64 v[134:135], v[24:25], v[26:27]
	v_cmp_u_f64_e32 vcc, v[22:23], v[22:23]
	v_max_f64 v[24:25], v[24:25], v[26:27]
	s_nop 0
	v_cndmask_b32_e32 v53, v134, v22, vcc
	v_cndmask_b32_e32 v71, v135, v23, vcc
	;; [unrolled: 1-line block ×4, first 2 shown]
	v_cndmask_b32_e64 v135, v71, v81, s[24:25]
	v_cndmask_b32_e64 v134, v53, v80, s[24:25]
	;; [unrolled: 1-line block ×4, first 2 shown]
	v_cmp_neq_f64_e32 vcc, v[134:135], v[26:27]
	v_cmp_class_f64_e64 s[6:7], v[134:135], s14
	s_or_b64 s[6:7], vcc, s[6:7]
	v_mov_b64_e32 v[24:25], v[22:23]
	s_and_saveexec_b64 s[8:9], s[6:7]
	s_cbranch_execz .LBB70_251
; %bb.250:
	s_mov_b32 s6, 0x652b82fe
	v_add_f64 v[24:25], v[134:135], -v[26:27]
	s_mov_b32 s7, 0x3ff71547
	v_mul_f64 v[134:135], v[24:25], s[6:7]
	v_rndne_f64_e32 v[134:135], v[134:135]
	s_mov_b32 s11, 0xbfe62e42
	s_mov_b32 s10, 0xfefa39ef
	v_fma_f64 v[144:145], s[10:11], v[134:135], v[24:25]
	s_mov_b32 s13, 0xbc7abc9e
	s_mov_b32 s12, 0x3b39803f
	s_mov_b32 s6, 0x6a5dcb37
	v_fmac_f64_e32 v[144:145], s[12:13], v[134:135]
	v_mov_b32_e32 v146, 0xfca7ab0c
	v_mov_b32_e32 v147, 0x3e928af3
	s_mov_b32 s7, 0x3e5ade15
	v_fmac_f64_e32 v[146:147], s[6:7], v[144:145]
	v_mov_b32_e32 v148, 0x623fde64
	v_mov_b32_e32 v149, 0x3ec71dee
	v_fmac_f64_e32 v[148:149], v[144:145], v[146:147]
	v_mov_b32_e32 v146, 0x7c89e6b0
	v_mov_b32_e32 v147, 0x3efa0199
	v_fmac_f64_e32 v[146:147], v[144:145], v[148:149]
	v_mov_b32_e32 v148, 0x14761f6e
	v_mov_b32_e32 v149, 0x3f2a01a0
	v_fmac_f64_e32 v[148:149], v[144:145], v[146:147]
	v_mov_b32_e32 v146, 0x1852b7b0
	v_mov_b32_e32 v147, 0x3f56c16c
	v_fmac_f64_e32 v[146:147], v[144:145], v[148:149]
	v_mov_b32_e32 v148, 0x11122322
	v_mov_b32_e32 v149, 0x3f811111
	v_fmac_f64_e32 v[148:149], v[144:145], v[146:147]
	v_mov_b32_e32 v146, 0x555502a1
	v_mov_b32_e32 v147, 0x3fa55555
	v_fmac_f64_e32 v[146:147], v[144:145], v[148:149]
	v_mov_b32_e32 v148, 0x55555511
	v_mov_b32_e32 v149, 0x3fc55555
	v_fmac_f64_e32 v[148:149], v[144:145], v[146:147]
	v_mov_b32_e32 v146, 11
	v_mov_b32_e32 v147, 0x3fe00000
	s_mov_b32 s6, 0
	v_fmac_f64_e32 v[146:147], v[144:145], v[148:149]
	s_mov_b32 s7, 0x40900000
	v_fma_f64 v[146:147], v[144:145], v[146:147], 1.0
	v_cmp_nlt_f64_e32 vcc, s[6:7], v[24:25]
	s_mov_b32 s6, 0
	v_fma_f64 v[144:145], v[144:145], v[146:147], 1.0
	v_cvt_i32_f64_e32 v53, v[134:135]
	s_mov_b32 s7, 0xc090cc00
	v_ldexp_f64 v[134:135], v[144:145], v53
	v_mov_b32_e32 v53, 0x7ff00000
	v_cmp_ngt_f64_e64 s[6:7], s[6:7], v[24:25]
	v_cndmask_b32_e32 v53, v53, v135, vcc
	s_and_b64 vcc, s[6:7], vcc
	v_cndmask_b32_e64 v25, 0, v53, s[6:7]
	v_cndmask_b32_e32 v24, 0, v134, vcc
	v_add_f64 v[134:135], v[24:25], 1.0
	v_add_f64 v[144:145], v[134:135], -1.0
	v_add_f64 v[146:147], v[144:145], -v[134:135]
	v_add_f64 v[146:147], v[146:147], 1.0
	v_add_f64 v[144:145], v[24:25], -v[144:145]
	s_mov_b32 s6, 0x55555555
	v_add_f64 v[144:145], v[144:145], v[146:147]
	v_frexp_mant_f64_e32 v[146:147], v[134:135]
	s_mov_b32 s7, 0x3fe55555
	v_frexp_exp_i32_f64_e32 v53, v[134:135]
	v_cmp_gt_f64_e32 vcc, s[6:7], v[146:147]
	s_mov_b32 s6, 0xbf559e2b
	s_mov_b32 s7, 0x3fc3ab76
	v_subbrev_co_u32_e32 v53, vcc, 0, v53, vcc
	v_sub_u32_e32 v71, 0, v53
	v_ldexp_f64 v[134:135], v[134:135], v71
	v_add_f64 v[146:147], v[134:135], -1.0
	v_add_f64 v[160:161], v[134:135], 1.0
	v_add_f64 v[148:149], v[146:147], 1.0
	v_add_f64 v[162:163], v[160:161], -1.0
	v_ldexp_f64 v[144:145], v[144:145], v71
	v_add_f64 v[148:149], v[134:135], -v[148:149]
	v_add_f64 v[134:135], v[134:135], -v[162:163]
	v_add_f64 v[134:135], v[144:145], v[134:135]
	v_add_f64 v[148:149], v[144:145], v[148:149]
	;; [unrolled: 1-line block ×3, first 2 shown]
	v_rcp_f64_e32 v[162:163], v[144:145]
	v_add_f64 v[150:151], v[146:147], v[148:149]
	v_add_f64 v[146:147], v[150:151], -v[146:147]
	v_add_f64 v[146:147], v[148:149], -v[146:147]
	;; [unrolled: 1-line block ×4, first 2 shown]
	v_fma_f64 v[148:149], -v[144:145], v[162:163], 1.0
	v_fmac_f64_e32 v[162:163], v[148:149], v[162:163]
	v_fma_f64 v[148:149], -v[144:145], v[162:163], 1.0
	v_fmac_f64_e32 v[162:163], v[148:149], v[162:163]
	v_mul_f64 v[148:149], v[150:151], v[162:163]
	v_mul_f64 v[160:161], v[144:145], v[148:149]
	v_fma_f64 v[164:165], v[148:149], v[144:145], -v[160:161]
	v_fmac_f64_e32 v[164:165], v[148:149], v[134:135]
	v_add_f64 v[166:167], v[160:161], v[164:165]
	v_add_f64 v[176:177], v[150:151], -v[166:167]
	v_add_f64 v[150:151], v[150:151], -v[176:177]
	;; [unrolled: 1-line block ×4, first 2 shown]
	v_add_f64 v[146:147], v[146:147], v[150:151]
	v_add_f64 v[150:151], v[160:161], -v[164:165]
	v_add_f64 v[146:147], v[150:151], v[146:147]
	v_add_f64 v[150:151], v[176:177], v[146:147]
	v_add_f64 v[160:161], v[176:177], -v[150:151]
	v_add_f64 v[146:147], v[146:147], v[160:161]
	v_mul_f64 v[160:161], v[162:163], v[150:151]
	v_mul_f64 v[164:165], v[144:145], v[160:161]
	v_fma_f64 v[144:145], v[160:161], v[144:145], -v[164:165]
	v_fmac_f64_e32 v[144:145], v[160:161], v[134:135]
	v_add_f64 v[134:135], v[164:165], v[144:145]
	v_add_f64 v[166:167], v[150:151], -v[134:135]
	v_add_f64 v[150:151], v[150:151], -v[166:167]
	;; [unrolled: 1-line block ×4, first 2 shown]
	v_add_f64 v[134:135], v[146:147], v[134:135]
	v_add_f64 v[144:145], v[164:165], -v[144:145]
	v_add_f64 v[134:135], v[144:145], v[134:135]
	v_add_f64 v[144:145], v[148:149], v[160:161]
	v_add_f64 v[134:135], v[166:167], v[134:135]
	v_add_f64 v[146:147], v[144:145], -v[148:149]
	v_mul_f64 v[134:135], v[162:163], v[134:135]
	v_add_f64 v[146:147], v[160:161], -v[146:147]
	v_add_f64 v[134:135], v[146:147], v[134:135]
	v_add_f64 v[146:147], v[144:145], v[134:135]
	v_add_f64 v[144:145], v[146:147], -v[144:145]
	v_add_f64 v[134:135], v[134:135], -v[144:145]
	v_mul_f64 v[144:145], v[146:147], v[146:147]
	v_mov_b32_e32 v148, 0x6b47b09a
	v_mov_b32_e32 v149, 0x3fc38538
	v_fmac_f64_e32 v[148:149], s[6:7], v[144:145]
	v_mov_b32_e32 v150, 0xd7f4df2e
	v_mov_b32_e32 v151, 0x3fc7474d
	v_fmac_f64_e32 v[150:151], v[144:145], v[148:149]
	;; [unrolled: 3-line block ×6, first 2 shown]
	v_cvt_f64_i32_e32 v[148:149], v53
	s_mov_b32 s11, 0x3fe62e42
	v_mul_f64 v[160:161], v[148:149], s[10:11]
	v_fma_f64 v[162:163], v[148:149], s[10:11], -v[160:161]
	s_mov_b32 s13, 0x3c7abc9e
	v_fmac_f64_e32 v[162:163], s[12:13], v[148:149]
	v_add_f64 v[148:149], v[160:161], v[162:163]
	v_add_f64 v[160:161], v[148:149], -v[160:161]
	v_mul_f64 v[144:145], v[146:147], v[144:145]
	v_add_f64 v[160:161], v[162:163], -v[160:161]
	v_ldexp_f64 v[162:163], v[146:147], 1
	v_mul_f64 v[144:145], v[144:145], v[150:151]
	v_add_f64 v[146:147], v[162:163], v[144:145]
	v_add_f64 v[150:151], v[146:147], -v[162:163]
	v_ldexp_f64 v[134:135], v[134:135], 1
	v_add_f64 v[144:145], v[144:145], -v[150:151]
	v_add_f64 v[134:135], v[134:135], v[144:145]
	v_add_f64 v[144:145], v[146:147], v[134:135]
	v_add_f64 v[146:147], v[144:145], -v[146:147]
	v_add_f64 v[134:135], v[134:135], -v[146:147]
	v_add_f64 v[146:147], v[148:149], v[144:145]
	v_add_f64 v[150:151], v[146:147], -v[148:149]
	v_add_f64 v[162:163], v[146:147], -v[150:151]
	;; [unrolled: 1-line block ×4, first 2 shown]
	v_add_f64 v[144:145], v[144:145], v[148:149]
	v_add_f64 v[148:149], v[160:161], v[134:135]
	v_add_f64 v[150:151], v[148:149], -v[160:161]
	v_add_f64 v[144:145], v[148:149], v[144:145]
	v_add_f64 v[162:163], v[148:149], -v[150:151]
	;; [unrolled: 2-line block ×3, first 2 shown]
	v_add_f64 v[134:135], v[134:135], -v[150:151]
	v_add_f64 v[146:147], v[148:149], -v[146:147]
	v_add_f64 v[134:135], v[134:135], v[160:161]
	v_add_f64 v[144:145], v[144:145], -v[146:147]
	s_mov_b32 s6, 0
	v_add_f64 v[134:135], v[134:135], v[144:145]
	s_mov_b32 s7, 0x7ff00000
	v_add_f64 v[134:135], v[148:149], v[134:135]
	v_cmp_eq_f64_e32 vcc, s[6:7], v[24:25]
	s_nop 1
	v_cndmask_b32_e32 v53, v134, v24, vcc
	v_cndmask_b32_e32 v71, v135, v25, vcc
	v_mov_b32_e32 v134, 0x7ff80000
	v_cmp_ngt_f64_e32 vcc, -1.0, v[24:25]
	s_nop 1
	v_cndmask_b32_e32 v71, v134, v71, vcc
	v_cmp_nge_f64_e32 vcc, -1.0, v[24:25]
	s_nop 1
	v_cndmask_b32_e32 v134, 0, v53, vcc
	v_mov_b32_e32 v53, 0xfff00000
	v_cmp_neq_f64_e32 vcc, -1.0, v[24:25]
	s_nop 1
	v_cndmask_b32_e32 v135, v53, v71, vcc
	v_add_f64 v[24:25], v[26:27], v[134:135]
.LBB70_251:
	s_or_b64 exec, exec, s[8:9]
	v_max_f64 v[26:27], v[24:25], v[24:25]
	v_min_f64 v[134:135], v[26:27], v[28:29]
	v_cmp_u_f64_e32 vcc, v[24:25], v[24:25]
	v_max_f64 v[26:27], v[26:27], v[28:29]
	s_nop 0
	v_cndmask_b32_e32 v53, v134, v24, vcc
	v_cndmask_b32_e32 v71, v135, v25, vcc
	;; [unrolled: 1-line block ×4, first 2 shown]
	v_cndmask_b32_e64 v135, v71, v83, s[26:27]
	v_cndmask_b32_e64 v134, v53, v82, s[26:27]
	;; [unrolled: 1-line block ×4, first 2 shown]
	v_cmp_neq_f64_e32 vcc, v[134:135], v[28:29]
	v_cmp_class_f64_e64 s[6:7], v[134:135], s14
	s_or_b64 s[6:7], vcc, s[6:7]
	v_mov_b64_e32 v[26:27], v[24:25]
	s_and_saveexec_b64 s[8:9], s[6:7]
	s_cbranch_execz .LBB70_253
; %bb.252:
	s_mov_b32 s6, 0x652b82fe
	v_add_f64 v[26:27], v[134:135], -v[28:29]
	s_mov_b32 s7, 0x3ff71547
	v_mul_f64 v[134:135], v[26:27], s[6:7]
	v_rndne_f64_e32 v[134:135], v[134:135]
	s_mov_b32 s11, 0xbfe62e42
	s_mov_b32 s10, 0xfefa39ef
	v_fma_f64 v[144:145], s[10:11], v[134:135], v[26:27]
	s_mov_b32 s13, 0xbc7abc9e
	s_mov_b32 s12, 0x3b39803f
	;; [unrolled: 1-line block ×3, first 2 shown]
	v_fmac_f64_e32 v[144:145], s[12:13], v[134:135]
	v_mov_b32_e32 v146, 0xfca7ab0c
	v_mov_b32_e32 v147, 0x3e928af3
	s_mov_b32 s7, 0x3e5ade15
	v_fmac_f64_e32 v[146:147], s[6:7], v[144:145]
	v_mov_b32_e32 v148, 0x623fde64
	v_mov_b32_e32 v149, 0x3ec71dee
	v_fmac_f64_e32 v[148:149], v[144:145], v[146:147]
	v_mov_b32_e32 v146, 0x7c89e6b0
	v_mov_b32_e32 v147, 0x3efa0199
	;; [unrolled: 3-line block ×8, first 2 shown]
	s_mov_b32 s6, 0
	v_fmac_f64_e32 v[146:147], v[144:145], v[148:149]
	s_mov_b32 s7, 0x40900000
	v_fma_f64 v[146:147], v[144:145], v[146:147], 1.0
	v_cmp_nlt_f64_e32 vcc, s[6:7], v[26:27]
	s_mov_b32 s6, 0
	v_fma_f64 v[144:145], v[144:145], v[146:147], 1.0
	v_cvt_i32_f64_e32 v53, v[134:135]
	s_mov_b32 s7, 0xc090cc00
	v_ldexp_f64 v[134:135], v[144:145], v53
	v_mov_b32_e32 v53, 0x7ff00000
	v_cmp_ngt_f64_e64 s[6:7], s[6:7], v[26:27]
	v_cndmask_b32_e32 v53, v53, v135, vcc
	s_and_b64 vcc, s[6:7], vcc
	v_cndmask_b32_e64 v27, 0, v53, s[6:7]
	v_cndmask_b32_e32 v26, 0, v134, vcc
	v_add_f64 v[134:135], v[26:27], 1.0
	v_add_f64 v[144:145], v[134:135], -1.0
	v_add_f64 v[146:147], v[144:145], -v[134:135]
	v_add_f64 v[146:147], v[146:147], 1.0
	v_add_f64 v[144:145], v[26:27], -v[144:145]
	s_mov_b32 s6, 0x55555555
	v_add_f64 v[144:145], v[144:145], v[146:147]
	v_frexp_mant_f64_e32 v[146:147], v[134:135]
	s_mov_b32 s7, 0x3fe55555
	v_frexp_exp_i32_f64_e32 v53, v[134:135]
	v_cmp_gt_f64_e32 vcc, s[6:7], v[146:147]
	s_mov_b32 s6, 0xbf559e2b
	s_mov_b32 s7, 0x3fc3ab76
	v_subbrev_co_u32_e32 v53, vcc, 0, v53, vcc
	v_sub_u32_e32 v71, 0, v53
	v_ldexp_f64 v[134:135], v[134:135], v71
	v_add_f64 v[146:147], v[134:135], -1.0
	v_add_f64 v[160:161], v[134:135], 1.0
	v_add_f64 v[148:149], v[146:147], 1.0
	v_add_f64 v[162:163], v[160:161], -1.0
	v_ldexp_f64 v[144:145], v[144:145], v71
	v_add_f64 v[148:149], v[134:135], -v[148:149]
	v_add_f64 v[134:135], v[134:135], -v[162:163]
	v_add_f64 v[134:135], v[144:145], v[134:135]
	v_add_f64 v[148:149], v[144:145], v[148:149]
	v_add_f64 v[144:145], v[160:161], v[134:135]
	v_rcp_f64_e32 v[162:163], v[144:145]
	v_add_f64 v[150:151], v[146:147], v[148:149]
	v_add_f64 v[146:147], v[150:151], -v[146:147]
	v_add_f64 v[146:147], v[148:149], -v[146:147]
	;; [unrolled: 1-line block ×4, first 2 shown]
	v_fma_f64 v[148:149], -v[144:145], v[162:163], 1.0
	v_fmac_f64_e32 v[162:163], v[148:149], v[162:163]
	v_fma_f64 v[148:149], -v[144:145], v[162:163], 1.0
	v_fmac_f64_e32 v[162:163], v[148:149], v[162:163]
	v_mul_f64 v[148:149], v[150:151], v[162:163]
	v_mul_f64 v[160:161], v[144:145], v[148:149]
	v_fma_f64 v[164:165], v[148:149], v[144:145], -v[160:161]
	v_fmac_f64_e32 v[164:165], v[148:149], v[134:135]
	v_add_f64 v[166:167], v[160:161], v[164:165]
	v_add_f64 v[176:177], v[150:151], -v[166:167]
	v_add_f64 v[150:151], v[150:151], -v[176:177]
	;; [unrolled: 1-line block ×4, first 2 shown]
	v_add_f64 v[146:147], v[146:147], v[150:151]
	v_add_f64 v[150:151], v[160:161], -v[164:165]
	v_add_f64 v[146:147], v[150:151], v[146:147]
	v_add_f64 v[150:151], v[176:177], v[146:147]
	v_add_f64 v[160:161], v[176:177], -v[150:151]
	v_add_f64 v[146:147], v[146:147], v[160:161]
	v_mul_f64 v[160:161], v[162:163], v[150:151]
	v_mul_f64 v[164:165], v[144:145], v[160:161]
	v_fma_f64 v[144:145], v[160:161], v[144:145], -v[164:165]
	v_fmac_f64_e32 v[144:145], v[160:161], v[134:135]
	v_add_f64 v[134:135], v[164:165], v[144:145]
	v_add_f64 v[166:167], v[150:151], -v[134:135]
	v_add_f64 v[150:151], v[150:151], -v[166:167]
	;; [unrolled: 1-line block ×4, first 2 shown]
	v_add_f64 v[134:135], v[146:147], v[134:135]
	v_add_f64 v[144:145], v[164:165], -v[144:145]
	v_add_f64 v[134:135], v[144:145], v[134:135]
	v_add_f64 v[144:145], v[148:149], v[160:161]
	;; [unrolled: 1-line block ×3, first 2 shown]
	v_add_f64 v[146:147], v[144:145], -v[148:149]
	v_mul_f64 v[134:135], v[162:163], v[134:135]
	v_add_f64 v[146:147], v[160:161], -v[146:147]
	v_add_f64 v[134:135], v[146:147], v[134:135]
	v_add_f64 v[146:147], v[144:145], v[134:135]
	v_add_f64 v[144:145], v[146:147], -v[144:145]
	v_add_f64 v[134:135], v[134:135], -v[144:145]
	v_mul_f64 v[144:145], v[146:147], v[146:147]
	v_mov_b32_e32 v148, 0x6b47b09a
	v_mov_b32_e32 v149, 0x3fc38538
	v_fmac_f64_e32 v[148:149], s[6:7], v[144:145]
	v_mov_b32_e32 v150, 0xd7f4df2e
	v_mov_b32_e32 v151, 0x3fc7474d
	v_fmac_f64_e32 v[150:151], v[144:145], v[148:149]
	;; [unrolled: 3-line block ×6, first 2 shown]
	v_cvt_f64_i32_e32 v[148:149], v53
	s_mov_b32 s11, 0x3fe62e42
	v_mul_f64 v[160:161], v[148:149], s[10:11]
	v_fma_f64 v[162:163], v[148:149], s[10:11], -v[160:161]
	s_mov_b32 s13, 0x3c7abc9e
	v_fmac_f64_e32 v[162:163], s[12:13], v[148:149]
	v_add_f64 v[148:149], v[160:161], v[162:163]
	v_add_f64 v[160:161], v[148:149], -v[160:161]
	v_mul_f64 v[144:145], v[146:147], v[144:145]
	v_add_f64 v[160:161], v[162:163], -v[160:161]
	v_ldexp_f64 v[162:163], v[146:147], 1
	v_mul_f64 v[144:145], v[144:145], v[150:151]
	v_add_f64 v[146:147], v[162:163], v[144:145]
	v_add_f64 v[150:151], v[146:147], -v[162:163]
	v_ldexp_f64 v[134:135], v[134:135], 1
	v_add_f64 v[144:145], v[144:145], -v[150:151]
	v_add_f64 v[134:135], v[134:135], v[144:145]
	v_add_f64 v[144:145], v[146:147], v[134:135]
	v_add_f64 v[146:147], v[144:145], -v[146:147]
	v_add_f64 v[134:135], v[134:135], -v[146:147]
	v_add_f64 v[146:147], v[148:149], v[144:145]
	v_add_f64 v[150:151], v[146:147], -v[148:149]
	v_add_f64 v[162:163], v[146:147], -v[150:151]
	;; [unrolled: 1-line block ×4, first 2 shown]
	v_add_f64 v[144:145], v[144:145], v[148:149]
	v_add_f64 v[148:149], v[160:161], v[134:135]
	v_add_f64 v[150:151], v[148:149], -v[160:161]
	v_add_f64 v[144:145], v[148:149], v[144:145]
	v_add_f64 v[162:163], v[148:149], -v[150:151]
	v_add_f64 v[148:149], v[146:147], v[144:145]
	v_add_f64 v[160:161], v[160:161], -v[162:163]
	v_add_f64 v[134:135], v[134:135], -v[150:151]
	v_add_f64 v[146:147], v[148:149], -v[146:147]
	v_add_f64 v[134:135], v[134:135], v[160:161]
	v_add_f64 v[144:145], v[144:145], -v[146:147]
	s_mov_b32 s6, 0
	v_add_f64 v[134:135], v[134:135], v[144:145]
	s_mov_b32 s7, 0x7ff00000
	v_add_f64 v[134:135], v[148:149], v[134:135]
	v_cmp_eq_f64_e32 vcc, s[6:7], v[26:27]
	s_nop 1
	v_cndmask_b32_e32 v53, v134, v26, vcc
	v_cndmask_b32_e32 v71, v135, v27, vcc
	v_mov_b32_e32 v134, 0x7ff80000
	v_cmp_ngt_f64_e32 vcc, -1.0, v[26:27]
	s_nop 1
	v_cndmask_b32_e32 v71, v134, v71, vcc
	v_cmp_nge_f64_e32 vcc, -1.0, v[26:27]
	s_nop 1
	v_cndmask_b32_e32 v134, 0, v53, vcc
	v_mov_b32_e32 v53, 0xfff00000
	v_cmp_neq_f64_e32 vcc, -1.0, v[26:27]
	s_nop 1
	v_cndmask_b32_e32 v135, v53, v71, vcc
	v_add_f64 v[26:27], v[28:29], v[134:135]
.LBB70_253:
	s_or_b64 exec, exec, s[8:9]
	v_max_f64 v[28:29], v[26:27], v[26:27]
	v_min_f64 v[134:135], v[28:29], v[30:31]
	v_cmp_u_f64_e32 vcc, v[26:27], v[26:27]
	v_max_f64 v[28:29], v[28:29], v[30:31]
	s_nop 0
	v_cndmask_b32_e32 v53, v134, v26, vcc
	v_cndmask_b32_e32 v71, v135, v27, vcc
	;; [unrolled: 1-line block ×4, first 2 shown]
	v_cndmask_b32_e64 v135, v71, v67, s[28:29]
	v_cndmask_b32_e64 v134, v53, v66, s[28:29]
	;; [unrolled: 1-line block ×4, first 2 shown]
	v_cmp_neq_f64_e32 vcc, v[134:135], v[30:31]
	v_cmp_class_f64_e64 s[6:7], v[134:135], s14
	s_or_b64 s[6:7], vcc, s[6:7]
	v_mov_b64_e32 v[28:29], v[26:27]
	s_and_saveexec_b64 s[8:9], s[6:7]
	s_cbranch_execz .LBB70_255
; %bb.254:
	s_mov_b32 s6, 0x652b82fe
	v_add_f64 v[28:29], v[134:135], -v[30:31]
	s_mov_b32 s7, 0x3ff71547
	v_mul_f64 v[134:135], v[28:29], s[6:7]
	v_rndne_f64_e32 v[134:135], v[134:135]
	s_mov_b32 s11, 0xbfe62e42
	s_mov_b32 s10, 0xfefa39ef
	v_fma_f64 v[144:145], s[10:11], v[134:135], v[28:29]
	s_mov_b32 s13, 0xbc7abc9e
	s_mov_b32 s12, 0x3b39803f
	;; [unrolled: 1-line block ×3, first 2 shown]
	v_fmac_f64_e32 v[144:145], s[12:13], v[134:135]
	v_mov_b32_e32 v146, 0xfca7ab0c
	v_mov_b32_e32 v147, 0x3e928af3
	s_mov_b32 s7, 0x3e5ade15
	v_fmac_f64_e32 v[146:147], s[6:7], v[144:145]
	v_mov_b32_e32 v148, 0x623fde64
	v_mov_b32_e32 v149, 0x3ec71dee
	v_fmac_f64_e32 v[148:149], v[144:145], v[146:147]
	v_mov_b32_e32 v146, 0x7c89e6b0
	v_mov_b32_e32 v147, 0x3efa0199
	;; [unrolled: 3-line block ×8, first 2 shown]
	s_mov_b32 s6, 0
	v_fmac_f64_e32 v[146:147], v[144:145], v[148:149]
	s_mov_b32 s7, 0x40900000
	v_fma_f64 v[146:147], v[144:145], v[146:147], 1.0
	v_cmp_nlt_f64_e32 vcc, s[6:7], v[28:29]
	s_mov_b32 s6, 0
	v_fma_f64 v[144:145], v[144:145], v[146:147], 1.0
	v_cvt_i32_f64_e32 v53, v[134:135]
	s_mov_b32 s7, 0xc090cc00
	v_ldexp_f64 v[134:135], v[144:145], v53
	v_mov_b32_e32 v53, 0x7ff00000
	v_cmp_ngt_f64_e64 s[6:7], s[6:7], v[28:29]
	v_cndmask_b32_e32 v53, v53, v135, vcc
	s_and_b64 vcc, s[6:7], vcc
	v_cndmask_b32_e64 v29, 0, v53, s[6:7]
	v_cndmask_b32_e32 v28, 0, v134, vcc
	v_add_f64 v[134:135], v[28:29], 1.0
	v_add_f64 v[144:145], v[134:135], -1.0
	v_add_f64 v[146:147], v[144:145], -v[134:135]
	v_add_f64 v[146:147], v[146:147], 1.0
	v_add_f64 v[144:145], v[28:29], -v[144:145]
	s_mov_b32 s6, 0x55555555
	v_add_f64 v[144:145], v[144:145], v[146:147]
	v_frexp_mant_f64_e32 v[146:147], v[134:135]
	s_mov_b32 s7, 0x3fe55555
	v_frexp_exp_i32_f64_e32 v53, v[134:135]
	v_cmp_gt_f64_e32 vcc, s[6:7], v[146:147]
	s_mov_b32 s6, 0xbf559e2b
	s_mov_b32 s7, 0x3fc3ab76
	v_subbrev_co_u32_e32 v53, vcc, 0, v53, vcc
	v_sub_u32_e32 v71, 0, v53
	v_ldexp_f64 v[134:135], v[134:135], v71
	v_add_f64 v[146:147], v[134:135], -1.0
	v_add_f64 v[160:161], v[134:135], 1.0
	v_add_f64 v[148:149], v[146:147], 1.0
	v_add_f64 v[162:163], v[160:161], -1.0
	v_ldexp_f64 v[144:145], v[144:145], v71
	v_add_f64 v[148:149], v[134:135], -v[148:149]
	v_add_f64 v[134:135], v[134:135], -v[162:163]
	v_add_f64 v[134:135], v[144:145], v[134:135]
	v_add_f64 v[148:149], v[144:145], v[148:149]
	;; [unrolled: 1-line block ×3, first 2 shown]
	v_rcp_f64_e32 v[162:163], v[144:145]
	v_add_f64 v[150:151], v[146:147], v[148:149]
	v_add_f64 v[146:147], v[150:151], -v[146:147]
	v_add_f64 v[146:147], v[148:149], -v[146:147]
	v_add_f64 v[148:149], v[144:145], -v[160:161]
	v_add_f64 v[134:135], v[134:135], -v[148:149]
	v_fma_f64 v[148:149], -v[144:145], v[162:163], 1.0
	v_fmac_f64_e32 v[162:163], v[148:149], v[162:163]
	v_fma_f64 v[148:149], -v[144:145], v[162:163], 1.0
	v_fmac_f64_e32 v[162:163], v[148:149], v[162:163]
	v_mul_f64 v[148:149], v[150:151], v[162:163]
	v_mul_f64 v[160:161], v[144:145], v[148:149]
	v_fma_f64 v[164:165], v[148:149], v[144:145], -v[160:161]
	v_fmac_f64_e32 v[164:165], v[148:149], v[134:135]
	v_add_f64 v[166:167], v[160:161], v[164:165]
	v_add_f64 v[176:177], v[150:151], -v[166:167]
	v_add_f64 v[150:151], v[150:151], -v[176:177]
	;; [unrolled: 1-line block ×4, first 2 shown]
	v_add_f64 v[146:147], v[146:147], v[150:151]
	v_add_f64 v[150:151], v[160:161], -v[164:165]
	v_add_f64 v[146:147], v[150:151], v[146:147]
	v_add_f64 v[150:151], v[176:177], v[146:147]
	v_add_f64 v[160:161], v[176:177], -v[150:151]
	v_add_f64 v[146:147], v[146:147], v[160:161]
	v_mul_f64 v[160:161], v[162:163], v[150:151]
	v_mul_f64 v[164:165], v[144:145], v[160:161]
	v_fma_f64 v[144:145], v[160:161], v[144:145], -v[164:165]
	v_fmac_f64_e32 v[144:145], v[160:161], v[134:135]
	v_add_f64 v[134:135], v[164:165], v[144:145]
	v_add_f64 v[166:167], v[150:151], -v[134:135]
	v_add_f64 v[150:151], v[150:151], -v[166:167]
	v_add_f64 v[164:165], v[134:135], -v[164:165]
	v_add_f64 v[134:135], v[150:151], -v[134:135]
	v_add_f64 v[134:135], v[146:147], v[134:135]
	v_add_f64 v[144:145], v[164:165], -v[144:145]
	v_add_f64 v[134:135], v[144:145], v[134:135]
	v_add_f64 v[144:145], v[148:149], v[160:161]
	;; [unrolled: 1-line block ×3, first 2 shown]
	v_add_f64 v[146:147], v[144:145], -v[148:149]
	v_mul_f64 v[134:135], v[162:163], v[134:135]
	v_add_f64 v[146:147], v[160:161], -v[146:147]
	v_add_f64 v[134:135], v[146:147], v[134:135]
	v_add_f64 v[146:147], v[144:145], v[134:135]
	v_add_f64 v[144:145], v[146:147], -v[144:145]
	v_add_f64 v[134:135], v[134:135], -v[144:145]
	v_mul_f64 v[144:145], v[146:147], v[146:147]
	v_mov_b32_e32 v148, 0x6b47b09a
	v_mov_b32_e32 v149, 0x3fc38538
	v_fmac_f64_e32 v[148:149], s[6:7], v[144:145]
	v_mov_b32_e32 v150, 0xd7f4df2e
	v_mov_b32_e32 v151, 0x3fc7474d
	v_fmac_f64_e32 v[150:151], v[144:145], v[148:149]
	;; [unrolled: 3-line block ×6, first 2 shown]
	v_cvt_f64_i32_e32 v[148:149], v53
	s_mov_b32 s11, 0x3fe62e42
	v_mul_f64 v[160:161], v[148:149], s[10:11]
	v_fma_f64 v[162:163], v[148:149], s[10:11], -v[160:161]
	s_mov_b32 s13, 0x3c7abc9e
	v_fmac_f64_e32 v[162:163], s[12:13], v[148:149]
	v_add_f64 v[148:149], v[160:161], v[162:163]
	v_add_f64 v[160:161], v[148:149], -v[160:161]
	v_mul_f64 v[144:145], v[146:147], v[144:145]
	v_add_f64 v[160:161], v[162:163], -v[160:161]
	v_ldexp_f64 v[162:163], v[146:147], 1
	v_mul_f64 v[144:145], v[144:145], v[150:151]
	v_add_f64 v[146:147], v[162:163], v[144:145]
	v_add_f64 v[150:151], v[146:147], -v[162:163]
	v_ldexp_f64 v[134:135], v[134:135], 1
	v_add_f64 v[144:145], v[144:145], -v[150:151]
	v_add_f64 v[134:135], v[134:135], v[144:145]
	v_add_f64 v[144:145], v[146:147], v[134:135]
	v_add_f64 v[146:147], v[144:145], -v[146:147]
	v_add_f64 v[134:135], v[134:135], -v[146:147]
	v_add_f64 v[146:147], v[148:149], v[144:145]
	v_add_f64 v[150:151], v[146:147], -v[148:149]
	v_add_f64 v[162:163], v[146:147], -v[150:151]
	;; [unrolled: 1-line block ×4, first 2 shown]
	v_add_f64 v[144:145], v[144:145], v[148:149]
	v_add_f64 v[148:149], v[160:161], v[134:135]
	v_add_f64 v[150:151], v[148:149], -v[160:161]
	v_add_f64 v[144:145], v[148:149], v[144:145]
	v_add_f64 v[162:163], v[148:149], -v[150:151]
	;; [unrolled: 2-line block ×3, first 2 shown]
	v_add_f64 v[134:135], v[134:135], -v[150:151]
	v_add_f64 v[146:147], v[148:149], -v[146:147]
	v_add_f64 v[134:135], v[134:135], v[160:161]
	v_add_f64 v[144:145], v[144:145], -v[146:147]
	s_mov_b32 s6, 0
	v_add_f64 v[134:135], v[134:135], v[144:145]
	s_mov_b32 s7, 0x7ff00000
	v_add_f64 v[134:135], v[148:149], v[134:135]
	v_cmp_eq_f64_e32 vcc, s[6:7], v[28:29]
	s_nop 1
	v_cndmask_b32_e32 v53, v134, v28, vcc
	v_cndmask_b32_e32 v71, v135, v29, vcc
	v_mov_b32_e32 v134, 0x7ff80000
	v_cmp_ngt_f64_e32 vcc, -1.0, v[28:29]
	s_nop 1
	v_cndmask_b32_e32 v71, v134, v71, vcc
	v_cmp_nge_f64_e32 vcc, -1.0, v[28:29]
	s_nop 1
	v_cndmask_b32_e32 v134, 0, v53, vcc
	v_mov_b32_e32 v53, 0xfff00000
	v_cmp_neq_f64_e32 vcc, -1.0, v[28:29]
	s_nop 1
	v_cndmask_b32_e32 v135, v53, v71, vcc
	v_add_f64 v[28:29], v[30:31], v[134:135]
.LBB70_255:
	s_or_b64 exec, exec, s[8:9]
	v_max_f64 v[30:31], v[28:29], v[28:29]
	v_min_f64 v[134:135], v[30:31], v[32:33]
	v_cmp_u_f64_e32 vcc, v[28:29], v[28:29]
	v_max_f64 v[30:31], v[30:31], v[32:33]
	s_nop 0
	v_cndmask_b32_e32 v53, v134, v28, vcc
	v_cndmask_b32_e32 v71, v135, v29, vcc
	v_cndmask_b32_e32 v30, v30, v28, vcc
	v_cndmask_b32_e32 v31, v31, v29, vcc
	v_cndmask_b32_e64 v135, v71, v69, s[30:31]
	v_cndmask_b32_e64 v134, v53, v68, s[30:31]
	;; [unrolled: 1-line block ×4, first 2 shown]
	v_cmp_neq_f64_e32 vcc, v[134:135], v[32:33]
	v_cmp_class_f64_e64 s[6:7], v[134:135], s14
	s_or_b64 s[6:7], vcc, s[6:7]
	v_mov_b64_e32 v[30:31], v[28:29]
	s_and_saveexec_b64 s[8:9], s[6:7]
	s_cbranch_execz .LBB70_257
; %bb.256:
	s_mov_b32 s6, 0x652b82fe
	v_add_f64 v[30:31], v[134:135], -v[32:33]
	s_mov_b32 s7, 0x3ff71547
	v_mul_f64 v[134:135], v[30:31], s[6:7]
	v_rndne_f64_e32 v[134:135], v[134:135]
	s_mov_b32 s11, 0xbfe62e42
	s_mov_b32 s10, 0xfefa39ef
	v_fma_f64 v[144:145], s[10:11], v[134:135], v[30:31]
	s_mov_b32 s13, 0xbc7abc9e
	s_mov_b32 s12, 0x3b39803f
	;; [unrolled: 1-line block ×3, first 2 shown]
	v_fmac_f64_e32 v[144:145], s[12:13], v[134:135]
	v_mov_b32_e32 v146, 0xfca7ab0c
	v_mov_b32_e32 v147, 0x3e928af3
	s_mov_b32 s7, 0x3e5ade15
	v_fmac_f64_e32 v[146:147], s[6:7], v[144:145]
	v_mov_b32_e32 v148, 0x623fde64
	v_mov_b32_e32 v149, 0x3ec71dee
	v_fmac_f64_e32 v[148:149], v[144:145], v[146:147]
	v_mov_b32_e32 v146, 0x7c89e6b0
	v_mov_b32_e32 v147, 0x3efa0199
	;; [unrolled: 3-line block ×8, first 2 shown]
	s_mov_b32 s6, 0
	v_fmac_f64_e32 v[146:147], v[144:145], v[148:149]
	s_mov_b32 s7, 0x40900000
	v_fma_f64 v[146:147], v[144:145], v[146:147], 1.0
	v_cmp_nlt_f64_e32 vcc, s[6:7], v[30:31]
	s_mov_b32 s6, 0
	v_fma_f64 v[144:145], v[144:145], v[146:147], 1.0
	v_cvt_i32_f64_e32 v53, v[134:135]
	s_mov_b32 s7, 0xc090cc00
	v_ldexp_f64 v[134:135], v[144:145], v53
	v_mov_b32_e32 v53, 0x7ff00000
	v_cmp_ngt_f64_e64 s[6:7], s[6:7], v[30:31]
	v_cndmask_b32_e32 v53, v53, v135, vcc
	s_and_b64 vcc, s[6:7], vcc
	v_cndmask_b32_e64 v31, 0, v53, s[6:7]
	v_cndmask_b32_e32 v30, 0, v134, vcc
	v_add_f64 v[134:135], v[30:31], 1.0
	v_add_f64 v[144:145], v[134:135], -1.0
	v_add_f64 v[146:147], v[144:145], -v[134:135]
	v_add_f64 v[146:147], v[146:147], 1.0
	v_add_f64 v[144:145], v[30:31], -v[144:145]
	s_mov_b32 s6, 0x55555555
	v_add_f64 v[144:145], v[144:145], v[146:147]
	v_frexp_mant_f64_e32 v[146:147], v[134:135]
	s_mov_b32 s7, 0x3fe55555
	v_frexp_exp_i32_f64_e32 v53, v[134:135]
	v_cmp_gt_f64_e32 vcc, s[6:7], v[146:147]
	s_mov_b32 s6, 0xbf559e2b
	s_mov_b32 s7, 0x3fc3ab76
	v_subbrev_co_u32_e32 v53, vcc, 0, v53, vcc
	v_sub_u32_e32 v71, 0, v53
	v_ldexp_f64 v[134:135], v[134:135], v71
	v_add_f64 v[146:147], v[134:135], -1.0
	v_add_f64 v[160:161], v[134:135], 1.0
	v_add_f64 v[148:149], v[146:147], 1.0
	v_add_f64 v[162:163], v[160:161], -1.0
	v_ldexp_f64 v[144:145], v[144:145], v71
	v_add_f64 v[148:149], v[134:135], -v[148:149]
	v_add_f64 v[134:135], v[134:135], -v[162:163]
	v_add_f64 v[134:135], v[144:145], v[134:135]
	v_add_f64 v[148:149], v[144:145], v[148:149]
	;; [unrolled: 1-line block ×3, first 2 shown]
	v_rcp_f64_e32 v[162:163], v[144:145]
	v_add_f64 v[150:151], v[146:147], v[148:149]
	v_add_f64 v[146:147], v[150:151], -v[146:147]
	v_add_f64 v[146:147], v[148:149], -v[146:147]
	;; [unrolled: 1-line block ×4, first 2 shown]
	v_fma_f64 v[148:149], -v[144:145], v[162:163], 1.0
	v_fmac_f64_e32 v[162:163], v[148:149], v[162:163]
	v_fma_f64 v[148:149], -v[144:145], v[162:163], 1.0
	v_fmac_f64_e32 v[162:163], v[148:149], v[162:163]
	v_mul_f64 v[148:149], v[150:151], v[162:163]
	v_mul_f64 v[160:161], v[144:145], v[148:149]
	v_fma_f64 v[164:165], v[148:149], v[144:145], -v[160:161]
	v_fmac_f64_e32 v[164:165], v[148:149], v[134:135]
	v_add_f64 v[166:167], v[160:161], v[164:165]
	v_add_f64 v[176:177], v[150:151], -v[166:167]
	v_add_f64 v[150:151], v[150:151], -v[176:177]
	;; [unrolled: 1-line block ×4, first 2 shown]
	v_add_f64 v[146:147], v[146:147], v[150:151]
	v_add_f64 v[150:151], v[160:161], -v[164:165]
	v_add_f64 v[146:147], v[150:151], v[146:147]
	v_add_f64 v[150:151], v[176:177], v[146:147]
	v_add_f64 v[160:161], v[176:177], -v[150:151]
	v_add_f64 v[146:147], v[146:147], v[160:161]
	v_mul_f64 v[160:161], v[162:163], v[150:151]
	v_mul_f64 v[164:165], v[144:145], v[160:161]
	v_fma_f64 v[144:145], v[160:161], v[144:145], -v[164:165]
	v_fmac_f64_e32 v[144:145], v[160:161], v[134:135]
	v_add_f64 v[134:135], v[164:165], v[144:145]
	v_add_f64 v[166:167], v[150:151], -v[134:135]
	v_add_f64 v[150:151], v[150:151], -v[166:167]
	v_add_f64 v[164:165], v[134:135], -v[164:165]
	v_add_f64 v[134:135], v[150:151], -v[134:135]
	v_add_f64 v[134:135], v[146:147], v[134:135]
	v_add_f64 v[144:145], v[164:165], -v[144:145]
	v_add_f64 v[134:135], v[144:145], v[134:135]
	v_add_f64 v[144:145], v[148:149], v[160:161]
	;; [unrolled: 1-line block ×3, first 2 shown]
	v_add_f64 v[146:147], v[144:145], -v[148:149]
	v_mul_f64 v[134:135], v[162:163], v[134:135]
	v_add_f64 v[146:147], v[160:161], -v[146:147]
	v_add_f64 v[134:135], v[146:147], v[134:135]
	v_add_f64 v[146:147], v[144:145], v[134:135]
	v_add_f64 v[144:145], v[146:147], -v[144:145]
	v_add_f64 v[134:135], v[134:135], -v[144:145]
	v_mul_f64 v[144:145], v[146:147], v[146:147]
	v_mov_b32_e32 v148, 0x6b47b09a
	v_mov_b32_e32 v149, 0x3fc38538
	v_fmac_f64_e32 v[148:149], s[6:7], v[144:145]
	v_mov_b32_e32 v150, 0xd7f4df2e
	v_mov_b32_e32 v151, 0x3fc7474d
	v_fmac_f64_e32 v[150:151], v[144:145], v[148:149]
	;; [unrolled: 3-line block ×6, first 2 shown]
	v_cvt_f64_i32_e32 v[148:149], v53
	s_mov_b32 s11, 0x3fe62e42
	v_mul_f64 v[160:161], v[148:149], s[10:11]
	v_fma_f64 v[162:163], v[148:149], s[10:11], -v[160:161]
	s_mov_b32 s13, 0x3c7abc9e
	v_fmac_f64_e32 v[162:163], s[12:13], v[148:149]
	v_add_f64 v[148:149], v[160:161], v[162:163]
	v_add_f64 v[160:161], v[148:149], -v[160:161]
	v_mul_f64 v[144:145], v[146:147], v[144:145]
	v_add_f64 v[160:161], v[162:163], -v[160:161]
	v_ldexp_f64 v[162:163], v[146:147], 1
	v_mul_f64 v[144:145], v[144:145], v[150:151]
	v_add_f64 v[146:147], v[162:163], v[144:145]
	v_add_f64 v[150:151], v[146:147], -v[162:163]
	v_ldexp_f64 v[134:135], v[134:135], 1
	v_add_f64 v[144:145], v[144:145], -v[150:151]
	v_add_f64 v[134:135], v[134:135], v[144:145]
	v_add_f64 v[144:145], v[146:147], v[134:135]
	v_add_f64 v[146:147], v[144:145], -v[146:147]
	v_add_f64 v[134:135], v[134:135], -v[146:147]
	v_add_f64 v[146:147], v[148:149], v[144:145]
	v_add_f64 v[150:151], v[146:147], -v[148:149]
	v_add_f64 v[162:163], v[146:147], -v[150:151]
	;; [unrolled: 1-line block ×4, first 2 shown]
	v_add_f64 v[144:145], v[144:145], v[148:149]
	v_add_f64 v[148:149], v[160:161], v[134:135]
	v_add_f64 v[150:151], v[148:149], -v[160:161]
	v_add_f64 v[144:145], v[148:149], v[144:145]
	v_add_f64 v[162:163], v[148:149], -v[150:151]
	;; [unrolled: 2-line block ×3, first 2 shown]
	v_add_f64 v[134:135], v[134:135], -v[150:151]
	v_add_f64 v[146:147], v[148:149], -v[146:147]
	v_add_f64 v[134:135], v[134:135], v[160:161]
	v_add_f64 v[144:145], v[144:145], -v[146:147]
	s_mov_b32 s6, 0
	v_add_f64 v[134:135], v[134:135], v[144:145]
	s_mov_b32 s7, 0x7ff00000
	v_add_f64 v[134:135], v[148:149], v[134:135]
	v_cmp_eq_f64_e32 vcc, s[6:7], v[30:31]
	s_nop 1
	v_cndmask_b32_e32 v53, v134, v30, vcc
	v_cndmask_b32_e32 v71, v135, v31, vcc
	v_mov_b32_e32 v134, 0x7ff80000
	v_cmp_ngt_f64_e32 vcc, -1.0, v[30:31]
	s_nop 1
	v_cndmask_b32_e32 v71, v134, v71, vcc
	v_cmp_nge_f64_e32 vcc, -1.0, v[30:31]
	s_nop 1
	v_cndmask_b32_e32 v134, 0, v53, vcc
	v_mov_b32_e32 v53, 0xfff00000
	v_cmp_neq_f64_e32 vcc, -1.0, v[30:31]
	s_nop 1
	v_cndmask_b32_e32 v135, v53, v71, vcc
	v_add_f64 v[30:31], v[32:33], v[134:135]
.LBB70_257:
	s_or_b64 exec, exec, s[8:9]
	v_max_f64 v[32:33], v[30:31], v[30:31]
	v_min_f64 v[134:135], v[32:33], v[34:35]
	v_cmp_u_f64_e32 vcc, v[30:31], v[30:31]
	v_max_f64 v[32:33], v[32:33], v[34:35]
	s_movk_i32 s6, 0x1f8
	v_cndmask_b32_e32 v53, v134, v30, vcc
	v_cndmask_b32_e32 v71, v135, v31, vcc
	v_cndmask_b32_e32 v32, v32, v30, vcc
	v_cndmask_b32_e32 v33, v33, v31, vcc
	v_cndmask_b32_e64 v135, v71, v131, s[34:35]
	v_cndmask_b32_e64 v134, v53, v130, s[34:35]
	;; [unrolled: 1-line block ×4, first 2 shown]
	v_cmp_neq_f64_e32 vcc, v[134:135], v[34:35]
	v_cmp_class_f64_e64 s[6:7], v[134:135], s6
	s_or_b64 s[6:7], vcc, s[6:7]
	v_mov_b64_e32 v[32:33], v[30:31]
	s_and_saveexec_b64 s[8:9], s[6:7]
	s_cbranch_execz .LBB70_259
; %bb.258:
	s_mov_b32 s6, 0x652b82fe
	v_add_f64 v[32:33], v[134:135], -v[34:35]
	s_mov_b32 s7, 0x3ff71547
	v_mul_f64 v[134:135], v[32:33], s[6:7]
	v_rndne_f64_e32 v[134:135], v[134:135]
	s_mov_b32 s11, 0xbfe62e42
	s_mov_b32 s10, 0xfefa39ef
	v_fma_f64 v[144:145], s[10:11], v[134:135], v[32:33]
	s_mov_b32 s13, 0xbc7abc9e
	s_mov_b32 s12, 0x3b39803f
	;; [unrolled: 1-line block ×3, first 2 shown]
	v_fmac_f64_e32 v[144:145], s[12:13], v[134:135]
	v_mov_b32_e32 v146, 0xfca7ab0c
	v_mov_b32_e32 v147, 0x3e928af3
	s_mov_b32 s7, 0x3e5ade15
	v_fmac_f64_e32 v[146:147], s[6:7], v[144:145]
	v_mov_b32_e32 v148, 0x623fde64
	v_mov_b32_e32 v149, 0x3ec71dee
	v_fmac_f64_e32 v[148:149], v[144:145], v[146:147]
	v_mov_b32_e32 v146, 0x7c89e6b0
	v_mov_b32_e32 v147, 0x3efa0199
	;; [unrolled: 3-line block ×8, first 2 shown]
	s_mov_b32 s6, 0
	v_fmac_f64_e32 v[146:147], v[144:145], v[148:149]
	s_mov_b32 s7, 0x40900000
	v_fma_f64 v[146:147], v[144:145], v[146:147], 1.0
	v_cmp_nlt_f64_e32 vcc, s[6:7], v[32:33]
	s_mov_b32 s6, 0
	v_fma_f64 v[144:145], v[144:145], v[146:147], 1.0
	v_cvt_i32_f64_e32 v53, v[134:135]
	s_mov_b32 s7, 0xc090cc00
	v_ldexp_f64 v[134:135], v[144:145], v53
	v_mov_b32_e32 v53, 0x7ff00000
	v_cmp_ngt_f64_e64 s[6:7], s[6:7], v[32:33]
	v_cndmask_b32_e32 v53, v53, v135, vcc
	s_and_b64 vcc, s[6:7], vcc
	v_cndmask_b32_e64 v33, 0, v53, s[6:7]
	v_cndmask_b32_e32 v32, 0, v134, vcc
	v_add_f64 v[134:135], v[32:33], 1.0
	v_add_f64 v[144:145], v[134:135], -1.0
	v_add_f64 v[146:147], v[144:145], -v[134:135]
	v_add_f64 v[146:147], v[146:147], 1.0
	v_add_f64 v[144:145], v[32:33], -v[144:145]
	s_mov_b32 s6, 0x55555555
	v_add_f64 v[144:145], v[144:145], v[146:147]
	v_frexp_mant_f64_e32 v[146:147], v[134:135]
	s_mov_b32 s7, 0x3fe55555
	v_frexp_exp_i32_f64_e32 v53, v[134:135]
	v_cmp_gt_f64_e32 vcc, s[6:7], v[146:147]
	s_mov_b32 s6, 0xbf559e2b
	s_mov_b32 s7, 0x3fc3ab76
	v_subbrev_co_u32_e32 v53, vcc, 0, v53, vcc
	v_sub_u32_e32 v71, 0, v53
	v_ldexp_f64 v[134:135], v[134:135], v71
	v_add_f64 v[146:147], v[134:135], -1.0
	v_add_f64 v[160:161], v[134:135], 1.0
	v_add_f64 v[148:149], v[146:147], 1.0
	v_add_f64 v[162:163], v[160:161], -1.0
	v_ldexp_f64 v[144:145], v[144:145], v71
	v_add_f64 v[148:149], v[134:135], -v[148:149]
	v_add_f64 v[134:135], v[134:135], -v[162:163]
	v_add_f64 v[134:135], v[144:145], v[134:135]
	v_add_f64 v[148:149], v[144:145], v[148:149]
	;; [unrolled: 1-line block ×3, first 2 shown]
	v_rcp_f64_e32 v[162:163], v[144:145]
	v_add_f64 v[150:151], v[146:147], v[148:149]
	v_add_f64 v[146:147], v[150:151], -v[146:147]
	v_add_f64 v[146:147], v[148:149], -v[146:147]
	;; [unrolled: 1-line block ×4, first 2 shown]
	v_fma_f64 v[148:149], -v[144:145], v[162:163], 1.0
	v_fmac_f64_e32 v[162:163], v[148:149], v[162:163]
	v_fma_f64 v[148:149], -v[144:145], v[162:163], 1.0
	v_fmac_f64_e32 v[162:163], v[148:149], v[162:163]
	v_mul_f64 v[148:149], v[150:151], v[162:163]
	v_mul_f64 v[160:161], v[144:145], v[148:149]
	v_fma_f64 v[164:165], v[148:149], v[144:145], -v[160:161]
	v_fmac_f64_e32 v[164:165], v[148:149], v[134:135]
	v_add_f64 v[166:167], v[160:161], v[164:165]
	v_add_f64 v[176:177], v[150:151], -v[166:167]
	v_add_f64 v[150:151], v[150:151], -v[176:177]
	v_add_f64 v[160:161], v[166:167], -v[160:161]
	v_add_f64 v[150:151], v[150:151], -v[166:167]
	v_add_f64 v[146:147], v[146:147], v[150:151]
	v_add_f64 v[150:151], v[160:161], -v[164:165]
	v_add_f64 v[146:147], v[150:151], v[146:147]
	v_add_f64 v[150:151], v[176:177], v[146:147]
	v_add_f64 v[160:161], v[176:177], -v[150:151]
	v_add_f64 v[146:147], v[146:147], v[160:161]
	v_mul_f64 v[160:161], v[162:163], v[150:151]
	v_mul_f64 v[164:165], v[144:145], v[160:161]
	v_fma_f64 v[144:145], v[160:161], v[144:145], -v[164:165]
	v_fmac_f64_e32 v[144:145], v[160:161], v[134:135]
	v_add_f64 v[134:135], v[164:165], v[144:145]
	v_add_f64 v[166:167], v[150:151], -v[134:135]
	v_add_f64 v[150:151], v[150:151], -v[166:167]
	;; [unrolled: 1-line block ×4, first 2 shown]
	v_add_f64 v[134:135], v[146:147], v[134:135]
	v_add_f64 v[144:145], v[164:165], -v[144:145]
	v_add_f64 v[134:135], v[144:145], v[134:135]
	v_add_f64 v[144:145], v[148:149], v[160:161]
	;; [unrolled: 1-line block ×3, first 2 shown]
	v_add_f64 v[146:147], v[144:145], -v[148:149]
	v_mul_f64 v[134:135], v[162:163], v[134:135]
	v_add_f64 v[146:147], v[160:161], -v[146:147]
	v_add_f64 v[134:135], v[146:147], v[134:135]
	v_add_f64 v[146:147], v[144:145], v[134:135]
	v_add_f64 v[144:145], v[146:147], -v[144:145]
	v_add_f64 v[134:135], v[134:135], -v[144:145]
	v_mul_f64 v[144:145], v[146:147], v[146:147]
	v_mov_b32_e32 v148, 0x6b47b09a
	v_mov_b32_e32 v149, 0x3fc38538
	v_fmac_f64_e32 v[148:149], s[6:7], v[144:145]
	v_mov_b32_e32 v150, 0xd7f4df2e
	v_mov_b32_e32 v151, 0x3fc7474d
	v_fmac_f64_e32 v[150:151], v[144:145], v[148:149]
	;; [unrolled: 3-line block ×6, first 2 shown]
	v_cvt_f64_i32_e32 v[148:149], v53
	s_mov_b32 s11, 0x3fe62e42
	v_mul_f64 v[160:161], v[148:149], s[10:11]
	v_fma_f64 v[162:163], v[148:149], s[10:11], -v[160:161]
	s_mov_b32 s13, 0x3c7abc9e
	v_fmac_f64_e32 v[162:163], s[12:13], v[148:149]
	v_add_f64 v[148:149], v[160:161], v[162:163]
	v_add_f64 v[160:161], v[148:149], -v[160:161]
	v_mul_f64 v[144:145], v[146:147], v[144:145]
	v_add_f64 v[160:161], v[162:163], -v[160:161]
	v_ldexp_f64 v[162:163], v[146:147], 1
	v_mul_f64 v[144:145], v[144:145], v[150:151]
	v_add_f64 v[146:147], v[162:163], v[144:145]
	v_add_f64 v[150:151], v[146:147], -v[162:163]
	v_ldexp_f64 v[134:135], v[134:135], 1
	v_add_f64 v[144:145], v[144:145], -v[150:151]
	v_add_f64 v[134:135], v[134:135], v[144:145]
	v_add_f64 v[144:145], v[146:147], v[134:135]
	v_add_f64 v[146:147], v[144:145], -v[146:147]
	v_add_f64 v[134:135], v[134:135], -v[146:147]
	v_add_f64 v[146:147], v[148:149], v[144:145]
	v_add_f64 v[150:151], v[146:147], -v[148:149]
	v_add_f64 v[162:163], v[146:147], -v[150:151]
	v_add_f64 v[148:149], v[148:149], -v[162:163]
	v_add_f64 v[144:145], v[144:145], -v[150:151]
	v_add_f64 v[144:145], v[144:145], v[148:149]
	v_add_f64 v[148:149], v[160:161], v[134:135]
	v_add_f64 v[150:151], v[148:149], -v[160:161]
	v_add_f64 v[144:145], v[148:149], v[144:145]
	v_add_f64 v[162:163], v[148:149], -v[150:151]
	;; [unrolled: 2-line block ×3, first 2 shown]
	v_add_f64 v[134:135], v[134:135], -v[150:151]
	v_add_f64 v[146:147], v[148:149], -v[146:147]
	v_add_f64 v[134:135], v[134:135], v[160:161]
	v_add_f64 v[144:145], v[144:145], -v[146:147]
	s_mov_b32 s6, 0
	v_add_f64 v[134:135], v[134:135], v[144:145]
	s_mov_b32 s7, 0x7ff00000
	v_add_f64 v[134:135], v[148:149], v[134:135]
	v_cmp_eq_f64_e32 vcc, s[6:7], v[32:33]
	s_nop 1
	v_cndmask_b32_e32 v53, v134, v32, vcc
	v_cndmask_b32_e32 v71, v135, v33, vcc
	v_mov_b32_e32 v134, 0x7ff80000
	v_cmp_ngt_f64_e32 vcc, -1.0, v[32:33]
	s_nop 1
	v_cndmask_b32_e32 v71, v134, v71, vcc
	v_cmp_nge_f64_e32 vcc, -1.0, v[32:33]
	s_nop 1
	v_cndmask_b32_e32 v134, 0, v53, vcc
	v_mov_b32_e32 v53, 0xfff00000
	v_cmp_neq_f64_e32 vcc, -1.0, v[32:33]
	s_nop 1
	v_cndmask_b32_e32 v135, v53, v71, vcc
	v_add_f64 v[32:33], v[34:35], v[134:135]
.LBB70_259:
	s_or_b64 exec, exec, s[8:9]
	s_branch .LBB70_377
.LBB70_260:
	v_cmp_ne_u64_e32 vcc, 0, v[48:49]
	s_and_b64 s[6:7], s[4:5], vcc
	s_and_saveexec_b64 s[8:9], s[6:7]
	s_cbranch_execz .LBB70_264
; %bb.261:
	flat_load_dwordx2 v[4:5], v[36:37]
	v_max_f64 v[6:7], v[0:1], v[0:1]
	s_movk_i32 s6, 0x1f8
	s_waitcnt vmcnt(0) lgkmcnt(0)
	v_max_f64 v[8:9], v[4:5], v[4:5]
	v_min_f64 v[10:11], v[8:9], v[6:7]
	v_max_f64 v[6:7], v[8:9], v[6:7]
	v_cmp_u_f64_e32 vcc, v[4:5], v[4:5]
	s_nop 1
	v_cndmask_b32_e32 v8, v10, v4, vcc
	v_cndmask_b32_e32 v9, v11, v5, vcc
	;; [unrolled: 1-line block ×4, first 2 shown]
	v_cmp_u_f64_e32 vcc, v[0:1], v[0:1]
	s_nop 1
	v_cndmask_b32_e32 v7, v9, v1, vcc
	v_cndmask_b32_e32 v6, v8, v0, vcc
	;; [unrolled: 1-line block ×4, first 2 shown]
	v_cmp_neq_f64_e32 vcc, v[6:7], v[0:1]
	v_cmp_class_f64_e64 s[6:7], v[6:7], s6
	s_or_b64 s[6:7], vcc, s[6:7]
	s_and_saveexec_b64 s[10:11], s[6:7]
	s_cbranch_execz .LBB70_263
; %bb.262:
	s_mov_b32 s6, 0x652b82fe
	v_add_f64 v[4:5], v[6:7], -v[0:1]
	s_mov_b32 s7, 0x3ff71547
	v_mul_f64 v[6:7], v[4:5], s[6:7]
	v_rndne_f64_e32 v[6:7], v[6:7]
	s_mov_b32 s13, 0xbfe62e42
	s_mov_b32 s12, 0xfefa39ef
	v_fma_f64 v[8:9], s[12:13], v[6:7], v[4:5]
	s_mov_b32 s15, 0xbc7abc9e
	s_mov_b32 s14, 0x3b39803f
	;; [unrolled: 1-line block ×3, first 2 shown]
	v_fmac_f64_e32 v[8:9], s[14:15], v[6:7]
	v_mov_b32_e32 v10, 0xfca7ab0c
	v_mov_b32_e32 v11, 0x3e928af3
	s_mov_b32 s7, 0x3e5ade15
	v_fmac_f64_e32 v[10:11], s[6:7], v[8:9]
	v_mov_b32_e32 v12, 0x623fde64
	v_mov_b32_e32 v13, 0x3ec71dee
	v_fmac_f64_e32 v[12:13], v[8:9], v[10:11]
	v_mov_b32_e32 v10, 0x7c89e6b0
	v_mov_b32_e32 v11, 0x3efa0199
	;; [unrolled: 3-line block ×8, first 2 shown]
	s_mov_b32 s6, 0
	v_fmac_f64_e32 v[10:11], v[8:9], v[12:13]
	s_mov_b32 s7, 0x40900000
	v_fma_f64 v[10:11], v[8:9], v[10:11], 1.0
	v_cmp_nlt_f64_e32 vcc, s[6:7], v[4:5]
	s_mov_b32 s6, 0
	v_fma_f64 v[8:9], v[8:9], v[10:11], 1.0
	v_cvt_i32_f64_e32 v6, v[6:7]
	s_mov_b32 s7, 0xc090cc00
	v_ldexp_f64 v[6:7], v[8:9], v6
	v_mov_b32_e32 v8, 0x7ff00000
	v_cmp_ngt_f64_e64 s[6:7], s[6:7], v[4:5]
	v_cndmask_b32_e32 v7, v8, v7, vcc
	s_and_b64 vcc, s[6:7], vcc
	v_cndmask_b32_e64 v5, 0, v7, s[6:7]
	v_cndmask_b32_e32 v4, 0, v6, vcc
	v_add_f64 v[6:7], v[4:5], 1.0
	v_add_f64 v[8:9], v[6:7], -1.0
	v_add_f64 v[10:11], v[8:9], -v[6:7]
	v_add_f64 v[10:11], v[10:11], 1.0
	v_add_f64 v[8:9], v[4:5], -v[8:9]
	s_mov_b32 s6, 0x55555555
	v_add_f64 v[8:9], v[8:9], v[10:11]
	v_frexp_mant_f64_e32 v[10:11], v[6:7]
	s_mov_b32 s7, 0x3fe55555
	v_frexp_exp_i32_f64_e32 v12, v[6:7]
	v_cmp_gt_f64_e32 vcc, s[6:7], v[10:11]
	s_mov_b32 s6, 0xbf559e2b
	s_mov_b32 s7, 0x3fc3ab76
	v_subbrev_co_u32_e32 v26, vcc, 0, v12, vcc
	v_sub_u32_e32 v10, 0, v26
	v_ldexp_f64 v[6:7], v[6:7], v10
	v_ldexp_f64 v[8:9], v[8:9], v10
	v_add_f64 v[10:11], v[6:7], -1.0
	v_add_f64 v[16:17], v[6:7], 1.0
	v_add_f64 v[12:13], v[10:11], 1.0
	v_add_f64 v[18:19], v[16:17], -1.0
	v_add_f64 v[12:13], v[6:7], -v[12:13]
	v_add_f64 v[6:7], v[6:7], -v[18:19]
	v_add_f64 v[6:7], v[8:9], v[6:7]
	v_add_f64 v[12:13], v[8:9], v[12:13]
	;; [unrolled: 1-line block ×3, first 2 shown]
	v_rcp_f64_e32 v[18:19], v[8:9]
	v_add_f64 v[14:15], v[10:11], v[12:13]
	v_add_f64 v[10:11], v[14:15], -v[10:11]
	v_add_f64 v[10:11], v[12:13], -v[10:11]
	;; [unrolled: 1-line block ×4, first 2 shown]
	v_fma_f64 v[12:13], -v[8:9], v[18:19], 1.0
	v_fmac_f64_e32 v[18:19], v[12:13], v[18:19]
	v_fma_f64 v[12:13], -v[8:9], v[18:19], 1.0
	v_fmac_f64_e32 v[18:19], v[12:13], v[18:19]
	v_mul_f64 v[12:13], v[14:15], v[18:19]
	v_mul_f64 v[16:17], v[8:9], v[12:13]
	v_fma_f64 v[20:21], v[12:13], v[8:9], -v[16:17]
	v_fmac_f64_e32 v[20:21], v[12:13], v[6:7]
	v_add_f64 v[22:23], v[16:17], v[20:21]
	v_add_f64 v[24:25], v[14:15], -v[22:23]
	v_add_f64 v[14:15], v[14:15], -v[24:25]
	;; [unrolled: 1-line block ×4, first 2 shown]
	v_add_f64 v[10:11], v[10:11], v[14:15]
	v_add_f64 v[14:15], v[16:17], -v[20:21]
	v_add_f64 v[10:11], v[14:15], v[10:11]
	v_add_f64 v[14:15], v[24:25], v[10:11]
	v_add_f64 v[16:17], v[24:25], -v[14:15]
	v_add_f64 v[10:11], v[10:11], v[16:17]
	v_mul_f64 v[16:17], v[18:19], v[14:15]
	v_mul_f64 v[20:21], v[8:9], v[16:17]
	v_fma_f64 v[8:9], v[16:17], v[8:9], -v[20:21]
	v_fmac_f64_e32 v[8:9], v[16:17], v[6:7]
	v_add_f64 v[6:7], v[20:21], v[8:9]
	v_add_f64 v[22:23], v[14:15], -v[6:7]
	v_add_f64 v[14:15], v[14:15], -v[22:23]
	v_add_f64 v[20:21], v[6:7], -v[20:21]
	v_add_f64 v[6:7], v[14:15], -v[6:7]
	v_add_f64 v[6:7], v[10:11], v[6:7]
	v_add_f64 v[8:9], v[20:21], -v[8:9]
	v_add_f64 v[6:7], v[8:9], v[6:7]
	v_add_f64 v[8:9], v[12:13], v[16:17]
	;; [unrolled: 1-line block ×3, first 2 shown]
	v_add_f64 v[10:11], v[8:9], -v[12:13]
	v_mul_f64 v[6:7], v[18:19], v[6:7]
	v_add_f64 v[10:11], v[16:17], -v[10:11]
	v_add_f64 v[6:7], v[10:11], v[6:7]
	v_add_f64 v[10:11], v[8:9], v[6:7]
	v_add_f64 v[8:9], v[10:11], -v[8:9]
	v_add_f64 v[6:7], v[6:7], -v[8:9]
	v_mul_f64 v[8:9], v[10:11], v[10:11]
	v_mov_b32_e32 v12, 0x6b47b09a
	v_mov_b32_e32 v13, 0x3fc38538
	v_fmac_f64_e32 v[12:13], s[6:7], v[8:9]
	v_mov_b32_e32 v14, 0xd7f4df2e
	v_mov_b32_e32 v15, 0x3fc7474d
	v_fmac_f64_e32 v[14:15], v[8:9], v[12:13]
	;; [unrolled: 3-line block ×6, first 2 shown]
	v_cvt_f64_i32_e32 v[12:13], v26
	s_mov_b32 s13, 0x3fe62e42
	v_mul_f64 v[16:17], v[12:13], s[12:13]
	v_fma_f64 v[18:19], v[12:13], s[12:13], -v[16:17]
	s_mov_b32 s15, 0x3c7abc9e
	v_fmac_f64_e32 v[18:19], s[14:15], v[12:13]
	v_add_f64 v[12:13], v[16:17], v[18:19]
	v_add_f64 v[16:17], v[12:13], -v[16:17]
	v_mul_f64 v[8:9], v[10:11], v[8:9]
	v_add_f64 v[16:17], v[18:19], -v[16:17]
	v_ldexp_f64 v[18:19], v[10:11], 1
	v_mul_f64 v[8:9], v[8:9], v[14:15]
	v_add_f64 v[10:11], v[18:19], v[8:9]
	v_add_f64 v[14:15], v[10:11], -v[18:19]
	v_ldexp_f64 v[6:7], v[6:7], 1
	v_add_f64 v[8:9], v[8:9], -v[14:15]
	v_add_f64 v[6:7], v[6:7], v[8:9]
	v_add_f64 v[8:9], v[10:11], v[6:7]
	v_add_f64 v[10:11], v[8:9], -v[10:11]
	v_add_f64 v[6:7], v[6:7], -v[10:11]
	v_add_f64 v[10:11], v[12:13], v[8:9]
	v_add_f64 v[14:15], v[10:11], -v[12:13]
	v_add_f64 v[18:19], v[10:11], -v[14:15]
	;; [unrolled: 1-line block ×4, first 2 shown]
	v_add_f64 v[8:9], v[8:9], v[12:13]
	v_add_f64 v[12:13], v[16:17], v[6:7]
	v_add_f64 v[14:15], v[12:13], -v[16:17]
	v_add_f64 v[8:9], v[12:13], v[8:9]
	v_add_f64 v[18:19], v[12:13], -v[14:15]
	v_add_f64 v[12:13], v[10:11], v[8:9]
	v_add_f64 v[16:17], v[16:17], -v[18:19]
	v_add_f64 v[6:7], v[6:7], -v[14:15]
	v_add_f64 v[10:11], v[12:13], -v[10:11]
	v_add_f64 v[6:7], v[6:7], v[16:17]
	v_add_f64 v[8:9], v[8:9], -v[10:11]
	s_mov_b32 s6, 0
	v_add_f64 v[6:7], v[6:7], v[8:9]
	s_mov_b32 s7, 0x7ff00000
	v_add_f64 v[6:7], v[12:13], v[6:7]
	v_cmp_eq_f64_e32 vcc, s[6:7], v[4:5]
	v_mov_b32_e32 v8, 0x7ff80000
	s_nop 0
	v_cndmask_b32_e32 v6, v6, v4, vcc
	v_cndmask_b32_e32 v7, v7, v5, vcc
	v_cmp_ngt_f64_e32 vcc, -1.0, v[4:5]
	s_nop 1
	v_cndmask_b32_e32 v7, v8, v7, vcc
	v_cmp_nge_f64_e32 vcc, -1.0, v[4:5]
	v_mov_b32_e32 v8, 0xfff00000
	s_nop 0
	v_cndmask_b32_e32 v6, 0, v6, vcc
	v_cmp_neq_f64_e32 vcc, -1.0, v[4:5]
	s_nop 1
	v_cndmask_b32_e32 v7, v8, v7, vcc
	v_add_f64 v[4:5], v[0:1], v[6:7]
.LBB70_263:
	s_or_b64 exec, exec, s[10:11]
	v_mov_b64_e32 v[0:1], v[4:5]
.LBB70_264:
	s_or_b64 exec, exec, s[8:9]
	v_max_f64 v[34:35], v[0:1], v[0:1]
	v_min_f64 v[36:37], v[34:35], v[132:133]
	v_cmp_u_f64_e64 s[34:35], v[0:1], v[0:1]
	v_cmp_u_f64_e32 vcc, v[2:3], v[2:3]
	v_max_f64 v[48:49], v[34:35], v[132:133]
	v_cndmask_b32_e64 v4, v36, v0, s[34:35]
	v_cndmask_b32_e64 v5, v37, v1, s[34:35]
	v_cndmask_b32_e32 v7, v5, v3, vcc
	v_cndmask_b32_e32 v6, v4, v2, vcc
	v_cndmask_b32_e64 v4, v48, v0, s[34:35]
	v_cndmask_b32_e64 v5, v49, v1, s[34:35]
	v_cndmask_b32_e32 v5, v5, v3, vcc
	v_cndmask_b32_e32 v4, v4, v2, vcc
	s_movk_i32 s16, 0x1f8
	v_cmp_neq_f64_e64 s[6:7], v[6:7], v[4:5]
	v_cmp_class_f64_e64 s[8:9], v[6:7], s16
	s_or_b64 s[6:7], s[6:7], s[8:9]
	v_mov_b64_e32 v[134:135], v[0:1]
	s_and_saveexec_b64 s[10:11], s[6:7]
	s_cbranch_execz .LBB70_266
; %bb.265:
	s_mov_b32 s6, 0x652b82fe
	v_add_f64 v[6:7], v[6:7], -v[4:5]
	s_mov_b32 s7, 0x3ff71547
	v_mul_f64 v[8:9], v[6:7], s[6:7]
	v_rndne_f64_e32 v[8:9], v[8:9]
	s_mov_b32 s13, 0xbfe62e42
	s_mov_b32 s12, 0xfefa39ef
	v_fma_f64 v[10:11], s[12:13], v[8:9], v[6:7]
	s_mov_b32 s15, 0xbc7abc9e
	s_mov_b32 s14, 0x3b39803f
	s_mov_b32 s6, 0x6a5dcb37
	v_fmac_f64_e32 v[10:11], s[14:15], v[8:9]
	v_mov_b32_e32 v12, 0xfca7ab0c
	v_mov_b32_e32 v13, 0x3e928af3
	s_mov_b32 s7, 0x3e5ade15
	v_fmac_f64_e32 v[12:13], s[6:7], v[10:11]
	v_mov_b32_e32 v14, 0x623fde64
	v_mov_b32_e32 v15, 0x3ec71dee
	v_fmac_f64_e32 v[14:15], v[10:11], v[12:13]
	v_mov_b32_e32 v12, 0x7c89e6b0
	v_mov_b32_e32 v13, 0x3efa0199
	v_fmac_f64_e32 v[12:13], v[10:11], v[14:15]
	v_mov_b32_e32 v14, 0x14761f6e
	v_mov_b32_e32 v15, 0x3f2a01a0
	v_fmac_f64_e32 v[14:15], v[10:11], v[12:13]
	v_mov_b32_e32 v12, 0x1852b7b0
	v_mov_b32_e32 v13, 0x3f56c16c
	v_fmac_f64_e32 v[12:13], v[10:11], v[14:15]
	v_mov_b32_e32 v14, 0x11122322
	v_mov_b32_e32 v15, 0x3f811111
	v_fmac_f64_e32 v[14:15], v[10:11], v[12:13]
	v_mov_b32_e32 v12, 0x555502a1
	v_mov_b32_e32 v13, 0x3fa55555
	v_fmac_f64_e32 v[12:13], v[10:11], v[14:15]
	v_mov_b32_e32 v14, 0x55555511
	v_mov_b32_e32 v15, 0x3fc55555
	v_fmac_f64_e32 v[14:15], v[10:11], v[12:13]
	v_mov_b32_e32 v12, 11
	v_mov_b32_e32 v13, 0x3fe00000
	v_fmac_f64_e32 v[12:13], v[10:11], v[14:15]
	v_fma_f64 v[12:13], v[10:11], v[12:13], 1.0
	s_mov_b32 s6, 0
	s_mov_b32 s8, 0
	v_fma_f64 v[10:11], v[10:11], v[12:13], 1.0
	v_cvt_i32_f64_e32 v8, v[8:9]
	s_mov_b32 s7, 0x40900000
	s_mov_b32 s9, 0xc090cc00
	v_ldexp_f64 v[8:9], v[10:11], v8
	v_mov_b32_e32 v10, 0x7ff00000
	v_cmp_nlt_f64_e64 s[6:7], s[6:7], v[6:7]
	v_cmp_ngt_f64_e64 s[8:9], s[8:9], v[6:7]
	s_mov_b32 s13, 0x3fe62e42
	v_cndmask_b32_e64 v9, v10, v9, s[6:7]
	s_and_b64 s[6:7], s[8:9], s[6:7]
	v_cndmask_b32_e64 v7, 0, v9, s[8:9]
	v_cndmask_b32_e64 v6, 0, v8, s[6:7]
	v_add_f64 v[8:9], v[6:7], 1.0
	v_add_f64 v[10:11], v[8:9], -1.0
	v_add_f64 v[12:13], v[10:11], -v[8:9]
	v_add_f64 v[12:13], v[12:13], 1.0
	v_add_f64 v[10:11], v[6:7], -v[10:11]
	s_mov_b32 s6, 0x55555555
	v_add_f64 v[10:11], v[10:11], v[12:13]
	v_frexp_mant_f64_e32 v[12:13], v[8:9]
	s_mov_b32 s7, 0x3fe55555
	v_frexp_exp_i32_f64_e32 v14, v[8:9]
	v_cmp_gt_f64_e64 s[6:7], s[6:7], v[12:13]
	s_mov_b32 s15, 0x3c7abc9e
	s_nop 0
	v_subbrev_co_u32_e64 v28, s[6:7], 0, v14, s[6:7]
	v_sub_u32_e32 v12, 0, v28
	v_ldexp_f64 v[8:9], v[8:9], v12
	v_ldexp_f64 v[10:11], v[10:11], v12
	v_add_f64 v[12:13], v[8:9], -1.0
	v_add_f64 v[18:19], v[8:9], 1.0
	v_add_f64 v[14:15], v[12:13], 1.0
	v_add_f64 v[20:21], v[18:19], -1.0
	v_add_f64 v[14:15], v[8:9], -v[14:15]
	v_add_f64 v[8:9], v[8:9], -v[20:21]
	v_add_f64 v[8:9], v[10:11], v[8:9]
	v_add_f64 v[14:15], v[10:11], v[14:15]
	;; [unrolled: 1-line block ×3, first 2 shown]
	v_rcp_f64_e32 v[20:21], v[10:11]
	v_add_f64 v[16:17], v[12:13], v[14:15]
	v_add_f64 v[12:13], v[16:17], -v[12:13]
	v_add_f64 v[12:13], v[14:15], -v[12:13]
	;; [unrolled: 1-line block ×4, first 2 shown]
	v_fma_f64 v[14:15], -v[10:11], v[20:21], 1.0
	v_fmac_f64_e32 v[20:21], v[14:15], v[20:21]
	v_fma_f64 v[14:15], -v[10:11], v[20:21], 1.0
	v_fmac_f64_e32 v[20:21], v[14:15], v[20:21]
	v_mul_f64 v[14:15], v[16:17], v[20:21]
	v_mul_f64 v[18:19], v[10:11], v[14:15]
	v_fma_f64 v[22:23], v[14:15], v[10:11], -v[18:19]
	v_fmac_f64_e32 v[22:23], v[14:15], v[8:9]
	v_add_f64 v[24:25], v[18:19], v[22:23]
	v_add_f64 v[26:27], v[16:17], -v[24:25]
	v_add_f64 v[16:17], v[16:17], -v[26:27]
	;; [unrolled: 1-line block ×4, first 2 shown]
	v_add_f64 v[12:13], v[12:13], v[16:17]
	v_add_f64 v[16:17], v[18:19], -v[22:23]
	v_add_f64 v[12:13], v[16:17], v[12:13]
	v_add_f64 v[16:17], v[26:27], v[12:13]
	v_add_f64 v[18:19], v[26:27], -v[16:17]
	v_add_f64 v[12:13], v[12:13], v[18:19]
	v_mul_f64 v[18:19], v[20:21], v[16:17]
	v_mul_f64 v[22:23], v[10:11], v[18:19]
	v_fma_f64 v[10:11], v[18:19], v[10:11], -v[22:23]
	v_fmac_f64_e32 v[10:11], v[18:19], v[8:9]
	v_add_f64 v[8:9], v[22:23], v[10:11]
	v_add_f64 v[24:25], v[16:17], -v[8:9]
	v_add_f64 v[16:17], v[16:17], -v[24:25]
	;; [unrolled: 1-line block ×4, first 2 shown]
	v_add_f64 v[8:9], v[12:13], v[8:9]
	v_add_f64 v[10:11], v[22:23], -v[10:11]
	v_add_f64 v[8:9], v[10:11], v[8:9]
	v_add_f64 v[10:11], v[14:15], v[18:19]
	;; [unrolled: 1-line block ×3, first 2 shown]
	v_add_f64 v[12:13], v[10:11], -v[14:15]
	v_mul_f64 v[8:9], v[20:21], v[8:9]
	v_add_f64 v[12:13], v[18:19], -v[12:13]
	v_add_f64 v[8:9], v[12:13], v[8:9]
	v_add_f64 v[12:13], v[10:11], v[8:9]
	v_add_f64 v[10:11], v[12:13], -v[10:11]
	s_mov_b32 s6, 0xbf559e2b
	v_add_f64 v[8:9], v[8:9], -v[10:11]
	v_mul_f64 v[10:11], v[12:13], v[12:13]
	v_mov_b32_e32 v14, 0x6b47b09a
	v_mov_b32_e32 v15, 0x3fc38538
	s_mov_b32 s7, 0x3fc3ab76
	v_fmac_f64_e32 v[14:15], s[6:7], v[10:11]
	v_mov_b32_e32 v16, 0xd7f4df2e
	v_mov_b32_e32 v17, 0x3fc7474d
	v_fmac_f64_e32 v[16:17], v[10:11], v[14:15]
	v_mov_b32_e32 v14, 0x16291751
	v_mov_b32_e32 v15, 0x3fcc71c0
	;; [unrolled: 3-line block ×5, first 2 shown]
	v_fmac_f64_e32 v[16:17], v[10:11], v[14:15]
	v_cvt_f64_i32_e32 v[14:15], v28
	v_mul_f64 v[18:19], v[14:15], s[12:13]
	v_fma_f64 v[20:21], v[14:15], s[12:13], -v[18:19]
	v_fmac_f64_e32 v[20:21], s[14:15], v[14:15]
	v_add_f64 v[14:15], v[18:19], v[20:21]
	v_add_f64 v[18:19], v[14:15], -v[18:19]
	v_mul_f64 v[10:11], v[12:13], v[10:11]
	v_add_f64 v[18:19], v[20:21], -v[18:19]
	v_ldexp_f64 v[20:21], v[12:13], 1
	v_mul_f64 v[10:11], v[10:11], v[16:17]
	v_add_f64 v[12:13], v[20:21], v[10:11]
	v_add_f64 v[16:17], v[12:13], -v[20:21]
	v_ldexp_f64 v[8:9], v[8:9], 1
	v_add_f64 v[10:11], v[10:11], -v[16:17]
	v_add_f64 v[8:9], v[8:9], v[10:11]
	v_add_f64 v[10:11], v[12:13], v[8:9]
	v_add_f64 v[12:13], v[10:11], -v[12:13]
	v_add_f64 v[8:9], v[8:9], -v[12:13]
	v_add_f64 v[12:13], v[14:15], v[10:11]
	v_add_f64 v[16:17], v[12:13], -v[14:15]
	v_add_f64 v[20:21], v[12:13], -v[16:17]
	v_add_f64 v[14:15], v[14:15], -v[20:21]
	v_add_f64 v[10:11], v[10:11], -v[16:17]
	v_add_f64 v[10:11], v[10:11], v[14:15]
	v_add_f64 v[14:15], v[18:19], v[8:9]
	v_add_f64 v[16:17], v[14:15], -v[18:19]
	v_add_f64 v[10:11], v[14:15], v[10:11]
	v_add_f64 v[20:21], v[14:15], -v[16:17]
	;; [unrolled: 2-line block ×3, first 2 shown]
	v_add_f64 v[8:9], v[8:9], -v[16:17]
	v_add_f64 v[12:13], v[14:15], -v[12:13]
	v_add_f64 v[8:9], v[8:9], v[18:19]
	v_add_f64 v[10:11], v[10:11], -v[12:13]
	s_mov_b32 s6, 0
	v_add_f64 v[8:9], v[8:9], v[10:11]
	s_mov_b32 s7, 0x7ff00000
	v_add_f64 v[8:9], v[14:15], v[8:9]
	v_cmp_eq_f64_e64 s[6:7], s[6:7], v[6:7]
	v_mov_b32_e32 v10, 0x7ff80000
	s_nop 0
	v_cndmask_b32_e64 v8, v8, v6, s[6:7]
	v_cndmask_b32_e64 v9, v9, v7, s[6:7]
	v_cmp_ngt_f64_e64 s[6:7], -1.0, v[6:7]
	s_nop 1
	v_cndmask_b32_e64 v9, v10, v9, s[6:7]
	v_cmp_nge_f64_e64 s[6:7], -1.0, v[6:7]
	v_mov_b32_e32 v10, 0xfff00000
	s_nop 0
	v_cndmask_b32_e64 v8, 0, v8, s[6:7]
	v_cmp_neq_f64_e64 s[6:7], -1.0, v[6:7]
	s_nop 1
	v_cndmask_b32_e64 v9, v10, v9, s[6:7]
	v_add_f64 v[134:135], v[4:5], v[8:9]
.LBB70_266:
	s_or_b64 exec, exec, s[10:11]
	v_max_f64 v[8:9], v[112:113], v[112:113]
	v_max_f64 v[4:5], v[134:135], v[134:135]
	v_min_f64 v[6:7], v[4:5], v[8:9]
	v_cmp_u_f64_e64 s[8:9], v[134:135], v[134:135]
	v_max_f64 v[4:5], v[4:5], v[8:9]
	v_cmp_u_f64_e64 s[6:7], v[112:113], v[112:113]
	v_cndmask_b32_e64 v6, v6, v134, s[8:9]
	v_cndmask_b32_e64 v7, v7, v135, s[8:9]
	;; [unrolled: 1-line block ×8, first 2 shown]
	v_cmp_neq_f64_e64 s[8:9], v[6:7], v[4:5]
	v_cmp_class_f64_e64 s[10:11], v[6:7], s16
	s_or_b64 s[8:9], s[8:9], s[10:11]
	s_and_saveexec_b64 s[12:13], s[8:9]
	s_cbranch_execz .LBB70_268
; %bb.267:
	s_mov_b32 s8, 0x652b82fe
	v_add_f64 v[6:7], v[6:7], -v[4:5]
	s_mov_b32 s9, 0x3ff71547
	v_mul_f64 v[10:11], v[6:7], s[8:9]
	v_rndne_f64_e32 v[10:11], v[10:11]
	s_mov_b32 s15, 0xbfe62e42
	s_mov_b32 s14, 0xfefa39ef
	v_fma_f64 v[12:13], s[14:15], v[10:11], v[6:7]
	s_mov_b32 s17, 0xbc7abc9e
	s_mov_b32 s16, 0x3b39803f
	;; [unrolled: 1-line block ×3, first 2 shown]
	v_fmac_f64_e32 v[12:13], s[16:17], v[10:11]
	v_mov_b32_e32 v14, 0xfca7ab0c
	v_mov_b32_e32 v15, 0x3e928af3
	s_mov_b32 s9, 0x3e5ade15
	v_fmac_f64_e32 v[14:15], s[8:9], v[12:13]
	v_mov_b32_e32 v16, 0x623fde64
	v_mov_b32_e32 v17, 0x3ec71dee
	v_fmac_f64_e32 v[16:17], v[12:13], v[14:15]
	v_mov_b32_e32 v14, 0x7c89e6b0
	v_mov_b32_e32 v15, 0x3efa0199
	v_fmac_f64_e32 v[14:15], v[12:13], v[16:17]
	v_mov_b32_e32 v16, 0x14761f6e
	v_mov_b32_e32 v17, 0x3f2a01a0
	v_fmac_f64_e32 v[16:17], v[12:13], v[14:15]
	v_mov_b32_e32 v14, 0x1852b7b0
	v_mov_b32_e32 v15, 0x3f56c16c
	v_fmac_f64_e32 v[14:15], v[12:13], v[16:17]
	v_mov_b32_e32 v16, 0x11122322
	v_mov_b32_e32 v17, 0x3f811111
	v_fmac_f64_e32 v[16:17], v[12:13], v[14:15]
	v_mov_b32_e32 v14, 0x555502a1
	v_mov_b32_e32 v15, 0x3fa55555
	v_fmac_f64_e32 v[14:15], v[12:13], v[16:17]
	v_mov_b32_e32 v16, 0x55555511
	v_mov_b32_e32 v17, 0x3fc55555
	v_fmac_f64_e32 v[16:17], v[12:13], v[14:15]
	v_mov_b32_e32 v14, 11
	v_mov_b32_e32 v15, 0x3fe00000
	v_fmac_f64_e32 v[14:15], v[12:13], v[16:17]
	v_fma_f64 v[14:15], v[12:13], v[14:15], 1.0
	s_mov_b32 s8, 0
	s_mov_b32 s10, 0
	v_fma_f64 v[12:13], v[12:13], v[14:15], 1.0
	v_cvt_i32_f64_e32 v10, v[10:11]
	s_mov_b32 s9, 0x40900000
	s_mov_b32 s11, 0xc090cc00
	v_ldexp_f64 v[10:11], v[12:13], v10
	v_mov_b32_e32 v12, 0x7ff00000
	v_cmp_nlt_f64_e64 s[8:9], s[8:9], v[6:7]
	v_cmp_ngt_f64_e64 s[10:11], s[10:11], v[6:7]
	s_mov_b32 s15, 0x3fe62e42
	v_cndmask_b32_e64 v11, v12, v11, s[8:9]
	s_and_b64 s[8:9], s[10:11], s[8:9]
	v_cndmask_b32_e64 v7, 0, v11, s[10:11]
	v_cndmask_b32_e64 v6, 0, v10, s[8:9]
	v_add_f64 v[10:11], v[6:7], 1.0
	v_add_f64 v[12:13], v[10:11], -1.0
	v_add_f64 v[14:15], v[12:13], -v[10:11]
	v_add_f64 v[14:15], v[14:15], 1.0
	v_add_f64 v[12:13], v[6:7], -v[12:13]
	s_mov_b32 s8, 0x55555555
	v_add_f64 v[12:13], v[12:13], v[14:15]
	v_frexp_mant_f64_e32 v[14:15], v[10:11]
	s_mov_b32 s9, 0x3fe55555
	v_frexp_exp_i32_f64_e32 v16, v[10:11]
	v_cmp_gt_f64_e64 s[8:9], s[8:9], v[14:15]
	s_mov_b32 s17, 0x3c7abc9e
	s_nop 0
	v_subbrev_co_u32_e64 v30, s[8:9], 0, v16, s[8:9]
	v_sub_u32_e32 v14, 0, v30
	v_ldexp_f64 v[10:11], v[10:11], v14
	v_ldexp_f64 v[12:13], v[12:13], v14
	v_add_f64 v[14:15], v[10:11], -1.0
	v_add_f64 v[20:21], v[10:11], 1.0
	v_add_f64 v[16:17], v[14:15], 1.0
	v_add_f64 v[22:23], v[20:21], -1.0
	v_add_f64 v[16:17], v[10:11], -v[16:17]
	v_add_f64 v[10:11], v[10:11], -v[22:23]
	v_add_f64 v[10:11], v[12:13], v[10:11]
	v_add_f64 v[16:17], v[12:13], v[16:17]
	;; [unrolled: 1-line block ×3, first 2 shown]
	v_rcp_f64_e32 v[22:23], v[12:13]
	v_add_f64 v[18:19], v[14:15], v[16:17]
	v_add_f64 v[14:15], v[18:19], -v[14:15]
	v_add_f64 v[14:15], v[16:17], -v[14:15]
	;; [unrolled: 1-line block ×4, first 2 shown]
	v_fma_f64 v[16:17], -v[12:13], v[22:23], 1.0
	v_fmac_f64_e32 v[22:23], v[16:17], v[22:23]
	v_fma_f64 v[16:17], -v[12:13], v[22:23], 1.0
	v_fmac_f64_e32 v[22:23], v[16:17], v[22:23]
	v_mul_f64 v[16:17], v[18:19], v[22:23]
	v_mul_f64 v[20:21], v[12:13], v[16:17]
	v_fma_f64 v[24:25], v[16:17], v[12:13], -v[20:21]
	v_fmac_f64_e32 v[24:25], v[16:17], v[10:11]
	v_add_f64 v[26:27], v[20:21], v[24:25]
	v_add_f64 v[28:29], v[18:19], -v[26:27]
	v_add_f64 v[18:19], v[18:19], -v[28:29]
	;; [unrolled: 1-line block ×4, first 2 shown]
	v_add_f64 v[14:15], v[14:15], v[18:19]
	v_add_f64 v[18:19], v[20:21], -v[24:25]
	v_add_f64 v[14:15], v[18:19], v[14:15]
	v_add_f64 v[18:19], v[28:29], v[14:15]
	v_add_f64 v[20:21], v[28:29], -v[18:19]
	v_add_f64 v[14:15], v[14:15], v[20:21]
	v_mul_f64 v[20:21], v[22:23], v[18:19]
	v_mul_f64 v[24:25], v[12:13], v[20:21]
	v_fma_f64 v[12:13], v[20:21], v[12:13], -v[24:25]
	v_fmac_f64_e32 v[12:13], v[20:21], v[10:11]
	v_add_f64 v[10:11], v[24:25], v[12:13]
	v_add_f64 v[26:27], v[18:19], -v[10:11]
	v_add_f64 v[18:19], v[18:19], -v[26:27]
	;; [unrolled: 1-line block ×4, first 2 shown]
	v_add_f64 v[10:11], v[14:15], v[10:11]
	v_add_f64 v[12:13], v[24:25], -v[12:13]
	v_add_f64 v[10:11], v[12:13], v[10:11]
	v_add_f64 v[12:13], v[16:17], v[20:21]
	;; [unrolled: 1-line block ×3, first 2 shown]
	v_add_f64 v[14:15], v[12:13], -v[16:17]
	v_mul_f64 v[10:11], v[22:23], v[10:11]
	v_add_f64 v[14:15], v[20:21], -v[14:15]
	v_add_f64 v[10:11], v[14:15], v[10:11]
	v_add_f64 v[14:15], v[12:13], v[10:11]
	v_add_f64 v[12:13], v[14:15], -v[12:13]
	s_mov_b32 s8, 0xbf559e2b
	v_add_f64 v[10:11], v[10:11], -v[12:13]
	v_mul_f64 v[12:13], v[14:15], v[14:15]
	v_mov_b32_e32 v16, 0x6b47b09a
	v_mov_b32_e32 v17, 0x3fc38538
	s_mov_b32 s9, 0x3fc3ab76
	v_fmac_f64_e32 v[16:17], s[8:9], v[12:13]
	v_mov_b32_e32 v18, 0xd7f4df2e
	v_mov_b32_e32 v19, 0x3fc7474d
	v_fmac_f64_e32 v[18:19], v[12:13], v[16:17]
	v_mov_b32_e32 v16, 0x16291751
	v_mov_b32_e32 v17, 0x3fcc71c0
	;; [unrolled: 3-line block ×5, first 2 shown]
	v_fmac_f64_e32 v[18:19], v[12:13], v[16:17]
	v_cvt_f64_i32_e32 v[16:17], v30
	v_mul_f64 v[20:21], v[16:17], s[14:15]
	v_fma_f64 v[22:23], v[16:17], s[14:15], -v[20:21]
	v_fmac_f64_e32 v[22:23], s[16:17], v[16:17]
	v_add_f64 v[16:17], v[20:21], v[22:23]
	v_add_f64 v[20:21], v[16:17], -v[20:21]
	v_mul_f64 v[12:13], v[14:15], v[12:13]
	v_add_f64 v[20:21], v[22:23], -v[20:21]
	v_ldexp_f64 v[22:23], v[14:15], 1
	v_mul_f64 v[12:13], v[12:13], v[18:19]
	v_add_f64 v[14:15], v[22:23], v[12:13]
	v_add_f64 v[18:19], v[14:15], -v[22:23]
	v_ldexp_f64 v[10:11], v[10:11], 1
	v_add_f64 v[12:13], v[12:13], -v[18:19]
	v_add_f64 v[10:11], v[10:11], v[12:13]
	v_add_f64 v[12:13], v[14:15], v[10:11]
	v_add_f64 v[14:15], v[12:13], -v[14:15]
	v_add_f64 v[10:11], v[10:11], -v[14:15]
	v_add_f64 v[14:15], v[16:17], v[12:13]
	v_add_f64 v[18:19], v[14:15], -v[16:17]
	v_add_f64 v[22:23], v[14:15], -v[18:19]
	;; [unrolled: 1-line block ×4, first 2 shown]
	v_add_f64 v[12:13], v[12:13], v[16:17]
	v_add_f64 v[16:17], v[20:21], v[10:11]
	v_add_f64 v[18:19], v[16:17], -v[20:21]
	v_add_f64 v[12:13], v[16:17], v[12:13]
	v_add_f64 v[22:23], v[16:17], -v[18:19]
	;; [unrolled: 2-line block ×3, first 2 shown]
	v_add_f64 v[10:11], v[10:11], -v[18:19]
	v_add_f64 v[14:15], v[16:17], -v[14:15]
	v_add_f64 v[10:11], v[10:11], v[20:21]
	v_add_f64 v[12:13], v[12:13], -v[14:15]
	s_mov_b32 s8, 0
	v_add_f64 v[10:11], v[10:11], v[12:13]
	s_mov_b32 s9, 0x7ff00000
	v_add_f64 v[10:11], v[16:17], v[10:11]
	v_cmp_eq_f64_e64 s[8:9], s[8:9], v[6:7]
	v_mov_b32_e32 v12, 0x7ff80000
	s_nop 0
	v_cndmask_b32_e64 v10, v10, v6, s[8:9]
	v_cndmask_b32_e64 v11, v11, v7, s[8:9]
	v_cmp_ngt_f64_e64 s[8:9], -1.0, v[6:7]
	s_nop 1
	v_cndmask_b32_e64 v11, v12, v11, s[8:9]
	v_cmp_nge_f64_e64 s[8:9], -1.0, v[6:7]
	v_mov_b32_e32 v12, 0xfff00000
	s_nop 0
	v_cndmask_b32_e64 v10, 0, v10, s[8:9]
	v_cmp_neq_f64_e64 s[8:9], -1.0, v[6:7]
	s_nop 1
	v_cndmask_b32_e64 v11, v12, v11, s[8:9]
	v_add_f64 v[134:135], v[4:5], v[10:11]
.LBB70_268:
	s_or_b64 exec, exec, s[12:13]
	v_max_f64 v[10:11], v[114:115], v[114:115]
	v_max_f64 v[4:5], v[134:135], v[134:135]
	v_min_f64 v[6:7], v[4:5], v[10:11]
	v_cmp_u_f64_e64 s[10:11], v[134:135], v[134:135]
	v_max_f64 v[4:5], v[4:5], v[10:11]
	v_cmp_u_f64_e64 s[8:9], v[114:115], v[114:115]
	v_cndmask_b32_e64 v6, v6, v134, s[10:11]
	v_cndmask_b32_e64 v7, v7, v135, s[10:11]
	;; [unrolled: 1-line block ×8, first 2 shown]
	s_movk_i32 s20, 0x1f8
	v_cmp_neq_f64_e64 s[10:11], v[6:7], v[4:5]
	v_cmp_class_f64_e64 s[12:13], v[6:7], s20
	s_or_b64 s[10:11], s[10:11], s[12:13]
	s_and_saveexec_b64 s[14:15], s[10:11]
	s_cbranch_execz .LBB70_270
; %bb.269:
	s_mov_b32 s10, 0x652b82fe
	v_add_f64 v[6:7], v[6:7], -v[4:5]
	s_mov_b32 s11, 0x3ff71547
	v_mul_f64 v[12:13], v[6:7], s[10:11]
	v_rndne_f64_e32 v[12:13], v[12:13]
	s_mov_b32 s17, 0xbfe62e42
	s_mov_b32 s16, 0xfefa39ef
	v_fma_f64 v[14:15], s[16:17], v[12:13], v[6:7]
	s_mov_b32 s19, 0xbc7abc9e
	s_mov_b32 s18, 0x3b39803f
	;; [unrolled: 1-line block ×3, first 2 shown]
	v_fmac_f64_e32 v[14:15], s[18:19], v[12:13]
	v_mov_b32_e32 v16, 0xfca7ab0c
	v_mov_b32_e32 v17, 0x3e928af3
	s_mov_b32 s11, 0x3e5ade15
	v_fmac_f64_e32 v[16:17], s[10:11], v[14:15]
	v_mov_b32_e32 v18, 0x623fde64
	v_mov_b32_e32 v19, 0x3ec71dee
	v_fmac_f64_e32 v[18:19], v[14:15], v[16:17]
	v_mov_b32_e32 v16, 0x7c89e6b0
	v_mov_b32_e32 v17, 0x3efa0199
	;; [unrolled: 3-line block ×8, first 2 shown]
	v_fmac_f64_e32 v[16:17], v[14:15], v[18:19]
	v_fma_f64 v[16:17], v[14:15], v[16:17], 1.0
	s_mov_b32 s10, 0
	s_mov_b32 s12, 0
	v_fma_f64 v[14:15], v[14:15], v[16:17], 1.0
	v_cvt_i32_f64_e32 v12, v[12:13]
	s_mov_b32 s11, 0x40900000
	s_mov_b32 s13, 0xc090cc00
	v_ldexp_f64 v[12:13], v[14:15], v12
	v_mov_b32_e32 v14, 0x7ff00000
	v_cmp_nlt_f64_e64 s[10:11], s[10:11], v[6:7]
	v_cmp_ngt_f64_e64 s[12:13], s[12:13], v[6:7]
	s_mov_b32 s17, 0x3fe62e42
	v_cndmask_b32_e64 v13, v14, v13, s[10:11]
	s_and_b64 s[10:11], s[12:13], s[10:11]
	v_cndmask_b32_e64 v7, 0, v13, s[12:13]
	v_cndmask_b32_e64 v6, 0, v12, s[10:11]
	v_add_f64 v[12:13], v[6:7], 1.0
	v_add_f64 v[14:15], v[12:13], -1.0
	v_add_f64 v[16:17], v[14:15], -v[12:13]
	v_add_f64 v[16:17], v[16:17], 1.0
	v_add_f64 v[14:15], v[6:7], -v[14:15]
	s_mov_b32 s10, 0x55555555
	v_add_f64 v[14:15], v[14:15], v[16:17]
	v_frexp_mant_f64_e32 v[16:17], v[12:13]
	s_mov_b32 s11, 0x3fe55555
	v_frexp_exp_i32_f64_e32 v18, v[12:13]
	v_cmp_gt_f64_e64 s[10:11], s[10:11], v[16:17]
	s_mov_b32 s19, 0x3c7abc9e
	s_nop 0
	v_subbrev_co_u32_e64 v32, s[10:11], 0, v18, s[10:11]
	v_sub_u32_e32 v16, 0, v32
	v_ldexp_f64 v[12:13], v[12:13], v16
	v_ldexp_f64 v[14:15], v[14:15], v16
	v_add_f64 v[16:17], v[12:13], -1.0
	v_add_f64 v[22:23], v[12:13], 1.0
	v_add_f64 v[18:19], v[16:17], 1.0
	v_add_f64 v[24:25], v[22:23], -1.0
	v_add_f64 v[18:19], v[12:13], -v[18:19]
	v_add_f64 v[12:13], v[12:13], -v[24:25]
	v_add_f64 v[12:13], v[14:15], v[12:13]
	v_add_f64 v[18:19], v[14:15], v[18:19]
	;; [unrolled: 1-line block ×3, first 2 shown]
	v_rcp_f64_e32 v[24:25], v[14:15]
	v_add_f64 v[20:21], v[16:17], v[18:19]
	v_add_f64 v[16:17], v[20:21], -v[16:17]
	v_add_f64 v[16:17], v[18:19], -v[16:17]
	;; [unrolled: 1-line block ×4, first 2 shown]
	v_fma_f64 v[18:19], -v[14:15], v[24:25], 1.0
	v_fmac_f64_e32 v[24:25], v[18:19], v[24:25]
	v_fma_f64 v[18:19], -v[14:15], v[24:25], 1.0
	v_fmac_f64_e32 v[24:25], v[18:19], v[24:25]
	v_mul_f64 v[18:19], v[20:21], v[24:25]
	v_mul_f64 v[22:23], v[14:15], v[18:19]
	v_fma_f64 v[26:27], v[18:19], v[14:15], -v[22:23]
	v_fmac_f64_e32 v[26:27], v[18:19], v[12:13]
	v_add_f64 v[28:29], v[22:23], v[26:27]
	v_add_f64 v[30:31], v[20:21], -v[28:29]
	v_add_f64 v[20:21], v[20:21], -v[30:31]
	;; [unrolled: 1-line block ×4, first 2 shown]
	v_add_f64 v[16:17], v[16:17], v[20:21]
	v_add_f64 v[20:21], v[22:23], -v[26:27]
	v_add_f64 v[16:17], v[20:21], v[16:17]
	v_add_f64 v[20:21], v[30:31], v[16:17]
	v_add_f64 v[22:23], v[30:31], -v[20:21]
	v_add_f64 v[16:17], v[16:17], v[22:23]
	v_mul_f64 v[22:23], v[24:25], v[20:21]
	v_mul_f64 v[26:27], v[14:15], v[22:23]
	v_fma_f64 v[14:15], v[22:23], v[14:15], -v[26:27]
	v_fmac_f64_e32 v[14:15], v[22:23], v[12:13]
	v_add_f64 v[12:13], v[26:27], v[14:15]
	v_add_f64 v[28:29], v[20:21], -v[12:13]
	v_add_f64 v[20:21], v[20:21], -v[28:29]
	;; [unrolled: 1-line block ×4, first 2 shown]
	v_add_f64 v[12:13], v[16:17], v[12:13]
	v_add_f64 v[14:15], v[26:27], -v[14:15]
	v_add_f64 v[12:13], v[14:15], v[12:13]
	v_add_f64 v[14:15], v[18:19], v[22:23]
	;; [unrolled: 1-line block ×3, first 2 shown]
	v_add_f64 v[16:17], v[14:15], -v[18:19]
	v_mul_f64 v[12:13], v[24:25], v[12:13]
	v_add_f64 v[16:17], v[22:23], -v[16:17]
	v_add_f64 v[12:13], v[16:17], v[12:13]
	v_add_f64 v[16:17], v[14:15], v[12:13]
	v_add_f64 v[14:15], v[16:17], -v[14:15]
	s_mov_b32 s10, 0xbf559e2b
	v_add_f64 v[12:13], v[12:13], -v[14:15]
	v_mul_f64 v[14:15], v[16:17], v[16:17]
	v_mov_b32_e32 v18, 0x6b47b09a
	v_mov_b32_e32 v19, 0x3fc38538
	s_mov_b32 s11, 0x3fc3ab76
	v_fmac_f64_e32 v[18:19], s[10:11], v[14:15]
	v_mov_b32_e32 v20, 0xd7f4df2e
	v_mov_b32_e32 v21, 0x3fc7474d
	v_fmac_f64_e32 v[20:21], v[14:15], v[18:19]
	v_mov_b32_e32 v18, 0x16291751
	v_mov_b32_e32 v19, 0x3fcc71c0
	;; [unrolled: 3-line block ×5, first 2 shown]
	v_fmac_f64_e32 v[20:21], v[14:15], v[18:19]
	v_cvt_f64_i32_e32 v[18:19], v32
	v_mul_f64 v[22:23], v[18:19], s[16:17]
	v_fma_f64 v[24:25], v[18:19], s[16:17], -v[22:23]
	v_fmac_f64_e32 v[24:25], s[18:19], v[18:19]
	v_add_f64 v[18:19], v[22:23], v[24:25]
	v_add_f64 v[22:23], v[18:19], -v[22:23]
	v_mul_f64 v[14:15], v[16:17], v[14:15]
	v_add_f64 v[22:23], v[24:25], -v[22:23]
	v_ldexp_f64 v[24:25], v[16:17], 1
	v_mul_f64 v[14:15], v[14:15], v[20:21]
	v_add_f64 v[16:17], v[24:25], v[14:15]
	v_add_f64 v[20:21], v[16:17], -v[24:25]
	v_ldexp_f64 v[12:13], v[12:13], 1
	v_add_f64 v[14:15], v[14:15], -v[20:21]
	v_add_f64 v[12:13], v[12:13], v[14:15]
	v_add_f64 v[14:15], v[16:17], v[12:13]
	v_add_f64 v[16:17], v[14:15], -v[16:17]
	v_add_f64 v[12:13], v[12:13], -v[16:17]
	v_add_f64 v[16:17], v[18:19], v[14:15]
	v_add_f64 v[20:21], v[16:17], -v[18:19]
	v_add_f64 v[24:25], v[16:17], -v[20:21]
	;; [unrolled: 1-line block ×4, first 2 shown]
	v_add_f64 v[14:15], v[14:15], v[18:19]
	v_add_f64 v[18:19], v[22:23], v[12:13]
	v_add_f64 v[20:21], v[18:19], -v[22:23]
	v_add_f64 v[14:15], v[18:19], v[14:15]
	v_add_f64 v[24:25], v[18:19], -v[20:21]
	;; [unrolled: 2-line block ×3, first 2 shown]
	v_add_f64 v[12:13], v[12:13], -v[20:21]
	v_add_f64 v[16:17], v[18:19], -v[16:17]
	v_add_f64 v[12:13], v[12:13], v[22:23]
	v_add_f64 v[14:15], v[14:15], -v[16:17]
	s_mov_b32 s10, 0
	v_add_f64 v[12:13], v[12:13], v[14:15]
	s_mov_b32 s11, 0x7ff00000
	v_add_f64 v[12:13], v[18:19], v[12:13]
	v_cmp_eq_f64_e64 s[10:11], s[10:11], v[6:7]
	v_mov_b32_e32 v14, 0x7ff80000
	s_nop 0
	v_cndmask_b32_e64 v12, v12, v6, s[10:11]
	v_cndmask_b32_e64 v13, v13, v7, s[10:11]
	v_cmp_ngt_f64_e64 s[10:11], -1.0, v[6:7]
	s_nop 1
	v_cndmask_b32_e64 v13, v14, v13, s[10:11]
	v_cmp_nge_f64_e64 s[10:11], -1.0, v[6:7]
	v_mov_b32_e32 v14, 0xfff00000
	s_nop 0
	v_cndmask_b32_e64 v12, 0, v12, s[10:11]
	v_cmp_neq_f64_e64 s[10:11], -1.0, v[6:7]
	s_nop 1
	v_cndmask_b32_e64 v13, v14, v13, s[10:11]
	v_add_f64 v[134:135], v[4:5], v[12:13]
.LBB70_270:
	s_or_b64 exec, exec, s[14:15]
	v_max_f64 v[12:13], v[100:101], v[100:101]
	v_max_f64 v[4:5], v[134:135], v[134:135]
	v_min_f64 v[6:7], v[4:5], v[12:13]
	v_cmp_u_f64_e64 s[12:13], v[134:135], v[134:135]
	v_max_f64 v[4:5], v[4:5], v[12:13]
	v_cmp_u_f64_e64 s[10:11], v[100:101], v[100:101]
	v_cndmask_b32_e64 v6, v6, v134, s[12:13]
	v_cndmask_b32_e64 v7, v7, v135, s[12:13]
	;; [unrolled: 1-line block ×8, first 2 shown]
	v_cmp_neq_f64_e64 s[12:13], v[6:7], v[4:5]
	v_cmp_class_f64_e64 s[14:15], v[6:7], s20
	s_or_b64 s[12:13], s[12:13], s[14:15]
	s_and_saveexec_b64 s[16:17], s[12:13]
	s_cbranch_execz .LBB70_272
; %bb.271:
	s_mov_b32 s12, 0x652b82fe
	v_add_f64 v[6:7], v[6:7], -v[4:5]
	s_mov_b32 s13, 0x3ff71547
	v_mul_f64 v[14:15], v[6:7], s[12:13]
	v_rndne_f64_e32 v[14:15], v[14:15]
	s_mov_b32 s19, 0xbfe62e42
	s_mov_b32 s18, 0xfefa39ef
	v_fma_f64 v[16:17], s[18:19], v[14:15], v[6:7]
	s_mov_b32 s21, 0xbc7abc9e
	s_mov_b32 s20, 0x3b39803f
	;; [unrolled: 1-line block ×3, first 2 shown]
	v_fmac_f64_e32 v[16:17], s[20:21], v[14:15]
	v_mov_b32_e32 v18, 0xfca7ab0c
	v_mov_b32_e32 v19, 0x3e928af3
	s_mov_b32 s13, 0x3e5ade15
	v_fmac_f64_e32 v[18:19], s[12:13], v[16:17]
	v_mov_b32_e32 v20, 0x623fde64
	v_mov_b32_e32 v21, 0x3ec71dee
	v_fmac_f64_e32 v[20:21], v[16:17], v[18:19]
	v_mov_b32_e32 v18, 0x7c89e6b0
	v_mov_b32_e32 v19, 0x3efa0199
	;; [unrolled: 3-line block ×8, first 2 shown]
	v_fmac_f64_e32 v[18:19], v[16:17], v[20:21]
	v_fma_f64 v[18:19], v[16:17], v[18:19], 1.0
	s_mov_b32 s12, 0
	s_mov_b32 s14, 0
	v_fma_f64 v[16:17], v[16:17], v[18:19], 1.0
	v_cvt_i32_f64_e32 v14, v[14:15]
	s_mov_b32 s13, 0x40900000
	s_mov_b32 s15, 0xc090cc00
	v_ldexp_f64 v[14:15], v[16:17], v14
	v_mov_b32_e32 v16, 0x7ff00000
	v_cmp_nlt_f64_e64 s[12:13], s[12:13], v[6:7]
	v_cmp_ngt_f64_e64 s[14:15], s[14:15], v[6:7]
	s_mov_b32 s19, 0x3fe62e42
	v_cndmask_b32_e64 v15, v16, v15, s[12:13]
	s_and_b64 s[12:13], s[14:15], s[12:13]
	v_cndmask_b32_e64 v7, 0, v15, s[14:15]
	v_cndmask_b32_e64 v6, 0, v14, s[12:13]
	v_add_f64 v[14:15], v[6:7], 1.0
	v_add_f64 v[16:17], v[14:15], -1.0
	v_add_f64 v[18:19], v[16:17], -v[14:15]
	v_add_f64 v[18:19], v[18:19], 1.0
	v_add_f64 v[16:17], v[6:7], -v[16:17]
	s_mov_b32 s12, 0x55555555
	v_add_f64 v[16:17], v[16:17], v[18:19]
	v_frexp_mant_f64_e32 v[18:19], v[14:15]
	s_mov_b32 s13, 0x3fe55555
	v_frexp_exp_i32_f64_e32 v20, v[14:15]
	v_cmp_gt_f64_e64 s[12:13], s[12:13], v[18:19]
	s_mov_b32 s21, 0x3c7abc9e
	s_nop 0
	v_subbrev_co_u32_e64 v53, s[12:13], 0, v20, s[12:13]
	v_sub_u32_e32 v18, 0, v53
	v_ldexp_f64 v[14:15], v[14:15], v18
	v_ldexp_f64 v[16:17], v[16:17], v18
	v_add_f64 v[18:19], v[14:15], -1.0
	v_add_f64 v[24:25], v[14:15], 1.0
	v_add_f64 v[20:21], v[18:19], 1.0
	v_add_f64 v[26:27], v[24:25], -1.0
	v_add_f64 v[20:21], v[14:15], -v[20:21]
	v_add_f64 v[14:15], v[14:15], -v[26:27]
	v_add_f64 v[14:15], v[16:17], v[14:15]
	v_add_f64 v[20:21], v[16:17], v[20:21]
	;; [unrolled: 1-line block ×3, first 2 shown]
	v_rcp_f64_e32 v[26:27], v[16:17]
	v_add_f64 v[22:23], v[18:19], v[20:21]
	v_add_f64 v[18:19], v[22:23], -v[18:19]
	v_add_f64 v[18:19], v[20:21], -v[18:19]
	;; [unrolled: 1-line block ×4, first 2 shown]
	v_fma_f64 v[20:21], -v[16:17], v[26:27], 1.0
	v_fmac_f64_e32 v[26:27], v[20:21], v[26:27]
	v_fma_f64 v[20:21], -v[16:17], v[26:27], 1.0
	v_fmac_f64_e32 v[26:27], v[20:21], v[26:27]
	v_mul_f64 v[20:21], v[22:23], v[26:27]
	v_mul_f64 v[24:25], v[16:17], v[20:21]
	v_fma_f64 v[28:29], v[20:21], v[16:17], -v[24:25]
	v_fmac_f64_e32 v[28:29], v[20:21], v[14:15]
	v_add_f64 v[30:31], v[24:25], v[28:29]
	v_add_f64 v[32:33], v[22:23], -v[30:31]
	v_add_f64 v[22:23], v[22:23], -v[32:33]
	v_add_f64 v[24:25], v[30:31], -v[24:25]
	v_add_f64 v[22:23], v[22:23], -v[30:31]
	v_add_f64 v[18:19], v[18:19], v[22:23]
	v_add_f64 v[22:23], v[24:25], -v[28:29]
	v_add_f64 v[18:19], v[22:23], v[18:19]
	v_add_f64 v[22:23], v[32:33], v[18:19]
	v_add_f64 v[24:25], v[32:33], -v[22:23]
	v_add_f64 v[18:19], v[18:19], v[24:25]
	v_mul_f64 v[24:25], v[26:27], v[22:23]
	v_mul_f64 v[28:29], v[16:17], v[24:25]
	v_fma_f64 v[16:17], v[24:25], v[16:17], -v[28:29]
	v_fmac_f64_e32 v[16:17], v[24:25], v[14:15]
	v_add_f64 v[14:15], v[28:29], v[16:17]
	v_add_f64 v[30:31], v[22:23], -v[14:15]
	v_add_f64 v[22:23], v[22:23], -v[30:31]
	;; [unrolled: 1-line block ×4, first 2 shown]
	v_add_f64 v[14:15], v[18:19], v[14:15]
	v_add_f64 v[16:17], v[28:29], -v[16:17]
	v_add_f64 v[14:15], v[16:17], v[14:15]
	v_add_f64 v[16:17], v[20:21], v[24:25]
	;; [unrolled: 1-line block ×3, first 2 shown]
	v_add_f64 v[18:19], v[16:17], -v[20:21]
	v_mul_f64 v[14:15], v[26:27], v[14:15]
	v_add_f64 v[18:19], v[24:25], -v[18:19]
	v_add_f64 v[14:15], v[18:19], v[14:15]
	v_add_f64 v[18:19], v[16:17], v[14:15]
	v_add_f64 v[16:17], v[18:19], -v[16:17]
	s_mov_b32 s12, 0xbf559e2b
	v_add_f64 v[14:15], v[14:15], -v[16:17]
	v_mul_f64 v[16:17], v[18:19], v[18:19]
	v_mov_b32_e32 v20, 0x6b47b09a
	v_mov_b32_e32 v21, 0x3fc38538
	s_mov_b32 s13, 0x3fc3ab76
	v_fmac_f64_e32 v[20:21], s[12:13], v[16:17]
	v_mov_b32_e32 v22, 0xd7f4df2e
	v_mov_b32_e32 v23, 0x3fc7474d
	v_fmac_f64_e32 v[22:23], v[16:17], v[20:21]
	v_mov_b32_e32 v20, 0x16291751
	v_mov_b32_e32 v21, 0x3fcc71c0
	;; [unrolled: 3-line block ×5, first 2 shown]
	v_fmac_f64_e32 v[22:23], v[16:17], v[20:21]
	v_cvt_f64_i32_e32 v[20:21], v53
	v_mul_f64 v[24:25], v[20:21], s[18:19]
	v_fma_f64 v[26:27], v[20:21], s[18:19], -v[24:25]
	v_fmac_f64_e32 v[26:27], s[20:21], v[20:21]
	v_add_f64 v[20:21], v[24:25], v[26:27]
	v_add_f64 v[24:25], v[20:21], -v[24:25]
	v_mul_f64 v[16:17], v[18:19], v[16:17]
	v_add_f64 v[24:25], v[26:27], -v[24:25]
	v_ldexp_f64 v[26:27], v[18:19], 1
	v_mul_f64 v[16:17], v[16:17], v[22:23]
	v_add_f64 v[18:19], v[26:27], v[16:17]
	v_add_f64 v[22:23], v[18:19], -v[26:27]
	v_ldexp_f64 v[14:15], v[14:15], 1
	v_add_f64 v[16:17], v[16:17], -v[22:23]
	v_add_f64 v[14:15], v[14:15], v[16:17]
	v_add_f64 v[16:17], v[18:19], v[14:15]
	v_add_f64 v[18:19], v[16:17], -v[18:19]
	v_add_f64 v[14:15], v[14:15], -v[18:19]
	v_add_f64 v[18:19], v[20:21], v[16:17]
	v_add_f64 v[22:23], v[18:19], -v[20:21]
	v_add_f64 v[26:27], v[18:19], -v[22:23]
	;; [unrolled: 1-line block ×4, first 2 shown]
	v_add_f64 v[16:17], v[16:17], v[20:21]
	v_add_f64 v[20:21], v[24:25], v[14:15]
	v_add_f64 v[22:23], v[20:21], -v[24:25]
	v_add_f64 v[16:17], v[20:21], v[16:17]
	v_add_f64 v[26:27], v[20:21], -v[22:23]
	;; [unrolled: 2-line block ×3, first 2 shown]
	v_add_f64 v[14:15], v[14:15], -v[22:23]
	v_add_f64 v[18:19], v[20:21], -v[18:19]
	v_add_f64 v[14:15], v[14:15], v[24:25]
	v_add_f64 v[16:17], v[16:17], -v[18:19]
	s_mov_b32 s12, 0
	v_add_f64 v[14:15], v[14:15], v[16:17]
	s_mov_b32 s13, 0x7ff00000
	v_add_f64 v[14:15], v[20:21], v[14:15]
	v_cmp_eq_f64_e64 s[12:13], s[12:13], v[6:7]
	v_mov_b32_e32 v16, 0x7ff80000
	s_nop 0
	v_cndmask_b32_e64 v14, v14, v6, s[12:13]
	v_cndmask_b32_e64 v15, v15, v7, s[12:13]
	v_cmp_ngt_f64_e64 s[12:13], -1.0, v[6:7]
	s_nop 1
	v_cndmask_b32_e64 v15, v16, v15, s[12:13]
	v_cmp_nge_f64_e64 s[12:13], -1.0, v[6:7]
	v_mov_b32_e32 v16, 0xfff00000
	s_nop 0
	v_cndmask_b32_e64 v14, 0, v14, s[12:13]
	v_cmp_neq_f64_e64 s[12:13], -1.0, v[6:7]
	s_nop 1
	v_cndmask_b32_e64 v15, v16, v15, s[12:13]
	v_add_f64 v[134:135], v[4:5], v[14:15]
.LBB70_272:
	s_or_b64 exec, exec, s[16:17]
	v_max_f64 v[14:15], v[102:103], v[102:103]
	v_max_f64 v[4:5], v[134:135], v[134:135]
	v_min_f64 v[6:7], v[4:5], v[14:15]
	v_cmp_u_f64_e64 s[14:15], v[134:135], v[134:135]
	v_max_f64 v[4:5], v[4:5], v[14:15]
	v_cmp_u_f64_e64 s[12:13], v[102:103], v[102:103]
	v_cndmask_b32_e64 v6, v6, v134, s[14:15]
	v_cndmask_b32_e64 v7, v7, v135, s[14:15]
	;; [unrolled: 1-line block ×8, first 2 shown]
	s_movk_i32 s24, 0x1f8
	v_cmp_neq_f64_e64 s[14:15], v[6:7], v[4:5]
	v_cmp_class_f64_e64 s[16:17], v[6:7], s24
	s_or_b64 s[14:15], s[14:15], s[16:17]
	s_and_saveexec_b64 s[18:19], s[14:15]
	s_cbranch_execz .LBB70_274
; %bb.273:
	s_mov_b32 s14, 0x652b82fe
	v_add_f64 v[6:7], v[6:7], -v[4:5]
	s_mov_b32 s15, 0x3ff71547
	v_mul_f64 v[16:17], v[6:7], s[14:15]
	v_rndne_f64_e32 v[16:17], v[16:17]
	s_mov_b32 s21, 0xbfe62e42
	s_mov_b32 s20, 0xfefa39ef
	v_fma_f64 v[18:19], s[20:21], v[16:17], v[6:7]
	s_mov_b32 s23, 0xbc7abc9e
	s_mov_b32 s22, 0x3b39803f
	;; [unrolled: 1-line block ×3, first 2 shown]
	v_fmac_f64_e32 v[18:19], s[22:23], v[16:17]
	v_mov_b32_e32 v20, 0xfca7ab0c
	v_mov_b32_e32 v21, 0x3e928af3
	s_mov_b32 s15, 0x3e5ade15
	v_fmac_f64_e32 v[20:21], s[14:15], v[18:19]
	v_mov_b32_e32 v22, 0x623fde64
	v_mov_b32_e32 v23, 0x3ec71dee
	v_fmac_f64_e32 v[22:23], v[18:19], v[20:21]
	v_mov_b32_e32 v20, 0x7c89e6b0
	v_mov_b32_e32 v21, 0x3efa0199
	;; [unrolled: 3-line block ×8, first 2 shown]
	v_fmac_f64_e32 v[20:21], v[18:19], v[22:23]
	v_fma_f64 v[20:21], v[18:19], v[20:21], 1.0
	s_mov_b32 s14, 0
	s_mov_b32 s16, 0
	v_fma_f64 v[18:19], v[18:19], v[20:21], 1.0
	v_cvt_i32_f64_e32 v16, v[16:17]
	s_mov_b32 s15, 0x40900000
	s_mov_b32 s17, 0xc090cc00
	v_ldexp_f64 v[16:17], v[18:19], v16
	v_mov_b32_e32 v18, 0x7ff00000
	v_cmp_nlt_f64_e64 s[14:15], s[14:15], v[6:7]
	v_cmp_ngt_f64_e64 s[16:17], s[16:17], v[6:7]
	s_mov_b32 s21, 0x3fe62e42
	v_cndmask_b32_e64 v17, v18, v17, s[14:15]
	s_and_b64 s[14:15], s[16:17], s[14:15]
	v_cndmask_b32_e64 v7, 0, v17, s[16:17]
	v_cndmask_b32_e64 v6, 0, v16, s[14:15]
	v_add_f64 v[16:17], v[6:7], 1.0
	v_add_f64 v[18:19], v[16:17], -1.0
	v_add_f64 v[20:21], v[18:19], -v[16:17]
	v_add_f64 v[20:21], v[20:21], 1.0
	v_add_f64 v[18:19], v[6:7], -v[18:19]
	s_mov_b32 s14, 0x55555555
	v_add_f64 v[18:19], v[18:19], v[20:21]
	v_frexp_mant_f64_e32 v[20:21], v[16:17]
	s_mov_b32 s15, 0x3fe55555
	v_frexp_exp_i32_f64_e32 v22, v[16:17]
	v_cmp_gt_f64_e64 s[14:15], s[14:15], v[20:21]
	s_mov_b32 s23, 0x3c7abc9e
	s_nop 0
	v_subbrev_co_u32_e64 v53, s[14:15], 0, v22, s[14:15]
	v_sub_u32_e32 v20, 0, v53
	v_ldexp_f64 v[16:17], v[16:17], v20
	v_ldexp_f64 v[18:19], v[18:19], v20
	v_add_f64 v[20:21], v[16:17], -1.0
	v_add_f64 v[26:27], v[16:17], 1.0
	v_add_f64 v[22:23], v[20:21], 1.0
	v_add_f64 v[28:29], v[26:27], -1.0
	v_add_f64 v[22:23], v[16:17], -v[22:23]
	v_add_f64 v[16:17], v[16:17], -v[28:29]
	v_add_f64 v[16:17], v[18:19], v[16:17]
	v_add_f64 v[22:23], v[18:19], v[22:23]
	;; [unrolled: 1-line block ×3, first 2 shown]
	v_rcp_f64_e32 v[28:29], v[18:19]
	v_add_f64 v[24:25], v[20:21], v[22:23]
	v_add_f64 v[20:21], v[24:25], -v[20:21]
	v_add_f64 v[20:21], v[22:23], -v[20:21]
	;; [unrolled: 1-line block ×4, first 2 shown]
	v_fma_f64 v[22:23], -v[18:19], v[28:29], 1.0
	v_fmac_f64_e32 v[28:29], v[22:23], v[28:29]
	v_fma_f64 v[22:23], -v[18:19], v[28:29], 1.0
	v_fmac_f64_e32 v[28:29], v[22:23], v[28:29]
	v_mul_f64 v[22:23], v[24:25], v[28:29]
	v_mul_f64 v[26:27], v[18:19], v[22:23]
	v_fma_f64 v[30:31], v[22:23], v[18:19], -v[26:27]
	v_fmac_f64_e32 v[30:31], v[22:23], v[16:17]
	v_add_f64 v[32:33], v[26:27], v[30:31]
	v_add_f64 v[134:135], v[24:25], -v[32:33]
	v_add_f64 v[24:25], v[24:25], -v[134:135]
	;; [unrolled: 1-line block ×4, first 2 shown]
	v_add_f64 v[20:21], v[20:21], v[24:25]
	v_add_f64 v[24:25], v[26:27], -v[30:31]
	v_add_f64 v[20:21], v[24:25], v[20:21]
	v_add_f64 v[24:25], v[134:135], v[20:21]
	v_add_f64 v[26:27], v[134:135], -v[24:25]
	v_add_f64 v[20:21], v[20:21], v[26:27]
	v_mul_f64 v[26:27], v[28:29], v[24:25]
	v_mul_f64 v[30:31], v[18:19], v[26:27]
	v_fma_f64 v[18:19], v[26:27], v[18:19], -v[30:31]
	v_fmac_f64_e32 v[18:19], v[26:27], v[16:17]
	v_add_f64 v[16:17], v[30:31], v[18:19]
	v_add_f64 v[32:33], v[24:25], -v[16:17]
	v_add_f64 v[24:25], v[24:25], -v[32:33]
	;; [unrolled: 1-line block ×4, first 2 shown]
	v_add_f64 v[16:17], v[20:21], v[16:17]
	v_add_f64 v[18:19], v[30:31], -v[18:19]
	v_add_f64 v[16:17], v[18:19], v[16:17]
	v_add_f64 v[18:19], v[22:23], v[26:27]
	;; [unrolled: 1-line block ×3, first 2 shown]
	v_add_f64 v[20:21], v[18:19], -v[22:23]
	v_mul_f64 v[16:17], v[28:29], v[16:17]
	v_add_f64 v[20:21], v[26:27], -v[20:21]
	v_add_f64 v[16:17], v[20:21], v[16:17]
	v_add_f64 v[20:21], v[18:19], v[16:17]
	v_add_f64 v[18:19], v[20:21], -v[18:19]
	s_mov_b32 s14, 0xbf559e2b
	v_add_f64 v[16:17], v[16:17], -v[18:19]
	v_mul_f64 v[18:19], v[20:21], v[20:21]
	v_mov_b32_e32 v22, 0x6b47b09a
	v_mov_b32_e32 v23, 0x3fc38538
	s_mov_b32 s15, 0x3fc3ab76
	v_fmac_f64_e32 v[22:23], s[14:15], v[18:19]
	v_mov_b32_e32 v24, 0xd7f4df2e
	v_mov_b32_e32 v25, 0x3fc7474d
	v_fmac_f64_e32 v[24:25], v[18:19], v[22:23]
	v_mov_b32_e32 v22, 0x16291751
	v_mov_b32_e32 v23, 0x3fcc71c0
	;; [unrolled: 3-line block ×5, first 2 shown]
	v_fmac_f64_e32 v[24:25], v[18:19], v[22:23]
	v_cvt_f64_i32_e32 v[22:23], v53
	v_mul_f64 v[26:27], v[22:23], s[20:21]
	v_fma_f64 v[28:29], v[22:23], s[20:21], -v[26:27]
	v_fmac_f64_e32 v[28:29], s[22:23], v[22:23]
	v_add_f64 v[22:23], v[26:27], v[28:29]
	v_add_f64 v[26:27], v[22:23], -v[26:27]
	v_mul_f64 v[18:19], v[20:21], v[18:19]
	v_add_f64 v[26:27], v[28:29], -v[26:27]
	v_ldexp_f64 v[28:29], v[20:21], 1
	v_mul_f64 v[18:19], v[18:19], v[24:25]
	v_add_f64 v[20:21], v[28:29], v[18:19]
	v_add_f64 v[24:25], v[20:21], -v[28:29]
	v_ldexp_f64 v[16:17], v[16:17], 1
	v_add_f64 v[18:19], v[18:19], -v[24:25]
	v_add_f64 v[16:17], v[16:17], v[18:19]
	v_add_f64 v[18:19], v[20:21], v[16:17]
	v_add_f64 v[20:21], v[18:19], -v[20:21]
	v_add_f64 v[16:17], v[16:17], -v[20:21]
	v_add_f64 v[20:21], v[22:23], v[18:19]
	v_add_f64 v[24:25], v[20:21], -v[22:23]
	v_add_f64 v[28:29], v[20:21], -v[24:25]
	;; [unrolled: 1-line block ×4, first 2 shown]
	v_add_f64 v[18:19], v[18:19], v[22:23]
	v_add_f64 v[22:23], v[26:27], v[16:17]
	v_add_f64 v[24:25], v[22:23], -v[26:27]
	v_add_f64 v[18:19], v[22:23], v[18:19]
	v_add_f64 v[28:29], v[22:23], -v[24:25]
	;; [unrolled: 2-line block ×3, first 2 shown]
	v_add_f64 v[16:17], v[16:17], -v[24:25]
	v_add_f64 v[20:21], v[22:23], -v[20:21]
	v_add_f64 v[16:17], v[16:17], v[26:27]
	v_add_f64 v[18:19], v[18:19], -v[20:21]
	s_mov_b32 s14, 0
	v_add_f64 v[16:17], v[16:17], v[18:19]
	s_mov_b32 s15, 0x7ff00000
	v_add_f64 v[16:17], v[22:23], v[16:17]
	v_cmp_eq_f64_e64 s[14:15], s[14:15], v[6:7]
	v_mov_b32_e32 v18, 0x7ff80000
	s_nop 0
	v_cndmask_b32_e64 v16, v16, v6, s[14:15]
	v_cndmask_b32_e64 v17, v17, v7, s[14:15]
	v_cmp_ngt_f64_e64 s[14:15], -1.0, v[6:7]
	s_nop 1
	v_cndmask_b32_e64 v17, v18, v17, s[14:15]
	v_cmp_nge_f64_e64 s[14:15], -1.0, v[6:7]
	v_mov_b32_e32 v18, 0xfff00000
	s_nop 0
	v_cndmask_b32_e64 v16, 0, v16, s[14:15]
	v_cmp_neq_f64_e64 s[14:15], -1.0, v[6:7]
	s_nop 1
	v_cndmask_b32_e64 v17, v18, v17, s[14:15]
	v_add_f64 v[134:135], v[4:5], v[16:17]
.LBB70_274:
	s_or_b64 exec, exec, s[18:19]
	v_max_f64 v[16:17], v[96:97], v[96:97]
	v_max_f64 v[4:5], v[134:135], v[134:135]
	v_min_f64 v[6:7], v[4:5], v[16:17]
	v_cmp_u_f64_e64 s[16:17], v[134:135], v[134:135]
	v_max_f64 v[4:5], v[4:5], v[16:17]
	v_cmp_u_f64_e64 s[14:15], v[96:97], v[96:97]
	v_cndmask_b32_e64 v6, v6, v134, s[16:17]
	v_cndmask_b32_e64 v7, v7, v135, s[16:17]
	;; [unrolled: 1-line block ×8, first 2 shown]
	v_cmp_neq_f64_e64 s[16:17], v[6:7], v[4:5]
	v_cmp_class_f64_e64 s[18:19], v[6:7], s24
	s_or_b64 s[16:17], s[16:17], s[18:19]
	s_and_saveexec_b64 s[20:21], s[16:17]
	s_cbranch_execz .LBB70_276
; %bb.275:
	s_mov_b32 s16, 0x652b82fe
	v_add_f64 v[6:7], v[6:7], -v[4:5]
	s_mov_b32 s17, 0x3ff71547
	v_mul_f64 v[18:19], v[6:7], s[16:17]
	v_rndne_f64_e32 v[18:19], v[18:19]
	s_mov_b32 s23, 0xbfe62e42
	s_mov_b32 s22, 0xfefa39ef
	v_fma_f64 v[20:21], s[22:23], v[18:19], v[6:7]
	s_mov_b32 s25, 0xbc7abc9e
	s_mov_b32 s24, 0x3b39803f
	;; [unrolled: 1-line block ×3, first 2 shown]
	v_fmac_f64_e32 v[20:21], s[24:25], v[18:19]
	v_mov_b32_e32 v22, 0xfca7ab0c
	v_mov_b32_e32 v23, 0x3e928af3
	s_mov_b32 s17, 0x3e5ade15
	v_fmac_f64_e32 v[22:23], s[16:17], v[20:21]
	v_mov_b32_e32 v24, 0x623fde64
	v_mov_b32_e32 v25, 0x3ec71dee
	v_fmac_f64_e32 v[24:25], v[20:21], v[22:23]
	v_mov_b32_e32 v22, 0x7c89e6b0
	v_mov_b32_e32 v23, 0x3efa0199
	;; [unrolled: 3-line block ×8, first 2 shown]
	v_fmac_f64_e32 v[22:23], v[20:21], v[24:25]
	v_fma_f64 v[22:23], v[20:21], v[22:23], 1.0
	s_mov_b32 s16, 0
	s_mov_b32 s18, 0
	v_fma_f64 v[20:21], v[20:21], v[22:23], 1.0
	v_cvt_i32_f64_e32 v18, v[18:19]
	s_mov_b32 s17, 0x40900000
	s_mov_b32 s19, 0xc090cc00
	v_ldexp_f64 v[18:19], v[20:21], v18
	v_mov_b32_e32 v20, 0x7ff00000
	v_cmp_nlt_f64_e64 s[16:17], s[16:17], v[6:7]
	v_cmp_ngt_f64_e64 s[18:19], s[18:19], v[6:7]
	s_mov_b32 s23, 0x3fe62e42
	v_cndmask_b32_e64 v19, v20, v19, s[16:17]
	s_and_b64 s[16:17], s[18:19], s[16:17]
	v_cndmask_b32_e64 v7, 0, v19, s[18:19]
	v_cndmask_b32_e64 v6, 0, v18, s[16:17]
	v_add_f64 v[18:19], v[6:7], 1.0
	v_add_f64 v[20:21], v[18:19], -1.0
	v_add_f64 v[22:23], v[20:21], -v[18:19]
	v_add_f64 v[22:23], v[22:23], 1.0
	v_add_f64 v[20:21], v[6:7], -v[20:21]
	s_mov_b32 s16, 0x55555555
	v_add_f64 v[20:21], v[20:21], v[22:23]
	v_frexp_mant_f64_e32 v[22:23], v[18:19]
	s_mov_b32 s17, 0x3fe55555
	v_frexp_exp_i32_f64_e32 v24, v[18:19]
	v_cmp_gt_f64_e64 s[16:17], s[16:17], v[22:23]
	s_mov_b32 s25, 0x3c7abc9e
	s_nop 0
	v_subbrev_co_u32_e64 v53, s[16:17], 0, v24, s[16:17]
	v_sub_u32_e32 v22, 0, v53
	v_ldexp_f64 v[18:19], v[18:19], v22
	v_ldexp_f64 v[20:21], v[20:21], v22
	v_add_f64 v[22:23], v[18:19], -1.0
	v_add_f64 v[28:29], v[18:19], 1.0
	v_add_f64 v[24:25], v[22:23], 1.0
	v_add_f64 v[30:31], v[28:29], -1.0
	v_add_f64 v[24:25], v[18:19], -v[24:25]
	v_add_f64 v[18:19], v[18:19], -v[30:31]
	v_add_f64 v[18:19], v[20:21], v[18:19]
	v_add_f64 v[24:25], v[20:21], v[24:25]
	;; [unrolled: 1-line block ×3, first 2 shown]
	v_rcp_f64_e32 v[30:31], v[20:21]
	v_add_f64 v[26:27], v[22:23], v[24:25]
	v_add_f64 v[22:23], v[26:27], -v[22:23]
	v_add_f64 v[22:23], v[24:25], -v[22:23]
	v_add_f64 v[24:25], v[20:21], -v[28:29]
	v_add_f64 v[18:19], v[18:19], -v[24:25]
	v_fma_f64 v[24:25], -v[20:21], v[30:31], 1.0
	v_fmac_f64_e32 v[30:31], v[24:25], v[30:31]
	v_fma_f64 v[24:25], -v[20:21], v[30:31], 1.0
	v_fmac_f64_e32 v[30:31], v[24:25], v[30:31]
	v_mul_f64 v[24:25], v[26:27], v[30:31]
	v_mul_f64 v[28:29], v[20:21], v[24:25]
	v_fma_f64 v[32:33], v[24:25], v[20:21], -v[28:29]
	v_fmac_f64_e32 v[32:33], v[24:25], v[18:19]
	v_add_f64 v[134:135], v[28:29], v[32:33]
	v_add_f64 v[144:145], v[26:27], -v[134:135]
	v_add_f64 v[26:27], v[26:27], -v[144:145]
	;; [unrolled: 1-line block ×4, first 2 shown]
	v_add_f64 v[22:23], v[22:23], v[26:27]
	v_add_f64 v[26:27], v[28:29], -v[32:33]
	v_add_f64 v[22:23], v[26:27], v[22:23]
	v_add_f64 v[26:27], v[144:145], v[22:23]
	v_add_f64 v[28:29], v[144:145], -v[26:27]
	v_add_f64 v[22:23], v[22:23], v[28:29]
	v_mul_f64 v[28:29], v[30:31], v[26:27]
	v_mul_f64 v[32:33], v[20:21], v[28:29]
	v_fma_f64 v[20:21], v[28:29], v[20:21], -v[32:33]
	v_fmac_f64_e32 v[20:21], v[28:29], v[18:19]
	v_add_f64 v[18:19], v[32:33], v[20:21]
	v_add_f64 v[134:135], v[26:27], -v[18:19]
	v_add_f64 v[26:27], v[26:27], -v[134:135]
	;; [unrolled: 1-line block ×4, first 2 shown]
	v_add_f64 v[18:19], v[22:23], v[18:19]
	v_add_f64 v[20:21], v[32:33], -v[20:21]
	v_add_f64 v[18:19], v[20:21], v[18:19]
	v_add_f64 v[20:21], v[24:25], v[28:29]
	;; [unrolled: 1-line block ×3, first 2 shown]
	v_add_f64 v[22:23], v[20:21], -v[24:25]
	v_mul_f64 v[18:19], v[30:31], v[18:19]
	v_add_f64 v[22:23], v[28:29], -v[22:23]
	v_add_f64 v[18:19], v[22:23], v[18:19]
	v_add_f64 v[22:23], v[20:21], v[18:19]
	v_add_f64 v[20:21], v[22:23], -v[20:21]
	s_mov_b32 s16, 0xbf559e2b
	v_add_f64 v[18:19], v[18:19], -v[20:21]
	v_mul_f64 v[20:21], v[22:23], v[22:23]
	v_mov_b32_e32 v24, 0x6b47b09a
	v_mov_b32_e32 v25, 0x3fc38538
	s_mov_b32 s17, 0x3fc3ab76
	v_fmac_f64_e32 v[24:25], s[16:17], v[20:21]
	v_mov_b32_e32 v26, 0xd7f4df2e
	v_mov_b32_e32 v27, 0x3fc7474d
	v_fmac_f64_e32 v[26:27], v[20:21], v[24:25]
	v_mov_b32_e32 v24, 0x16291751
	v_mov_b32_e32 v25, 0x3fcc71c0
	;; [unrolled: 3-line block ×5, first 2 shown]
	v_fmac_f64_e32 v[26:27], v[20:21], v[24:25]
	v_cvt_f64_i32_e32 v[24:25], v53
	v_mul_f64 v[28:29], v[24:25], s[22:23]
	v_fma_f64 v[30:31], v[24:25], s[22:23], -v[28:29]
	v_fmac_f64_e32 v[30:31], s[24:25], v[24:25]
	v_add_f64 v[24:25], v[28:29], v[30:31]
	v_add_f64 v[28:29], v[24:25], -v[28:29]
	v_mul_f64 v[20:21], v[22:23], v[20:21]
	v_add_f64 v[28:29], v[30:31], -v[28:29]
	v_ldexp_f64 v[30:31], v[22:23], 1
	v_mul_f64 v[20:21], v[20:21], v[26:27]
	v_add_f64 v[22:23], v[30:31], v[20:21]
	v_add_f64 v[26:27], v[22:23], -v[30:31]
	v_ldexp_f64 v[18:19], v[18:19], 1
	v_add_f64 v[20:21], v[20:21], -v[26:27]
	v_add_f64 v[18:19], v[18:19], v[20:21]
	v_add_f64 v[20:21], v[22:23], v[18:19]
	v_add_f64 v[22:23], v[20:21], -v[22:23]
	v_add_f64 v[18:19], v[18:19], -v[22:23]
	v_add_f64 v[22:23], v[24:25], v[20:21]
	v_add_f64 v[26:27], v[22:23], -v[24:25]
	v_add_f64 v[30:31], v[22:23], -v[26:27]
	;; [unrolled: 1-line block ×4, first 2 shown]
	v_add_f64 v[20:21], v[20:21], v[24:25]
	v_add_f64 v[24:25], v[28:29], v[18:19]
	v_add_f64 v[26:27], v[24:25], -v[28:29]
	v_add_f64 v[20:21], v[24:25], v[20:21]
	v_add_f64 v[30:31], v[24:25], -v[26:27]
	;; [unrolled: 2-line block ×3, first 2 shown]
	v_add_f64 v[18:19], v[18:19], -v[26:27]
	v_add_f64 v[22:23], v[24:25], -v[22:23]
	v_add_f64 v[18:19], v[18:19], v[28:29]
	v_add_f64 v[20:21], v[20:21], -v[22:23]
	s_mov_b32 s16, 0
	v_add_f64 v[18:19], v[18:19], v[20:21]
	s_mov_b32 s17, 0x7ff00000
	v_add_f64 v[18:19], v[24:25], v[18:19]
	v_cmp_eq_f64_e64 s[16:17], s[16:17], v[6:7]
	v_mov_b32_e32 v20, 0x7ff80000
	s_nop 0
	v_cndmask_b32_e64 v18, v18, v6, s[16:17]
	v_cndmask_b32_e64 v19, v19, v7, s[16:17]
	v_cmp_ngt_f64_e64 s[16:17], -1.0, v[6:7]
	s_nop 1
	v_cndmask_b32_e64 v19, v20, v19, s[16:17]
	v_cmp_nge_f64_e64 s[16:17], -1.0, v[6:7]
	v_mov_b32_e32 v20, 0xfff00000
	s_nop 0
	v_cndmask_b32_e64 v18, 0, v18, s[16:17]
	v_cmp_neq_f64_e64 s[16:17], -1.0, v[6:7]
	s_nop 1
	v_cndmask_b32_e64 v19, v20, v19, s[16:17]
	v_add_f64 v[134:135], v[4:5], v[18:19]
.LBB70_276:
	s_or_b64 exec, exec, s[20:21]
	v_max_f64 v[18:19], v[98:99], v[98:99]
	v_max_f64 v[4:5], v[134:135], v[134:135]
	v_min_f64 v[6:7], v[4:5], v[18:19]
	v_cmp_u_f64_e64 s[18:19], v[134:135], v[134:135]
	v_max_f64 v[4:5], v[4:5], v[18:19]
	v_cmp_u_f64_e64 s[16:17], v[98:99], v[98:99]
	v_cndmask_b32_e64 v6, v6, v134, s[18:19]
	v_cndmask_b32_e64 v7, v7, v135, s[18:19]
	;; [unrolled: 1-line block ×8, first 2 shown]
	s_movk_i32 s28, 0x1f8
	v_cmp_neq_f64_e64 s[18:19], v[6:7], v[4:5]
	v_cmp_class_f64_e64 s[20:21], v[6:7], s28
	s_or_b64 s[18:19], s[18:19], s[20:21]
	s_and_saveexec_b64 s[22:23], s[18:19]
	s_cbranch_execz .LBB70_278
; %bb.277:
	s_mov_b32 s18, 0x652b82fe
	v_add_f64 v[6:7], v[6:7], -v[4:5]
	s_mov_b32 s19, 0x3ff71547
	v_mul_f64 v[20:21], v[6:7], s[18:19]
	v_rndne_f64_e32 v[20:21], v[20:21]
	s_mov_b32 s25, 0xbfe62e42
	s_mov_b32 s24, 0xfefa39ef
	v_fma_f64 v[22:23], s[24:25], v[20:21], v[6:7]
	s_mov_b32 s27, 0xbc7abc9e
	s_mov_b32 s26, 0x3b39803f
	;; [unrolled: 1-line block ×3, first 2 shown]
	v_fmac_f64_e32 v[22:23], s[26:27], v[20:21]
	v_mov_b32_e32 v24, 0xfca7ab0c
	v_mov_b32_e32 v25, 0x3e928af3
	s_mov_b32 s19, 0x3e5ade15
	v_fmac_f64_e32 v[24:25], s[18:19], v[22:23]
	v_mov_b32_e32 v26, 0x623fde64
	v_mov_b32_e32 v27, 0x3ec71dee
	v_fmac_f64_e32 v[26:27], v[22:23], v[24:25]
	v_mov_b32_e32 v24, 0x7c89e6b0
	v_mov_b32_e32 v25, 0x3efa0199
	v_fmac_f64_e32 v[24:25], v[22:23], v[26:27]
	v_mov_b32_e32 v26, 0x14761f6e
	v_mov_b32_e32 v27, 0x3f2a01a0
	v_fmac_f64_e32 v[26:27], v[22:23], v[24:25]
	v_mov_b32_e32 v24, 0x1852b7b0
	v_mov_b32_e32 v25, 0x3f56c16c
	v_fmac_f64_e32 v[24:25], v[22:23], v[26:27]
	v_mov_b32_e32 v26, 0x11122322
	v_mov_b32_e32 v27, 0x3f811111
	v_fmac_f64_e32 v[26:27], v[22:23], v[24:25]
	v_mov_b32_e32 v24, 0x555502a1
	v_mov_b32_e32 v25, 0x3fa55555
	v_fmac_f64_e32 v[24:25], v[22:23], v[26:27]
	v_mov_b32_e32 v26, 0x55555511
	v_mov_b32_e32 v27, 0x3fc55555
	v_fmac_f64_e32 v[26:27], v[22:23], v[24:25]
	v_mov_b32_e32 v24, 11
	v_mov_b32_e32 v25, 0x3fe00000
	v_fmac_f64_e32 v[24:25], v[22:23], v[26:27]
	v_fma_f64 v[24:25], v[22:23], v[24:25], 1.0
	s_mov_b32 s18, 0
	s_mov_b32 s20, 0
	v_fma_f64 v[22:23], v[22:23], v[24:25], 1.0
	v_cvt_i32_f64_e32 v20, v[20:21]
	s_mov_b32 s19, 0x40900000
	s_mov_b32 s21, 0xc090cc00
	v_ldexp_f64 v[20:21], v[22:23], v20
	v_mov_b32_e32 v22, 0x7ff00000
	v_cmp_nlt_f64_e64 s[18:19], s[18:19], v[6:7]
	v_cmp_ngt_f64_e64 s[20:21], s[20:21], v[6:7]
	s_mov_b32 s25, 0x3fe62e42
	v_cndmask_b32_e64 v21, v22, v21, s[18:19]
	s_and_b64 s[18:19], s[20:21], s[18:19]
	v_cndmask_b32_e64 v7, 0, v21, s[20:21]
	v_cndmask_b32_e64 v6, 0, v20, s[18:19]
	v_add_f64 v[20:21], v[6:7], 1.0
	v_add_f64 v[22:23], v[20:21], -1.0
	v_add_f64 v[24:25], v[22:23], -v[20:21]
	v_add_f64 v[24:25], v[24:25], 1.0
	v_add_f64 v[22:23], v[6:7], -v[22:23]
	s_mov_b32 s18, 0x55555555
	v_add_f64 v[22:23], v[22:23], v[24:25]
	v_frexp_mant_f64_e32 v[24:25], v[20:21]
	s_mov_b32 s19, 0x3fe55555
	v_frexp_exp_i32_f64_e32 v26, v[20:21]
	v_cmp_gt_f64_e64 s[18:19], s[18:19], v[24:25]
	s_mov_b32 s27, 0x3c7abc9e
	s_nop 0
	v_subbrev_co_u32_e64 v53, s[18:19], 0, v26, s[18:19]
	v_sub_u32_e32 v24, 0, v53
	v_ldexp_f64 v[20:21], v[20:21], v24
	v_ldexp_f64 v[22:23], v[22:23], v24
	v_add_f64 v[24:25], v[20:21], -1.0
	v_add_f64 v[30:31], v[20:21], 1.0
	v_add_f64 v[26:27], v[24:25], 1.0
	v_add_f64 v[32:33], v[30:31], -1.0
	v_add_f64 v[26:27], v[20:21], -v[26:27]
	v_add_f64 v[20:21], v[20:21], -v[32:33]
	v_add_f64 v[20:21], v[22:23], v[20:21]
	v_add_f64 v[26:27], v[22:23], v[26:27]
	;; [unrolled: 1-line block ×3, first 2 shown]
	v_rcp_f64_e32 v[32:33], v[22:23]
	v_add_f64 v[28:29], v[24:25], v[26:27]
	v_add_f64 v[24:25], v[28:29], -v[24:25]
	v_add_f64 v[24:25], v[26:27], -v[24:25]
	v_add_f64 v[26:27], v[22:23], -v[30:31]
	v_add_f64 v[20:21], v[20:21], -v[26:27]
	v_fma_f64 v[26:27], -v[22:23], v[32:33], 1.0
	v_fmac_f64_e32 v[32:33], v[26:27], v[32:33]
	v_fma_f64 v[26:27], -v[22:23], v[32:33], 1.0
	v_fmac_f64_e32 v[32:33], v[26:27], v[32:33]
	v_mul_f64 v[26:27], v[28:29], v[32:33]
	v_mul_f64 v[30:31], v[22:23], v[26:27]
	v_fma_f64 v[134:135], v[26:27], v[22:23], -v[30:31]
	v_fmac_f64_e32 v[134:135], v[26:27], v[20:21]
	v_add_f64 v[144:145], v[30:31], v[134:135]
	v_add_f64 v[146:147], v[28:29], -v[144:145]
	v_add_f64 v[28:29], v[28:29], -v[146:147]
	;; [unrolled: 1-line block ×4, first 2 shown]
	v_add_f64 v[24:25], v[24:25], v[28:29]
	v_add_f64 v[28:29], v[30:31], -v[134:135]
	v_add_f64 v[24:25], v[28:29], v[24:25]
	v_add_f64 v[28:29], v[146:147], v[24:25]
	v_add_f64 v[30:31], v[146:147], -v[28:29]
	v_add_f64 v[24:25], v[24:25], v[30:31]
	v_mul_f64 v[30:31], v[32:33], v[28:29]
	v_mul_f64 v[134:135], v[22:23], v[30:31]
	v_fma_f64 v[22:23], v[30:31], v[22:23], -v[134:135]
	v_fmac_f64_e32 v[22:23], v[30:31], v[20:21]
	v_add_f64 v[20:21], v[134:135], v[22:23]
	v_add_f64 v[144:145], v[28:29], -v[20:21]
	v_add_f64 v[28:29], v[28:29], -v[144:145]
	;; [unrolled: 1-line block ×4, first 2 shown]
	v_add_f64 v[20:21], v[24:25], v[20:21]
	v_add_f64 v[22:23], v[134:135], -v[22:23]
	v_add_f64 v[20:21], v[22:23], v[20:21]
	v_add_f64 v[22:23], v[26:27], v[30:31]
	;; [unrolled: 1-line block ×3, first 2 shown]
	v_add_f64 v[24:25], v[22:23], -v[26:27]
	v_mul_f64 v[20:21], v[32:33], v[20:21]
	v_add_f64 v[24:25], v[30:31], -v[24:25]
	v_add_f64 v[20:21], v[24:25], v[20:21]
	v_add_f64 v[24:25], v[22:23], v[20:21]
	v_add_f64 v[22:23], v[24:25], -v[22:23]
	s_mov_b32 s18, 0xbf559e2b
	v_add_f64 v[20:21], v[20:21], -v[22:23]
	v_mul_f64 v[22:23], v[24:25], v[24:25]
	v_mov_b32_e32 v26, 0x6b47b09a
	v_mov_b32_e32 v27, 0x3fc38538
	s_mov_b32 s19, 0x3fc3ab76
	v_fmac_f64_e32 v[26:27], s[18:19], v[22:23]
	v_mov_b32_e32 v28, 0xd7f4df2e
	v_mov_b32_e32 v29, 0x3fc7474d
	v_fmac_f64_e32 v[28:29], v[22:23], v[26:27]
	v_mov_b32_e32 v26, 0x16291751
	v_mov_b32_e32 v27, 0x3fcc71c0
	;; [unrolled: 3-line block ×5, first 2 shown]
	v_fmac_f64_e32 v[28:29], v[22:23], v[26:27]
	v_cvt_f64_i32_e32 v[26:27], v53
	v_mul_f64 v[30:31], v[26:27], s[24:25]
	v_fma_f64 v[32:33], v[26:27], s[24:25], -v[30:31]
	v_fmac_f64_e32 v[32:33], s[26:27], v[26:27]
	v_add_f64 v[26:27], v[30:31], v[32:33]
	v_add_f64 v[30:31], v[26:27], -v[30:31]
	v_mul_f64 v[22:23], v[24:25], v[22:23]
	v_add_f64 v[30:31], v[32:33], -v[30:31]
	v_ldexp_f64 v[32:33], v[24:25], 1
	v_mul_f64 v[22:23], v[22:23], v[28:29]
	v_add_f64 v[24:25], v[32:33], v[22:23]
	v_add_f64 v[28:29], v[24:25], -v[32:33]
	v_ldexp_f64 v[20:21], v[20:21], 1
	v_add_f64 v[22:23], v[22:23], -v[28:29]
	v_add_f64 v[20:21], v[20:21], v[22:23]
	v_add_f64 v[22:23], v[24:25], v[20:21]
	v_add_f64 v[24:25], v[22:23], -v[24:25]
	v_add_f64 v[20:21], v[20:21], -v[24:25]
	v_add_f64 v[24:25], v[26:27], v[22:23]
	v_add_f64 v[28:29], v[24:25], -v[26:27]
	v_add_f64 v[32:33], v[24:25], -v[28:29]
	v_add_f64 v[26:27], v[26:27], -v[32:33]
	v_add_f64 v[22:23], v[22:23], -v[28:29]
	v_add_f64 v[22:23], v[22:23], v[26:27]
	v_add_f64 v[26:27], v[30:31], v[20:21]
	v_add_f64 v[28:29], v[26:27], -v[30:31]
	v_add_f64 v[22:23], v[26:27], v[22:23]
	v_add_f64 v[32:33], v[26:27], -v[28:29]
	;; [unrolled: 2-line block ×3, first 2 shown]
	v_add_f64 v[20:21], v[20:21], -v[28:29]
	v_add_f64 v[24:25], v[26:27], -v[24:25]
	v_add_f64 v[20:21], v[20:21], v[30:31]
	v_add_f64 v[22:23], v[22:23], -v[24:25]
	s_mov_b32 s18, 0
	v_add_f64 v[20:21], v[20:21], v[22:23]
	s_mov_b32 s19, 0x7ff00000
	v_add_f64 v[20:21], v[26:27], v[20:21]
	v_cmp_eq_f64_e64 s[18:19], s[18:19], v[6:7]
	v_mov_b32_e32 v22, 0x7ff80000
	s_nop 0
	v_cndmask_b32_e64 v20, v20, v6, s[18:19]
	v_cndmask_b32_e64 v21, v21, v7, s[18:19]
	v_cmp_ngt_f64_e64 s[18:19], -1.0, v[6:7]
	s_nop 1
	v_cndmask_b32_e64 v21, v22, v21, s[18:19]
	v_cmp_nge_f64_e64 s[18:19], -1.0, v[6:7]
	v_mov_b32_e32 v22, 0xfff00000
	s_nop 0
	v_cndmask_b32_e64 v20, 0, v20, s[18:19]
	v_cmp_neq_f64_e64 s[18:19], -1.0, v[6:7]
	s_nop 1
	v_cndmask_b32_e64 v21, v22, v21, s[18:19]
	v_add_f64 v[134:135], v[4:5], v[20:21]
.LBB70_278:
	s_or_b64 exec, exec, s[22:23]
	v_max_f64 v[20:21], v[84:85], v[84:85]
	v_max_f64 v[4:5], v[134:135], v[134:135]
	v_min_f64 v[6:7], v[4:5], v[20:21]
	v_cmp_u_f64_e64 s[20:21], v[134:135], v[134:135]
	v_max_f64 v[4:5], v[4:5], v[20:21]
	v_cmp_u_f64_e64 s[18:19], v[84:85], v[84:85]
	v_cndmask_b32_e64 v6, v6, v134, s[20:21]
	v_cndmask_b32_e64 v7, v7, v135, s[20:21]
	;; [unrolled: 1-line block ×8, first 2 shown]
	v_cmp_neq_f64_e64 s[20:21], v[6:7], v[4:5]
	v_cmp_class_f64_e64 s[22:23], v[6:7], s28
	s_or_b64 s[20:21], s[20:21], s[22:23]
	s_and_saveexec_b64 s[24:25], s[20:21]
	s_cbranch_execz .LBB70_280
; %bb.279:
	s_mov_b32 s20, 0x652b82fe
	v_add_f64 v[6:7], v[6:7], -v[4:5]
	s_mov_b32 s21, 0x3ff71547
	v_mul_f64 v[22:23], v[6:7], s[20:21]
	v_rndne_f64_e32 v[22:23], v[22:23]
	s_mov_b32 s27, 0xbfe62e42
	s_mov_b32 s26, 0xfefa39ef
	v_fma_f64 v[24:25], s[26:27], v[22:23], v[6:7]
	s_mov_b32 s29, 0xbc7abc9e
	s_mov_b32 s28, 0x3b39803f
	;; [unrolled: 1-line block ×3, first 2 shown]
	v_fmac_f64_e32 v[24:25], s[28:29], v[22:23]
	v_mov_b32_e32 v26, 0xfca7ab0c
	v_mov_b32_e32 v27, 0x3e928af3
	s_mov_b32 s21, 0x3e5ade15
	v_fmac_f64_e32 v[26:27], s[20:21], v[24:25]
	v_mov_b32_e32 v28, 0x623fde64
	v_mov_b32_e32 v29, 0x3ec71dee
	v_fmac_f64_e32 v[28:29], v[24:25], v[26:27]
	v_mov_b32_e32 v26, 0x7c89e6b0
	v_mov_b32_e32 v27, 0x3efa0199
	;; [unrolled: 3-line block ×8, first 2 shown]
	v_fmac_f64_e32 v[26:27], v[24:25], v[28:29]
	v_fma_f64 v[26:27], v[24:25], v[26:27], 1.0
	s_mov_b32 s20, 0
	s_mov_b32 s22, 0
	v_fma_f64 v[24:25], v[24:25], v[26:27], 1.0
	v_cvt_i32_f64_e32 v22, v[22:23]
	s_mov_b32 s21, 0x40900000
	s_mov_b32 s23, 0xc090cc00
	v_ldexp_f64 v[22:23], v[24:25], v22
	v_mov_b32_e32 v24, 0x7ff00000
	v_cmp_nlt_f64_e64 s[20:21], s[20:21], v[6:7]
	v_cmp_ngt_f64_e64 s[22:23], s[22:23], v[6:7]
	s_mov_b32 s27, 0x3fe62e42
	v_cndmask_b32_e64 v23, v24, v23, s[20:21]
	s_and_b64 s[20:21], s[22:23], s[20:21]
	v_cndmask_b32_e64 v7, 0, v23, s[22:23]
	v_cndmask_b32_e64 v6, 0, v22, s[20:21]
	v_add_f64 v[22:23], v[6:7], 1.0
	v_add_f64 v[24:25], v[22:23], -1.0
	v_add_f64 v[26:27], v[24:25], -v[22:23]
	v_add_f64 v[26:27], v[26:27], 1.0
	v_add_f64 v[24:25], v[6:7], -v[24:25]
	s_mov_b32 s20, 0x55555555
	v_add_f64 v[24:25], v[24:25], v[26:27]
	v_frexp_mant_f64_e32 v[26:27], v[22:23]
	s_mov_b32 s21, 0x3fe55555
	v_frexp_exp_i32_f64_e32 v28, v[22:23]
	v_cmp_gt_f64_e64 s[20:21], s[20:21], v[26:27]
	s_mov_b32 s29, 0x3c7abc9e
	s_nop 0
	v_subbrev_co_u32_e64 v53, s[20:21], 0, v28, s[20:21]
	v_sub_u32_e32 v26, 0, v53
	v_ldexp_f64 v[22:23], v[22:23], v26
	v_ldexp_f64 v[24:25], v[24:25], v26
	v_add_f64 v[26:27], v[22:23], -1.0
	v_add_f64 v[32:33], v[22:23], 1.0
	v_add_f64 v[28:29], v[26:27], 1.0
	v_add_f64 v[134:135], v[32:33], -1.0
	v_add_f64 v[28:29], v[22:23], -v[28:29]
	v_add_f64 v[22:23], v[22:23], -v[134:135]
	v_add_f64 v[22:23], v[24:25], v[22:23]
	v_add_f64 v[28:29], v[24:25], v[28:29]
	;; [unrolled: 1-line block ×3, first 2 shown]
	v_rcp_f64_e32 v[134:135], v[24:25]
	v_add_f64 v[30:31], v[26:27], v[28:29]
	v_add_f64 v[26:27], v[30:31], -v[26:27]
	v_add_f64 v[26:27], v[28:29], -v[26:27]
	;; [unrolled: 1-line block ×4, first 2 shown]
	v_fma_f64 v[28:29], -v[24:25], v[134:135], 1.0
	v_fmac_f64_e32 v[134:135], v[28:29], v[134:135]
	v_fma_f64 v[28:29], -v[24:25], v[134:135], 1.0
	v_fmac_f64_e32 v[134:135], v[28:29], v[134:135]
	v_mul_f64 v[28:29], v[30:31], v[134:135]
	v_mul_f64 v[32:33], v[24:25], v[28:29]
	v_fma_f64 v[144:145], v[28:29], v[24:25], -v[32:33]
	v_fmac_f64_e32 v[144:145], v[28:29], v[22:23]
	v_add_f64 v[146:147], v[32:33], v[144:145]
	v_add_f64 v[148:149], v[30:31], -v[146:147]
	v_add_f64 v[30:31], v[30:31], -v[148:149]
	v_add_f64 v[32:33], v[146:147], -v[32:33]
	v_add_f64 v[30:31], v[30:31], -v[146:147]
	v_add_f64 v[26:27], v[26:27], v[30:31]
	v_add_f64 v[30:31], v[32:33], -v[144:145]
	v_add_f64 v[26:27], v[30:31], v[26:27]
	v_add_f64 v[30:31], v[148:149], v[26:27]
	v_add_f64 v[32:33], v[148:149], -v[30:31]
	v_add_f64 v[26:27], v[26:27], v[32:33]
	v_mul_f64 v[32:33], v[134:135], v[30:31]
	v_mul_f64 v[144:145], v[24:25], v[32:33]
	v_fma_f64 v[24:25], v[32:33], v[24:25], -v[144:145]
	v_fmac_f64_e32 v[24:25], v[32:33], v[22:23]
	v_add_f64 v[22:23], v[144:145], v[24:25]
	v_add_f64 v[146:147], v[30:31], -v[22:23]
	v_add_f64 v[30:31], v[30:31], -v[146:147]
	;; [unrolled: 1-line block ×4, first 2 shown]
	v_add_f64 v[22:23], v[26:27], v[22:23]
	v_add_f64 v[24:25], v[144:145], -v[24:25]
	v_add_f64 v[22:23], v[24:25], v[22:23]
	v_add_f64 v[24:25], v[28:29], v[32:33]
	;; [unrolled: 1-line block ×3, first 2 shown]
	v_add_f64 v[26:27], v[24:25], -v[28:29]
	v_mul_f64 v[22:23], v[134:135], v[22:23]
	v_add_f64 v[26:27], v[32:33], -v[26:27]
	v_add_f64 v[22:23], v[26:27], v[22:23]
	v_add_f64 v[26:27], v[24:25], v[22:23]
	v_add_f64 v[24:25], v[26:27], -v[24:25]
	s_mov_b32 s20, 0xbf559e2b
	v_add_f64 v[22:23], v[22:23], -v[24:25]
	v_mul_f64 v[24:25], v[26:27], v[26:27]
	v_mov_b32_e32 v28, 0x6b47b09a
	v_mov_b32_e32 v29, 0x3fc38538
	s_mov_b32 s21, 0x3fc3ab76
	v_fmac_f64_e32 v[28:29], s[20:21], v[24:25]
	v_mov_b32_e32 v30, 0xd7f4df2e
	v_mov_b32_e32 v31, 0x3fc7474d
	v_fmac_f64_e32 v[30:31], v[24:25], v[28:29]
	v_mov_b32_e32 v28, 0x16291751
	v_mov_b32_e32 v29, 0x3fcc71c0
	;; [unrolled: 3-line block ×5, first 2 shown]
	v_fmac_f64_e32 v[30:31], v[24:25], v[28:29]
	v_cvt_f64_i32_e32 v[28:29], v53
	v_mul_f64 v[32:33], v[28:29], s[26:27]
	v_fma_f64 v[134:135], v[28:29], s[26:27], -v[32:33]
	v_fmac_f64_e32 v[134:135], s[28:29], v[28:29]
	v_add_f64 v[28:29], v[32:33], v[134:135]
	v_add_f64 v[32:33], v[28:29], -v[32:33]
	v_mul_f64 v[24:25], v[26:27], v[24:25]
	v_add_f64 v[32:33], v[134:135], -v[32:33]
	v_ldexp_f64 v[134:135], v[26:27], 1
	v_mul_f64 v[24:25], v[24:25], v[30:31]
	v_add_f64 v[26:27], v[134:135], v[24:25]
	v_add_f64 v[30:31], v[26:27], -v[134:135]
	v_ldexp_f64 v[22:23], v[22:23], 1
	v_add_f64 v[24:25], v[24:25], -v[30:31]
	v_add_f64 v[22:23], v[22:23], v[24:25]
	v_add_f64 v[24:25], v[26:27], v[22:23]
	v_add_f64 v[26:27], v[24:25], -v[26:27]
	v_add_f64 v[22:23], v[22:23], -v[26:27]
	v_add_f64 v[26:27], v[28:29], v[24:25]
	v_add_f64 v[30:31], v[26:27], -v[28:29]
	v_add_f64 v[134:135], v[26:27], -v[30:31]
	;; [unrolled: 1-line block ×4, first 2 shown]
	v_add_f64 v[24:25], v[24:25], v[28:29]
	v_add_f64 v[28:29], v[32:33], v[22:23]
	v_add_f64 v[30:31], v[28:29], -v[32:33]
	v_add_f64 v[24:25], v[28:29], v[24:25]
	v_add_f64 v[134:135], v[28:29], -v[30:31]
	;; [unrolled: 2-line block ×3, first 2 shown]
	v_add_f64 v[22:23], v[22:23], -v[30:31]
	v_add_f64 v[26:27], v[28:29], -v[26:27]
	v_add_f64 v[22:23], v[22:23], v[32:33]
	v_add_f64 v[24:25], v[24:25], -v[26:27]
	s_mov_b32 s20, 0
	v_add_f64 v[22:23], v[22:23], v[24:25]
	s_mov_b32 s21, 0x7ff00000
	v_add_f64 v[22:23], v[28:29], v[22:23]
	v_cmp_eq_f64_e64 s[20:21], s[20:21], v[6:7]
	v_mov_b32_e32 v24, 0x7ff80000
	s_nop 0
	v_cndmask_b32_e64 v22, v22, v6, s[20:21]
	v_cndmask_b32_e64 v23, v23, v7, s[20:21]
	v_cmp_ngt_f64_e64 s[20:21], -1.0, v[6:7]
	s_nop 1
	v_cndmask_b32_e64 v23, v24, v23, s[20:21]
	v_cmp_nge_f64_e64 s[20:21], -1.0, v[6:7]
	v_mov_b32_e32 v24, 0xfff00000
	s_nop 0
	v_cndmask_b32_e64 v22, 0, v22, s[20:21]
	v_cmp_neq_f64_e64 s[20:21], -1.0, v[6:7]
	s_nop 1
	v_cndmask_b32_e64 v23, v24, v23, s[20:21]
	v_add_f64 v[134:135], v[4:5], v[22:23]
.LBB70_280:
	s_or_b64 exec, exec, s[24:25]
	v_max_f64 v[22:23], v[86:87], v[86:87]
	v_max_f64 v[4:5], v[134:135], v[134:135]
	v_min_f64 v[6:7], v[4:5], v[22:23]
	v_cmp_u_f64_e64 s[22:23], v[134:135], v[134:135]
	v_max_f64 v[4:5], v[4:5], v[22:23]
	v_cmp_u_f64_e64 s[20:21], v[86:87], v[86:87]
	v_cndmask_b32_e64 v6, v6, v134, s[22:23]
	v_cndmask_b32_e64 v7, v7, v135, s[22:23]
	;; [unrolled: 1-line block ×8, first 2 shown]
	s_movk_i32 s36, 0x1f8
	v_cmp_neq_f64_e64 s[22:23], v[6:7], v[4:5]
	v_cmp_class_f64_e64 s[24:25], v[6:7], s36
	s_or_b64 s[22:23], s[22:23], s[24:25]
	s_and_saveexec_b64 s[26:27], s[22:23]
	s_cbranch_execz .LBB70_282
; %bb.281:
	s_mov_b32 s22, 0x652b82fe
	v_add_f64 v[6:7], v[6:7], -v[4:5]
	s_mov_b32 s23, 0x3ff71547
	v_mul_f64 v[24:25], v[6:7], s[22:23]
	v_rndne_f64_e32 v[24:25], v[24:25]
	s_mov_b32 s29, 0xbfe62e42
	s_mov_b32 s28, 0xfefa39ef
	v_fma_f64 v[26:27], s[28:29], v[24:25], v[6:7]
	s_mov_b32 s31, 0xbc7abc9e
	s_mov_b32 s30, 0x3b39803f
	;; [unrolled: 1-line block ×3, first 2 shown]
	v_fmac_f64_e32 v[26:27], s[30:31], v[24:25]
	v_mov_b32_e32 v28, 0xfca7ab0c
	v_mov_b32_e32 v29, 0x3e928af3
	s_mov_b32 s23, 0x3e5ade15
	v_fmac_f64_e32 v[28:29], s[22:23], v[26:27]
	v_mov_b32_e32 v30, 0x623fde64
	v_mov_b32_e32 v31, 0x3ec71dee
	v_fmac_f64_e32 v[30:31], v[26:27], v[28:29]
	v_mov_b32_e32 v28, 0x7c89e6b0
	v_mov_b32_e32 v29, 0x3efa0199
	;; [unrolled: 3-line block ×8, first 2 shown]
	v_fmac_f64_e32 v[28:29], v[26:27], v[30:31]
	v_fma_f64 v[28:29], v[26:27], v[28:29], 1.0
	s_mov_b32 s22, 0
	s_mov_b32 s24, 0
	v_fma_f64 v[26:27], v[26:27], v[28:29], 1.0
	v_cvt_i32_f64_e32 v24, v[24:25]
	s_mov_b32 s23, 0x40900000
	s_mov_b32 s25, 0xc090cc00
	v_ldexp_f64 v[24:25], v[26:27], v24
	v_mov_b32_e32 v26, 0x7ff00000
	v_cmp_nlt_f64_e64 s[22:23], s[22:23], v[6:7]
	v_cmp_ngt_f64_e64 s[24:25], s[24:25], v[6:7]
	s_mov_b32 s29, 0x3fe62e42
	v_cndmask_b32_e64 v25, v26, v25, s[22:23]
	s_and_b64 s[22:23], s[24:25], s[22:23]
	v_cndmask_b32_e64 v7, 0, v25, s[24:25]
	v_cndmask_b32_e64 v6, 0, v24, s[22:23]
	v_add_f64 v[24:25], v[6:7], 1.0
	v_add_f64 v[26:27], v[24:25], -1.0
	v_add_f64 v[28:29], v[26:27], -v[24:25]
	v_add_f64 v[28:29], v[28:29], 1.0
	v_add_f64 v[26:27], v[6:7], -v[26:27]
	s_mov_b32 s22, 0x55555555
	v_add_f64 v[26:27], v[26:27], v[28:29]
	v_frexp_mant_f64_e32 v[28:29], v[24:25]
	s_mov_b32 s23, 0x3fe55555
	v_frexp_exp_i32_f64_e32 v30, v[24:25]
	v_cmp_gt_f64_e64 s[22:23], s[22:23], v[28:29]
	s_mov_b32 s31, 0x3c7abc9e
	s_nop 0
	v_subbrev_co_u32_e64 v53, s[22:23], 0, v30, s[22:23]
	v_sub_u32_e32 v28, 0, v53
	v_ldexp_f64 v[24:25], v[24:25], v28
	v_ldexp_f64 v[26:27], v[26:27], v28
	v_add_f64 v[28:29], v[24:25], -1.0
	v_add_f64 v[134:135], v[24:25], 1.0
	v_add_f64 v[30:31], v[28:29], 1.0
	v_add_f64 v[144:145], v[134:135], -1.0
	v_add_f64 v[30:31], v[24:25], -v[30:31]
	v_add_f64 v[24:25], v[24:25], -v[144:145]
	v_add_f64 v[24:25], v[26:27], v[24:25]
	v_add_f64 v[30:31], v[26:27], v[30:31]
	;; [unrolled: 1-line block ×3, first 2 shown]
	v_rcp_f64_e32 v[144:145], v[26:27]
	v_add_f64 v[32:33], v[28:29], v[30:31]
	v_add_f64 v[28:29], v[32:33], -v[28:29]
	v_add_f64 v[28:29], v[30:31], -v[28:29]
	;; [unrolled: 1-line block ×4, first 2 shown]
	v_fma_f64 v[30:31], -v[26:27], v[144:145], 1.0
	v_fmac_f64_e32 v[144:145], v[30:31], v[144:145]
	v_fma_f64 v[30:31], -v[26:27], v[144:145], 1.0
	v_fmac_f64_e32 v[144:145], v[30:31], v[144:145]
	v_mul_f64 v[30:31], v[32:33], v[144:145]
	v_mul_f64 v[134:135], v[26:27], v[30:31]
	v_fma_f64 v[146:147], v[30:31], v[26:27], -v[134:135]
	v_fmac_f64_e32 v[146:147], v[30:31], v[24:25]
	v_add_f64 v[148:149], v[134:135], v[146:147]
	v_add_f64 v[150:151], v[32:33], -v[148:149]
	v_add_f64 v[32:33], v[32:33], -v[150:151]
	;; [unrolled: 1-line block ×4, first 2 shown]
	v_add_f64 v[28:29], v[28:29], v[32:33]
	v_add_f64 v[32:33], v[134:135], -v[146:147]
	v_add_f64 v[28:29], v[32:33], v[28:29]
	v_add_f64 v[32:33], v[150:151], v[28:29]
	v_add_f64 v[134:135], v[150:151], -v[32:33]
	v_add_f64 v[28:29], v[28:29], v[134:135]
	v_mul_f64 v[134:135], v[144:145], v[32:33]
	v_mul_f64 v[146:147], v[26:27], v[134:135]
	v_fma_f64 v[26:27], v[134:135], v[26:27], -v[146:147]
	v_fmac_f64_e32 v[26:27], v[134:135], v[24:25]
	v_add_f64 v[24:25], v[146:147], v[26:27]
	v_add_f64 v[148:149], v[32:33], -v[24:25]
	v_add_f64 v[32:33], v[32:33], -v[148:149]
	v_add_f64 v[146:147], v[24:25], -v[146:147]
	v_add_f64 v[24:25], v[32:33], -v[24:25]
	v_add_f64 v[24:25], v[28:29], v[24:25]
	v_add_f64 v[26:27], v[146:147], -v[26:27]
	v_add_f64 v[24:25], v[26:27], v[24:25]
	v_add_f64 v[26:27], v[30:31], v[134:135]
	;; [unrolled: 1-line block ×3, first 2 shown]
	v_add_f64 v[28:29], v[26:27], -v[30:31]
	v_mul_f64 v[24:25], v[144:145], v[24:25]
	v_add_f64 v[28:29], v[134:135], -v[28:29]
	v_add_f64 v[24:25], v[28:29], v[24:25]
	v_add_f64 v[28:29], v[26:27], v[24:25]
	v_add_f64 v[26:27], v[28:29], -v[26:27]
	s_mov_b32 s22, 0xbf559e2b
	v_add_f64 v[24:25], v[24:25], -v[26:27]
	v_mul_f64 v[26:27], v[28:29], v[28:29]
	v_mov_b32_e32 v30, 0x6b47b09a
	v_mov_b32_e32 v31, 0x3fc38538
	s_mov_b32 s23, 0x3fc3ab76
	v_fmac_f64_e32 v[30:31], s[22:23], v[26:27]
	v_mov_b32_e32 v32, 0xd7f4df2e
	v_mov_b32_e32 v33, 0x3fc7474d
	v_fmac_f64_e32 v[32:33], v[26:27], v[30:31]
	v_mov_b32_e32 v30, 0x16291751
	v_mov_b32_e32 v31, 0x3fcc71c0
	;; [unrolled: 3-line block ×5, first 2 shown]
	v_fmac_f64_e32 v[32:33], v[26:27], v[30:31]
	v_cvt_f64_i32_e32 v[30:31], v53
	v_mul_f64 v[134:135], v[30:31], s[28:29]
	v_fma_f64 v[144:145], v[30:31], s[28:29], -v[134:135]
	v_fmac_f64_e32 v[144:145], s[30:31], v[30:31]
	v_add_f64 v[30:31], v[134:135], v[144:145]
	v_add_f64 v[134:135], v[30:31], -v[134:135]
	v_mul_f64 v[26:27], v[28:29], v[26:27]
	v_add_f64 v[134:135], v[144:145], -v[134:135]
	v_ldexp_f64 v[144:145], v[28:29], 1
	v_mul_f64 v[26:27], v[26:27], v[32:33]
	v_add_f64 v[28:29], v[144:145], v[26:27]
	v_add_f64 v[32:33], v[28:29], -v[144:145]
	v_ldexp_f64 v[24:25], v[24:25], 1
	v_add_f64 v[26:27], v[26:27], -v[32:33]
	v_add_f64 v[24:25], v[24:25], v[26:27]
	v_add_f64 v[26:27], v[28:29], v[24:25]
	v_add_f64 v[28:29], v[26:27], -v[28:29]
	v_add_f64 v[24:25], v[24:25], -v[28:29]
	v_add_f64 v[28:29], v[30:31], v[26:27]
	v_add_f64 v[32:33], v[28:29], -v[30:31]
	v_add_f64 v[144:145], v[28:29], -v[32:33]
	;; [unrolled: 1-line block ×4, first 2 shown]
	v_add_f64 v[26:27], v[26:27], v[30:31]
	v_add_f64 v[30:31], v[134:135], v[24:25]
	v_add_f64 v[32:33], v[30:31], -v[134:135]
	v_add_f64 v[26:27], v[30:31], v[26:27]
	v_add_f64 v[144:145], v[30:31], -v[32:33]
	;; [unrolled: 2-line block ×3, first 2 shown]
	v_add_f64 v[24:25], v[24:25], -v[32:33]
	v_add_f64 v[28:29], v[30:31], -v[28:29]
	v_add_f64 v[24:25], v[24:25], v[134:135]
	v_add_f64 v[26:27], v[26:27], -v[28:29]
	s_mov_b32 s22, 0
	v_add_f64 v[24:25], v[24:25], v[26:27]
	s_mov_b32 s23, 0x7ff00000
	v_add_f64 v[24:25], v[30:31], v[24:25]
	v_cmp_eq_f64_e64 s[22:23], s[22:23], v[6:7]
	v_mov_b32_e32 v26, 0x7ff80000
	s_nop 0
	v_cndmask_b32_e64 v24, v24, v6, s[22:23]
	v_cndmask_b32_e64 v25, v25, v7, s[22:23]
	v_cmp_ngt_f64_e64 s[22:23], -1.0, v[6:7]
	s_nop 1
	v_cndmask_b32_e64 v25, v26, v25, s[22:23]
	v_cmp_nge_f64_e64 s[22:23], -1.0, v[6:7]
	v_mov_b32_e32 v26, 0xfff00000
	s_nop 0
	v_cndmask_b32_e64 v24, 0, v24, s[22:23]
	v_cmp_neq_f64_e64 s[22:23], -1.0, v[6:7]
	s_nop 1
	v_cndmask_b32_e64 v25, v26, v25, s[22:23]
	v_add_f64 v[134:135], v[4:5], v[24:25]
.LBB70_282:
	s_or_b64 exec, exec, s[26:27]
	v_max_f64 v[24:25], v[80:81], v[80:81]
	v_max_f64 v[4:5], v[134:135], v[134:135]
	v_min_f64 v[6:7], v[4:5], v[24:25]
	v_cmp_u_f64_e64 s[24:25], v[134:135], v[134:135]
	v_max_f64 v[4:5], v[4:5], v[24:25]
	v_cmp_u_f64_e64 s[22:23], v[80:81], v[80:81]
	v_cndmask_b32_e64 v6, v6, v134, s[24:25]
	v_cndmask_b32_e64 v7, v7, v135, s[24:25]
	;; [unrolled: 1-line block ×8, first 2 shown]
	v_cmp_neq_f64_e64 s[24:25], v[6:7], v[4:5]
	v_cmp_class_f64_e64 s[26:27], v[6:7], s36
	s_or_b64 s[24:25], s[24:25], s[26:27]
	s_and_saveexec_b64 s[28:29], s[24:25]
	s_cbranch_execz .LBB70_284
; %bb.283:
	s_mov_b32 s24, 0x652b82fe
	v_add_f64 v[6:7], v[6:7], -v[4:5]
	s_mov_b32 s25, 0x3ff71547
	v_mul_f64 v[26:27], v[6:7], s[24:25]
	v_rndne_f64_e32 v[26:27], v[26:27]
	s_mov_b32 s31, 0xbfe62e42
	s_mov_b32 s30, 0xfefa39ef
	v_fma_f64 v[28:29], s[30:31], v[26:27], v[6:7]
	s_mov_b32 s37, 0xbc7abc9e
	s_mov_b32 s36, 0x3b39803f
	;; [unrolled: 1-line block ×3, first 2 shown]
	v_fmac_f64_e32 v[28:29], s[36:37], v[26:27]
	v_mov_b32_e32 v30, 0xfca7ab0c
	v_mov_b32_e32 v31, 0x3e928af3
	s_mov_b32 s25, 0x3e5ade15
	v_fmac_f64_e32 v[30:31], s[24:25], v[28:29]
	v_mov_b32_e32 v32, 0x623fde64
	v_mov_b32_e32 v33, 0x3ec71dee
	v_fmac_f64_e32 v[32:33], v[28:29], v[30:31]
	v_mov_b32_e32 v30, 0x7c89e6b0
	v_mov_b32_e32 v31, 0x3efa0199
	;; [unrolled: 3-line block ×8, first 2 shown]
	v_fmac_f64_e32 v[30:31], v[28:29], v[32:33]
	v_fma_f64 v[30:31], v[28:29], v[30:31], 1.0
	s_mov_b32 s24, 0
	s_mov_b32 s26, 0
	v_fma_f64 v[28:29], v[28:29], v[30:31], 1.0
	v_cvt_i32_f64_e32 v26, v[26:27]
	s_mov_b32 s25, 0x40900000
	s_mov_b32 s27, 0xc090cc00
	v_ldexp_f64 v[26:27], v[28:29], v26
	v_mov_b32_e32 v28, 0x7ff00000
	v_cmp_nlt_f64_e64 s[24:25], s[24:25], v[6:7]
	v_cmp_ngt_f64_e64 s[26:27], s[26:27], v[6:7]
	s_mov_b32 s31, 0x3fe62e42
	v_cndmask_b32_e64 v27, v28, v27, s[24:25]
	s_and_b64 s[24:25], s[26:27], s[24:25]
	v_cndmask_b32_e64 v7, 0, v27, s[26:27]
	v_cndmask_b32_e64 v6, 0, v26, s[24:25]
	v_add_f64 v[26:27], v[6:7], 1.0
	v_add_f64 v[28:29], v[26:27], -1.0
	v_add_f64 v[30:31], v[28:29], -v[26:27]
	v_add_f64 v[30:31], v[30:31], 1.0
	v_add_f64 v[28:29], v[6:7], -v[28:29]
	s_mov_b32 s24, 0x55555555
	v_add_f64 v[28:29], v[28:29], v[30:31]
	v_frexp_mant_f64_e32 v[30:31], v[26:27]
	s_mov_b32 s25, 0x3fe55555
	v_frexp_exp_i32_f64_e32 v32, v[26:27]
	v_cmp_gt_f64_e64 s[24:25], s[24:25], v[30:31]
	s_mov_b32 s37, 0x3c7abc9e
	s_nop 0
	v_subbrev_co_u32_e64 v53, s[24:25], 0, v32, s[24:25]
	v_sub_u32_e32 v30, 0, v53
	v_ldexp_f64 v[26:27], v[26:27], v30
	v_ldexp_f64 v[28:29], v[28:29], v30
	v_add_f64 v[30:31], v[26:27], -1.0
	v_add_f64 v[144:145], v[26:27], 1.0
	v_add_f64 v[32:33], v[30:31], 1.0
	v_add_f64 v[146:147], v[144:145], -1.0
	v_add_f64 v[32:33], v[26:27], -v[32:33]
	v_add_f64 v[26:27], v[26:27], -v[146:147]
	v_add_f64 v[26:27], v[28:29], v[26:27]
	v_add_f64 v[32:33], v[28:29], v[32:33]
	v_add_f64 v[28:29], v[144:145], v[26:27]
	v_rcp_f64_e32 v[146:147], v[28:29]
	v_add_f64 v[134:135], v[30:31], v[32:33]
	v_add_f64 v[30:31], v[134:135], -v[30:31]
	v_add_f64 v[30:31], v[32:33], -v[30:31]
	;; [unrolled: 1-line block ×4, first 2 shown]
	v_fma_f64 v[32:33], -v[28:29], v[146:147], 1.0
	v_fmac_f64_e32 v[146:147], v[32:33], v[146:147]
	v_fma_f64 v[32:33], -v[28:29], v[146:147], 1.0
	v_fmac_f64_e32 v[146:147], v[32:33], v[146:147]
	v_mul_f64 v[32:33], v[134:135], v[146:147]
	v_mul_f64 v[144:145], v[28:29], v[32:33]
	v_fma_f64 v[148:149], v[32:33], v[28:29], -v[144:145]
	v_fmac_f64_e32 v[148:149], v[32:33], v[26:27]
	v_add_f64 v[150:151], v[144:145], v[148:149]
	v_add_f64 v[160:161], v[134:135], -v[150:151]
	v_add_f64 v[134:135], v[134:135], -v[160:161]
	;; [unrolled: 1-line block ×4, first 2 shown]
	v_add_f64 v[30:31], v[30:31], v[134:135]
	v_add_f64 v[134:135], v[144:145], -v[148:149]
	v_add_f64 v[30:31], v[134:135], v[30:31]
	v_add_f64 v[134:135], v[160:161], v[30:31]
	v_add_f64 v[144:145], v[160:161], -v[134:135]
	v_add_f64 v[30:31], v[30:31], v[144:145]
	v_mul_f64 v[144:145], v[146:147], v[134:135]
	v_mul_f64 v[148:149], v[28:29], v[144:145]
	v_fma_f64 v[28:29], v[144:145], v[28:29], -v[148:149]
	v_fmac_f64_e32 v[28:29], v[144:145], v[26:27]
	v_add_f64 v[26:27], v[148:149], v[28:29]
	v_add_f64 v[150:151], v[134:135], -v[26:27]
	v_add_f64 v[134:135], v[134:135], -v[150:151]
	;; [unrolled: 1-line block ×4, first 2 shown]
	v_add_f64 v[26:27], v[30:31], v[26:27]
	v_add_f64 v[28:29], v[148:149], -v[28:29]
	v_add_f64 v[26:27], v[28:29], v[26:27]
	v_add_f64 v[28:29], v[32:33], v[144:145]
	;; [unrolled: 1-line block ×3, first 2 shown]
	v_add_f64 v[30:31], v[28:29], -v[32:33]
	v_mul_f64 v[26:27], v[146:147], v[26:27]
	v_add_f64 v[30:31], v[144:145], -v[30:31]
	v_add_f64 v[26:27], v[30:31], v[26:27]
	v_add_f64 v[30:31], v[28:29], v[26:27]
	v_add_f64 v[28:29], v[30:31], -v[28:29]
	s_mov_b32 s24, 0xbf559e2b
	v_add_f64 v[26:27], v[26:27], -v[28:29]
	v_mul_f64 v[28:29], v[30:31], v[30:31]
	v_mov_b32_e32 v32, 0x6b47b09a
	v_mov_b32_e32 v33, 0x3fc38538
	s_mov_b32 s25, 0x3fc3ab76
	v_fmac_f64_e32 v[32:33], s[24:25], v[28:29]
	v_mov_b32_e32 v134, 0xd7f4df2e
	v_mov_b32_e32 v135, 0x3fc7474d
	v_fmac_f64_e32 v[134:135], v[28:29], v[32:33]
	v_mov_b32_e32 v32, 0x16291751
	v_mov_b32_e32 v33, 0x3fcc71c0
	;; [unrolled: 3-line block ×5, first 2 shown]
	v_fmac_f64_e32 v[134:135], v[28:29], v[32:33]
	v_cvt_f64_i32_e32 v[32:33], v53
	v_mul_f64 v[144:145], v[32:33], s[30:31]
	v_fma_f64 v[146:147], v[32:33], s[30:31], -v[144:145]
	v_fmac_f64_e32 v[146:147], s[36:37], v[32:33]
	v_add_f64 v[32:33], v[144:145], v[146:147]
	v_add_f64 v[144:145], v[32:33], -v[144:145]
	v_mul_f64 v[28:29], v[30:31], v[28:29]
	v_add_f64 v[144:145], v[146:147], -v[144:145]
	v_ldexp_f64 v[146:147], v[30:31], 1
	v_mul_f64 v[28:29], v[28:29], v[134:135]
	v_add_f64 v[30:31], v[146:147], v[28:29]
	v_add_f64 v[134:135], v[30:31], -v[146:147]
	v_ldexp_f64 v[26:27], v[26:27], 1
	v_add_f64 v[28:29], v[28:29], -v[134:135]
	v_add_f64 v[26:27], v[26:27], v[28:29]
	v_add_f64 v[28:29], v[30:31], v[26:27]
	v_add_f64 v[30:31], v[28:29], -v[30:31]
	v_add_f64 v[26:27], v[26:27], -v[30:31]
	v_add_f64 v[30:31], v[32:33], v[28:29]
	v_add_f64 v[134:135], v[30:31], -v[32:33]
	v_add_f64 v[146:147], v[30:31], -v[134:135]
	v_add_f64 v[32:33], v[32:33], -v[146:147]
	v_add_f64 v[28:29], v[28:29], -v[134:135]
	v_add_f64 v[28:29], v[28:29], v[32:33]
	v_add_f64 v[32:33], v[144:145], v[26:27]
	v_add_f64 v[134:135], v[32:33], -v[144:145]
	v_add_f64 v[28:29], v[32:33], v[28:29]
	v_add_f64 v[146:147], v[32:33], -v[134:135]
	;; [unrolled: 2-line block ×3, first 2 shown]
	v_add_f64 v[26:27], v[26:27], -v[134:135]
	v_add_f64 v[30:31], v[32:33], -v[30:31]
	v_add_f64 v[26:27], v[26:27], v[144:145]
	v_add_f64 v[28:29], v[28:29], -v[30:31]
	s_mov_b32 s24, 0
	v_add_f64 v[26:27], v[26:27], v[28:29]
	s_mov_b32 s25, 0x7ff00000
	v_add_f64 v[26:27], v[32:33], v[26:27]
	v_cmp_eq_f64_e64 s[24:25], s[24:25], v[6:7]
	v_mov_b32_e32 v28, 0x7ff80000
	s_nop 0
	v_cndmask_b32_e64 v26, v26, v6, s[24:25]
	v_cndmask_b32_e64 v27, v27, v7, s[24:25]
	v_cmp_ngt_f64_e64 s[24:25], -1.0, v[6:7]
	s_nop 1
	v_cndmask_b32_e64 v27, v28, v27, s[24:25]
	v_cmp_nge_f64_e64 s[24:25], -1.0, v[6:7]
	v_mov_b32_e32 v28, 0xfff00000
	s_nop 0
	v_cndmask_b32_e64 v26, 0, v26, s[24:25]
	v_cmp_neq_f64_e64 s[24:25], -1.0, v[6:7]
	s_nop 1
	v_cndmask_b32_e64 v27, v28, v27, s[24:25]
	v_add_f64 v[134:135], v[4:5], v[26:27]
.LBB70_284:
	s_or_b64 exec, exec, s[28:29]
	v_max_f64 v[26:27], v[82:83], v[82:83]
	v_max_f64 v[4:5], v[134:135], v[134:135]
	v_min_f64 v[6:7], v[4:5], v[26:27]
	v_cmp_u_f64_e64 s[26:27], v[134:135], v[134:135]
	v_max_f64 v[4:5], v[4:5], v[26:27]
	v_cmp_u_f64_e64 s[24:25], v[82:83], v[82:83]
	v_cndmask_b32_e64 v6, v6, v134, s[26:27]
	v_cndmask_b32_e64 v7, v7, v135, s[26:27]
	;; [unrolled: 1-line block ×8, first 2 shown]
	s_movk_i32 s40, 0x1f8
	v_cmp_neq_f64_e64 s[26:27], v[6:7], v[4:5]
	v_cmp_class_f64_e64 s[28:29], v[6:7], s40
	s_or_b64 s[26:27], s[26:27], s[28:29]
	s_and_saveexec_b64 s[30:31], s[26:27]
	s_cbranch_execz .LBB70_286
; %bb.285:
	s_mov_b32 s26, 0x652b82fe
	v_add_f64 v[6:7], v[6:7], -v[4:5]
	s_mov_b32 s27, 0x3ff71547
	v_mul_f64 v[28:29], v[6:7], s[26:27]
	v_rndne_f64_e32 v[28:29], v[28:29]
	s_mov_b32 s37, 0xbfe62e42
	s_mov_b32 s36, 0xfefa39ef
	v_fma_f64 v[30:31], s[36:37], v[28:29], v[6:7]
	s_mov_b32 s39, 0xbc7abc9e
	s_mov_b32 s38, 0x3b39803f
	;; [unrolled: 1-line block ×3, first 2 shown]
	v_fmac_f64_e32 v[30:31], s[38:39], v[28:29]
	v_mov_b32_e32 v32, 0xfca7ab0c
	v_mov_b32_e32 v33, 0x3e928af3
	s_mov_b32 s27, 0x3e5ade15
	v_fmac_f64_e32 v[32:33], s[26:27], v[30:31]
	v_mov_b32_e32 v134, 0x623fde64
	v_mov_b32_e32 v135, 0x3ec71dee
	v_fmac_f64_e32 v[134:135], v[30:31], v[32:33]
	v_mov_b32_e32 v32, 0x7c89e6b0
	v_mov_b32_e32 v33, 0x3efa0199
	;; [unrolled: 3-line block ×8, first 2 shown]
	v_fmac_f64_e32 v[32:33], v[30:31], v[134:135]
	v_fma_f64 v[32:33], v[30:31], v[32:33], 1.0
	s_mov_b32 s26, 0
	s_mov_b32 s28, 0
	v_fma_f64 v[30:31], v[30:31], v[32:33], 1.0
	v_cvt_i32_f64_e32 v28, v[28:29]
	s_mov_b32 s27, 0x40900000
	s_mov_b32 s29, 0xc090cc00
	v_ldexp_f64 v[28:29], v[30:31], v28
	v_mov_b32_e32 v30, 0x7ff00000
	v_cmp_nlt_f64_e64 s[26:27], s[26:27], v[6:7]
	v_cmp_ngt_f64_e64 s[28:29], s[28:29], v[6:7]
	s_mov_b32 s37, 0x3fe62e42
	v_cndmask_b32_e64 v29, v30, v29, s[26:27]
	s_and_b64 s[26:27], s[28:29], s[26:27]
	v_cndmask_b32_e64 v7, 0, v29, s[28:29]
	v_cndmask_b32_e64 v6, 0, v28, s[26:27]
	v_add_f64 v[28:29], v[6:7], 1.0
	v_add_f64 v[30:31], v[28:29], -1.0
	v_add_f64 v[32:33], v[30:31], -v[28:29]
	v_add_f64 v[32:33], v[32:33], 1.0
	v_add_f64 v[30:31], v[6:7], -v[30:31]
	s_mov_b32 s26, 0x55555555
	v_add_f64 v[30:31], v[30:31], v[32:33]
	v_frexp_mant_f64_e32 v[32:33], v[28:29]
	s_mov_b32 s27, 0x3fe55555
	v_frexp_exp_i32_f64_e32 v53, v[28:29]
	v_cmp_gt_f64_e64 s[26:27], s[26:27], v[32:33]
	s_mov_b32 s39, 0x3c7abc9e
	s_nop 0
	v_subbrev_co_u32_e64 v53, s[26:27], 0, v53, s[26:27]
	v_sub_u32_e32 v32, 0, v53
	v_ldexp_f64 v[28:29], v[28:29], v32
	v_ldexp_f64 v[30:31], v[30:31], v32
	v_add_f64 v[32:33], v[28:29], -1.0
	v_add_f64 v[146:147], v[28:29], 1.0
	v_add_f64 v[134:135], v[32:33], 1.0
	v_add_f64 v[148:149], v[146:147], -1.0
	v_add_f64 v[134:135], v[28:29], -v[134:135]
	v_add_f64 v[28:29], v[28:29], -v[148:149]
	v_add_f64 v[28:29], v[30:31], v[28:29]
	v_add_f64 v[134:135], v[30:31], v[134:135]
	;; [unrolled: 1-line block ×3, first 2 shown]
	v_rcp_f64_e32 v[148:149], v[30:31]
	v_add_f64 v[144:145], v[32:33], v[134:135]
	v_add_f64 v[32:33], v[144:145], -v[32:33]
	v_add_f64 v[32:33], v[134:135], -v[32:33]
	;; [unrolled: 1-line block ×4, first 2 shown]
	v_fma_f64 v[134:135], -v[30:31], v[148:149], 1.0
	v_fmac_f64_e32 v[148:149], v[134:135], v[148:149]
	v_fma_f64 v[134:135], -v[30:31], v[148:149], 1.0
	v_fmac_f64_e32 v[148:149], v[134:135], v[148:149]
	v_mul_f64 v[134:135], v[144:145], v[148:149]
	v_mul_f64 v[146:147], v[30:31], v[134:135]
	v_fma_f64 v[150:151], v[134:135], v[30:31], -v[146:147]
	v_fmac_f64_e32 v[150:151], v[134:135], v[28:29]
	v_add_f64 v[160:161], v[146:147], v[150:151]
	v_add_f64 v[162:163], v[144:145], -v[160:161]
	v_add_f64 v[144:145], v[144:145], -v[162:163]
	v_add_f64 v[146:147], v[160:161], -v[146:147]
	v_add_f64 v[144:145], v[144:145], -v[160:161]
	v_add_f64 v[32:33], v[32:33], v[144:145]
	v_add_f64 v[144:145], v[146:147], -v[150:151]
	v_add_f64 v[32:33], v[144:145], v[32:33]
	v_add_f64 v[144:145], v[162:163], v[32:33]
	v_add_f64 v[146:147], v[162:163], -v[144:145]
	v_add_f64 v[32:33], v[32:33], v[146:147]
	v_mul_f64 v[146:147], v[148:149], v[144:145]
	v_mul_f64 v[150:151], v[30:31], v[146:147]
	v_fma_f64 v[30:31], v[146:147], v[30:31], -v[150:151]
	v_fmac_f64_e32 v[30:31], v[146:147], v[28:29]
	v_add_f64 v[28:29], v[150:151], v[30:31]
	v_add_f64 v[160:161], v[144:145], -v[28:29]
	v_add_f64 v[144:145], v[144:145], -v[160:161]
	;; [unrolled: 1-line block ×4, first 2 shown]
	v_add_f64 v[28:29], v[32:33], v[28:29]
	v_add_f64 v[30:31], v[150:151], -v[30:31]
	v_add_f64 v[28:29], v[30:31], v[28:29]
	v_add_f64 v[30:31], v[134:135], v[146:147]
	;; [unrolled: 1-line block ×3, first 2 shown]
	v_add_f64 v[32:33], v[30:31], -v[134:135]
	v_mul_f64 v[28:29], v[148:149], v[28:29]
	v_add_f64 v[32:33], v[146:147], -v[32:33]
	v_add_f64 v[28:29], v[32:33], v[28:29]
	v_add_f64 v[32:33], v[30:31], v[28:29]
	v_add_f64 v[30:31], v[32:33], -v[30:31]
	s_mov_b32 s26, 0xbf559e2b
	v_add_f64 v[28:29], v[28:29], -v[30:31]
	v_mul_f64 v[30:31], v[32:33], v[32:33]
	v_mov_b32_e32 v134, 0x6b47b09a
	v_mov_b32_e32 v135, 0x3fc38538
	s_mov_b32 s27, 0x3fc3ab76
	v_fmac_f64_e32 v[134:135], s[26:27], v[30:31]
	v_mov_b32_e32 v144, 0xd7f4df2e
	v_mov_b32_e32 v145, 0x3fc7474d
	v_fmac_f64_e32 v[144:145], v[30:31], v[134:135]
	v_mov_b32_e32 v134, 0x16291751
	v_mov_b32_e32 v135, 0x3fcc71c0
	;; [unrolled: 3-line block ×5, first 2 shown]
	v_fmac_f64_e32 v[144:145], v[30:31], v[134:135]
	v_cvt_f64_i32_e32 v[134:135], v53
	v_mul_f64 v[146:147], v[134:135], s[36:37]
	v_fma_f64 v[148:149], v[134:135], s[36:37], -v[146:147]
	v_fmac_f64_e32 v[148:149], s[38:39], v[134:135]
	v_add_f64 v[134:135], v[146:147], v[148:149]
	v_add_f64 v[146:147], v[134:135], -v[146:147]
	v_mul_f64 v[30:31], v[32:33], v[30:31]
	v_add_f64 v[146:147], v[148:149], -v[146:147]
	v_ldexp_f64 v[148:149], v[32:33], 1
	v_mul_f64 v[30:31], v[30:31], v[144:145]
	v_add_f64 v[32:33], v[148:149], v[30:31]
	v_add_f64 v[144:145], v[32:33], -v[148:149]
	v_ldexp_f64 v[28:29], v[28:29], 1
	v_add_f64 v[30:31], v[30:31], -v[144:145]
	v_add_f64 v[28:29], v[28:29], v[30:31]
	v_add_f64 v[30:31], v[32:33], v[28:29]
	v_add_f64 v[32:33], v[30:31], -v[32:33]
	v_add_f64 v[28:29], v[28:29], -v[32:33]
	v_add_f64 v[32:33], v[134:135], v[30:31]
	v_add_f64 v[144:145], v[32:33], -v[134:135]
	v_add_f64 v[148:149], v[32:33], -v[144:145]
	;; [unrolled: 1-line block ×4, first 2 shown]
	v_add_f64 v[30:31], v[30:31], v[134:135]
	v_add_f64 v[134:135], v[146:147], v[28:29]
	v_add_f64 v[144:145], v[134:135], -v[146:147]
	v_add_f64 v[30:31], v[134:135], v[30:31]
	v_add_f64 v[148:149], v[134:135], -v[144:145]
	;; [unrolled: 2-line block ×3, first 2 shown]
	v_add_f64 v[28:29], v[28:29], -v[144:145]
	v_add_f64 v[32:33], v[134:135], -v[32:33]
	v_add_f64 v[28:29], v[28:29], v[146:147]
	v_add_f64 v[30:31], v[30:31], -v[32:33]
	s_mov_b32 s26, 0
	v_add_f64 v[28:29], v[28:29], v[30:31]
	s_mov_b32 s27, 0x7ff00000
	v_add_f64 v[28:29], v[134:135], v[28:29]
	v_cmp_eq_f64_e64 s[26:27], s[26:27], v[6:7]
	v_mov_b32_e32 v30, 0x7ff80000
	s_nop 0
	v_cndmask_b32_e64 v28, v28, v6, s[26:27]
	v_cndmask_b32_e64 v29, v29, v7, s[26:27]
	v_cmp_ngt_f64_e64 s[26:27], -1.0, v[6:7]
	s_nop 1
	v_cndmask_b32_e64 v29, v30, v29, s[26:27]
	v_cmp_nge_f64_e64 s[26:27], -1.0, v[6:7]
	v_mov_b32_e32 v30, 0xfff00000
	s_nop 0
	v_cndmask_b32_e64 v28, 0, v28, s[26:27]
	v_cmp_neq_f64_e64 s[26:27], -1.0, v[6:7]
	s_nop 1
	v_cndmask_b32_e64 v29, v30, v29, s[26:27]
	v_add_f64 v[134:135], v[4:5], v[28:29]
.LBB70_286:
	s_or_b64 exec, exec, s[30:31]
	v_max_f64 v[28:29], v[66:67], v[66:67]
	v_max_f64 v[4:5], v[134:135], v[134:135]
	v_min_f64 v[6:7], v[4:5], v[28:29]
	v_cmp_u_f64_e64 s[28:29], v[134:135], v[134:135]
	v_max_f64 v[4:5], v[4:5], v[28:29]
	v_cmp_u_f64_e64 s[26:27], v[66:67], v[66:67]
	v_cndmask_b32_e64 v6, v6, v134, s[28:29]
	v_cndmask_b32_e64 v7, v7, v135, s[28:29]
	;; [unrolled: 1-line block ×8, first 2 shown]
	v_cmp_neq_f64_e64 s[28:29], v[6:7], v[4:5]
	v_cmp_class_f64_e64 s[30:31], v[6:7], s40
	s_or_b64 s[28:29], s[28:29], s[30:31]
	s_and_saveexec_b64 s[36:37], s[28:29]
	s_cbranch_execz .LBB70_288
; %bb.287:
	s_mov_b32 s28, 0x652b82fe
	v_add_f64 v[6:7], v[6:7], -v[4:5]
	s_mov_b32 s29, 0x3ff71547
	v_mul_f64 v[30:31], v[6:7], s[28:29]
	v_rndne_f64_e32 v[30:31], v[30:31]
	s_mov_b32 s39, 0xbfe62e42
	s_mov_b32 s38, 0xfefa39ef
	v_fma_f64 v[32:33], s[38:39], v[30:31], v[6:7]
	s_mov_b32 s41, 0xbc7abc9e
	s_mov_b32 s40, 0x3b39803f
	s_mov_b32 s28, 0x6a5dcb37
	v_fmac_f64_e32 v[32:33], s[40:41], v[30:31]
	v_mov_b32_e32 v134, 0xfca7ab0c
	v_mov_b32_e32 v135, 0x3e928af3
	s_mov_b32 s29, 0x3e5ade15
	v_fmac_f64_e32 v[134:135], s[28:29], v[32:33]
	v_mov_b32_e32 v144, 0x623fde64
	v_mov_b32_e32 v145, 0x3ec71dee
	v_fmac_f64_e32 v[144:145], v[32:33], v[134:135]
	v_mov_b32_e32 v134, 0x7c89e6b0
	v_mov_b32_e32 v135, 0x3efa0199
	;; [unrolled: 3-line block ×8, first 2 shown]
	v_fmac_f64_e32 v[134:135], v[32:33], v[144:145]
	v_fma_f64 v[134:135], v[32:33], v[134:135], 1.0
	s_mov_b32 s28, 0
	s_mov_b32 s30, 0
	v_fma_f64 v[32:33], v[32:33], v[134:135], 1.0
	v_cvt_i32_f64_e32 v30, v[30:31]
	s_mov_b32 s29, 0x40900000
	s_mov_b32 s31, 0xc090cc00
	v_ldexp_f64 v[30:31], v[32:33], v30
	v_mov_b32_e32 v32, 0x7ff00000
	v_cmp_nlt_f64_e64 s[28:29], s[28:29], v[6:7]
	v_cmp_ngt_f64_e64 s[30:31], s[30:31], v[6:7]
	s_mov_b32 s39, 0x3fe62e42
	v_cndmask_b32_e64 v31, v32, v31, s[28:29]
	s_and_b64 s[28:29], s[30:31], s[28:29]
	v_cndmask_b32_e64 v7, 0, v31, s[30:31]
	v_cndmask_b32_e64 v6, 0, v30, s[28:29]
	v_add_f64 v[30:31], v[6:7], 1.0
	v_add_f64 v[32:33], v[30:31], -1.0
	v_add_f64 v[134:135], v[32:33], -v[30:31]
	v_add_f64 v[134:135], v[134:135], 1.0
	v_add_f64 v[32:33], v[6:7], -v[32:33]
	s_mov_b32 s28, 0x55555555
	v_add_f64 v[32:33], v[32:33], v[134:135]
	v_frexp_mant_f64_e32 v[134:135], v[30:31]
	s_mov_b32 s29, 0x3fe55555
	v_frexp_exp_i32_f64_e32 v53, v[30:31]
	v_cmp_gt_f64_e64 s[28:29], s[28:29], v[134:135]
	s_mov_b32 s41, 0x3c7abc9e
	s_nop 0
	v_subbrev_co_u32_e64 v53, s[28:29], 0, v53, s[28:29]
	v_sub_u32_e32 v71, 0, v53
	v_ldexp_f64 v[30:31], v[30:31], v71
	v_add_f64 v[134:135], v[30:31], -1.0
	v_add_f64 v[148:149], v[30:31], 1.0
	v_add_f64 v[144:145], v[134:135], 1.0
	v_add_f64 v[150:151], v[148:149], -1.0
	v_ldexp_f64 v[32:33], v[32:33], v71
	v_add_f64 v[144:145], v[30:31], -v[144:145]
	v_add_f64 v[30:31], v[30:31], -v[150:151]
	v_add_f64 v[30:31], v[32:33], v[30:31]
	v_add_f64 v[144:145], v[32:33], v[144:145]
	;; [unrolled: 1-line block ×3, first 2 shown]
	v_rcp_f64_e32 v[150:151], v[32:33]
	v_add_f64 v[146:147], v[134:135], v[144:145]
	v_add_f64 v[134:135], v[146:147], -v[134:135]
	v_add_f64 v[134:135], v[144:145], -v[134:135]
	;; [unrolled: 1-line block ×4, first 2 shown]
	v_fma_f64 v[144:145], -v[32:33], v[150:151], 1.0
	v_fmac_f64_e32 v[150:151], v[144:145], v[150:151]
	v_fma_f64 v[144:145], -v[32:33], v[150:151], 1.0
	v_fmac_f64_e32 v[150:151], v[144:145], v[150:151]
	v_mul_f64 v[144:145], v[146:147], v[150:151]
	v_mul_f64 v[148:149], v[32:33], v[144:145]
	v_fma_f64 v[160:161], v[144:145], v[32:33], -v[148:149]
	v_fmac_f64_e32 v[160:161], v[144:145], v[30:31]
	v_add_f64 v[162:163], v[148:149], v[160:161]
	v_add_f64 v[164:165], v[146:147], -v[162:163]
	v_add_f64 v[146:147], v[146:147], -v[164:165]
	;; [unrolled: 1-line block ×4, first 2 shown]
	v_add_f64 v[134:135], v[134:135], v[146:147]
	v_add_f64 v[146:147], v[148:149], -v[160:161]
	v_add_f64 v[134:135], v[146:147], v[134:135]
	v_add_f64 v[146:147], v[164:165], v[134:135]
	v_add_f64 v[148:149], v[164:165], -v[146:147]
	v_add_f64 v[134:135], v[134:135], v[148:149]
	v_mul_f64 v[148:149], v[150:151], v[146:147]
	v_mul_f64 v[160:161], v[32:33], v[148:149]
	v_fma_f64 v[32:33], v[148:149], v[32:33], -v[160:161]
	v_fmac_f64_e32 v[32:33], v[148:149], v[30:31]
	v_add_f64 v[30:31], v[160:161], v[32:33]
	v_add_f64 v[162:163], v[146:147], -v[30:31]
	v_add_f64 v[146:147], v[146:147], -v[162:163]
	;; [unrolled: 1-line block ×4, first 2 shown]
	v_add_f64 v[30:31], v[134:135], v[30:31]
	v_add_f64 v[32:33], v[160:161], -v[32:33]
	v_add_f64 v[30:31], v[32:33], v[30:31]
	v_add_f64 v[32:33], v[144:145], v[148:149]
	;; [unrolled: 1-line block ×3, first 2 shown]
	v_add_f64 v[134:135], v[32:33], -v[144:145]
	v_mul_f64 v[30:31], v[150:151], v[30:31]
	v_add_f64 v[134:135], v[148:149], -v[134:135]
	v_add_f64 v[30:31], v[134:135], v[30:31]
	v_add_f64 v[134:135], v[32:33], v[30:31]
	v_add_f64 v[32:33], v[134:135], -v[32:33]
	s_mov_b32 s28, 0xbf559e2b
	v_add_f64 v[30:31], v[30:31], -v[32:33]
	v_mul_f64 v[32:33], v[134:135], v[134:135]
	v_mov_b32_e32 v144, 0x6b47b09a
	v_mov_b32_e32 v145, 0x3fc38538
	s_mov_b32 s29, 0x3fc3ab76
	v_fmac_f64_e32 v[144:145], s[28:29], v[32:33]
	v_mov_b32_e32 v146, 0xd7f4df2e
	v_mov_b32_e32 v147, 0x3fc7474d
	v_fmac_f64_e32 v[146:147], v[32:33], v[144:145]
	v_mov_b32_e32 v144, 0x16291751
	v_mov_b32_e32 v145, 0x3fcc71c0
	;; [unrolled: 3-line block ×5, first 2 shown]
	v_fmac_f64_e32 v[146:147], v[32:33], v[144:145]
	v_cvt_f64_i32_e32 v[144:145], v53
	v_mul_f64 v[148:149], v[144:145], s[38:39]
	v_fma_f64 v[150:151], v[144:145], s[38:39], -v[148:149]
	v_fmac_f64_e32 v[150:151], s[40:41], v[144:145]
	v_add_f64 v[144:145], v[148:149], v[150:151]
	v_add_f64 v[148:149], v[144:145], -v[148:149]
	v_mul_f64 v[32:33], v[134:135], v[32:33]
	v_add_f64 v[148:149], v[150:151], -v[148:149]
	v_ldexp_f64 v[150:151], v[134:135], 1
	v_mul_f64 v[32:33], v[32:33], v[146:147]
	v_add_f64 v[134:135], v[150:151], v[32:33]
	v_add_f64 v[146:147], v[134:135], -v[150:151]
	v_ldexp_f64 v[30:31], v[30:31], 1
	v_add_f64 v[32:33], v[32:33], -v[146:147]
	v_add_f64 v[30:31], v[30:31], v[32:33]
	v_add_f64 v[32:33], v[134:135], v[30:31]
	v_add_f64 v[134:135], v[32:33], -v[134:135]
	v_add_f64 v[30:31], v[30:31], -v[134:135]
	v_add_f64 v[134:135], v[144:145], v[32:33]
	v_add_f64 v[146:147], v[134:135], -v[144:145]
	v_add_f64 v[150:151], v[134:135], -v[146:147]
	;; [unrolled: 1-line block ×4, first 2 shown]
	v_add_f64 v[32:33], v[32:33], v[144:145]
	v_add_f64 v[144:145], v[148:149], v[30:31]
	v_add_f64 v[146:147], v[144:145], -v[148:149]
	v_add_f64 v[32:33], v[144:145], v[32:33]
	v_add_f64 v[150:151], v[144:145], -v[146:147]
	;; [unrolled: 2-line block ×3, first 2 shown]
	v_add_f64 v[30:31], v[30:31], -v[146:147]
	v_add_f64 v[134:135], v[144:145], -v[134:135]
	v_add_f64 v[30:31], v[30:31], v[148:149]
	v_add_f64 v[32:33], v[32:33], -v[134:135]
	s_mov_b32 s28, 0
	v_add_f64 v[30:31], v[30:31], v[32:33]
	s_mov_b32 s29, 0x7ff00000
	v_add_f64 v[30:31], v[144:145], v[30:31]
	v_cmp_eq_f64_e64 s[28:29], s[28:29], v[6:7]
	v_mov_b32_e32 v32, 0x7ff80000
	s_nop 0
	v_cndmask_b32_e64 v30, v30, v6, s[28:29]
	v_cndmask_b32_e64 v31, v31, v7, s[28:29]
	v_cmp_ngt_f64_e64 s[28:29], -1.0, v[6:7]
	s_nop 1
	v_cndmask_b32_e64 v31, v32, v31, s[28:29]
	v_cmp_nge_f64_e64 s[28:29], -1.0, v[6:7]
	v_mov_b32_e32 v32, 0xfff00000
	s_nop 0
	v_cndmask_b32_e64 v30, 0, v30, s[28:29]
	v_cmp_neq_f64_e64 s[28:29], -1.0, v[6:7]
	s_nop 1
	v_cndmask_b32_e64 v31, v32, v31, s[28:29]
	v_add_f64 v[134:135], v[4:5], v[30:31]
.LBB70_288:
	s_or_b64 exec, exec, s[36:37]
	v_max_f64 v[30:31], v[68:69], v[68:69]
	v_max_f64 v[4:5], v[134:135], v[134:135]
	v_min_f64 v[6:7], v[4:5], v[30:31]
	v_cmp_u_f64_e64 s[30:31], v[134:135], v[134:135]
	v_max_f64 v[4:5], v[4:5], v[30:31]
	v_cmp_u_f64_e64 s[28:29], v[68:69], v[68:69]
	v_cndmask_b32_e64 v6, v6, v134, s[30:31]
	v_cndmask_b32_e64 v7, v7, v135, s[30:31]
	;; [unrolled: 1-line block ×8, first 2 shown]
	s_movk_i32 s44, 0x1f8
	v_cmp_neq_f64_e64 s[30:31], v[6:7], v[4:5]
	v_cmp_class_f64_e64 s[36:37], v[6:7], s44
	s_or_b64 s[30:31], s[30:31], s[36:37]
	s_and_saveexec_b64 s[38:39], s[30:31]
	s_cbranch_execz .LBB70_290
; %bb.289:
	s_mov_b32 s30, 0x652b82fe
	v_add_f64 v[6:7], v[6:7], -v[4:5]
	s_mov_b32 s31, 0x3ff71547
	v_mul_f64 v[32:33], v[6:7], s[30:31]
	v_rndne_f64_e32 v[32:33], v[32:33]
	s_mov_b32 s41, 0xbfe62e42
	s_mov_b32 s40, 0xfefa39ef
	v_fma_f64 v[134:135], s[40:41], v[32:33], v[6:7]
	s_mov_b32 s43, 0xbc7abc9e
	s_mov_b32 s42, 0x3b39803f
	;; [unrolled: 1-line block ×3, first 2 shown]
	v_fmac_f64_e32 v[134:135], s[42:43], v[32:33]
	v_mov_b32_e32 v144, 0xfca7ab0c
	v_mov_b32_e32 v145, 0x3e928af3
	s_mov_b32 s31, 0x3e5ade15
	v_fmac_f64_e32 v[144:145], s[30:31], v[134:135]
	v_mov_b32_e32 v146, 0x623fde64
	v_mov_b32_e32 v147, 0x3ec71dee
	v_fmac_f64_e32 v[146:147], v[134:135], v[144:145]
	v_mov_b32_e32 v144, 0x7c89e6b0
	v_mov_b32_e32 v145, 0x3efa0199
	;; [unrolled: 3-line block ×8, first 2 shown]
	v_fmac_f64_e32 v[144:145], v[134:135], v[146:147]
	v_fma_f64 v[144:145], v[134:135], v[144:145], 1.0
	s_mov_b32 s30, 0
	s_mov_b32 s36, 0
	v_fma_f64 v[134:135], v[134:135], v[144:145], 1.0
	v_cvt_i32_f64_e32 v32, v[32:33]
	s_mov_b32 s31, 0x40900000
	s_mov_b32 s37, 0xc090cc00
	v_ldexp_f64 v[32:33], v[134:135], v32
	v_mov_b32_e32 v53, 0x7ff00000
	v_cmp_nlt_f64_e64 s[30:31], s[30:31], v[6:7]
	v_cmp_ngt_f64_e64 s[36:37], s[36:37], v[6:7]
	s_mov_b32 s41, 0x3fe62e42
	v_cndmask_b32_e64 v33, v53, v33, s[30:31]
	s_and_b64 s[30:31], s[36:37], s[30:31]
	v_cndmask_b32_e64 v7, 0, v33, s[36:37]
	v_cndmask_b32_e64 v6, 0, v32, s[30:31]
	v_add_f64 v[32:33], v[6:7], 1.0
	v_add_f64 v[134:135], v[32:33], -1.0
	v_add_f64 v[144:145], v[134:135], -v[32:33]
	v_add_f64 v[144:145], v[144:145], 1.0
	v_add_f64 v[134:135], v[6:7], -v[134:135]
	s_mov_b32 s30, 0x55555555
	v_add_f64 v[134:135], v[134:135], v[144:145]
	v_frexp_mant_f64_e32 v[144:145], v[32:33]
	s_mov_b32 s31, 0x3fe55555
	v_frexp_exp_i32_f64_e32 v53, v[32:33]
	v_cmp_gt_f64_e64 s[30:31], s[30:31], v[144:145]
	s_mov_b32 s43, 0x3c7abc9e
	s_nop 0
	v_subbrev_co_u32_e64 v53, s[30:31], 0, v53, s[30:31]
	v_sub_u32_e32 v71, 0, v53
	v_ldexp_f64 v[32:33], v[32:33], v71
	v_add_f64 v[144:145], v[32:33], -1.0
	v_add_f64 v[150:151], v[32:33], 1.0
	v_add_f64 v[146:147], v[144:145], 1.0
	v_add_f64 v[160:161], v[150:151], -1.0
	v_ldexp_f64 v[134:135], v[134:135], v71
	v_add_f64 v[146:147], v[32:33], -v[146:147]
	v_add_f64 v[32:33], v[32:33], -v[160:161]
	v_add_f64 v[32:33], v[134:135], v[32:33]
	v_add_f64 v[146:147], v[134:135], v[146:147]
	;; [unrolled: 1-line block ×3, first 2 shown]
	v_rcp_f64_e32 v[160:161], v[134:135]
	v_add_f64 v[148:149], v[144:145], v[146:147]
	v_add_f64 v[144:145], v[148:149], -v[144:145]
	v_add_f64 v[144:145], v[146:147], -v[144:145]
	;; [unrolled: 1-line block ×4, first 2 shown]
	v_fma_f64 v[146:147], -v[134:135], v[160:161], 1.0
	v_fmac_f64_e32 v[160:161], v[146:147], v[160:161]
	v_fma_f64 v[146:147], -v[134:135], v[160:161], 1.0
	v_fmac_f64_e32 v[160:161], v[146:147], v[160:161]
	v_mul_f64 v[146:147], v[148:149], v[160:161]
	v_mul_f64 v[150:151], v[134:135], v[146:147]
	v_fma_f64 v[162:163], v[146:147], v[134:135], -v[150:151]
	v_fmac_f64_e32 v[162:163], v[146:147], v[32:33]
	v_add_f64 v[164:165], v[150:151], v[162:163]
	v_add_f64 v[166:167], v[148:149], -v[164:165]
	v_add_f64 v[148:149], v[148:149], -v[166:167]
	;; [unrolled: 1-line block ×4, first 2 shown]
	v_add_f64 v[144:145], v[144:145], v[148:149]
	v_add_f64 v[148:149], v[150:151], -v[162:163]
	v_add_f64 v[144:145], v[148:149], v[144:145]
	v_add_f64 v[148:149], v[166:167], v[144:145]
	v_add_f64 v[150:151], v[166:167], -v[148:149]
	v_add_f64 v[144:145], v[144:145], v[150:151]
	v_mul_f64 v[150:151], v[160:161], v[148:149]
	v_mul_f64 v[162:163], v[134:135], v[150:151]
	v_fma_f64 v[134:135], v[150:151], v[134:135], -v[162:163]
	v_fmac_f64_e32 v[134:135], v[150:151], v[32:33]
	v_add_f64 v[32:33], v[162:163], v[134:135]
	v_add_f64 v[164:165], v[148:149], -v[32:33]
	v_add_f64 v[148:149], v[148:149], -v[164:165]
	;; [unrolled: 1-line block ×4, first 2 shown]
	v_add_f64 v[32:33], v[144:145], v[32:33]
	v_add_f64 v[134:135], v[162:163], -v[134:135]
	v_add_f64 v[32:33], v[134:135], v[32:33]
	v_add_f64 v[134:135], v[146:147], v[150:151]
	;; [unrolled: 1-line block ×3, first 2 shown]
	v_add_f64 v[144:145], v[134:135], -v[146:147]
	v_mul_f64 v[32:33], v[160:161], v[32:33]
	v_add_f64 v[144:145], v[150:151], -v[144:145]
	v_add_f64 v[32:33], v[144:145], v[32:33]
	v_add_f64 v[144:145], v[134:135], v[32:33]
	v_add_f64 v[134:135], v[144:145], -v[134:135]
	s_mov_b32 s30, 0xbf559e2b
	v_add_f64 v[32:33], v[32:33], -v[134:135]
	v_mul_f64 v[134:135], v[144:145], v[144:145]
	v_mov_b32_e32 v146, 0x6b47b09a
	v_mov_b32_e32 v147, 0x3fc38538
	s_mov_b32 s31, 0x3fc3ab76
	v_fmac_f64_e32 v[146:147], s[30:31], v[134:135]
	v_mov_b32_e32 v148, 0xd7f4df2e
	v_mov_b32_e32 v149, 0x3fc7474d
	v_fmac_f64_e32 v[148:149], v[134:135], v[146:147]
	v_mov_b32_e32 v146, 0x16291751
	v_mov_b32_e32 v147, 0x3fcc71c0
	;; [unrolled: 3-line block ×5, first 2 shown]
	v_fmac_f64_e32 v[148:149], v[134:135], v[146:147]
	v_cvt_f64_i32_e32 v[146:147], v53
	v_mul_f64 v[150:151], v[146:147], s[40:41]
	v_fma_f64 v[160:161], v[146:147], s[40:41], -v[150:151]
	v_fmac_f64_e32 v[160:161], s[42:43], v[146:147]
	v_add_f64 v[146:147], v[150:151], v[160:161]
	v_add_f64 v[150:151], v[146:147], -v[150:151]
	v_mul_f64 v[134:135], v[144:145], v[134:135]
	v_add_f64 v[150:151], v[160:161], -v[150:151]
	v_ldexp_f64 v[160:161], v[144:145], 1
	v_mul_f64 v[134:135], v[134:135], v[148:149]
	v_add_f64 v[144:145], v[160:161], v[134:135]
	v_add_f64 v[148:149], v[144:145], -v[160:161]
	v_ldexp_f64 v[32:33], v[32:33], 1
	v_add_f64 v[134:135], v[134:135], -v[148:149]
	v_add_f64 v[32:33], v[32:33], v[134:135]
	v_add_f64 v[134:135], v[144:145], v[32:33]
	v_add_f64 v[144:145], v[134:135], -v[144:145]
	v_add_f64 v[32:33], v[32:33], -v[144:145]
	v_add_f64 v[144:145], v[146:147], v[134:135]
	v_add_f64 v[148:149], v[144:145], -v[146:147]
	v_add_f64 v[160:161], v[144:145], -v[148:149]
	;; [unrolled: 1-line block ×4, first 2 shown]
	v_add_f64 v[134:135], v[134:135], v[146:147]
	v_add_f64 v[146:147], v[150:151], v[32:33]
	v_add_f64 v[148:149], v[146:147], -v[150:151]
	v_add_f64 v[134:135], v[146:147], v[134:135]
	v_add_f64 v[160:161], v[146:147], -v[148:149]
	;; [unrolled: 2-line block ×3, first 2 shown]
	v_add_f64 v[32:33], v[32:33], -v[148:149]
	v_add_f64 v[144:145], v[146:147], -v[144:145]
	v_add_f64 v[32:33], v[32:33], v[150:151]
	v_add_f64 v[134:135], v[134:135], -v[144:145]
	s_mov_b32 s30, 0
	v_add_f64 v[32:33], v[32:33], v[134:135]
	s_mov_b32 s31, 0x7ff00000
	v_add_f64 v[32:33], v[146:147], v[32:33]
	v_cmp_eq_f64_e64 s[30:31], s[30:31], v[6:7]
	v_mov_b32_e32 v53, 0x7ff80000
	s_nop 0
	v_cndmask_b32_e64 v32, v32, v6, s[30:31]
	v_cndmask_b32_e64 v33, v33, v7, s[30:31]
	v_cmp_ngt_f64_e64 s[30:31], -1.0, v[6:7]
	s_nop 1
	v_cndmask_b32_e64 v33, v53, v33, s[30:31]
	v_cmp_nge_f64_e64 s[30:31], -1.0, v[6:7]
	v_mov_b32_e32 v53, 0xfff00000
	s_nop 0
	v_cndmask_b32_e64 v32, 0, v32, s[30:31]
	v_cmp_neq_f64_e64 s[30:31], -1.0, v[6:7]
	s_nop 1
	v_cndmask_b32_e64 v33, v53, v33, s[30:31]
	v_add_f64 v[134:135], v[4:5], v[32:33]
.LBB70_290:
	s_or_b64 exec, exec, s[38:39]
	v_max_f64 v[32:33], v[130:131], v[130:131]
	v_max_f64 v[4:5], v[134:135], v[134:135]
	v_min_f64 v[6:7], v[4:5], v[32:33]
	v_cmp_u_f64_e64 s[36:37], v[134:135], v[134:135]
	v_max_f64 v[4:5], v[4:5], v[32:33]
	v_cmp_u_f64_e64 s[30:31], v[130:131], v[130:131]
	v_cndmask_b32_e64 v6, v6, v134, s[36:37]
	v_cndmask_b32_e64 v7, v7, v135, s[36:37]
	;; [unrolled: 1-line block ×8, first 2 shown]
	v_cmp_neq_f64_e64 s[36:37], v[6:7], v[4:5]
	v_cmp_class_f64_e64 s[38:39], v[6:7], s44
	s_or_b64 s[36:37], s[36:37], s[38:39]
	s_and_saveexec_b64 s[40:41], s[36:37]
	s_cbranch_execz .LBB70_292
; %bb.291:
	s_mov_b32 s36, 0x652b82fe
	v_add_f64 v[6:7], v[6:7], -v[4:5]
	s_mov_b32 s37, 0x3ff71547
	v_mul_f64 v[134:135], v[6:7], s[36:37]
	v_rndne_f64_e32 v[134:135], v[134:135]
	s_mov_b32 s43, 0xbfe62e42
	s_mov_b32 s42, 0xfefa39ef
	v_fma_f64 v[144:145], s[42:43], v[134:135], v[6:7]
	s_mov_b32 s45, 0xbc7abc9e
	s_mov_b32 s44, 0x3b39803f
	;; [unrolled: 1-line block ×3, first 2 shown]
	v_fmac_f64_e32 v[144:145], s[44:45], v[134:135]
	v_mov_b32_e32 v146, 0xfca7ab0c
	v_mov_b32_e32 v147, 0x3e928af3
	s_mov_b32 s37, 0x3e5ade15
	v_fmac_f64_e32 v[146:147], s[36:37], v[144:145]
	v_mov_b32_e32 v148, 0x623fde64
	v_mov_b32_e32 v149, 0x3ec71dee
	v_fmac_f64_e32 v[148:149], v[144:145], v[146:147]
	v_mov_b32_e32 v146, 0x7c89e6b0
	v_mov_b32_e32 v147, 0x3efa0199
	;; [unrolled: 3-line block ×8, first 2 shown]
	v_fmac_f64_e32 v[146:147], v[144:145], v[148:149]
	v_fma_f64 v[146:147], v[144:145], v[146:147], 1.0
	s_mov_b32 s36, 0
	s_mov_b32 s38, 0
	v_fma_f64 v[144:145], v[144:145], v[146:147], 1.0
	v_cvt_i32_f64_e32 v53, v[134:135]
	s_mov_b32 s37, 0x40900000
	s_mov_b32 s39, 0xc090cc00
	v_ldexp_f64 v[134:135], v[144:145], v53
	v_mov_b32_e32 v53, 0x7ff00000
	v_cmp_nlt_f64_e64 s[36:37], s[36:37], v[6:7]
	v_cmp_ngt_f64_e64 s[38:39], s[38:39], v[6:7]
	s_mov_b32 s43, 0x3fe62e42
	v_cndmask_b32_e64 v53, v53, v135, s[36:37]
	s_and_b64 s[36:37], s[38:39], s[36:37]
	v_cndmask_b32_e64 v7, 0, v53, s[38:39]
	v_cndmask_b32_e64 v6, 0, v134, s[36:37]
	v_add_f64 v[134:135], v[6:7], 1.0
	v_add_f64 v[144:145], v[134:135], -1.0
	v_add_f64 v[146:147], v[144:145], -v[134:135]
	v_add_f64 v[146:147], v[146:147], 1.0
	v_add_f64 v[144:145], v[6:7], -v[144:145]
	s_mov_b32 s36, 0x55555555
	v_add_f64 v[144:145], v[144:145], v[146:147]
	v_frexp_mant_f64_e32 v[146:147], v[134:135]
	s_mov_b32 s37, 0x3fe55555
	v_frexp_exp_i32_f64_e32 v53, v[134:135]
	v_cmp_gt_f64_e64 s[36:37], s[36:37], v[146:147]
	s_mov_b32 s45, 0x3c7abc9e
	s_nop 0
	v_subbrev_co_u32_e64 v53, s[36:37], 0, v53, s[36:37]
	v_sub_u32_e32 v71, 0, v53
	v_ldexp_f64 v[134:135], v[134:135], v71
	v_add_f64 v[146:147], v[134:135], -1.0
	v_add_f64 v[160:161], v[134:135], 1.0
	v_add_f64 v[148:149], v[146:147], 1.0
	v_add_f64 v[162:163], v[160:161], -1.0
	v_ldexp_f64 v[144:145], v[144:145], v71
	v_add_f64 v[148:149], v[134:135], -v[148:149]
	v_add_f64 v[134:135], v[134:135], -v[162:163]
	v_add_f64 v[134:135], v[144:145], v[134:135]
	v_add_f64 v[148:149], v[144:145], v[148:149]
	;; [unrolled: 1-line block ×3, first 2 shown]
	v_rcp_f64_e32 v[162:163], v[144:145]
	v_add_f64 v[150:151], v[146:147], v[148:149]
	v_add_f64 v[146:147], v[150:151], -v[146:147]
	v_add_f64 v[146:147], v[148:149], -v[146:147]
	;; [unrolled: 1-line block ×4, first 2 shown]
	v_fma_f64 v[148:149], -v[144:145], v[162:163], 1.0
	v_fmac_f64_e32 v[162:163], v[148:149], v[162:163]
	v_fma_f64 v[148:149], -v[144:145], v[162:163], 1.0
	v_fmac_f64_e32 v[162:163], v[148:149], v[162:163]
	v_mul_f64 v[148:149], v[150:151], v[162:163]
	v_mul_f64 v[160:161], v[144:145], v[148:149]
	v_fma_f64 v[164:165], v[148:149], v[144:145], -v[160:161]
	v_fmac_f64_e32 v[164:165], v[148:149], v[134:135]
	v_add_f64 v[166:167], v[160:161], v[164:165]
	v_add_f64 v[176:177], v[150:151], -v[166:167]
	v_add_f64 v[150:151], v[150:151], -v[176:177]
	;; [unrolled: 1-line block ×4, first 2 shown]
	v_add_f64 v[146:147], v[146:147], v[150:151]
	v_add_f64 v[150:151], v[160:161], -v[164:165]
	v_add_f64 v[146:147], v[150:151], v[146:147]
	v_add_f64 v[150:151], v[176:177], v[146:147]
	v_add_f64 v[160:161], v[176:177], -v[150:151]
	v_add_f64 v[146:147], v[146:147], v[160:161]
	v_mul_f64 v[160:161], v[162:163], v[150:151]
	v_mul_f64 v[164:165], v[144:145], v[160:161]
	v_fma_f64 v[144:145], v[160:161], v[144:145], -v[164:165]
	v_fmac_f64_e32 v[144:145], v[160:161], v[134:135]
	v_add_f64 v[134:135], v[164:165], v[144:145]
	v_add_f64 v[166:167], v[150:151], -v[134:135]
	v_add_f64 v[150:151], v[150:151], -v[166:167]
	;; [unrolled: 1-line block ×4, first 2 shown]
	v_add_f64 v[134:135], v[146:147], v[134:135]
	v_add_f64 v[144:145], v[164:165], -v[144:145]
	v_add_f64 v[134:135], v[144:145], v[134:135]
	v_add_f64 v[144:145], v[148:149], v[160:161]
	v_add_f64 v[134:135], v[166:167], v[134:135]
	v_add_f64 v[146:147], v[144:145], -v[148:149]
	v_mul_f64 v[134:135], v[162:163], v[134:135]
	v_add_f64 v[146:147], v[160:161], -v[146:147]
	v_add_f64 v[134:135], v[146:147], v[134:135]
	v_add_f64 v[146:147], v[144:145], v[134:135]
	v_add_f64 v[144:145], v[146:147], -v[144:145]
	s_mov_b32 s36, 0xbf559e2b
	v_add_f64 v[134:135], v[134:135], -v[144:145]
	v_mul_f64 v[144:145], v[146:147], v[146:147]
	v_mov_b32_e32 v148, 0x6b47b09a
	v_mov_b32_e32 v149, 0x3fc38538
	s_mov_b32 s37, 0x3fc3ab76
	v_fmac_f64_e32 v[148:149], s[36:37], v[144:145]
	v_mov_b32_e32 v150, 0xd7f4df2e
	v_mov_b32_e32 v151, 0x3fc7474d
	v_fmac_f64_e32 v[150:151], v[144:145], v[148:149]
	v_mov_b32_e32 v148, 0x16291751
	v_mov_b32_e32 v149, 0x3fcc71c0
	;; [unrolled: 3-line block ×5, first 2 shown]
	v_fmac_f64_e32 v[150:151], v[144:145], v[148:149]
	v_cvt_f64_i32_e32 v[148:149], v53
	v_mul_f64 v[160:161], v[148:149], s[42:43]
	v_fma_f64 v[162:163], v[148:149], s[42:43], -v[160:161]
	v_fmac_f64_e32 v[162:163], s[44:45], v[148:149]
	v_add_f64 v[148:149], v[160:161], v[162:163]
	v_add_f64 v[160:161], v[148:149], -v[160:161]
	v_mul_f64 v[144:145], v[146:147], v[144:145]
	v_add_f64 v[160:161], v[162:163], -v[160:161]
	v_ldexp_f64 v[162:163], v[146:147], 1
	v_mul_f64 v[144:145], v[144:145], v[150:151]
	v_add_f64 v[146:147], v[162:163], v[144:145]
	v_add_f64 v[150:151], v[146:147], -v[162:163]
	v_ldexp_f64 v[134:135], v[134:135], 1
	v_add_f64 v[144:145], v[144:145], -v[150:151]
	v_add_f64 v[134:135], v[134:135], v[144:145]
	v_add_f64 v[144:145], v[146:147], v[134:135]
	v_add_f64 v[146:147], v[144:145], -v[146:147]
	v_add_f64 v[134:135], v[134:135], -v[146:147]
	v_add_f64 v[146:147], v[148:149], v[144:145]
	v_add_f64 v[150:151], v[146:147], -v[148:149]
	v_add_f64 v[162:163], v[146:147], -v[150:151]
	;; [unrolled: 1-line block ×4, first 2 shown]
	v_add_f64 v[144:145], v[144:145], v[148:149]
	v_add_f64 v[148:149], v[160:161], v[134:135]
	v_add_f64 v[150:151], v[148:149], -v[160:161]
	v_add_f64 v[144:145], v[148:149], v[144:145]
	v_add_f64 v[162:163], v[148:149], -v[150:151]
	;; [unrolled: 2-line block ×3, first 2 shown]
	v_add_f64 v[134:135], v[134:135], -v[150:151]
	v_add_f64 v[146:147], v[148:149], -v[146:147]
	v_add_f64 v[134:135], v[134:135], v[160:161]
	v_add_f64 v[144:145], v[144:145], -v[146:147]
	s_mov_b32 s36, 0
	v_add_f64 v[134:135], v[134:135], v[144:145]
	s_mov_b32 s37, 0x7ff00000
	v_add_f64 v[134:135], v[148:149], v[134:135]
	v_cmp_eq_f64_e64 s[36:37], s[36:37], v[6:7]
	s_nop 1
	v_cndmask_b32_e64 v53, v134, v6, s[36:37]
	v_cndmask_b32_e64 v71, v135, v7, s[36:37]
	v_mov_b32_e32 v134, 0x7ff80000
	v_cmp_ngt_f64_e64 s[36:37], -1.0, v[6:7]
	s_nop 1
	v_cndmask_b32_e64 v71, v134, v71, s[36:37]
	v_cmp_nge_f64_e64 s[36:37], -1.0, v[6:7]
	s_nop 1
	v_cndmask_b32_e64 v134, 0, v53, s[36:37]
	v_mov_b32_e32 v53, 0xfff00000
	v_cmp_neq_f64_e64 s[36:37], -1.0, v[6:7]
	s_nop 1
	v_cndmask_b32_e64 v135, v53, v71, s[36:37]
	v_add_f64 v[134:135], v[4:5], v[134:135]
.LBB70_292:
	s_or_b64 exec, exec, s[40:41]
	v_lshrrev_b32_e32 v4, 5, v70
	v_add_lshl_u32 v4, v4, v70, 3
	v_cmp_gt_u32_e64 s[36:37], 64, v70
	ds_write_b64 v4, v[134:135]
	s_waitcnt lgkmcnt(0)
	s_barrier
	s_and_saveexec_b64 s[42:43], s[36:37]
	s_cbranch_execz .LBB70_332
; %bb.293:
	v_lshlrev_b32_e32 v4, 2, v70
	v_lshrrev_b32_e32 v5, 3, v70
	v_add_lshl_u32 v53, v5, v4, 3
	ds_read2_b64 v[4:7], v53 offset1:1
	s_movk_i32 s50, 0x1f8
	s_waitcnt lgkmcnt(0)
	v_max_f64 v[146:147], v[6:7], v[6:7]
	v_max_f64 v[144:145], v[4:5], v[4:5]
	v_min_f64 v[148:149], v[144:145], v[146:147]
	v_cmp_u_f64_e64 s[36:37], v[4:5], v[4:5]
	v_cmp_u_f64_e64 s[38:39], v[6:7], v[6:7]
	v_max_f64 v[146:147], v[144:145], v[146:147]
	v_cndmask_b32_e64 v71, v148, v4, s[36:37]
	v_cndmask_b32_e64 v148, v149, v5, s[36:37]
	;; [unrolled: 1-line block ×8, first 2 shown]
	v_cmp_neq_f64_e64 s[38:39], v[148:149], v[146:147]
	v_cmp_class_f64_e64 s[40:41], v[148:149], s50
	s_or_b64 s[38:39], s[38:39], s[40:41]
	v_mov_b64_e32 v[6:7], v[4:5]
	s_and_saveexec_b64 s[44:45], s[38:39]
	s_cbranch_execz .LBB70_295
; %bb.294:
	s_mov_b32 s38, 0x652b82fe
	v_add_f64 v[6:7], v[148:149], -v[146:147]
	s_mov_b32 s39, 0x3ff71547
	v_mul_f64 v[148:149], v[6:7], s[38:39]
	v_rndne_f64_e32 v[148:149], v[148:149]
	s_mov_b32 s47, 0xbfe62e42
	s_mov_b32 s46, 0xfefa39ef
	v_fma_f64 v[150:151], s[46:47], v[148:149], v[6:7]
	s_mov_b32 s49, 0xbc7abc9e
	s_mov_b32 s48, 0x3b39803f
	;; [unrolled: 1-line block ×3, first 2 shown]
	v_fmac_f64_e32 v[150:151], s[48:49], v[148:149]
	v_mov_b32_e32 v160, 0xfca7ab0c
	v_mov_b32_e32 v161, 0x3e928af3
	s_mov_b32 s39, 0x3e5ade15
	v_fmac_f64_e32 v[160:161], s[38:39], v[150:151]
	v_mov_b32_e32 v162, 0x623fde64
	v_mov_b32_e32 v163, 0x3ec71dee
	v_fmac_f64_e32 v[162:163], v[150:151], v[160:161]
	v_mov_b32_e32 v160, 0x7c89e6b0
	v_mov_b32_e32 v161, 0x3efa0199
	;; [unrolled: 3-line block ×8, first 2 shown]
	v_fmac_f64_e32 v[160:161], v[150:151], v[162:163]
	v_fma_f64 v[160:161], v[150:151], v[160:161], 1.0
	s_mov_b32 s38, 0
	s_mov_b32 s40, 0
	v_fma_f64 v[150:151], v[150:151], v[160:161], 1.0
	v_cvt_i32_f64_e32 v71, v[148:149]
	s_mov_b32 s39, 0x40900000
	s_mov_b32 s41, 0xc090cc00
	v_ldexp_f64 v[148:149], v[150:151], v71
	v_mov_b32_e32 v71, 0x7ff00000
	v_cmp_nlt_f64_e64 s[38:39], s[38:39], v[6:7]
	v_cmp_ngt_f64_e64 s[40:41], s[40:41], v[6:7]
	s_mov_b32 s47, 0x3fe62e42
	v_cndmask_b32_e64 v71, v71, v149, s[38:39]
	s_and_b64 s[38:39], s[40:41], s[38:39]
	v_cndmask_b32_e64 v7, 0, v71, s[40:41]
	v_cndmask_b32_e64 v6, 0, v148, s[38:39]
	v_add_f64 v[148:149], v[6:7], 1.0
	v_add_f64 v[150:151], v[148:149], -1.0
	v_add_f64 v[160:161], v[150:151], -v[148:149]
	v_add_f64 v[160:161], v[160:161], 1.0
	v_add_f64 v[150:151], v[6:7], -v[150:151]
	s_mov_b32 s38, 0x55555555
	v_add_f64 v[150:151], v[150:151], v[160:161]
	v_frexp_mant_f64_e32 v[160:161], v[148:149]
	s_mov_b32 s39, 0x3fe55555
	v_frexp_exp_i32_f64_e32 v71, v[148:149]
	v_cmp_gt_f64_e64 s[38:39], s[38:39], v[160:161]
	s_mov_b32 s49, 0x3c7abc9e
	s_nop 0
	v_subbrev_co_u32_e64 v71, s[38:39], 0, v71, s[38:39]
	v_sub_u32_e32 v160, 0, v71
	v_ldexp_f64 v[148:149], v[148:149], v160
	v_ldexp_f64 v[150:151], v[150:151], v160
	v_add_f64 v[160:161], v[148:149], -1.0
	v_add_f64 v[166:167], v[148:149], 1.0
	v_add_f64 v[162:163], v[160:161], 1.0
	v_add_f64 v[176:177], v[166:167], -1.0
	v_add_f64 v[162:163], v[148:149], -v[162:163]
	v_add_f64 v[148:149], v[148:149], -v[176:177]
	v_add_f64 v[148:149], v[150:151], v[148:149]
	v_add_f64 v[162:163], v[150:151], v[162:163]
	;; [unrolled: 1-line block ×3, first 2 shown]
	v_rcp_f64_e32 v[176:177], v[150:151]
	v_add_f64 v[164:165], v[160:161], v[162:163]
	v_add_f64 v[160:161], v[164:165], -v[160:161]
	v_add_f64 v[160:161], v[162:163], -v[160:161]
	;; [unrolled: 1-line block ×4, first 2 shown]
	v_fma_f64 v[162:163], -v[150:151], v[176:177], 1.0
	v_fmac_f64_e32 v[176:177], v[162:163], v[176:177]
	v_fma_f64 v[162:163], -v[150:151], v[176:177], 1.0
	v_fmac_f64_e32 v[176:177], v[162:163], v[176:177]
	v_mul_f64 v[162:163], v[164:165], v[176:177]
	v_mul_f64 v[166:167], v[150:151], v[162:163]
	v_fma_f64 v[178:179], v[162:163], v[150:151], -v[166:167]
	v_fmac_f64_e32 v[178:179], v[162:163], v[148:149]
	v_add_f64 v[180:181], v[166:167], v[178:179]
	v_add_f64 v[182:183], v[164:165], -v[180:181]
	v_add_f64 v[164:165], v[164:165], -v[182:183]
	;; [unrolled: 1-line block ×4, first 2 shown]
	v_add_f64 v[160:161], v[160:161], v[164:165]
	v_add_f64 v[164:165], v[166:167], -v[178:179]
	v_add_f64 v[160:161], v[164:165], v[160:161]
	v_add_f64 v[164:165], v[182:183], v[160:161]
	v_add_f64 v[166:167], v[182:183], -v[164:165]
	v_add_f64 v[160:161], v[160:161], v[166:167]
	v_mul_f64 v[166:167], v[176:177], v[164:165]
	v_mul_f64 v[178:179], v[150:151], v[166:167]
	v_fma_f64 v[150:151], v[166:167], v[150:151], -v[178:179]
	v_fmac_f64_e32 v[150:151], v[166:167], v[148:149]
	v_add_f64 v[148:149], v[178:179], v[150:151]
	v_add_f64 v[180:181], v[164:165], -v[148:149]
	v_add_f64 v[164:165], v[164:165], -v[180:181]
	;; [unrolled: 1-line block ×4, first 2 shown]
	v_add_f64 v[148:149], v[160:161], v[148:149]
	v_add_f64 v[150:151], v[178:179], -v[150:151]
	v_add_f64 v[148:149], v[150:151], v[148:149]
	v_add_f64 v[150:151], v[162:163], v[166:167]
	;; [unrolled: 1-line block ×3, first 2 shown]
	v_add_f64 v[160:161], v[150:151], -v[162:163]
	v_mul_f64 v[148:149], v[176:177], v[148:149]
	v_add_f64 v[160:161], v[166:167], -v[160:161]
	v_add_f64 v[148:149], v[160:161], v[148:149]
	v_add_f64 v[160:161], v[150:151], v[148:149]
	v_add_f64 v[150:151], v[160:161], -v[150:151]
	s_mov_b32 s38, 0xbf559e2b
	v_add_f64 v[148:149], v[148:149], -v[150:151]
	v_mul_f64 v[150:151], v[160:161], v[160:161]
	v_mov_b32_e32 v162, 0x6b47b09a
	v_mov_b32_e32 v163, 0x3fc38538
	s_mov_b32 s39, 0x3fc3ab76
	v_fmac_f64_e32 v[162:163], s[38:39], v[150:151]
	v_mov_b32_e32 v164, 0xd7f4df2e
	v_mov_b32_e32 v165, 0x3fc7474d
	v_fmac_f64_e32 v[164:165], v[150:151], v[162:163]
	v_mov_b32_e32 v162, 0x16291751
	v_mov_b32_e32 v163, 0x3fcc71c0
	;; [unrolled: 3-line block ×5, first 2 shown]
	v_fmac_f64_e32 v[164:165], v[150:151], v[162:163]
	v_cvt_f64_i32_e32 v[162:163], v71
	v_mul_f64 v[166:167], v[162:163], s[46:47]
	v_fma_f64 v[176:177], v[162:163], s[46:47], -v[166:167]
	v_fmac_f64_e32 v[176:177], s[48:49], v[162:163]
	v_add_f64 v[162:163], v[166:167], v[176:177]
	v_add_f64 v[166:167], v[162:163], -v[166:167]
	v_mul_f64 v[150:151], v[160:161], v[150:151]
	v_add_f64 v[166:167], v[176:177], -v[166:167]
	v_ldexp_f64 v[176:177], v[160:161], 1
	v_mul_f64 v[150:151], v[150:151], v[164:165]
	v_add_f64 v[160:161], v[176:177], v[150:151]
	v_add_f64 v[164:165], v[160:161], -v[176:177]
	v_ldexp_f64 v[148:149], v[148:149], 1
	v_add_f64 v[150:151], v[150:151], -v[164:165]
	v_add_f64 v[148:149], v[148:149], v[150:151]
	v_add_f64 v[150:151], v[160:161], v[148:149]
	v_add_f64 v[160:161], v[150:151], -v[160:161]
	v_add_f64 v[148:149], v[148:149], -v[160:161]
	v_add_f64 v[160:161], v[162:163], v[150:151]
	v_add_f64 v[164:165], v[160:161], -v[162:163]
	v_add_f64 v[176:177], v[160:161], -v[164:165]
	;; [unrolled: 1-line block ×4, first 2 shown]
	v_add_f64 v[150:151], v[150:151], v[162:163]
	v_add_f64 v[162:163], v[166:167], v[148:149]
	v_add_f64 v[164:165], v[162:163], -v[166:167]
	v_add_f64 v[150:151], v[162:163], v[150:151]
	v_add_f64 v[176:177], v[162:163], -v[164:165]
	;; [unrolled: 2-line block ×3, first 2 shown]
	v_add_f64 v[148:149], v[148:149], -v[164:165]
	v_add_f64 v[160:161], v[162:163], -v[160:161]
	v_add_f64 v[148:149], v[148:149], v[166:167]
	v_add_f64 v[150:151], v[150:151], -v[160:161]
	s_mov_b32 s38, 0
	v_add_f64 v[148:149], v[148:149], v[150:151]
	s_mov_b32 s39, 0x7ff00000
	v_add_f64 v[148:149], v[162:163], v[148:149]
	v_cmp_eq_f64_e64 s[38:39], s[38:39], v[6:7]
	s_nop 1
	v_cndmask_b32_e64 v71, v148, v6, s[38:39]
	v_cndmask_b32_e64 v148, v149, v7, s[38:39]
	v_mov_b32_e32 v149, 0x7ff80000
	v_cmp_ngt_f64_e64 s[38:39], -1.0, v[6:7]
	s_nop 1
	v_cndmask_b32_e64 v149, v149, v148, s[38:39]
	v_cmp_nge_f64_e64 s[38:39], -1.0, v[6:7]
	s_nop 1
	v_cndmask_b32_e64 v148, 0, v71, s[38:39]
	v_mov_b32_e32 v71, 0xfff00000
	v_cmp_neq_f64_e64 s[38:39], -1.0, v[6:7]
	s_nop 1
	v_cndmask_b32_e64 v149, v71, v149, s[38:39]
	v_add_f64 v[6:7], v[146:147], v[148:149]
.LBB70_295:
	s_or_b64 exec, exec, s[44:45]
	ds_read_b64 v[146:147], v53 offset:16
	v_max_f64 v[150:151], v[6:7], v[6:7]
	v_cmp_u_f64_e64 s[38:39], v[6:7], v[6:7]
	s_waitcnt lgkmcnt(0)
	v_max_f64 v[160:161], v[146:147], v[146:147]
	v_min_f64 v[148:149], v[150:151], v[160:161]
	v_cndmask_b32_e64 v71, v148, v6, s[38:39]
	v_cndmask_b32_e64 v148, v149, v7, s[38:39]
	v_cmp_u_f64_e64 s[40:41], v[146:147], v[146:147]
	v_max_f64 v[150:151], v[150:151], v[160:161]
	s_nop 0
	v_cndmask_b32_e64 v149, v148, v147, s[40:41]
	v_cndmask_b32_e64 v148, v71, v146, s[40:41]
	;; [unrolled: 1-line block ×6, first 2 shown]
	v_cmp_neq_f64_e64 s[38:39], v[148:149], v[146:147]
	v_cmp_class_f64_e64 s[40:41], v[148:149], s50
	s_or_b64 s[38:39], s[38:39], s[40:41]
	s_and_saveexec_b64 s[44:45], s[38:39]
	s_cbranch_execz .LBB70_297
; %bb.296:
	s_mov_b32 s38, 0x652b82fe
	v_add_f64 v[6:7], v[148:149], -v[146:147]
	s_mov_b32 s39, 0x3ff71547
	v_mul_f64 v[148:149], v[6:7], s[38:39]
	v_rndne_f64_e32 v[148:149], v[148:149]
	s_mov_b32 s47, 0xbfe62e42
	s_mov_b32 s46, 0xfefa39ef
	v_fma_f64 v[150:151], s[46:47], v[148:149], v[6:7]
	s_mov_b32 s49, 0xbc7abc9e
	s_mov_b32 s48, 0x3b39803f
	;; [unrolled: 1-line block ×3, first 2 shown]
	v_fmac_f64_e32 v[150:151], s[48:49], v[148:149]
	v_mov_b32_e32 v160, 0xfca7ab0c
	v_mov_b32_e32 v161, 0x3e928af3
	s_mov_b32 s39, 0x3e5ade15
	v_fmac_f64_e32 v[160:161], s[38:39], v[150:151]
	v_mov_b32_e32 v162, 0x623fde64
	v_mov_b32_e32 v163, 0x3ec71dee
	v_fmac_f64_e32 v[162:163], v[150:151], v[160:161]
	v_mov_b32_e32 v160, 0x7c89e6b0
	v_mov_b32_e32 v161, 0x3efa0199
	;; [unrolled: 3-line block ×8, first 2 shown]
	v_fmac_f64_e32 v[160:161], v[150:151], v[162:163]
	v_fma_f64 v[160:161], v[150:151], v[160:161], 1.0
	s_mov_b32 s38, 0
	s_mov_b32 s40, 0
	v_fma_f64 v[150:151], v[150:151], v[160:161], 1.0
	v_cvt_i32_f64_e32 v71, v[148:149]
	s_mov_b32 s39, 0x40900000
	s_mov_b32 s41, 0xc090cc00
	v_ldexp_f64 v[148:149], v[150:151], v71
	v_mov_b32_e32 v71, 0x7ff00000
	v_cmp_nlt_f64_e64 s[38:39], s[38:39], v[6:7]
	v_cmp_ngt_f64_e64 s[40:41], s[40:41], v[6:7]
	s_mov_b32 s47, 0x3fe62e42
	v_cndmask_b32_e64 v71, v71, v149, s[38:39]
	s_and_b64 s[38:39], s[40:41], s[38:39]
	v_cndmask_b32_e64 v7, 0, v71, s[40:41]
	v_cndmask_b32_e64 v6, 0, v148, s[38:39]
	v_add_f64 v[148:149], v[6:7], 1.0
	v_add_f64 v[150:151], v[148:149], -1.0
	v_add_f64 v[160:161], v[150:151], -v[148:149]
	v_add_f64 v[160:161], v[160:161], 1.0
	v_add_f64 v[150:151], v[6:7], -v[150:151]
	s_mov_b32 s38, 0x55555555
	v_add_f64 v[150:151], v[150:151], v[160:161]
	v_frexp_mant_f64_e32 v[160:161], v[148:149]
	s_mov_b32 s39, 0x3fe55555
	v_frexp_exp_i32_f64_e32 v71, v[148:149]
	v_cmp_gt_f64_e64 s[38:39], s[38:39], v[160:161]
	s_mov_b32 s49, 0x3c7abc9e
	s_nop 0
	v_subbrev_co_u32_e64 v71, s[38:39], 0, v71, s[38:39]
	v_sub_u32_e32 v160, 0, v71
	v_ldexp_f64 v[148:149], v[148:149], v160
	v_ldexp_f64 v[150:151], v[150:151], v160
	v_add_f64 v[160:161], v[148:149], -1.0
	v_add_f64 v[166:167], v[148:149], 1.0
	v_add_f64 v[162:163], v[160:161], 1.0
	v_add_f64 v[176:177], v[166:167], -1.0
	v_add_f64 v[162:163], v[148:149], -v[162:163]
	v_add_f64 v[148:149], v[148:149], -v[176:177]
	v_add_f64 v[148:149], v[150:151], v[148:149]
	v_add_f64 v[162:163], v[150:151], v[162:163]
	;; [unrolled: 1-line block ×3, first 2 shown]
	v_rcp_f64_e32 v[176:177], v[150:151]
	v_add_f64 v[164:165], v[160:161], v[162:163]
	v_add_f64 v[160:161], v[164:165], -v[160:161]
	v_add_f64 v[160:161], v[162:163], -v[160:161]
	;; [unrolled: 1-line block ×4, first 2 shown]
	v_fma_f64 v[162:163], -v[150:151], v[176:177], 1.0
	v_fmac_f64_e32 v[176:177], v[162:163], v[176:177]
	v_fma_f64 v[162:163], -v[150:151], v[176:177], 1.0
	v_fmac_f64_e32 v[176:177], v[162:163], v[176:177]
	v_mul_f64 v[162:163], v[164:165], v[176:177]
	v_mul_f64 v[166:167], v[150:151], v[162:163]
	v_fma_f64 v[178:179], v[162:163], v[150:151], -v[166:167]
	v_fmac_f64_e32 v[178:179], v[162:163], v[148:149]
	v_add_f64 v[180:181], v[166:167], v[178:179]
	v_add_f64 v[182:183], v[164:165], -v[180:181]
	v_add_f64 v[164:165], v[164:165], -v[182:183]
	;; [unrolled: 1-line block ×4, first 2 shown]
	v_add_f64 v[160:161], v[160:161], v[164:165]
	v_add_f64 v[164:165], v[166:167], -v[178:179]
	v_add_f64 v[160:161], v[164:165], v[160:161]
	v_add_f64 v[164:165], v[182:183], v[160:161]
	v_add_f64 v[166:167], v[182:183], -v[164:165]
	v_add_f64 v[160:161], v[160:161], v[166:167]
	v_mul_f64 v[166:167], v[176:177], v[164:165]
	v_mul_f64 v[178:179], v[150:151], v[166:167]
	v_fma_f64 v[150:151], v[166:167], v[150:151], -v[178:179]
	v_fmac_f64_e32 v[150:151], v[166:167], v[148:149]
	v_add_f64 v[148:149], v[178:179], v[150:151]
	v_add_f64 v[180:181], v[164:165], -v[148:149]
	v_add_f64 v[164:165], v[164:165], -v[180:181]
	;; [unrolled: 1-line block ×4, first 2 shown]
	v_add_f64 v[148:149], v[160:161], v[148:149]
	v_add_f64 v[150:151], v[178:179], -v[150:151]
	v_add_f64 v[148:149], v[150:151], v[148:149]
	v_add_f64 v[150:151], v[162:163], v[166:167]
	v_add_f64 v[148:149], v[180:181], v[148:149]
	v_add_f64 v[160:161], v[150:151], -v[162:163]
	v_mul_f64 v[148:149], v[176:177], v[148:149]
	v_add_f64 v[160:161], v[166:167], -v[160:161]
	v_add_f64 v[148:149], v[160:161], v[148:149]
	v_add_f64 v[160:161], v[150:151], v[148:149]
	v_add_f64 v[150:151], v[160:161], -v[150:151]
	s_mov_b32 s38, 0xbf559e2b
	v_add_f64 v[148:149], v[148:149], -v[150:151]
	v_mul_f64 v[150:151], v[160:161], v[160:161]
	v_mov_b32_e32 v162, 0x6b47b09a
	v_mov_b32_e32 v163, 0x3fc38538
	s_mov_b32 s39, 0x3fc3ab76
	v_fmac_f64_e32 v[162:163], s[38:39], v[150:151]
	v_mov_b32_e32 v164, 0xd7f4df2e
	v_mov_b32_e32 v165, 0x3fc7474d
	v_fmac_f64_e32 v[164:165], v[150:151], v[162:163]
	v_mov_b32_e32 v162, 0x16291751
	v_mov_b32_e32 v163, 0x3fcc71c0
	v_fmac_f64_e32 v[162:163], v[150:151], v[164:165]
	v_mov_b32_e32 v164, 0x9b27acf1
	v_mov_b32_e32 v165, 0x3fd24924
	v_fmac_f64_e32 v[164:165], v[150:151], v[162:163]
	v_mov_b32_e32 v162, 0x998ef7b6
	v_mov_b32_e32 v163, 0x3fd99999
	v_fmac_f64_e32 v[162:163], v[150:151], v[164:165]
	v_mov_b32_e32 v164, 0x55555780
	v_mov_b32_e32 v165, 0x3fe55555
	v_fmac_f64_e32 v[164:165], v[150:151], v[162:163]
	v_cvt_f64_i32_e32 v[162:163], v71
	v_mul_f64 v[166:167], v[162:163], s[46:47]
	v_fma_f64 v[176:177], v[162:163], s[46:47], -v[166:167]
	v_fmac_f64_e32 v[176:177], s[48:49], v[162:163]
	v_add_f64 v[162:163], v[166:167], v[176:177]
	v_add_f64 v[166:167], v[162:163], -v[166:167]
	v_mul_f64 v[150:151], v[160:161], v[150:151]
	v_add_f64 v[166:167], v[176:177], -v[166:167]
	v_ldexp_f64 v[176:177], v[160:161], 1
	v_mul_f64 v[150:151], v[150:151], v[164:165]
	v_add_f64 v[160:161], v[176:177], v[150:151]
	v_add_f64 v[164:165], v[160:161], -v[176:177]
	v_ldexp_f64 v[148:149], v[148:149], 1
	v_add_f64 v[150:151], v[150:151], -v[164:165]
	v_add_f64 v[148:149], v[148:149], v[150:151]
	v_add_f64 v[150:151], v[160:161], v[148:149]
	v_add_f64 v[160:161], v[150:151], -v[160:161]
	v_add_f64 v[148:149], v[148:149], -v[160:161]
	v_add_f64 v[160:161], v[162:163], v[150:151]
	v_add_f64 v[164:165], v[160:161], -v[162:163]
	v_add_f64 v[176:177], v[160:161], -v[164:165]
	v_add_f64 v[162:163], v[162:163], -v[176:177]
	v_add_f64 v[150:151], v[150:151], -v[164:165]
	v_add_f64 v[150:151], v[150:151], v[162:163]
	v_add_f64 v[162:163], v[166:167], v[148:149]
	v_add_f64 v[164:165], v[162:163], -v[166:167]
	v_add_f64 v[150:151], v[162:163], v[150:151]
	v_add_f64 v[176:177], v[162:163], -v[164:165]
	;; [unrolled: 2-line block ×3, first 2 shown]
	v_add_f64 v[148:149], v[148:149], -v[164:165]
	v_add_f64 v[160:161], v[162:163], -v[160:161]
	v_add_f64 v[148:149], v[148:149], v[166:167]
	v_add_f64 v[150:151], v[150:151], -v[160:161]
	s_mov_b32 s38, 0
	v_add_f64 v[148:149], v[148:149], v[150:151]
	s_mov_b32 s39, 0x7ff00000
	v_add_f64 v[148:149], v[162:163], v[148:149]
	v_cmp_eq_f64_e64 s[38:39], s[38:39], v[6:7]
	s_nop 1
	v_cndmask_b32_e64 v71, v148, v6, s[38:39]
	v_cndmask_b32_e64 v148, v149, v7, s[38:39]
	v_mov_b32_e32 v149, 0x7ff80000
	v_cmp_ngt_f64_e64 s[38:39], -1.0, v[6:7]
	s_nop 1
	v_cndmask_b32_e64 v149, v149, v148, s[38:39]
	v_cmp_nge_f64_e64 s[38:39], -1.0, v[6:7]
	s_nop 1
	v_cndmask_b32_e64 v148, 0, v71, s[38:39]
	v_mov_b32_e32 v71, 0xfff00000
	v_cmp_neq_f64_e64 s[38:39], -1.0, v[6:7]
	s_nop 1
	v_cndmask_b32_e64 v149, v71, v149, s[38:39]
	v_add_f64 v[6:7], v[146:147], v[148:149]
.LBB70_297:
	s_or_b64 exec, exec, s[44:45]
	ds_read_b64 v[146:147], v53 offset:24
	v_max_f64 v[150:151], v[6:7], v[6:7]
	v_cmp_u_f64_e64 s[38:39], v[6:7], v[6:7]
	s_waitcnt lgkmcnt(0)
	v_max_f64 v[160:161], v[146:147], v[146:147]
	v_min_f64 v[148:149], v[150:151], v[160:161]
	v_cndmask_b32_e64 v71, v148, v6, s[38:39]
	v_cndmask_b32_e64 v148, v149, v7, s[38:39]
	v_cmp_u_f64_e64 s[40:41], v[146:147], v[146:147]
	v_max_f64 v[150:151], v[150:151], v[160:161]
	s_nop 0
	v_cndmask_b32_e64 v149, v148, v147, s[40:41]
	v_cndmask_b32_e64 v148, v71, v146, s[40:41]
	;; [unrolled: 1-line block ×6, first 2 shown]
	s_movk_i32 s40, 0x1f8
	v_cmp_neq_f64_e64 s[38:39], v[148:149], v[146:147]
	v_cmp_class_f64_e64 s[40:41], v[148:149], s40
	s_or_b64 s[38:39], s[38:39], s[40:41]
	s_and_saveexec_b64 s[44:45], s[38:39]
	s_cbranch_execz .LBB70_299
; %bb.298:
	s_mov_b32 s38, 0x652b82fe
	v_add_f64 v[6:7], v[148:149], -v[146:147]
	s_mov_b32 s39, 0x3ff71547
	v_mul_f64 v[148:149], v[6:7], s[38:39]
	v_rndne_f64_e32 v[148:149], v[148:149]
	s_mov_b32 s47, 0xbfe62e42
	s_mov_b32 s46, 0xfefa39ef
	v_fma_f64 v[150:151], s[46:47], v[148:149], v[6:7]
	s_mov_b32 s49, 0xbc7abc9e
	s_mov_b32 s48, 0x3b39803f
	;; [unrolled: 1-line block ×3, first 2 shown]
	v_fmac_f64_e32 v[150:151], s[48:49], v[148:149]
	v_mov_b32_e32 v160, 0xfca7ab0c
	v_mov_b32_e32 v161, 0x3e928af3
	s_mov_b32 s39, 0x3e5ade15
	v_fmac_f64_e32 v[160:161], s[38:39], v[150:151]
	v_mov_b32_e32 v162, 0x623fde64
	v_mov_b32_e32 v163, 0x3ec71dee
	v_fmac_f64_e32 v[162:163], v[150:151], v[160:161]
	v_mov_b32_e32 v160, 0x7c89e6b0
	v_mov_b32_e32 v161, 0x3efa0199
	;; [unrolled: 3-line block ×8, first 2 shown]
	v_fmac_f64_e32 v[160:161], v[150:151], v[162:163]
	v_fma_f64 v[160:161], v[150:151], v[160:161], 1.0
	s_mov_b32 s38, 0
	s_mov_b32 s40, 0
	v_fma_f64 v[150:151], v[150:151], v[160:161], 1.0
	v_cvt_i32_f64_e32 v71, v[148:149]
	s_mov_b32 s39, 0x40900000
	s_mov_b32 s41, 0xc090cc00
	v_ldexp_f64 v[148:149], v[150:151], v71
	v_mov_b32_e32 v71, 0x7ff00000
	v_cmp_nlt_f64_e64 s[38:39], s[38:39], v[6:7]
	v_cmp_ngt_f64_e64 s[40:41], s[40:41], v[6:7]
	s_mov_b32 s47, 0x3fe62e42
	v_cndmask_b32_e64 v71, v71, v149, s[38:39]
	s_and_b64 s[38:39], s[40:41], s[38:39]
	v_cndmask_b32_e64 v7, 0, v71, s[40:41]
	v_cndmask_b32_e64 v6, 0, v148, s[38:39]
	v_add_f64 v[148:149], v[6:7], 1.0
	v_add_f64 v[150:151], v[148:149], -1.0
	v_add_f64 v[160:161], v[150:151], -v[148:149]
	v_add_f64 v[160:161], v[160:161], 1.0
	v_add_f64 v[150:151], v[6:7], -v[150:151]
	s_mov_b32 s38, 0x55555555
	v_add_f64 v[150:151], v[150:151], v[160:161]
	v_frexp_mant_f64_e32 v[160:161], v[148:149]
	s_mov_b32 s39, 0x3fe55555
	v_frexp_exp_i32_f64_e32 v71, v[148:149]
	v_cmp_gt_f64_e64 s[38:39], s[38:39], v[160:161]
	s_mov_b32 s49, 0x3c7abc9e
	s_nop 0
	v_subbrev_co_u32_e64 v71, s[38:39], 0, v71, s[38:39]
	v_sub_u32_e32 v160, 0, v71
	v_ldexp_f64 v[148:149], v[148:149], v160
	v_ldexp_f64 v[150:151], v[150:151], v160
	v_add_f64 v[160:161], v[148:149], -1.0
	v_add_f64 v[166:167], v[148:149], 1.0
	v_add_f64 v[162:163], v[160:161], 1.0
	v_add_f64 v[176:177], v[166:167], -1.0
	v_add_f64 v[162:163], v[148:149], -v[162:163]
	v_add_f64 v[148:149], v[148:149], -v[176:177]
	v_add_f64 v[148:149], v[150:151], v[148:149]
	v_add_f64 v[162:163], v[150:151], v[162:163]
	;; [unrolled: 1-line block ×3, first 2 shown]
	v_rcp_f64_e32 v[176:177], v[150:151]
	v_add_f64 v[164:165], v[160:161], v[162:163]
	v_add_f64 v[160:161], v[164:165], -v[160:161]
	v_add_f64 v[160:161], v[162:163], -v[160:161]
	;; [unrolled: 1-line block ×4, first 2 shown]
	v_fma_f64 v[162:163], -v[150:151], v[176:177], 1.0
	v_fmac_f64_e32 v[176:177], v[162:163], v[176:177]
	v_fma_f64 v[162:163], -v[150:151], v[176:177], 1.0
	v_fmac_f64_e32 v[176:177], v[162:163], v[176:177]
	v_mul_f64 v[162:163], v[164:165], v[176:177]
	v_mul_f64 v[166:167], v[150:151], v[162:163]
	v_fma_f64 v[178:179], v[162:163], v[150:151], -v[166:167]
	v_fmac_f64_e32 v[178:179], v[162:163], v[148:149]
	v_add_f64 v[180:181], v[166:167], v[178:179]
	v_add_f64 v[182:183], v[164:165], -v[180:181]
	v_add_f64 v[164:165], v[164:165], -v[182:183]
	;; [unrolled: 1-line block ×4, first 2 shown]
	v_add_f64 v[160:161], v[160:161], v[164:165]
	v_add_f64 v[164:165], v[166:167], -v[178:179]
	v_add_f64 v[160:161], v[164:165], v[160:161]
	v_add_f64 v[164:165], v[182:183], v[160:161]
	v_add_f64 v[166:167], v[182:183], -v[164:165]
	v_add_f64 v[160:161], v[160:161], v[166:167]
	v_mul_f64 v[166:167], v[176:177], v[164:165]
	v_mul_f64 v[178:179], v[150:151], v[166:167]
	v_fma_f64 v[150:151], v[166:167], v[150:151], -v[178:179]
	v_fmac_f64_e32 v[150:151], v[166:167], v[148:149]
	v_add_f64 v[148:149], v[178:179], v[150:151]
	v_add_f64 v[180:181], v[164:165], -v[148:149]
	v_add_f64 v[164:165], v[164:165], -v[180:181]
	;; [unrolled: 1-line block ×4, first 2 shown]
	v_add_f64 v[148:149], v[160:161], v[148:149]
	v_add_f64 v[150:151], v[178:179], -v[150:151]
	v_add_f64 v[148:149], v[150:151], v[148:149]
	v_add_f64 v[150:151], v[162:163], v[166:167]
	;; [unrolled: 1-line block ×3, first 2 shown]
	v_add_f64 v[160:161], v[150:151], -v[162:163]
	v_mul_f64 v[148:149], v[176:177], v[148:149]
	v_add_f64 v[160:161], v[166:167], -v[160:161]
	v_add_f64 v[148:149], v[160:161], v[148:149]
	v_add_f64 v[160:161], v[150:151], v[148:149]
	v_add_f64 v[150:151], v[160:161], -v[150:151]
	s_mov_b32 s38, 0xbf559e2b
	v_add_f64 v[148:149], v[148:149], -v[150:151]
	v_mul_f64 v[150:151], v[160:161], v[160:161]
	v_mov_b32_e32 v162, 0x6b47b09a
	v_mov_b32_e32 v163, 0x3fc38538
	s_mov_b32 s39, 0x3fc3ab76
	v_fmac_f64_e32 v[162:163], s[38:39], v[150:151]
	v_mov_b32_e32 v164, 0xd7f4df2e
	v_mov_b32_e32 v165, 0x3fc7474d
	v_fmac_f64_e32 v[164:165], v[150:151], v[162:163]
	v_mov_b32_e32 v162, 0x16291751
	v_mov_b32_e32 v163, 0x3fcc71c0
	;; [unrolled: 3-line block ×5, first 2 shown]
	v_fmac_f64_e32 v[164:165], v[150:151], v[162:163]
	v_cvt_f64_i32_e32 v[162:163], v71
	v_mul_f64 v[166:167], v[162:163], s[46:47]
	v_fma_f64 v[176:177], v[162:163], s[46:47], -v[166:167]
	v_fmac_f64_e32 v[176:177], s[48:49], v[162:163]
	v_add_f64 v[162:163], v[166:167], v[176:177]
	v_add_f64 v[166:167], v[162:163], -v[166:167]
	v_mul_f64 v[150:151], v[160:161], v[150:151]
	v_add_f64 v[166:167], v[176:177], -v[166:167]
	v_ldexp_f64 v[176:177], v[160:161], 1
	v_mul_f64 v[150:151], v[150:151], v[164:165]
	v_add_f64 v[160:161], v[176:177], v[150:151]
	v_add_f64 v[164:165], v[160:161], -v[176:177]
	v_ldexp_f64 v[148:149], v[148:149], 1
	v_add_f64 v[150:151], v[150:151], -v[164:165]
	v_add_f64 v[148:149], v[148:149], v[150:151]
	v_add_f64 v[150:151], v[160:161], v[148:149]
	v_add_f64 v[160:161], v[150:151], -v[160:161]
	v_add_f64 v[148:149], v[148:149], -v[160:161]
	v_add_f64 v[160:161], v[162:163], v[150:151]
	v_add_f64 v[164:165], v[160:161], -v[162:163]
	v_add_f64 v[176:177], v[160:161], -v[164:165]
	;; [unrolled: 1-line block ×4, first 2 shown]
	v_add_f64 v[150:151], v[150:151], v[162:163]
	v_add_f64 v[162:163], v[166:167], v[148:149]
	v_add_f64 v[164:165], v[162:163], -v[166:167]
	v_add_f64 v[150:151], v[162:163], v[150:151]
	v_add_f64 v[176:177], v[162:163], -v[164:165]
	;; [unrolled: 2-line block ×3, first 2 shown]
	v_add_f64 v[148:149], v[148:149], -v[164:165]
	v_add_f64 v[160:161], v[162:163], -v[160:161]
	v_add_f64 v[148:149], v[148:149], v[166:167]
	v_add_f64 v[150:151], v[150:151], -v[160:161]
	s_mov_b32 s38, 0
	v_add_f64 v[148:149], v[148:149], v[150:151]
	s_mov_b32 s39, 0x7ff00000
	v_add_f64 v[148:149], v[162:163], v[148:149]
	v_cmp_eq_f64_e64 s[38:39], s[38:39], v[6:7]
	s_nop 1
	v_cndmask_b32_e64 v71, v148, v6, s[38:39]
	v_cndmask_b32_e64 v148, v149, v7, s[38:39]
	v_mov_b32_e32 v149, 0x7ff80000
	v_cmp_ngt_f64_e64 s[38:39], -1.0, v[6:7]
	s_nop 1
	v_cndmask_b32_e64 v149, v149, v148, s[38:39]
	v_cmp_nge_f64_e64 s[38:39], -1.0, v[6:7]
	s_nop 1
	v_cndmask_b32_e64 v148, 0, v71, s[38:39]
	v_mov_b32_e32 v71, 0xfff00000
	v_cmp_neq_f64_e64 s[38:39], -1.0, v[6:7]
	s_nop 1
	v_cndmask_b32_e64 v149, v71, v149, s[38:39]
	v_add_f64 v[6:7], v[146:147], v[148:149]
.LBB70_299:
	s_or_b64 exec, exec, s[44:45]
	v_mbcnt_lo_u32_b32 v71, -1, 0
	v_mbcnt_hi_u32_b32 v71, -1, v71
	v_and_b32_e32 v150, 15, v71
	v_mov_b32_dpp v146, v6 row_shr:1 row_mask:0xf bank_mask:0xf
	v_mov_b32_dpp v147, v7 row_shr:1 row_mask:0xf bank_mask:0xf
	v_cmp_ne_u32_e64 s[38:39], 0, v150
	v_mov_b32_e32 v148, v6
	v_mov_b32_e32 v149, v7
	s_and_saveexec_b64 s[40:41], s[38:39]
	s_xor_b64 s[44:45], exec, s[40:41]
	s_cbranch_execz .LBB70_303
; %bb.300:
	v_max_f64 v[160:161], v[146:147], v[146:147]
	v_max_f64 v[162:163], v[6:7], v[6:7]
	v_min_f64 v[148:149], v[160:161], v[162:163]
	v_cmp_u_f64_e64 s[38:39], v[146:147], v[146:147]
	v_max_f64 v[160:161], v[160:161], v[162:163]
	v_cmp_u_f64_e64 s[40:41], v[6:7], v[6:7]
	v_cndmask_b32_e64 v148, v148, v146, s[38:39]
	v_cndmask_b32_e64 v149, v149, v147, s[38:39]
	;; [unrolled: 1-line block ×8, first 2 shown]
	s_movk_i32 s40, 0x1f8
	v_cmp_neq_f64_e64 s[38:39], v[148:149], v[6:7]
	v_cmp_class_f64_e64 s[40:41], v[148:149], s40
	s_or_b64 s[38:39], s[38:39], s[40:41]
	s_and_saveexec_b64 s[46:47], s[38:39]
	s_cbranch_execz .LBB70_302
; %bb.301:
	s_mov_b32 s38, 0x652b82fe
	v_add_f64 v[146:147], v[148:149], -v[6:7]
	s_mov_b32 s39, 0x3ff71547
	v_mul_f64 v[148:149], v[146:147], s[38:39]
	v_rndne_f64_e32 v[148:149], v[148:149]
	s_mov_b32 s49, 0xbfe62e42
	s_mov_b32 s48, 0xfefa39ef
	v_fma_f64 v[160:161], s[48:49], v[148:149], v[146:147]
	s_mov_b32 s51, 0xbc7abc9e
	s_mov_b32 s50, 0x3b39803f
	;; [unrolled: 1-line block ×3, first 2 shown]
	v_fmac_f64_e32 v[160:161], s[50:51], v[148:149]
	v_mov_b32_e32 v162, 0xfca7ab0c
	v_mov_b32_e32 v163, 0x3e928af3
	s_mov_b32 s39, 0x3e5ade15
	v_fmac_f64_e32 v[162:163], s[38:39], v[160:161]
	v_mov_b32_e32 v164, 0x623fde64
	v_mov_b32_e32 v165, 0x3ec71dee
	v_fmac_f64_e32 v[164:165], v[160:161], v[162:163]
	v_mov_b32_e32 v162, 0x7c89e6b0
	v_mov_b32_e32 v163, 0x3efa0199
	;; [unrolled: 3-line block ×8, first 2 shown]
	v_fmac_f64_e32 v[162:163], v[160:161], v[164:165]
	v_fma_f64 v[162:163], v[160:161], v[162:163], 1.0
	s_mov_b32 s38, 0
	s_mov_b32 s40, 0
	v_fma_f64 v[160:161], v[160:161], v[162:163], 1.0
	v_cvt_i32_f64_e32 v148, v[148:149]
	s_mov_b32 s39, 0x40900000
	s_mov_b32 s41, 0xc090cc00
	v_ldexp_f64 v[148:149], v[160:161], v148
	v_mov_b32_e32 v151, 0x7ff00000
	v_cmp_nlt_f64_e64 s[38:39], s[38:39], v[146:147]
	v_cmp_ngt_f64_e64 s[40:41], s[40:41], v[146:147]
	s_mov_b32 s49, 0x3fe62e42
	v_cndmask_b32_e64 v149, v151, v149, s[38:39]
	s_and_b64 s[38:39], s[40:41], s[38:39]
	v_cndmask_b32_e64 v147, 0, v149, s[40:41]
	v_cndmask_b32_e64 v146, 0, v148, s[38:39]
	v_add_f64 v[148:149], v[146:147], 1.0
	v_add_f64 v[160:161], v[148:149], -1.0
	v_add_f64 v[162:163], v[160:161], -v[148:149]
	v_add_f64 v[162:163], v[162:163], 1.0
	v_add_f64 v[160:161], v[146:147], -v[160:161]
	s_mov_b32 s38, 0x55555555
	v_add_f64 v[160:161], v[160:161], v[162:163]
	v_frexp_mant_f64_e32 v[162:163], v[148:149]
	s_mov_b32 s39, 0x3fe55555
	v_frexp_exp_i32_f64_e32 v151, v[148:149]
	v_cmp_gt_f64_e64 s[38:39], s[38:39], v[162:163]
	s_mov_b32 s51, 0x3c7abc9e
	s_nop 0
	v_subbrev_co_u32_e64 v151, s[38:39], 0, v151, s[38:39]
	v_sub_u32_e32 v162, 0, v151
	v_ldexp_f64 v[148:149], v[148:149], v162
	v_ldexp_f64 v[160:161], v[160:161], v162
	v_add_f64 v[162:163], v[148:149], -1.0
	v_add_f64 v[176:177], v[148:149], 1.0
	v_add_f64 v[164:165], v[162:163], 1.0
	v_add_f64 v[178:179], v[176:177], -1.0
	v_add_f64 v[164:165], v[148:149], -v[164:165]
	v_add_f64 v[148:149], v[148:149], -v[178:179]
	v_add_f64 v[148:149], v[160:161], v[148:149]
	v_add_f64 v[164:165], v[160:161], v[164:165]
	;; [unrolled: 1-line block ×3, first 2 shown]
	v_rcp_f64_e32 v[178:179], v[160:161]
	v_add_f64 v[166:167], v[162:163], v[164:165]
	v_add_f64 v[162:163], v[166:167], -v[162:163]
	v_add_f64 v[162:163], v[164:165], -v[162:163]
	;; [unrolled: 1-line block ×4, first 2 shown]
	v_fma_f64 v[164:165], -v[160:161], v[178:179], 1.0
	v_fmac_f64_e32 v[178:179], v[164:165], v[178:179]
	v_fma_f64 v[164:165], -v[160:161], v[178:179], 1.0
	v_fmac_f64_e32 v[178:179], v[164:165], v[178:179]
	v_mul_f64 v[164:165], v[166:167], v[178:179]
	v_mul_f64 v[176:177], v[160:161], v[164:165]
	v_fma_f64 v[180:181], v[164:165], v[160:161], -v[176:177]
	v_fmac_f64_e32 v[180:181], v[164:165], v[148:149]
	v_add_f64 v[182:183], v[176:177], v[180:181]
	v_add_f64 v[192:193], v[166:167], -v[182:183]
	v_add_f64 v[166:167], v[166:167], -v[192:193]
	;; [unrolled: 1-line block ×4, first 2 shown]
	v_add_f64 v[162:163], v[162:163], v[166:167]
	v_add_f64 v[166:167], v[176:177], -v[180:181]
	v_add_f64 v[162:163], v[166:167], v[162:163]
	v_add_f64 v[166:167], v[192:193], v[162:163]
	v_add_f64 v[176:177], v[192:193], -v[166:167]
	v_add_f64 v[162:163], v[162:163], v[176:177]
	v_mul_f64 v[176:177], v[178:179], v[166:167]
	v_mul_f64 v[180:181], v[160:161], v[176:177]
	v_fma_f64 v[160:161], v[176:177], v[160:161], -v[180:181]
	v_fmac_f64_e32 v[160:161], v[176:177], v[148:149]
	v_add_f64 v[148:149], v[180:181], v[160:161]
	v_add_f64 v[182:183], v[166:167], -v[148:149]
	v_add_f64 v[166:167], v[166:167], -v[182:183]
	;; [unrolled: 1-line block ×4, first 2 shown]
	v_add_f64 v[148:149], v[162:163], v[148:149]
	v_add_f64 v[160:161], v[180:181], -v[160:161]
	v_add_f64 v[148:149], v[160:161], v[148:149]
	v_add_f64 v[160:161], v[164:165], v[176:177]
	;; [unrolled: 1-line block ×3, first 2 shown]
	v_add_f64 v[162:163], v[160:161], -v[164:165]
	v_mul_f64 v[148:149], v[178:179], v[148:149]
	v_add_f64 v[162:163], v[176:177], -v[162:163]
	v_add_f64 v[148:149], v[162:163], v[148:149]
	v_add_f64 v[162:163], v[160:161], v[148:149]
	v_add_f64 v[160:161], v[162:163], -v[160:161]
	s_mov_b32 s38, 0xbf559e2b
	v_add_f64 v[148:149], v[148:149], -v[160:161]
	v_mul_f64 v[160:161], v[162:163], v[162:163]
	v_mov_b32_e32 v164, 0x6b47b09a
	v_mov_b32_e32 v165, 0x3fc38538
	s_mov_b32 s39, 0x3fc3ab76
	v_fmac_f64_e32 v[164:165], s[38:39], v[160:161]
	v_mov_b32_e32 v166, 0xd7f4df2e
	v_mov_b32_e32 v167, 0x3fc7474d
	v_fmac_f64_e32 v[166:167], v[160:161], v[164:165]
	v_mov_b32_e32 v164, 0x16291751
	v_mov_b32_e32 v165, 0x3fcc71c0
	;; [unrolled: 3-line block ×5, first 2 shown]
	v_fmac_f64_e32 v[166:167], v[160:161], v[164:165]
	v_cvt_f64_i32_e32 v[164:165], v151
	v_mul_f64 v[176:177], v[164:165], s[48:49]
	v_fma_f64 v[178:179], v[164:165], s[48:49], -v[176:177]
	v_fmac_f64_e32 v[178:179], s[50:51], v[164:165]
	v_add_f64 v[164:165], v[176:177], v[178:179]
	v_add_f64 v[176:177], v[164:165], -v[176:177]
	v_mul_f64 v[160:161], v[162:163], v[160:161]
	v_add_f64 v[176:177], v[178:179], -v[176:177]
	v_ldexp_f64 v[178:179], v[162:163], 1
	v_mul_f64 v[160:161], v[160:161], v[166:167]
	v_add_f64 v[162:163], v[178:179], v[160:161]
	v_add_f64 v[166:167], v[162:163], -v[178:179]
	v_ldexp_f64 v[148:149], v[148:149], 1
	v_add_f64 v[160:161], v[160:161], -v[166:167]
	v_add_f64 v[148:149], v[148:149], v[160:161]
	v_add_f64 v[160:161], v[162:163], v[148:149]
	v_add_f64 v[162:163], v[160:161], -v[162:163]
	v_add_f64 v[148:149], v[148:149], -v[162:163]
	v_add_f64 v[162:163], v[164:165], v[160:161]
	v_add_f64 v[166:167], v[162:163], -v[164:165]
	v_add_f64 v[178:179], v[162:163], -v[166:167]
	;; [unrolled: 1-line block ×4, first 2 shown]
	v_add_f64 v[160:161], v[160:161], v[164:165]
	v_add_f64 v[164:165], v[176:177], v[148:149]
	v_add_f64 v[166:167], v[164:165], -v[176:177]
	v_add_f64 v[160:161], v[164:165], v[160:161]
	v_add_f64 v[178:179], v[164:165], -v[166:167]
	;; [unrolled: 2-line block ×3, first 2 shown]
	v_add_f64 v[148:149], v[148:149], -v[166:167]
	v_add_f64 v[162:163], v[164:165], -v[162:163]
	v_add_f64 v[148:149], v[148:149], v[176:177]
	v_add_f64 v[160:161], v[160:161], -v[162:163]
	s_mov_b32 s38, 0
	v_add_f64 v[148:149], v[148:149], v[160:161]
	s_mov_b32 s39, 0x7ff00000
	v_add_f64 v[148:149], v[164:165], v[148:149]
	v_cmp_eq_f64_e64 s[38:39], s[38:39], v[146:147]
	v_mov_b32_e32 v151, 0x7ff80000
	s_nop 0
	v_cndmask_b32_e64 v148, v148, v146, s[38:39]
	v_cndmask_b32_e64 v149, v149, v147, s[38:39]
	v_cmp_ngt_f64_e64 s[38:39], -1.0, v[146:147]
	s_nop 1
	v_cndmask_b32_e64 v149, v151, v149, s[38:39]
	v_cmp_nge_f64_e64 s[38:39], -1.0, v[146:147]
	v_mov_b32_e32 v151, 0xfff00000
	s_nop 0
	v_cndmask_b32_e64 v148, 0, v148, s[38:39]
	v_cmp_neq_f64_e64 s[38:39], -1.0, v[146:147]
	s_nop 1
	v_cndmask_b32_e64 v149, v151, v149, s[38:39]
	v_add_f64 v[146:147], v[6:7], v[148:149]
.LBB70_302:
	s_or_b64 exec, exec, s[46:47]
	v_mov_b32_e32 v148, v146
	v_mov_b32_e32 v149, v147
	v_mov_b64_e32 v[6:7], v[146:147]
.LBB70_303:
	s_or_b64 exec, exec, s[44:45]
	v_mov_b32_dpp v146, v148 row_shr:2 row_mask:0xf bank_mask:0xf
	v_mov_b32_dpp v147, v149 row_shr:2 row_mask:0xf bank_mask:0xf
	v_cmp_lt_u32_e64 s[38:39], 1, v150
	s_and_saveexec_b64 s[44:45], s[38:39]
	s_cbranch_execz .LBB70_307
; %bb.304:
	v_max_f64 v[160:161], v[146:147], v[146:147]
	v_max_f64 v[162:163], v[6:7], v[6:7]
	v_min_f64 v[148:149], v[160:161], v[162:163]
	v_cmp_u_f64_e64 s[38:39], v[146:147], v[146:147]
	v_max_f64 v[160:161], v[160:161], v[162:163]
	v_cmp_u_f64_e64 s[40:41], v[6:7], v[6:7]
	v_cndmask_b32_e64 v148, v148, v146, s[38:39]
	v_cndmask_b32_e64 v149, v149, v147, s[38:39]
	;; [unrolled: 1-line block ×8, first 2 shown]
	s_movk_i32 s40, 0x1f8
	v_cmp_neq_f64_e64 s[38:39], v[148:149], v[6:7]
	v_cmp_class_f64_e64 s[40:41], v[148:149], s40
	s_or_b64 s[38:39], s[38:39], s[40:41]
	s_and_saveexec_b64 s[46:47], s[38:39]
	s_cbranch_execz .LBB70_306
; %bb.305:
	s_mov_b32 s38, 0x652b82fe
	v_add_f64 v[146:147], v[148:149], -v[6:7]
	s_mov_b32 s39, 0x3ff71547
	v_mul_f64 v[148:149], v[146:147], s[38:39]
	v_rndne_f64_e32 v[148:149], v[148:149]
	s_mov_b32 s49, 0xbfe62e42
	s_mov_b32 s48, 0xfefa39ef
	v_fma_f64 v[160:161], s[48:49], v[148:149], v[146:147]
	s_mov_b32 s51, 0xbc7abc9e
	s_mov_b32 s50, 0x3b39803f
	;; [unrolled: 1-line block ×3, first 2 shown]
	v_fmac_f64_e32 v[160:161], s[50:51], v[148:149]
	v_mov_b32_e32 v162, 0xfca7ab0c
	v_mov_b32_e32 v163, 0x3e928af3
	s_mov_b32 s39, 0x3e5ade15
	v_fmac_f64_e32 v[162:163], s[38:39], v[160:161]
	v_mov_b32_e32 v164, 0x623fde64
	v_mov_b32_e32 v165, 0x3ec71dee
	v_fmac_f64_e32 v[164:165], v[160:161], v[162:163]
	v_mov_b32_e32 v162, 0x7c89e6b0
	v_mov_b32_e32 v163, 0x3efa0199
	;; [unrolled: 3-line block ×8, first 2 shown]
	v_fmac_f64_e32 v[162:163], v[160:161], v[164:165]
	v_fma_f64 v[162:163], v[160:161], v[162:163], 1.0
	s_mov_b32 s38, 0
	s_mov_b32 s40, 0
	v_fma_f64 v[160:161], v[160:161], v[162:163], 1.0
	v_cvt_i32_f64_e32 v148, v[148:149]
	s_mov_b32 s39, 0x40900000
	s_mov_b32 s41, 0xc090cc00
	v_ldexp_f64 v[148:149], v[160:161], v148
	v_mov_b32_e32 v151, 0x7ff00000
	v_cmp_nlt_f64_e64 s[38:39], s[38:39], v[146:147]
	v_cmp_ngt_f64_e64 s[40:41], s[40:41], v[146:147]
	s_mov_b32 s49, 0x3fe62e42
	v_cndmask_b32_e64 v149, v151, v149, s[38:39]
	s_and_b64 s[38:39], s[40:41], s[38:39]
	v_cndmask_b32_e64 v147, 0, v149, s[40:41]
	v_cndmask_b32_e64 v146, 0, v148, s[38:39]
	v_add_f64 v[148:149], v[146:147], 1.0
	v_add_f64 v[160:161], v[148:149], -1.0
	v_add_f64 v[162:163], v[160:161], -v[148:149]
	v_add_f64 v[162:163], v[162:163], 1.0
	v_add_f64 v[160:161], v[146:147], -v[160:161]
	s_mov_b32 s38, 0x55555555
	v_add_f64 v[160:161], v[160:161], v[162:163]
	v_frexp_mant_f64_e32 v[162:163], v[148:149]
	s_mov_b32 s39, 0x3fe55555
	v_frexp_exp_i32_f64_e32 v151, v[148:149]
	v_cmp_gt_f64_e64 s[38:39], s[38:39], v[162:163]
	s_mov_b32 s51, 0x3c7abc9e
	s_nop 0
	v_subbrev_co_u32_e64 v151, s[38:39], 0, v151, s[38:39]
	v_sub_u32_e32 v162, 0, v151
	v_ldexp_f64 v[148:149], v[148:149], v162
	v_ldexp_f64 v[160:161], v[160:161], v162
	v_add_f64 v[162:163], v[148:149], -1.0
	v_add_f64 v[176:177], v[148:149], 1.0
	v_add_f64 v[164:165], v[162:163], 1.0
	v_add_f64 v[178:179], v[176:177], -1.0
	v_add_f64 v[164:165], v[148:149], -v[164:165]
	v_add_f64 v[148:149], v[148:149], -v[178:179]
	v_add_f64 v[148:149], v[160:161], v[148:149]
	v_add_f64 v[164:165], v[160:161], v[164:165]
	;; [unrolled: 1-line block ×3, first 2 shown]
	v_rcp_f64_e32 v[178:179], v[160:161]
	v_add_f64 v[166:167], v[162:163], v[164:165]
	v_add_f64 v[162:163], v[166:167], -v[162:163]
	v_add_f64 v[162:163], v[164:165], -v[162:163]
	;; [unrolled: 1-line block ×4, first 2 shown]
	v_fma_f64 v[164:165], -v[160:161], v[178:179], 1.0
	v_fmac_f64_e32 v[178:179], v[164:165], v[178:179]
	v_fma_f64 v[164:165], -v[160:161], v[178:179], 1.0
	v_fmac_f64_e32 v[178:179], v[164:165], v[178:179]
	v_mul_f64 v[164:165], v[166:167], v[178:179]
	v_mul_f64 v[176:177], v[160:161], v[164:165]
	v_fma_f64 v[180:181], v[164:165], v[160:161], -v[176:177]
	v_fmac_f64_e32 v[180:181], v[164:165], v[148:149]
	v_add_f64 v[182:183], v[176:177], v[180:181]
	v_add_f64 v[192:193], v[166:167], -v[182:183]
	v_add_f64 v[166:167], v[166:167], -v[192:193]
	;; [unrolled: 1-line block ×4, first 2 shown]
	v_add_f64 v[162:163], v[162:163], v[166:167]
	v_add_f64 v[166:167], v[176:177], -v[180:181]
	v_add_f64 v[162:163], v[166:167], v[162:163]
	v_add_f64 v[166:167], v[192:193], v[162:163]
	v_add_f64 v[176:177], v[192:193], -v[166:167]
	v_add_f64 v[162:163], v[162:163], v[176:177]
	v_mul_f64 v[176:177], v[178:179], v[166:167]
	v_mul_f64 v[180:181], v[160:161], v[176:177]
	v_fma_f64 v[160:161], v[176:177], v[160:161], -v[180:181]
	v_fmac_f64_e32 v[160:161], v[176:177], v[148:149]
	v_add_f64 v[148:149], v[180:181], v[160:161]
	v_add_f64 v[182:183], v[166:167], -v[148:149]
	v_add_f64 v[166:167], v[166:167], -v[182:183]
	v_add_f64 v[180:181], v[148:149], -v[180:181]
	v_add_f64 v[148:149], v[166:167], -v[148:149]
	v_add_f64 v[148:149], v[162:163], v[148:149]
	v_add_f64 v[160:161], v[180:181], -v[160:161]
	v_add_f64 v[148:149], v[160:161], v[148:149]
	v_add_f64 v[160:161], v[164:165], v[176:177]
	;; [unrolled: 1-line block ×3, first 2 shown]
	v_add_f64 v[162:163], v[160:161], -v[164:165]
	v_mul_f64 v[148:149], v[178:179], v[148:149]
	v_add_f64 v[162:163], v[176:177], -v[162:163]
	v_add_f64 v[148:149], v[162:163], v[148:149]
	v_add_f64 v[162:163], v[160:161], v[148:149]
	v_add_f64 v[160:161], v[162:163], -v[160:161]
	s_mov_b32 s38, 0xbf559e2b
	v_add_f64 v[148:149], v[148:149], -v[160:161]
	v_mul_f64 v[160:161], v[162:163], v[162:163]
	v_mov_b32_e32 v164, 0x6b47b09a
	v_mov_b32_e32 v165, 0x3fc38538
	s_mov_b32 s39, 0x3fc3ab76
	v_fmac_f64_e32 v[164:165], s[38:39], v[160:161]
	v_mov_b32_e32 v166, 0xd7f4df2e
	v_mov_b32_e32 v167, 0x3fc7474d
	v_fmac_f64_e32 v[166:167], v[160:161], v[164:165]
	v_mov_b32_e32 v164, 0x16291751
	v_mov_b32_e32 v165, 0x3fcc71c0
	;; [unrolled: 3-line block ×5, first 2 shown]
	v_fmac_f64_e32 v[166:167], v[160:161], v[164:165]
	v_cvt_f64_i32_e32 v[164:165], v151
	v_mul_f64 v[176:177], v[164:165], s[48:49]
	v_fma_f64 v[178:179], v[164:165], s[48:49], -v[176:177]
	v_fmac_f64_e32 v[178:179], s[50:51], v[164:165]
	v_add_f64 v[164:165], v[176:177], v[178:179]
	v_add_f64 v[176:177], v[164:165], -v[176:177]
	v_mul_f64 v[160:161], v[162:163], v[160:161]
	v_add_f64 v[176:177], v[178:179], -v[176:177]
	v_ldexp_f64 v[178:179], v[162:163], 1
	v_mul_f64 v[160:161], v[160:161], v[166:167]
	v_add_f64 v[162:163], v[178:179], v[160:161]
	v_add_f64 v[166:167], v[162:163], -v[178:179]
	v_ldexp_f64 v[148:149], v[148:149], 1
	v_add_f64 v[160:161], v[160:161], -v[166:167]
	v_add_f64 v[148:149], v[148:149], v[160:161]
	v_add_f64 v[160:161], v[162:163], v[148:149]
	v_add_f64 v[162:163], v[160:161], -v[162:163]
	v_add_f64 v[148:149], v[148:149], -v[162:163]
	v_add_f64 v[162:163], v[164:165], v[160:161]
	v_add_f64 v[166:167], v[162:163], -v[164:165]
	v_add_f64 v[178:179], v[162:163], -v[166:167]
	;; [unrolled: 1-line block ×4, first 2 shown]
	v_add_f64 v[160:161], v[160:161], v[164:165]
	v_add_f64 v[164:165], v[176:177], v[148:149]
	v_add_f64 v[166:167], v[164:165], -v[176:177]
	v_add_f64 v[160:161], v[164:165], v[160:161]
	v_add_f64 v[178:179], v[164:165], -v[166:167]
	;; [unrolled: 2-line block ×3, first 2 shown]
	v_add_f64 v[148:149], v[148:149], -v[166:167]
	v_add_f64 v[162:163], v[164:165], -v[162:163]
	v_add_f64 v[148:149], v[148:149], v[176:177]
	v_add_f64 v[160:161], v[160:161], -v[162:163]
	s_mov_b32 s38, 0
	v_add_f64 v[148:149], v[148:149], v[160:161]
	s_mov_b32 s39, 0x7ff00000
	v_add_f64 v[148:149], v[164:165], v[148:149]
	v_cmp_eq_f64_e64 s[38:39], s[38:39], v[146:147]
	v_mov_b32_e32 v151, 0x7ff80000
	s_nop 0
	v_cndmask_b32_e64 v148, v148, v146, s[38:39]
	v_cndmask_b32_e64 v149, v149, v147, s[38:39]
	v_cmp_ngt_f64_e64 s[38:39], -1.0, v[146:147]
	s_nop 1
	v_cndmask_b32_e64 v149, v151, v149, s[38:39]
	v_cmp_nge_f64_e64 s[38:39], -1.0, v[146:147]
	v_mov_b32_e32 v151, 0xfff00000
	s_nop 0
	v_cndmask_b32_e64 v148, 0, v148, s[38:39]
	v_cmp_neq_f64_e64 s[38:39], -1.0, v[146:147]
	s_nop 1
	v_cndmask_b32_e64 v149, v151, v149, s[38:39]
	v_add_f64 v[146:147], v[6:7], v[148:149]
.LBB70_306:
	s_or_b64 exec, exec, s[46:47]
	v_mov_b64_e32 v[6:7], v[146:147]
	v_mov_b32_e32 v148, v146
	v_mov_b32_e32 v149, v147
.LBB70_307:
	s_or_b64 exec, exec, s[44:45]
	v_mov_b32_dpp v146, v148 row_shr:4 row_mask:0xf bank_mask:0xf
	v_mov_b32_dpp v147, v149 row_shr:4 row_mask:0xf bank_mask:0xf
	v_cmp_lt_u32_e64 s[38:39], 3, v150
	s_and_saveexec_b64 s[44:45], s[38:39]
	s_cbranch_execz .LBB70_311
; %bb.308:
	v_max_f64 v[160:161], v[146:147], v[146:147]
	v_max_f64 v[162:163], v[6:7], v[6:7]
	v_min_f64 v[148:149], v[160:161], v[162:163]
	v_cmp_u_f64_e64 s[38:39], v[146:147], v[146:147]
	v_max_f64 v[160:161], v[160:161], v[162:163]
	v_cmp_u_f64_e64 s[40:41], v[6:7], v[6:7]
	v_cndmask_b32_e64 v148, v148, v146, s[38:39]
	v_cndmask_b32_e64 v149, v149, v147, s[38:39]
	;; [unrolled: 1-line block ×8, first 2 shown]
	s_movk_i32 s40, 0x1f8
	v_cmp_neq_f64_e64 s[38:39], v[148:149], v[6:7]
	v_cmp_class_f64_e64 s[40:41], v[148:149], s40
	s_or_b64 s[38:39], s[38:39], s[40:41]
	s_and_saveexec_b64 s[46:47], s[38:39]
	s_cbranch_execz .LBB70_310
; %bb.309:
	s_mov_b32 s38, 0x652b82fe
	v_add_f64 v[146:147], v[148:149], -v[6:7]
	s_mov_b32 s39, 0x3ff71547
	v_mul_f64 v[148:149], v[146:147], s[38:39]
	v_rndne_f64_e32 v[148:149], v[148:149]
	s_mov_b32 s49, 0xbfe62e42
	s_mov_b32 s48, 0xfefa39ef
	v_fma_f64 v[160:161], s[48:49], v[148:149], v[146:147]
	s_mov_b32 s51, 0xbc7abc9e
	s_mov_b32 s50, 0x3b39803f
	;; [unrolled: 1-line block ×3, first 2 shown]
	v_fmac_f64_e32 v[160:161], s[50:51], v[148:149]
	v_mov_b32_e32 v162, 0xfca7ab0c
	v_mov_b32_e32 v163, 0x3e928af3
	s_mov_b32 s39, 0x3e5ade15
	v_fmac_f64_e32 v[162:163], s[38:39], v[160:161]
	v_mov_b32_e32 v164, 0x623fde64
	v_mov_b32_e32 v165, 0x3ec71dee
	v_fmac_f64_e32 v[164:165], v[160:161], v[162:163]
	v_mov_b32_e32 v162, 0x7c89e6b0
	v_mov_b32_e32 v163, 0x3efa0199
	;; [unrolled: 3-line block ×8, first 2 shown]
	v_fmac_f64_e32 v[162:163], v[160:161], v[164:165]
	v_fma_f64 v[162:163], v[160:161], v[162:163], 1.0
	s_mov_b32 s38, 0
	s_mov_b32 s40, 0
	v_fma_f64 v[160:161], v[160:161], v[162:163], 1.0
	v_cvt_i32_f64_e32 v148, v[148:149]
	s_mov_b32 s39, 0x40900000
	s_mov_b32 s41, 0xc090cc00
	v_ldexp_f64 v[148:149], v[160:161], v148
	v_mov_b32_e32 v151, 0x7ff00000
	v_cmp_nlt_f64_e64 s[38:39], s[38:39], v[146:147]
	v_cmp_ngt_f64_e64 s[40:41], s[40:41], v[146:147]
	s_mov_b32 s49, 0x3fe62e42
	v_cndmask_b32_e64 v149, v151, v149, s[38:39]
	s_and_b64 s[38:39], s[40:41], s[38:39]
	v_cndmask_b32_e64 v147, 0, v149, s[40:41]
	v_cndmask_b32_e64 v146, 0, v148, s[38:39]
	v_add_f64 v[148:149], v[146:147], 1.0
	v_add_f64 v[160:161], v[148:149], -1.0
	v_add_f64 v[162:163], v[160:161], -v[148:149]
	v_add_f64 v[162:163], v[162:163], 1.0
	v_add_f64 v[160:161], v[146:147], -v[160:161]
	s_mov_b32 s38, 0x55555555
	v_add_f64 v[160:161], v[160:161], v[162:163]
	v_frexp_mant_f64_e32 v[162:163], v[148:149]
	s_mov_b32 s39, 0x3fe55555
	v_frexp_exp_i32_f64_e32 v151, v[148:149]
	v_cmp_gt_f64_e64 s[38:39], s[38:39], v[162:163]
	s_mov_b32 s51, 0x3c7abc9e
	s_nop 0
	v_subbrev_co_u32_e64 v151, s[38:39], 0, v151, s[38:39]
	v_sub_u32_e32 v162, 0, v151
	v_ldexp_f64 v[148:149], v[148:149], v162
	v_ldexp_f64 v[160:161], v[160:161], v162
	v_add_f64 v[162:163], v[148:149], -1.0
	v_add_f64 v[176:177], v[148:149], 1.0
	v_add_f64 v[164:165], v[162:163], 1.0
	v_add_f64 v[178:179], v[176:177], -1.0
	v_add_f64 v[164:165], v[148:149], -v[164:165]
	v_add_f64 v[148:149], v[148:149], -v[178:179]
	v_add_f64 v[148:149], v[160:161], v[148:149]
	v_add_f64 v[164:165], v[160:161], v[164:165]
	;; [unrolled: 1-line block ×3, first 2 shown]
	v_rcp_f64_e32 v[178:179], v[160:161]
	v_add_f64 v[166:167], v[162:163], v[164:165]
	v_add_f64 v[162:163], v[166:167], -v[162:163]
	v_add_f64 v[162:163], v[164:165], -v[162:163]
	;; [unrolled: 1-line block ×4, first 2 shown]
	v_fma_f64 v[164:165], -v[160:161], v[178:179], 1.0
	v_fmac_f64_e32 v[178:179], v[164:165], v[178:179]
	v_fma_f64 v[164:165], -v[160:161], v[178:179], 1.0
	v_fmac_f64_e32 v[178:179], v[164:165], v[178:179]
	v_mul_f64 v[164:165], v[166:167], v[178:179]
	v_mul_f64 v[176:177], v[160:161], v[164:165]
	v_fma_f64 v[180:181], v[164:165], v[160:161], -v[176:177]
	v_fmac_f64_e32 v[180:181], v[164:165], v[148:149]
	v_add_f64 v[182:183], v[176:177], v[180:181]
	v_add_f64 v[192:193], v[166:167], -v[182:183]
	v_add_f64 v[166:167], v[166:167], -v[192:193]
	;; [unrolled: 1-line block ×4, first 2 shown]
	v_add_f64 v[162:163], v[162:163], v[166:167]
	v_add_f64 v[166:167], v[176:177], -v[180:181]
	v_add_f64 v[162:163], v[166:167], v[162:163]
	v_add_f64 v[166:167], v[192:193], v[162:163]
	v_add_f64 v[176:177], v[192:193], -v[166:167]
	v_add_f64 v[162:163], v[162:163], v[176:177]
	v_mul_f64 v[176:177], v[178:179], v[166:167]
	v_mul_f64 v[180:181], v[160:161], v[176:177]
	v_fma_f64 v[160:161], v[176:177], v[160:161], -v[180:181]
	v_fmac_f64_e32 v[160:161], v[176:177], v[148:149]
	v_add_f64 v[148:149], v[180:181], v[160:161]
	v_add_f64 v[182:183], v[166:167], -v[148:149]
	v_add_f64 v[166:167], v[166:167], -v[182:183]
	;; [unrolled: 1-line block ×4, first 2 shown]
	v_add_f64 v[148:149], v[162:163], v[148:149]
	v_add_f64 v[160:161], v[180:181], -v[160:161]
	v_add_f64 v[148:149], v[160:161], v[148:149]
	v_add_f64 v[160:161], v[164:165], v[176:177]
	;; [unrolled: 1-line block ×3, first 2 shown]
	v_add_f64 v[162:163], v[160:161], -v[164:165]
	v_mul_f64 v[148:149], v[178:179], v[148:149]
	v_add_f64 v[162:163], v[176:177], -v[162:163]
	v_add_f64 v[148:149], v[162:163], v[148:149]
	v_add_f64 v[162:163], v[160:161], v[148:149]
	v_add_f64 v[160:161], v[162:163], -v[160:161]
	s_mov_b32 s38, 0xbf559e2b
	v_add_f64 v[148:149], v[148:149], -v[160:161]
	v_mul_f64 v[160:161], v[162:163], v[162:163]
	v_mov_b32_e32 v164, 0x6b47b09a
	v_mov_b32_e32 v165, 0x3fc38538
	s_mov_b32 s39, 0x3fc3ab76
	v_fmac_f64_e32 v[164:165], s[38:39], v[160:161]
	v_mov_b32_e32 v166, 0xd7f4df2e
	v_mov_b32_e32 v167, 0x3fc7474d
	v_fmac_f64_e32 v[166:167], v[160:161], v[164:165]
	v_mov_b32_e32 v164, 0x16291751
	v_mov_b32_e32 v165, 0x3fcc71c0
	;; [unrolled: 3-line block ×5, first 2 shown]
	v_fmac_f64_e32 v[166:167], v[160:161], v[164:165]
	v_cvt_f64_i32_e32 v[164:165], v151
	v_mul_f64 v[176:177], v[164:165], s[48:49]
	v_fma_f64 v[178:179], v[164:165], s[48:49], -v[176:177]
	v_fmac_f64_e32 v[178:179], s[50:51], v[164:165]
	v_add_f64 v[164:165], v[176:177], v[178:179]
	v_add_f64 v[176:177], v[164:165], -v[176:177]
	v_mul_f64 v[160:161], v[162:163], v[160:161]
	v_add_f64 v[176:177], v[178:179], -v[176:177]
	v_ldexp_f64 v[178:179], v[162:163], 1
	v_mul_f64 v[160:161], v[160:161], v[166:167]
	v_add_f64 v[162:163], v[178:179], v[160:161]
	v_add_f64 v[166:167], v[162:163], -v[178:179]
	v_ldexp_f64 v[148:149], v[148:149], 1
	v_add_f64 v[160:161], v[160:161], -v[166:167]
	v_add_f64 v[148:149], v[148:149], v[160:161]
	v_add_f64 v[160:161], v[162:163], v[148:149]
	v_add_f64 v[162:163], v[160:161], -v[162:163]
	v_add_f64 v[148:149], v[148:149], -v[162:163]
	v_add_f64 v[162:163], v[164:165], v[160:161]
	v_add_f64 v[166:167], v[162:163], -v[164:165]
	v_add_f64 v[178:179], v[162:163], -v[166:167]
	;; [unrolled: 1-line block ×4, first 2 shown]
	v_add_f64 v[160:161], v[160:161], v[164:165]
	v_add_f64 v[164:165], v[176:177], v[148:149]
	v_add_f64 v[166:167], v[164:165], -v[176:177]
	v_add_f64 v[160:161], v[164:165], v[160:161]
	v_add_f64 v[178:179], v[164:165], -v[166:167]
	;; [unrolled: 2-line block ×3, first 2 shown]
	v_add_f64 v[148:149], v[148:149], -v[166:167]
	v_add_f64 v[162:163], v[164:165], -v[162:163]
	v_add_f64 v[148:149], v[148:149], v[176:177]
	v_add_f64 v[160:161], v[160:161], -v[162:163]
	s_mov_b32 s38, 0
	v_add_f64 v[148:149], v[148:149], v[160:161]
	s_mov_b32 s39, 0x7ff00000
	v_add_f64 v[148:149], v[164:165], v[148:149]
	v_cmp_eq_f64_e64 s[38:39], s[38:39], v[146:147]
	v_mov_b32_e32 v151, 0x7ff80000
	s_nop 0
	v_cndmask_b32_e64 v148, v148, v146, s[38:39]
	v_cndmask_b32_e64 v149, v149, v147, s[38:39]
	v_cmp_ngt_f64_e64 s[38:39], -1.0, v[146:147]
	s_nop 1
	v_cndmask_b32_e64 v149, v151, v149, s[38:39]
	v_cmp_nge_f64_e64 s[38:39], -1.0, v[146:147]
	v_mov_b32_e32 v151, 0xfff00000
	s_nop 0
	v_cndmask_b32_e64 v148, 0, v148, s[38:39]
	v_cmp_neq_f64_e64 s[38:39], -1.0, v[146:147]
	s_nop 1
	v_cndmask_b32_e64 v149, v151, v149, s[38:39]
	v_add_f64 v[146:147], v[6:7], v[148:149]
.LBB70_310:
	s_or_b64 exec, exec, s[46:47]
	v_mov_b64_e32 v[6:7], v[146:147]
	v_mov_b32_e32 v148, v146
	v_mov_b32_e32 v149, v147
.LBB70_311:
	s_or_b64 exec, exec, s[44:45]
	v_mov_b32_dpp v146, v148 row_shr:8 row_mask:0xf bank_mask:0xf
	v_mov_b32_dpp v147, v149 row_shr:8 row_mask:0xf bank_mask:0xf
	v_cmp_lt_u32_e64 s[38:39], 7, v150
	s_and_saveexec_b64 s[44:45], s[38:39]
	s_cbranch_execz .LBB70_315
; %bb.312:
	v_max_f64 v[150:151], v[146:147], v[146:147]
	v_max_f64 v[160:161], v[6:7], v[6:7]
	v_min_f64 v[148:149], v[150:151], v[160:161]
	v_cmp_u_f64_e64 s[38:39], v[146:147], v[146:147]
	v_max_f64 v[150:151], v[150:151], v[160:161]
	v_cmp_u_f64_e64 s[40:41], v[6:7], v[6:7]
	v_cndmask_b32_e64 v148, v148, v146, s[38:39]
	v_cndmask_b32_e64 v149, v149, v147, s[38:39]
	;; [unrolled: 1-line block ×8, first 2 shown]
	s_movk_i32 s40, 0x1f8
	v_cmp_neq_f64_e64 s[38:39], v[148:149], v[6:7]
	v_cmp_class_f64_e64 s[40:41], v[148:149], s40
	s_or_b64 s[38:39], s[38:39], s[40:41]
	s_and_saveexec_b64 s[46:47], s[38:39]
	s_cbranch_execz .LBB70_314
; %bb.313:
	s_mov_b32 s38, 0x652b82fe
	v_add_f64 v[146:147], v[148:149], -v[6:7]
	s_mov_b32 s39, 0x3ff71547
	v_mul_f64 v[148:149], v[146:147], s[38:39]
	v_rndne_f64_e32 v[148:149], v[148:149]
	s_mov_b32 s49, 0xbfe62e42
	s_mov_b32 s48, 0xfefa39ef
	v_fma_f64 v[150:151], s[48:49], v[148:149], v[146:147]
	s_mov_b32 s51, 0xbc7abc9e
	s_mov_b32 s50, 0x3b39803f
	;; [unrolled: 1-line block ×3, first 2 shown]
	v_fmac_f64_e32 v[150:151], s[50:51], v[148:149]
	v_mov_b32_e32 v160, 0xfca7ab0c
	v_mov_b32_e32 v161, 0x3e928af3
	s_mov_b32 s39, 0x3e5ade15
	v_fmac_f64_e32 v[160:161], s[38:39], v[150:151]
	v_mov_b32_e32 v162, 0x623fde64
	v_mov_b32_e32 v163, 0x3ec71dee
	v_fmac_f64_e32 v[162:163], v[150:151], v[160:161]
	v_mov_b32_e32 v160, 0x7c89e6b0
	v_mov_b32_e32 v161, 0x3efa0199
	;; [unrolled: 3-line block ×8, first 2 shown]
	v_fmac_f64_e32 v[160:161], v[150:151], v[162:163]
	v_fma_f64 v[160:161], v[150:151], v[160:161], 1.0
	s_mov_b32 s38, 0
	s_mov_b32 s40, 0
	v_fma_f64 v[150:151], v[150:151], v[160:161], 1.0
	v_cvt_i32_f64_e32 v148, v[148:149]
	s_mov_b32 s39, 0x40900000
	s_mov_b32 s41, 0xc090cc00
	v_ldexp_f64 v[148:149], v[150:151], v148
	v_mov_b32_e32 v150, 0x7ff00000
	v_cmp_nlt_f64_e64 s[38:39], s[38:39], v[146:147]
	v_cmp_ngt_f64_e64 s[40:41], s[40:41], v[146:147]
	s_mov_b32 s49, 0x3fe62e42
	v_cndmask_b32_e64 v149, v150, v149, s[38:39]
	s_and_b64 s[38:39], s[40:41], s[38:39]
	v_cndmask_b32_e64 v147, 0, v149, s[40:41]
	v_cndmask_b32_e64 v146, 0, v148, s[38:39]
	v_add_f64 v[148:149], v[146:147], 1.0
	v_add_f64 v[150:151], v[148:149], -1.0
	v_add_f64 v[160:161], v[150:151], -v[148:149]
	v_add_f64 v[160:161], v[160:161], 1.0
	v_add_f64 v[150:151], v[146:147], -v[150:151]
	s_mov_b32 s38, 0x55555555
	v_add_f64 v[150:151], v[150:151], v[160:161]
	v_frexp_mant_f64_e32 v[160:161], v[148:149]
	s_mov_b32 s39, 0x3fe55555
	v_frexp_exp_i32_f64_e32 v162, v[148:149]
	v_cmp_gt_f64_e64 s[38:39], s[38:39], v[160:161]
	s_mov_b32 s51, 0x3c7abc9e
	s_nop 0
	v_subbrev_co_u32_e64 v192, s[38:39], 0, v162, s[38:39]
	v_sub_u32_e32 v160, 0, v192
	v_ldexp_f64 v[148:149], v[148:149], v160
	v_ldexp_f64 v[150:151], v[150:151], v160
	v_add_f64 v[160:161], v[148:149], -1.0
	v_add_f64 v[166:167], v[148:149], 1.0
	v_add_f64 v[162:163], v[160:161], 1.0
	v_add_f64 v[176:177], v[166:167], -1.0
	v_add_f64 v[162:163], v[148:149], -v[162:163]
	v_add_f64 v[148:149], v[148:149], -v[176:177]
	v_add_f64 v[148:149], v[150:151], v[148:149]
	v_add_f64 v[162:163], v[150:151], v[162:163]
	;; [unrolled: 1-line block ×3, first 2 shown]
	v_rcp_f64_e32 v[176:177], v[150:151]
	v_add_f64 v[164:165], v[160:161], v[162:163]
	v_add_f64 v[160:161], v[164:165], -v[160:161]
	v_add_f64 v[160:161], v[162:163], -v[160:161]
	;; [unrolled: 1-line block ×4, first 2 shown]
	v_fma_f64 v[162:163], -v[150:151], v[176:177], 1.0
	v_fmac_f64_e32 v[176:177], v[162:163], v[176:177]
	v_fma_f64 v[162:163], -v[150:151], v[176:177], 1.0
	v_fmac_f64_e32 v[176:177], v[162:163], v[176:177]
	v_mul_f64 v[162:163], v[164:165], v[176:177]
	v_mul_f64 v[166:167], v[150:151], v[162:163]
	v_fma_f64 v[178:179], v[162:163], v[150:151], -v[166:167]
	v_fmac_f64_e32 v[178:179], v[162:163], v[148:149]
	v_add_f64 v[180:181], v[166:167], v[178:179]
	v_add_f64 v[182:183], v[164:165], -v[180:181]
	v_add_f64 v[164:165], v[164:165], -v[182:183]
	;; [unrolled: 1-line block ×4, first 2 shown]
	v_add_f64 v[160:161], v[160:161], v[164:165]
	v_add_f64 v[164:165], v[166:167], -v[178:179]
	v_add_f64 v[160:161], v[164:165], v[160:161]
	v_add_f64 v[164:165], v[182:183], v[160:161]
	v_add_f64 v[166:167], v[182:183], -v[164:165]
	v_add_f64 v[160:161], v[160:161], v[166:167]
	v_mul_f64 v[166:167], v[176:177], v[164:165]
	v_mul_f64 v[178:179], v[150:151], v[166:167]
	v_fma_f64 v[150:151], v[166:167], v[150:151], -v[178:179]
	v_fmac_f64_e32 v[150:151], v[166:167], v[148:149]
	v_add_f64 v[148:149], v[178:179], v[150:151]
	v_add_f64 v[180:181], v[164:165], -v[148:149]
	v_add_f64 v[164:165], v[164:165], -v[180:181]
	v_add_f64 v[178:179], v[148:149], -v[178:179]
	v_add_f64 v[148:149], v[164:165], -v[148:149]
	v_add_f64 v[148:149], v[160:161], v[148:149]
	v_add_f64 v[150:151], v[178:179], -v[150:151]
	v_add_f64 v[148:149], v[150:151], v[148:149]
	v_add_f64 v[150:151], v[162:163], v[166:167]
	v_add_f64 v[148:149], v[180:181], v[148:149]
	v_add_f64 v[160:161], v[150:151], -v[162:163]
	v_mul_f64 v[148:149], v[176:177], v[148:149]
	v_add_f64 v[160:161], v[166:167], -v[160:161]
	v_add_f64 v[148:149], v[160:161], v[148:149]
	v_add_f64 v[160:161], v[150:151], v[148:149]
	v_add_f64 v[150:151], v[160:161], -v[150:151]
	s_mov_b32 s38, 0xbf559e2b
	v_add_f64 v[148:149], v[148:149], -v[150:151]
	v_mul_f64 v[150:151], v[160:161], v[160:161]
	v_mov_b32_e32 v162, 0x6b47b09a
	v_mov_b32_e32 v163, 0x3fc38538
	s_mov_b32 s39, 0x3fc3ab76
	v_fmac_f64_e32 v[162:163], s[38:39], v[150:151]
	v_mov_b32_e32 v164, 0xd7f4df2e
	v_mov_b32_e32 v165, 0x3fc7474d
	v_fmac_f64_e32 v[164:165], v[150:151], v[162:163]
	v_mov_b32_e32 v162, 0x16291751
	v_mov_b32_e32 v163, 0x3fcc71c0
	;; [unrolled: 3-line block ×5, first 2 shown]
	v_fmac_f64_e32 v[164:165], v[150:151], v[162:163]
	v_cvt_f64_i32_e32 v[162:163], v192
	v_mul_f64 v[166:167], v[162:163], s[48:49]
	v_fma_f64 v[176:177], v[162:163], s[48:49], -v[166:167]
	v_fmac_f64_e32 v[176:177], s[50:51], v[162:163]
	v_add_f64 v[162:163], v[166:167], v[176:177]
	v_add_f64 v[166:167], v[162:163], -v[166:167]
	v_mul_f64 v[150:151], v[160:161], v[150:151]
	v_add_f64 v[166:167], v[176:177], -v[166:167]
	v_ldexp_f64 v[176:177], v[160:161], 1
	v_mul_f64 v[150:151], v[150:151], v[164:165]
	v_add_f64 v[160:161], v[176:177], v[150:151]
	v_add_f64 v[164:165], v[160:161], -v[176:177]
	v_ldexp_f64 v[148:149], v[148:149], 1
	v_add_f64 v[150:151], v[150:151], -v[164:165]
	v_add_f64 v[148:149], v[148:149], v[150:151]
	v_add_f64 v[150:151], v[160:161], v[148:149]
	v_add_f64 v[160:161], v[150:151], -v[160:161]
	v_add_f64 v[148:149], v[148:149], -v[160:161]
	v_add_f64 v[160:161], v[162:163], v[150:151]
	v_add_f64 v[164:165], v[160:161], -v[162:163]
	v_add_f64 v[176:177], v[160:161], -v[164:165]
	;; [unrolled: 1-line block ×4, first 2 shown]
	v_add_f64 v[150:151], v[150:151], v[162:163]
	v_add_f64 v[162:163], v[166:167], v[148:149]
	v_add_f64 v[164:165], v[162:163], -v[166:167]
	v_add_f64 v[150:151], v[162:163], v[150:151]
	v_add_f64 v[176:177], v[162:163], -v[164:165]
	;; [unrolled: 2-line block ×3, first 2 shown]
	v_add_f64 v[148:149], v[148:149], -v[164:165]
	v_add_f64 v[160:161], v[162:163], -v[160:161]
	v_add_f64 v[148:149], v[148:149], v[166:167]
	v_add_f64 v[150:151], v[150:151], -v[160:161]
	s_mov_b32 s38, 0
	v_add_f64 v[148:149], v[148:149], v[150:151]
	s_mov_b32 s39, 0x7ff00000
	v_add_f64 v[148:149], v[162:163], v[148:149]
	v_cmp_eq_f64_e64 s[38:39], s[38:39], v[146:147]
	v_mov_b32_e32 v150, 0x7ff80000
	s_nop 0
	v_cndmask_b32_e64 v148, v148, v146, s[38:39]
	v_cndmask_b32_e64 v149, v149, v147, s[38:39]
	v_cmp_ngt_f64_e64 s[38:39], -1.0, v[146:147]
	s_nop 1
	v_cndmask_b32_e64 v149, v150, v149, s[38:39]
	v_cmp_nge_f64_e64 s[38:39], -1.0, v[146:147]
	v_mov_b32_e32 v150, 0xfff00000
	s_nop 0
	v_cndmask_b32_e64 v148, 0, v148, s[38:39]
	v_cmp_neq_f64_e64 s[38:39], -1.0, v[146:147]
	s_nop 1
	v_cndmask_b32_e64 v149, v150, v149, s[38:39]
	v_add_f64 v[146:147], v[6:7], v[148:149]
.LBB70_314:
	s_or_b64 exec, exec, s[46:47]
	v_mov_b64_e32 v[6:7], v[146:147]
	v_mov_b32_e32 v148, v146
	v_mov_b32_e32 v149, v147
.LBB70_315:
	s_or_b64 exec, exec, s[44:45]
	v_and_b32_e32 v150, 16, v71
	v_mov_b32_dpp v146, v148 row_bcast:15 row_mask:0xf bank_mask:0xf
	v_mov_b32_dpp v147, v149 row_bcast:15 row_mask:0xf bank_mask:0xf
	v_cmp_ne_u32_e64 s[38:39], 0, v150
	s_and_saveexec_b64 s[44:45], s[38:39]
	s_cbranch_execz .LBB70_319
; %bb.316:
	v_max_f64 v[150:151], v[146:147], v[146:147]
	v_max_f64 v[160:161], v[6:7], v[6:7]
	v_min_f64 v[148:149], v[150:151], v[160:161]
	v_cmp_u_f64_e64 s[38:39], v[146:147], v[146:147]
	v_max_f64 v[150:151], v[150:151], v[160:161]
	v_cmp_u_f64_e64 s[40:41], v[6:7], v[6:7]
	v_cndmask_b32_e64 v148, v148, v146, s[38:39]
	v_cndmask_b32_e64 v149, v149, v147, s[38:39]
	;; [unrolled: 1-line block ×8, first 2 shown]
	s_movk_i32 s40, 0x1f8
	v_cmp_neq_f64_e64 s[38:39], v[148:149], v[6:7]
	v_cmp_class_f64_e64 s[40:41], v[148:149], s40
	s_or_b64 s[38:39], s[38:39], s[40:41]
	s_and_saveexec_b64 s[46:47], s[38:39]
	s_cbranch_execz .LBB70_318
; %bb.317:
	s_mov_b32 s38, 0x652b82fe
	v_add_f64 v[146:147], v[148:149], -v[6:7]
	s_mov_b32 s39, 0x3ff71547
	v_mul_f64 v[148:149], v[146:147], s[38:39]
	v_rndne_f64_e32 v[148:149], v[148:149]
	s_mov_b32 s49, 0xbfe62e42
	s_mov_b32 s48, 0xfefa39ef
	v_fma_f64 v[150:151], s[48:49], v[148:149], v[146:147]
	s_mov_b32 s51, 0xbc7abc9e
	s_mov_b32 s50, 0x3b39803f
	;; [unrolled: 1-line block ×3, first 2 shown]
	v_fmac_f64_e32 v[150:151], s[50:51], v[148:149]
	v_mov_b32_e32 v160, 0xfca7ab0c
	v_mov_b32_e32 v161, 0x3e928af3
	s_mov_b32 s39, 0x3e5ade15
	v_fmac_f64_e32 v[160:161], s[38:39], v[150:151]
	v_mov_b32_e32 v162, 0x623fde64
	v_mov_b32_e32 v163, 0x3ec71dee
	v_fmac_f64_e32 v[162:163], v[150:151], v[160:161]
	v_mov_b32_e32 v160, 0x7c89e6b0
	v_mov_b32_e32 v161, 0x3efa0199
	;; [unrolled: 3-line block ×8, first 2 shown]
	v_fmac_f64_e32 v[160:161], v[150:151], v[162:163]
	v_fma_f64 v[160:161], v[150:151], v[160:161], 1.0
	s_mov_b32 s38, 0
	s_mov_b32 s40, 0
	v_fma_f64 v[150:151], v[150:151], v[160:161], 1.0
	v_cvt_i32_f64_e32 v148, v[148:149]
	s_mov_b32 s39, 0x40900000
	s_mov_b32 s41, 0xc090cc00
	v_ldexp_f64 v[148:149], v[150:151], v148
	v_mov_b32_e32 v150, 0x7ff00000
	v_cmp_nlt_f64_e64 s[38:39], s[38:39], v[146:147]
	v_cmp_ngt_f64_e64 s[40:41], s[40:41], v[146:147]
	s_mov_b32 s49, 0x3fe62e42
	v_cndmask_b32_e64 v149, v150, v149, s[38:39]
	s_and_b64 s[38:39], s[40:41], s[38:39]
	v_cndmask_b32_e64 v147, 0, v149, s[40:41]
	v_cndmask_b32_e64 v146, 0, v148, s[38:39]
	v_add_f64 v[148:149], v[146:147], 1.0
	v_add_f64 v[150:151], v[148:149], -1.0
	v_add_f64 v[160:161], v[150:151], -v[148:149]
	v_add_f64 v[160:161], v[160:161], 1.0
	v_add_f64 v[150:151], v[146:147], -v[150:151]
	s_mov_b32 s38, 0x55555555
	v_add_f64 v[150:151], v[150:151], v[160:161]
	v_frexp_mant_f64_e32 v[160:161], v[148:149]
	s_mov_b32 s39, 0x3fe55555
	v_frexp_exp_i32_f64_e32 v162, v[148:149]
	v_cmp_gt_f64_e64 s[38:39], s[38:39], v[160:161]
	s_mov_b32 s51, 0x3c7abc9e
	s_nop 0
	v_subbrev_co_u32_e64 v192, s[38:39], 0, v162, s[38:39]
	v_sub_u32_e32 v160, 0, v192
	v_ldexp_f64 v[148:149], v[148:149], v160
	v_ldexp_f64 v[150:151], v[150:151], v160
	v_add_f64 v[160:161], v[148:149], -1.0
	v_add_f64 v[166:167], v[148:149], 1.0
	v_add_f64 v[162:163], v[160:161], 1.0
	v_add_f64 v[176:177], v[166:167], -1.0
	v_add_f64 v[162:163], v[148:149], -v[162:163]
	v_add_f64 v[148:149], v[148:149], -v[176:177]
	v_add_f64 v[148:149], v[150:151], v[148:149]
	v_add_f64 v[162:163], v[150:151], v[162:163]
	;; [unrolled: 1-line block ×3, first 2 shown]
	v_rcp_f64_e32 v[176:177], v[150:151]
	v_add_f64 v[164:165], v[160:161], v[162:163]
	v_add_f64 v[160:161], v[164:165], -v[160:161]
	v_add_f64 v[160:161], v[162:163], -v[160:161]
	;; [unrolled: 1-line block ×4, first 2 shown]
	v_fma_f64 v[162:163], -v[150:151], v[176:177], 1.0
	v_fmac_f64_e32 v[176:177], v[162:163], v[176:177]
	v_fma_f64 v[162:163], -v[150:151], v[176:177], 1.0
	v_fmac_f64_e32 v[176:177], v[162:163], v[176:177]
	v_mul_f64 v[162:163], v[164:165], v[176:177]
	v_mul_f64 v[166:167], v[150:151], v[162:163]
	v_fma_f64 v[178:179], v[162:163], v[150:151], -v[166:167]
	v_fmac_f64_e32 v[178:179], v[162:163], v[148:149]
	v_add_f64 v[180:181], v[166:167], v[178:179]
	v_add_f64 v[182:183], v[164:165], -v[180:181]
	v_add_f64 v[164:165], v[164:165], -v[182:183]
	;; [unrolled: 1-line block ×4, first 2 shown]
	v_add_f64 v[160:161], v[160:161], v[164:165]
	v_add_f64 v[164:165], v[166:167], -v[178:179]
	v_add_f64 v[160:161], v[164:165], v[160:161]
	v_add_f64 v[164:165], v[182:183], v[160:161]
	v_add_f64 v[166:167], v[182:183], -v[164:165]
	v_add_f64 v[160:161], v[160:161], v[166:167]
	v_mul_f64 v[166:167], v[176:177], v[164:165]
	v_mul_f64 v[178:179], v[150:151], v[166:167]
	v_fma_f64 v[150:151], v[166:167], v[150:151], -v[178:179]
	v_fmac_f64_e32 v[150:151], v[166:167], v[148:149]
	v_add_f64 v[148:149], v[178:179], v[150:151]
	v_add_f64 v[180:181], v[164:165], -v[148:149]
	v_add_f64 v[164:165], v[164:165], -v[180:181]
	;; [unrolled: 1-line block ×4, first 2 shown]
	v_add_f64 v[148:149], v[160:161], v[148:149]
	v_add_f64 v[150:151], v[178:179], -v[150:151]
	v_add_f64 v[148:149], v[150:151], v[148:149]
	v_add_f64 v[150:151], v[162:163], v[166:167]
	;; [unrolled: 1-line block ×3, first 2 shown]
	v_add_f64 v[160:161], v[150:151], -v[162:163]
	v_mul_f64 v[148:149], v[176:177], v[148:149]
	v_add_f64 v[160:161], v[166:167], -v[160:161]
	v_add_f64 v[148:149], v[160:161], v[148:149]
	v_add_f64 v[160:161], v[150:151], v[148:149]
	v_add_f64 v[150:151], v[160:161], -v[150:151]
	s_mov_b32 s38, 0xbf559e2b
	v_add_f64 v[148:149], v[148:149], -v[150:151]
	v_mul_f64 v[150:151], v[160:161], v[160:161]
	v_mov_b32_e32 v162, 0x6b47b09a
	v_mov_b32_e32 v163, 0x3fc38538
	s_mov_b32 s39, 0x3fc3ab76
	v_fmac_f64_e32 v[162:163], s[38:39], v[150:151]
	v_mov_b32_e32 v164, 0xd7f4df2e
	v_mov_b32_e32 v165, 0x3fc7474d
	v_fmac_f64_e32 v[164:165], v[150:151], v[162:163]
	v_mov_b32_e32 v162, 0x16291751
	v_mov_b32_e32 v163, 0x3fcc71c0
	;; [unrolled: 3-line block ×5, first 2 shown]
	v_fmac_f64_e32 v[164:165], v[150:151], v[162:163]
	v_cvt_f64_i32_e32 v[162:163], v192
	v_mul_f64 v[166:167], v[162:163], s[48:49]
	v_fma_f64 v[176:177], v[162:163], s[48:49], -v[166:167]
	v_fmac_f64_e32 v[176:177], s[50:51], v[162:163]
	v_add_f64 v[162:163], v[166:167], v[176:177]
	v_add_f64 v[166:167], v[162:163], -v[166:167]
	v_mul_f64 v[150:151], v[160:161], v[150:151]
	v_add_f64 v[166:167], v[176:177], -v[166:167]
	v_ldexp_f64 v[176:177], v[160:161], 1
	v_mul_f64 v[150:151], v[150:151], v[164:165]
	v_add_f64 v[160:161], v[176:177], v[150:151]
	v_add_f64 v[164:165], v[160:161], -v[176:177]
	v_ldexp_f64 v[148:149], v[148:149], 1
	v_add_f64 v[150:151], v[150:151], -v[164:165]
	v_add_f64 v[148:149], v[148:149], v[150:151]
	v_add_f64 v[150:151], v[160:161], v[148:149]
	v_add_f64 v[160:161], v[150:151], -v[160:161]
	v_add_f64 v[148:149], v[148:149], -v[160:161]
	v_add_f64 v[160:161], v[162:163], v[150:151]
	v_add_f64 v[164:165], v[160:161], -v[162:163]
	v_add_f64 v[176:177], v[160:161], -v[164:165]
	;; [unrolled: 1-line block ×4, first 2 shown]
	v_add_f64 v[150:151], v[150:151], v[162:163]
	v_add_f64 v[162:163], v[166:167], v[148:149]
	v_add_f64 v[164:165], v[162:163], -v[166:167]
	v_add_f64 v[150:151], v[162:163], v[150:151]
	v_add_f64 v[176:177], v[162:163], -v[164:165]
	;; [unrolled: 2-line block ×3, first 2 shown]
	v_add_f64 v[148:149], v[148:149], -v[164:165]
	v_add_f64 v[160:161], v[162:163], -v[160:161]
	v_add_f64 v[148:149], v[148:149], v[166:167]
	v_add_f64 v[150:151], v[150:151], -v[160:161]
	s_mov_b32 s38, 0
	v_add_f64 v[148:149], v[148:149], v[150:151]
	s_mov_b32 s39, 0x7ff00000
	v_add_f64 v[148:149], v[162:163], v[148:149]
	v_cmp_eq_f64_e64 s[38:39], s[38:39], v[146:147]
	v_mov_b32_e32 v150, 0x7ff80000
	s_nop 0
	v_cndmask_b32_e64 v148, v148, v146, s[38:39]
	v_cndmask_b32_e64 v149, v149, v147, s[38:39]
	v_cmp_ngt_f64_e64 s[38:39], -1.0, v[146:147]
	s_nop 1
	v_cndmask_b32_e64 v149, v150, v149, s[38:39]
	v_cmp_nge_f64_e64 s[38:39], -1.0, v[146:147]
	v_mov_b32_e32 v150, 0xfff00000
	s_nop 0
	v_cndmask_b32_e64 v148, 0, v148, s[38:39]
	v_cmp_neq_f64_e64 s[38:39], -1.0, v[146:147]
	s_nop 1
	v_cndmask_b32_e64 v149, v150, v149, s[38:39]
	v_add_f64 v[146:147], v[6:7], v[148:149]
.LBB70_318:
	s_or_b64 exec, exec, s[46:47]
	v_mov_b32_e32 v148, v146
	v_mov_b32_e32 v149, v147
	v_mov_b64_e32 v[6:7], v[146:147]
.LBB70_319:
	s_or_b64 exec, exec, s[44:45]
	v_mov_b32_dpp v146, v148 row_bcast:31 row_mask:0xf bank_mask:0xf
	v_mov_b32_dpp v147, v149 row_bcast:31 row_mask:0xf bank_mask:0xf
	v_cmp_lt_u32_e64 s[38:39], 31, v71
	s_and_saveexec_b64 s[44:45], s[38:39]
	s_cbranch_execz .LBB70_323
; %bb.320:
	v_max_f64 v[150:151], v[146:147], v[146:147]
	v_max_f64 v[160:161], v[6:7], v[6:7]
	v_min_f64 v[148:149], v[150:151], v[160:161]
	v_cmp_u_f64_e64 s[38:39], v[146:147], v[146:147]
	v_max_f64 v[150:151], v[150:151], v[160:161]
	v_cmp_u_f64_e64 s[40:41], v[6:7], v[6:7]
	v_cndmask_b32_e64 v148, v148, v146, s[38:39]
	v_cndmask_b32_e64 v149, v149, v147, s[38:39]
	v_cndmask_b32_e64 v150, v150, v146, s[38:39]
	v_cndmask_b32_e64 v151, v151, v147, s[38:39]
	v_cndmask_b32_e64 v149, v149, v7, s[40:41]
	v_cndmask_b32_e64 v148, v148, v6, s[40:41]
	v_cndmask_b32_e64 v7, v151, v7, s[40:41]
	v_cndmask_b32_e64 v6, v150, v6, s[40:41]
	s_movk_i32 s40, 0x1f8
	v_cmp_neq_f64_e64 s[38:39], v[148:149], v[6:7]
	v_cmp_class_f64_e64 s[40:41], v[148:149], s40
	s_or_b64 s[38:39], s[38:39], s[40:41]
	s_and_saveexec_b64 s[46:47], s[38:39]
	s_cbranch_execz .LBB70_322
; %bb.321:
	s_mov_b32 s38, 0x652b82fe
	v_add_f64 v[146:147], v[148:149], -v[6:7]
	s_mov_b32 s39, 0x3ff71547
	v_mul_f64 v[148:149], v[146:147], s[38:39]
	v_rndne_f64_e32 v[148:149], v[148:149]
	s_mov_b32 s49, 0xbfe62e42
	s_mov_b32 s48, 0xfefa39ef
	v_fma_f64 v[150:151], s[48:49], v[148:149], v[146:147]
	s_mov_b32 s51, 0xbc7abc9e
	s_mov_b32 s50, 0x3b39803f
	;; [unrolled: 1-line block ×3, first 2 shown]
	v_fmac_f64_e32 v[150:151], s[50:51], v[148:149]
	v_mov_b32_e32 v160, 0xfca7ab0c
	v_mov_b32_e32 v161, 0x3e928af3
	s_mov_b32 s39, 0x3e5ade15
	v_fmac_f64_e32 v[160:161], s[38:39], v[150:151]
	v_mov_b32_e32 v162, 0x623fde64
	v_mov_b32_e32 v163, 0x3ec71dee
	v_fmac_f64_e32 v[162:163], v[150:151], v[160:161]
	v_mov_b32_e32 v160, 0x7c89e6b0
	v_mov_b32_e32 v161, 0x3efa0199
	;; [unrolled: 3-line block ×8, first 2 shown]
	v_fmac_f64_e32 v[160:161], v[150:151], v[162:163]
	v_fma_f64 v[160:161], v[150:151], v[160:161], 1.0
	s_mov_b32 s38, 0
	s_mov_b32 s40, 0
	v_fma_f64 v[150:151], v[150:151], v[160:161], 1.0
	v_cvt_i32_f64_e32 v148, v[148:149]
	s_mov_b32 s39, 0x40900000
	s_mov_b32 s41, 0xc090cc00
	v_ldexp_f64 v[148:149], v[150:151], v148
	v_mov_b32_e32 v150, 0x7ff00000
	v_cmp_nlt_f64_e64 s[38:39], s[38:39], v[146:147]
	v_cmp_ngt_f64_e64 s[40:41], s[40:41], v[146:147]
	s_mov_b32 s49, 0x3fe62e42
	v_cndmask_b32_e64 v149, v150, v149, s[38:39]
	s_and_b64 s[38:39], s[40:41], s[38:39]
	v_cndmask_b32_e64 v147, 0, v149, s[40:41]
	v_cndmask_b32_e64 v146, 0, v148, s[38:39]
	v_add_f64 v[148:149], v[146:147], 1.0
	v_add_f64 v[150:151], v[148:149], -1.0
	v_add_f64 v[160:161], v[150:151], -v[148:149]
	v_add_f64 v[160:161], v[160:161], 1.0
	v_add_f64 v[150:151], v[146:147], -v[150:151]
	s_mov_b32 s38, 0x55555555
	v_add_f64 v[150:151], v[150:151], v[160:161]
	v_frexp_mant_f64_e32 v[160:161], v[148:149]
	s_mov_b32 s39, 0x3fe55555
	v_frexp_exp_i32_f64_e32 v162, v[148:149]
	v_cmp_gt_f64_e64 s[38:39], s[38:39], v[160:161]
	s_mov_b32 s51, 0x3c7abc9e
	s_nop 0
	v_subbrev_co_u32_e64 v192, s[38:39], 0, v162, s[38:39]
	v_sub_u32_e32 v160, 0, v192
	v_ldexp_f64 v[148:149], v[148:149], v160
	v_ldexp_f64 v[150:151], v[150:151], v160
	v_add_f64 v[160:161], v[148:149], -1.0
	v_add_f64 v[166:167], v[148:149], 1.0
	v_add_f64 v[162:163], v[160:161], 1.0
	v_add_f64 v[176:177], v[166:167], -1.0
	v_add_f64 v[162:163], v[148:149], -v[162:163]
	v_add_f64 v[148:149], v[148:149], -v[176:177]
	v_add_f64 v[148:149], v[150:151], v[148:149]
	v_add_f64 v[162:163], v[150:151], v[162:163]
	v_add_f64 v[150:151], v[166:167], v[148:149]
	v_rcp_f64_e32 v[176:177], v[150:151]
	v_add_f64 v[164:165], v[160:161], v[162:163]
	v_add_f64 v[160:161], v[164:165], -v[160:161]
	v_add_f64 v[160:161], v[162:163], -v[160:161]
	;; [unrolled: 1-line block ×4, first 2 shown]
	v_fma_f64 v[162:163], -v[150:151], v[176:177], 1.0
	v_fmac_f64_e32 v[176:177], v[162:163], v[176:177]
	v_fma_f64 v[162:163], -v[150:151], v[176:177], 1.0
	v_fmac_f64_e32 v[176:177], v[162:163], v[176:177]
	v_mul_f64 v[162:163], v[164:165], v[176:177]
	v_mul_f64 v[166:167], v[150:151], v[162:163]
	v_fma_f64 v[178:179], v[162:163], v[150:151], -v[166:167]
	v_fmac_f64_e32 v[178:179], v[162:163], v[148:149]
	v_add_f64 v[180:181], v[166:167], v[178:179]
	v_add_f64 v[182:183], v[164:165], -v[180:181]
	v_add_f64 v[164:165], v[164:165], -v[182:183]
	;; [unrolled: 1-line block ×4, first 2 shown]
	v_add_f64 v[160:161], v[160:161], v[164:165]
	v_add_f64 v[164:165], v[166:167], -v[178:179]
	v_add_f64 v[160:161], v[164:165], v[160:161]
	v_add_f64 v[164:165], v[182:183], v[160:161]
	v_add_f64 v[166:167], v[182:183], -v[164:165]
	v_add_f64 v[160:161], v[160:161], v[166:167]
	v_mul_f64 v[166:167], v[176:177], v[164:165]
	v_mul_f64 v[178:179], v[150:151], v[166:167]
	v_fma_f64 v[150:151], v[166:167], v[150:151], -v[178:179]
	v_fmac_f64_e32 v[150:151], v[166:167], v[148:149]
	v_add_f64 v[148:149], v[178:179], v[150:151]
	v_add_f64 v[180:181], v[164:165], -v[148:149]
	v_add_f64 v[164:165], v[164:165], -v[180:181]
	;; [unrolled: 1-line block ×4, first 2 shown]
	v_add_f64 v[148:149], v[160:161], v[148:149]
	v_add_f64 v[150:151], v[178:179], -v[150:151]
	v_add_f64 v[148:149], v[150:151], v[148:149]
	v_add_f64 v[150:151], v[162:163], v[166:167]
	;; [unrolled: 1-line block ×3, first 2 shown]
	v_add_f64 v[160:161], v[150:151], -v[162:163]
	v_mul_f64 v[148:149], v[176:177], v[148:149]
	v_add_f64 v[160:161], v[166:167], -v[160:161]
	v_add_f64 v[148:149], v[160:161], v[148:149]
	v_add_f64 v[160:161], v[150:151], v[148:149]
	v_add_f64 v[150:151], v[160:161], -v[150:151]
	s_mov_b32 s38, 0xbf559e2b
	v_add_f64 v[148:149], v[148:149], -v[150:151]
	v_mul_f64 v[150:151], v[160:161], v[160:161]
	v_mov_b32_e32 v162, 0x6b47b09a
	v_mov_b32_e32 v163, 0x3fc38538
	s_mov_b32 s39, 0x3fc3ab76
	v_fmac_f64_e32 v[162:163], s[38:39], v[150:151]
	v_mov_b32_e32 v164, 0xd7f4df2e
	v_mov_b32_e32 v165, 0x3fc7474d
	v_fmac_f64_e32 v[164:165], v[150:151], v[162:163]
	v_mov_b32_e32 v162, 0x16291751
	v_mov_b32_e32 v163, 0x3fcc71c0
	;; [unrolled: 3-line block ×5, first 2 shown]
	v_fmac_f64_e32 v[164:165], v[150:151], v[162:163]
	v_cvt_f64_i32_e32 v[162:163], v192
	v_mul_f64 v[166:167], v[162:163], s[48:49]
	v_fma_f64 v[176:177], v[162:163], s[48:49], -v[166:167]
	v_fmac_f64_e32 v[176:177], s[50:51], v[162:163]
	v_add_f64 v[162:163], v[166:167], v[176:177]
	v_add_f64 v[166:167], v[162:163], -v[166:167]
	v_mul_f64 v[150:151], v[160:161], v[150:151]
	v_add_f64 v[166:167], v[176:177], -v[166:167]
	v_ldexp_f64 v[176:177], v[160:161], 1
	v_mul_f64 v[150:151], v[150:151], v[164:165]
	v_add_f64 v[160:161], v[176:177], v[150:151]
	v_add_f64 v[164:165], v[160:161], -v[176:177]
	v_ldexp_f64 v[148:149], v[148:149], 1
	v_add_f64 v[150:151], v[150:151], -v[164:165]
	v_add_f64 v[148:149], v[148:149], v[150:151]
	v_add_f64 v[150:151], v[160:161], v[148:149]
	v_add_f64 v[160:161], v[150:151], -v[160:161]
	v_add_f64 v[148:149], v[148:149], -v[160:161]
	v_add_f64 v[160:161], v[162:163], v[150:151]
	v_add_f64 v[164:165], v[160:161], -v[162:163]
	v_add_f64 v[176:177], v[160:161], -v[164:165]
	;; [unrolled: 1-line block ×4, first 2 shown]
	v_add_f64 v[150:151], v[150:151], v[162:163]
	v_add_f64 v[162:163], v[166:167], v[148:149]
	v_add_f64 v[164:165], v[162:163], -v[166:167]
	v_add_f64 v[150:151], v[162:163], v[150:151]
	v_add_f64 v[176:177], v[162:163], -v[164:165]
	;; [unrolled: 2-line block ×3, first 2 shown]
	v_add_f64 v[148:149], v[148:149], -v[164:165]
	v_add_f64 v[160:161], v[162:163], -v[160:161]
	v_add_f64 v[148:149], v[148:149], v[166:167]
	v_add_f64 v[150:151], v[150:151], -v[160:161]
	s_mov_b32 s38, 0
	v_add_f64 v[148:149], v[148:149], v[150:151]
	s_mov_b32 s39, 0x7ff00000
	v_add_f64 v[148:149], v[162:163], v[148:149]
	v_cmp_eq_f64_e64 s[38:39], s[38:39], v[146:147]
	v_mov_b32_e32 v150, 0x7ff80000
	s_nop 0
	v_cndmask_b32_e64 v148, v148, v146, s[38:39]
	v_cndmask_b32_e64 v149, v149, v147, s[38:39]
	v_cmp_ngt_f64_e64 s[38:39], -1.0, v[146:147]
	s_nop 1
	v_cndmask_b32_e64 v149, v150, v149, s[38:39]
	v_cmp_nge_f64_e64 s[38:39], -1.0, v[146:147]
	v_mov_b32_e32 v150, 0xfff00000
	s_nop 0
	v_cndmask_b32_e64 v148, 0, v148, s[38:39]
	v_cmp_neq_f64_e64 s[38:39], -1.0, v[146:147]
	s_nop 1
	v_cndmask_b32_e64 v149, v150, v149, s[38:39]
	v_add_f64 v[146:147], v[6:7], v[148:149]
.LBB70_322:
	s_or_b64 exec, exec, s[46:47]
	v_mov_b64_e32 v[6:7], v[146:147]
.LBB70_323:
	s_or_b64 exec, exec, s[44:45]
	v_add_u32_e32 v146, -1, v71
	v_and_b32_e32 v147, 64, v71
	v_cmp_lt_i32_e64 s[38:39], v146, v147
	s_movk_i32 s48, 0x1f8
	s_nop 0
	v_cndmask_b32_e64 v71, v146, v71, s[38:39]
	v_lshlrev_b32_e32 v71, 2, v71
	ds_bpermute_b32 v6, v71, v6
	ds_bpermute_b32 v7, v71, v7
	s_waitcnt lgkmcnt(0)
	v_max_f64 v[148:149], v[6:7], v[6:7]
	v_min_f64 v[146:147], v[148:149], v[144:145]
	v_cmp_u_f64_e64 s[38:39], v[6:7], v[6:7]
	v_max_f64 v[144:145], v[148:149], v[144:145]
	s_nop 0
	v_cndmask_b32_e64 v71, v146, v6, s[38:39]
	v_cndmask_b32_e64 v146, v147, v7, s[38:39]
	;; [unrolled: 1-line block ×8, first 2 shown]
	v_cmp_neq_f64_e64 s[36:37], v[146:147], v[4:5]
	v_cmp_class_f64_e64 s[38:39], v[146:147], s48
	s_or_b64 s[36:37], s[36:37], s[38:39]
	s_and_saveexec_b64 s[40:41], s[36:37]
	s_cbranch_execz .LBB70_325
; %bb.324:
	s_mov_b32 s36, 0x652b82fe
	v_add_f64 v[6:7], v[146:147], -v[4:5]
	s_mov_b32 s37, 0x3ff71547
	v_mul_f64 v[144:145], v[6:7], s[36:37]
	v_rndne_f64_e32 v[144:145], v[144:145]
	s_mov_b32 s45, 0xbfe62e42
	s_mov_b32 s44, 0xfefa39ef
	v_fma_f64 v[146:147], s[44:45], v[144:145], v[6:7]
	s_mov_b32 s47, 0xbc7abc9e
	s_mov_b32 s46, 0x3b39803f
	;; [unrolled: 1-line block ×3, first 2 shown]
	v_fmac_f64_e32 v[146:147], s[46:47], v[144:145]
	v_mov_b32_e32 v148, 0xfca7ab0c
	v_mov_b32_e32 v149, 0x3e928af3
	s_mov_b32 s37, 0x3e5ade15
	v_fmac_f64_e32 v[148:149], s[36:37], v[146:147]
	v_mov_b32_e32 v150, 0x623fde64
	v_mov_b32_e32 v151, 0x3ec71dee
	v_fmac_f64_e32 v[150:151], v[146:147], v[148:149]
	v_mov_b32_e32 v148, 0x7c89e6b0
	v_mov_b32_e32 v149, 0x3efa0199
	;; [unrolled: 3-line block ×8, first 2 shown]
	v_fmac_f64_e32 v[148:149], v[146:147], v[150:151]
	v_fma_f64 v[148:149], v[146:147], v[148:149], 1.0
	s_mov_b32 s36, 0
	s_mov_b32 s38, 0
	v_fma_f64 v[146:147], v[146:147], v[148:149], 1.0
	v_cvt_i32_f64_e32 v71, v[144:145]
	s_mov_b32 s37, 0x40900000
	s_mov_b32 s39, 0xc090cc00
	v_ldexp_f64 v[144:145], v[146:147], v71
	v_mov_b32_e32 v71, 0x7ff00000
	v_cmp_nlt_f64_e64 s[36:37], s[36:37], v[6:7]
	v_cmp_ngt_f64_e64 s[38:39], s[38:39], v[6:7]
	s_mov_b32 s45, 0x3fe62e42
	v_cndmask_b32_e64 v71, v71, v145, s[36:37]
	s_and_b64 s[36:37], s[38:39], s[36:37]
	v_cndmask_b32_e64 v7, 0, v71, s[38:39]
	v_cndmask_b32_e64 v6, 0, v144, s[36:37]
	v_add_f64 v[144:145], v[6:7], 1.0
	v_add_f64 v[146:147], v[144:145], -1.0
	v_add_f64 v[148:149], v[146:147], -v[144:145]
	v_add_f64 v[148:149], v[148:149], 1.0
	v_add_f64 v[146:147], v[6:7], -v[146:147]
	s_mov_b32 s36, 0x55555555
	v_add_f64 v[146:147], v[146:147], v[148:149]
	v_frexp_mant_f64_e32 v[148:149], v[144:145]
	s_mov_b32 s37, 0x3fe55555
	v_frexp_exp_i32_f64_e32 v71, v[144:145]
	v_cmp_gt_f64_e64 s[36:37], s[36:37], v[148:149]
	s_mov_b32 s47, 0x3c7abc9e
	s_nop 0
	v_subbrev_co_u32_e64 v71, s[36:37], 0, v71, s[36:37]
	v_sub_u32_e32 v148, 0, v71
	v_ldexp_f64 v[144:145], v[144:145], v148
	v_ldexp_f64 v[146:147], v[146:147], v148
	v_add_f64 v[148:149], v[144:145], -1.0
	v_add_f64 v[162:163], v[144:145], 1.0
	v_add_f64 v[150:151], v[148:149], 1.0
	v_add_f64 v[164:165], v[162:163], -1.0
	v_add_f64 v[150:151], v[144:145], -v[150:151]
	v_add_f64 v[144:145], v[144:145], -v[164:165]
	v_add_f64 v[144:145], v[146:147], v[144:145]
	v_add_f64 v[150:151], v[146:147], v[150:151]
	;; [unrolled: 1-line block ×3, first 2 shown]
	v_rcp_f64_e32 v[164:165], v[146:147]
	v_add_f64 v[160:161], v[148:149], v[150:151]
	v_add_f64 v[148:149], v[160:161], -v[148:149]
	v_add_f64 v[148:149], v[150:151], -v[148:149]
	;; [unrolled: 1-line block ×4, first 2 shown]
	v_fma_f64 v[150:151], -v[146:147], v[164:165], 1.0
	v_fmac_f64_e32 v[164:165], v[150:151], v[164:165]
	v_fma_f64 v[150:151], -v[146:147], v[164:165], 1.0
	v_fmac_f64_e32 v[164:165], v[150:151], v[164:165]
	v_mul_f64 v[150:151], v[160:161], v[164:165]
	v_mul_f64 v[162:163], v[146:147], v[150:151]
	v_fma_f64 v[166:167], v[150:151], v[146:147], -v[162:163]
	v_fmac_f64_e32 v[166:167], v[150:151], v[144:145]
	v_add_f64 v[176:177], v[162:163], v[166:167]
	v_add_f64 v[178:179], v[160:161], -v[176:177]
	v_add_f64 v[160:161], v[160:161], -v[178:179]
	v_add_f64 v[162:163], v[176:177], -v[162:163]
	v_add_f64 v[160:161], v[160:161], -v[176:177]
	v_add_f64 v[148:149], v[148:149], v[160:161]
	v_add_f64 v[160:161], v[162:163], -v[166:167]
	v_add_f64 v[148:149], v[160:161], v[148:149]
	v_add_f64 v[160:161], v[178:179], v[148:149]
	v_add_f64 v[162:163], v[178:179], -v[160:161]
	v_add_f64 v[148:149], v[148:149], v[162:163]
	v_mul_f64 v[162:163], v[164:165], v[160:161]
	v_mul_f64 v[166:167], v[146:147], v[162:163]
	v_fma_f64 v[146:147], v[162:163], v[146:147], -v[166:167]
	v_fmac_f64_e32 v[146:147], v[162:163], v[144:145]
	v_add_f64 v[144:145], v[166:167], v[146:147]
	v_add_f64 v[176:177], v[160:161], -v[144:145]
	v_add_f64 v[160:161], v[160:161], -v[176:177]
	;; [unrolled: 1-line block ×4, first 2 shown]
	v_add_f64 v[144:145], v[148:149], v[144:145]
	v_add_f64 v[146:147], v[166:167], -v[146:147]
	v_add_f64 v[144:145], v[146:147], v[144:145]
	v_add_f64 v[146:147], v[150:151], v[162:163]
	;; [unrolled: 1-line block ×3, first 2 shown]
	v_add_f64 v[148:149], v[146:147], -v[150:151]
	v_mul_f64 v[144:145], v[164:165], v[144:145]
	v_add_f64 v[148:149], v[162:163], -v[148:149]
	v_add_f64 v[144:145], v[148:149], v[144:145]
	v_add_f64 v[148:149], v[146:147], v[144:145]
	v_add_f64 v[146:147], v[148:149], -v[146:147]
	s_mov_b32 s36, 0xbf559e2b
	v_add_f64 v[144:145], v[144:145], -v[146:147]
	v_mul_f64 v[146:147], v[148:149], v[148:149]
	v_mov_b32_e32 v150, 0x6b47b09a
	v_mov_b32_e32 v151, 0x3fc38538
	s_mov_b32 s37, 0x3fc3ab76
	v_fmac_f64_e32 v[150:151], s[36:37], v[146:147]
	v_mov_b32_e32 v160, 0xd7f4df2e
	v_mov_b32_e32 v161, 0x3fc7474d
	v_fmac_f64_e32 v[160:161], v[146:147], v[150:151]
	v_mov_b32_e32 v150, 0x16291751
	v_mov_b32_e32 v151, 0x3fcc71c0
	;; [unrolled: 3-line block ×5, first 2 shown]
	v_fmac_f64_e32 v[160:161], v[146:147], v[150:151]
	v_cvt_f64_i32_e32 v[150:151], v71
	v_mul_f64 v[162:163], v[150:151], s[44:45]
	v_fma_f64 v[164:165], v[150:151], s[44:45], -v[162:163]
	v_fmac_f64_e32 v[164:165], s[46:47], v[150:151]
	v_add_f64 v[150:151], v[162:163], v[164:165]
	v_add_f64 v[162:163], v[150:151], -v[162:163]
	v_mul_f64 v[146:147], v[148:149], v[146:147]
	v_add_f64 v[162:163], v[164:165], -v[162:163]
	v_ldexp_f64 v[164:165], v[148:149], 1
	v_mul_f64 v[146:147], v[146:147], v[160:161]
	v_add_f64 v[148:149], v[164:165], v[146:147]
	v_add_f64 v[160:161], v[148:149], -v[164:165]
	v_ldexp_f64 v[144:145], v[144:145], 1
	v_add_f64 v[146:147], v[146:147], -v[160:161]
	v_add_f64 v[144:145], v[144:145], v[146:147]
	v_add_f64 v[146:147], v[148:149], v[144:145]
	v_add_f64 v[148:149], v[146:147], -v[148:149]
	v_add_f64 v[144:145], v[144:145], -v[148:149]
	v_add_f64 v[148:149], v[150:151], v[146:147]
	v_add_f64 v[160:161], v[148:149], -v[150:151]
	v_add_f64 v[164:165], v[148:149], -v[160:161]
	v_add_f64 v[150:151], v[150:151], -v[164:165]
	v_add_f64 v[146:147], v[146:147], -v[160:161]
	v_add_f64 v[146:147], v[146:147], v[150:151]
	v_add_f64 v[150:151], v[162:163], v[144:145]
	v_add_f64 v[160:161], v[150:151], -v[162:163]
	v_add_f64 v[146:147], v[150:151], v[146:147]
	v_add_f64 v[164:165], v[150:151], -v[160:161]
	;; [unrolled: 2-line block ×3, first 2 shown]
	v_add_f64 v[144:145], v[144:145], -v[160:161]
	v_add_f64 v[148:149], v[150:151], -v[148:149]
	v_add_f64 v[144:145], v[144:145], v[162:163]
	v_add_f64 v[146:147], v[146:147], -v[148:149]
	s_mov_b32 s36, 0
	v_add_f64 v[144:145], v[144:145], v[146:147]
	s_mov_b32 s37, 0x7ff00000
	v_add_f64 v[144:145], v[150:151], v[144:145]
	v_cmp_eq_f64_e64 s[36:37], s[36:37], v[6:7]
	s_nop 1
	v_cndmask_b32_e64 v71, v144, v6, s[36:37]
	v_cndmask_b32_e64 v144, v145, v7, s[36:37]
	v_mov_b32_e32 v145, 0x7ff80000
	v_cmp_ngt_f64_e64 s[36:37], -1.0, v[6:7]
	s_nop 1
	v_cndmask_b32_e64 v145, v145, v144, s[36:37]
	v_cmp_nge_f64_e64 s[36:37], -1.0, v[6:7]
	s_nop 1
	v_cndmask_b32_e64 v144, 0, v71, s[36:37]
	v_mov_b32_e32 v71, 0xfff00000
	v_cmp_neq_f64_e64 s[36:37], -1.0, v[6:7]
	s_nop 1
	v_cndmask_b32_e64 v145, v71, v145, s[36:37]
	v_add_f64 v[6:7], v[4:5], v[144:145]
.LBB70_325:
	s_or_b64 exec, exec, s[40:41]
	v_cndmask_b32_e64 v7, v7, v135, s[4:5]
	v_cndmask_b32_e64 v6, v6, v134, s[4:5]
	; wave barrier
	ds_write_b64 v53, v[6:7]
	; wave barrier
	ds_read_b64 v[4:5], v53 offset:8
	v_max_f64 v[146:147], v[6:7], v[6:7]
	v_cmp_u_f64_e64 s[4:5], v[6:7], v[6:7]
	s_waitcnt lgkmcnt(0)
	v_max_f64 v[148:149], v[4:5], v[4:5]
	v_min_f64 v[144:145], v[146:147], v[148:149]
	v_cndmask_b32_e64 v71, v144, v6, s[4:5]
	v_cndmask_b32_e64 v144, v145, v7, s[4:5]
	v_cmp_u_f64_e64 s[36:37], v[4:5], v[4:5]
	v_max_f64 v[146:147], v[146:147], v[148:149]
	s_nop 0
	v_cndmask_b32_e64 v145, v144, v5, s[36:37]
	v_cndmask_b32_e64 v144, v71, v4, s[36:37]
	;; [unrolled: 1-line block ×6, first 2 shown]
	v_cmp_neq_f64_e64 s[4:5], v[144:145], v[4:5]
	v_cmp_class_f64_e64 s[36:37], v[144:145], s48
	s_or_b64 s[4:5], s[4:5], s[36:37]
	s_and_saveexec_b64 s[38:39], s[4:5]
	s_cbranch_execz .LBB70_327
; %bb.326:
	s_mov_b32 s4, 0x652b82fe
	v_add_f64 v[6:7], v[144:145], -v[4:5]
	s_mov_b32 s5, 0x3ff71547
	v_mul_f64 v[144:145], v[6:7], s[4:5]
	v_rndne_f64_e32 v[144:145], v[144:145]
	s_mov_b32 s41, 0xbfe62e42
	s_mov_b32 s40, 0xfefa39ef
	v_fma_f64 v[146:147], s[40:41], v[144:145], v[6:7]
	s_mov_b32 s45, 0xbc7abc9e
	s_mov_b32 s44, 0x3b39803f
	;; [unrolled: 1-line block ×3, first 2 shown]
	v_fmac_f64_e32 v[146:147], s[44:45], v[144:145]
	v_mov_b32_e32 v148, 0xfca7ab0c
	v_mov_b32_e32 v149, 0x3e928af3
	s_mov_b32 s5, 0x3e5ade15
	v_fmac_f64_e32 v[148:149], s[4:5], v[146:147]
	v_mov_b32_e32 v150, 0x623fde64
	v_mov_b32_e32 v151, 0x3ec71dee
	v_fmac_f64_e32 v[150:151], v[146:147], v[148:149]
	v_mov_b32_e32 v148, 0x7c89e6b0
	v_mov_b32_e32 v149, 0x3efa0199
	;; [unrolled: 3-line block ×8, first 2 shown]
	v_fmac_f64_e32 v[148:149], v[146:147], v[150:151]
	v_fma_f64 v[148:149], v[146:147], v[148:149], 1.0
	s_mov_b32 s4, 0
	s_mov_b32 s36, 0
	v_fma_f64 v[146:147], v[146:147], v[148:149], 1.0
	v_cvt_i32_f64_e32 v71, v[144:145]
	s_mov_b32 s5, 0x40900000
	s_mov_b32 s37, 0xc090cc00
	v_ldexp_f64 v[144:145], v[146:147], v71
	v_mov_b32_e32 v71, 0x7ff00000
	v_cmp_nlt_f64_e64 s[4:5], s[4:5], v[6:7]
	v_cmp_ngt_f64_e64 s[36:37], s[36:37], v[6:7]
	s_mov_b32 s41, 0x3fe62e42
	v_cndmask_b32_e64 v71, v71, v145, s[4:5]
	s_and_b64 s[4:5], s[36:37], s[4:5]
	v_cndmask_b32_e64 v7, 0, v71, s[36:37]
	v_cndmask_b32_e64 v6, 0, v144, s[4:5]
	v_add_f64 v[144:145], v[6:7], 1.0
	v_add_f64 v[146:147], v[144:145], -1.0
	v_add_f64 v[148:149], v[146:147], -v[144:145]
	v_add_f64 v[148:149], v[148:149], 1.0
	v_add_f64 v[146:147], v[6:7], -v[146:147]
	s_mov_b32 s4, 0x55555555
	v_add_f64 v[146:147], v[146:147], v[148:149]
	v_frexp_mant_f64_e32 v[148:149], v[144:145]
	s_mov_b32 s5, 0x3fe55555
	v_frexp_exp_i32_f64_e32 v71, v[144:145]
	v_cmp_gt_f64_e64 s[4:5], s[4:5], v[148:149]
	s_mov_b32 s45, 0x3c7abc9e
	s_nop 0
	v_subbrev_co_u32_e64 v71, s[4:5], 0, v71, s[4:5]
	v_sub_u32_e32 v148, 0, v71
	v_ldexp_f64 v[144:145], v[144:145], v148
	v_ldexp_f64 v[146:147], v[146:147], v148
	v_add_f64 v[148:149], v[144:145], -1.0
	v_add_f64 v[162:163], v[144:145], 1.0
	v_add_f64 v[150:151], v[148:149], 1.0
	v_add_f64 v[164:165], v[162:163], -1.0
	v_add_f64 v[150:151], v[144:145], -v[150:151]
	v_add_f64 v[144:145], v[144:145], -v[164:165]
	v_add_f64 v[144:145], v[146:147], v[144:145]
	v_add_f64 v[150:151], v[146:147], v[150:151]
	;; [unrolled: 1-line block ×3, first 2 shown]
	v_rcp_f64_e32 v[164:165], v[146:147]
	v_add_f64 v[160:161], v[148:149], v[150:151]
	v_add_f64 v[148:149], v[160:161], -v[148:149]
	v_add_f64 v[148:149], v[150:151], -v[148:149]
	;; [unrolled: 1-line block ×4, first 2 shown]
	v_fma_f64 v[150:151], -v[146:147], v[164:165], 1.0
	v_fmac_f64_e32 v[164:165], v[150:151], v[164:165]
	v_fma_f64 v[150:151], -v[146:147], v[164:165], 1.0
	v_fmac_f64_e32 v[164:165], v[150:151], v[164:165]
	v_mul_f64 v[150:151], v[160:161], v[164:165]
	v_mul_f64 v[162:163], v[146:147], v[150:151]
	v_fma_f64 v[166:167], v[150:151], v[146:147], -v[162:163]
	v_fmac_f64_e32 v[166:167], v[150:151], v[144:145]
	v_add_f64 v[176:177], v[162:163], v[166:167]
	v_add_f64 v[178:179], v[160:161], -v[176:177]
	v_add_f64 v[160:161], v[160:161], -v[178:179]
	;; [unrolled: 1-line block ×4, first 2 shown]
	v_add_f64 v[148:149], v[148:149], v[160:161]
	v_add_f64 v[160:161], v[162:163], -v[166:167]
	v_add_f64 v[148:149], v[160:161], v[148:149]
	v_add_f64 v[160:161], v[178:179], v[148:149]
	v_add_f64 v[162:163], v[178:179], -v[160:161]
	v_add_f64 v[148:149], v[148:149], v[162:163]
	v_mul_f64 v[162:163], v[164:165], v[160:161]
	v_mul_f64 v[166:167], v[146:147], v[162:163]
	v_fma_f64 v[146:147], v[162:163], v[146:147], -v[166:167]
	v_fmac_f64_e32 v[146:147], v[162:163], v[144:145]
	v_add_f64 v[144:145], v[166:167], v[146:147]
	v_add_f64 v[176:177], v[160:161], -v[144:145]
	v_add_f64 v[160:161], v[160:161], -v[176:177]
	;; [unrolled: 1-line block ×4, first 2 shown]
	v_add_f64 v[144:145], v[148:149], v[144:145]
	v_add_f64 v[146:147], v[166:167], -v[146:147]
	v_add_f64 v[144:145], v[146:147], v[144:145]
	v_add_f64 v[146:147], v[150:151], v[162:163]
	;; [unrolled: 1-line block ×3, first 2 shown]
	v_add_f64 v[148:149], v[146:147], -v[150:151]
	v_mul_f64 v[144:145], v[164:165], v[144:145]
	v_add_f64 v[148:149], v[162:163], -v[148:149]
	v_add_f64 v[144:145], v[148:149], v[144:145]
	v_add_f64 v[148:149], v[146:147], v[144:145]
	v_add_f64 v[146:147], v[148:149], -v[146:147]
	s_mov_b32 s4, 0xbf559e2b
	v_add_f64 v[144:145], v[144:145], -v[146:147]
	v_mul_f64 v[146:147], v[148:149], v[148:149]
	v_mov_b32_e32 v150, 0x6b47b09a
	v_mov_b32_e32 v151, 0x3fc38538
	s_mov_b32 s5, 0x3fc3ab76
	v_fmac_f64_e32 v[150:151], s[4:5], v[146:147]
	v_mov_b32_e32 v160, 0xd7f4df2e
	v_mov_b32_e32 v161, 0x3fc7474d
	v_fmac_f64_e32 v[160:161], v[146:147], v[150:151]
	v_mov_b32_e32 v150, 0x16291751
	v_mov_b32_e32 v151, 0x3fcc71c0
	;; [unrolled: 3-line block ×5, first 2 shown]
	v_fmac_f64_e32 v[160:161], v[146:147], v[150:151]
	v_cvt_f64_i32_e32 v[150:151], v71
	v_mul_f64 v[162:163], v[150:151], s[40:41]
	v_fma_f64 v[164:165], v[150:151], s[40:41], -v[162:163]
	v_fmac_f64_e32 v[164:165], s[44:45], v[150:151]
	v_add_f64 v[150:151], v[162:163], v[164:165]
	v_add_f64 v[162:163], v[150:151], -v[162:163]
	v_mul_f64 v[146:147], v[148:149], v[146:147]
	v_add_f64 v[162:163], v[164:165], -v[162:163]
	v_ldexp_f64 v[164:165], v[148:149], 1
	v_mul_f64 v[146:147], v[146:147], v[160:161]
	v_add_f64 v[148:149], v[164:165], v[146:147]
	v_add_f64 v[160:161], v[148:149], -v[164:165]
	v_ldexp_f64 v[144:145], v[144:145], 1
	v_add_f64 v[146:147], v[146:147], -v[160:161]
	v_add_f64 v[144:145], v[144:145], v[146:147]
	v_add_f64 v[146:147], v[148:149], v[144:145]
	v_add_f64 v[148:149], v[146:147], -v[148:149]
	v_add_f64 v[144:145], v[144:145], -v[148:149]
	v_add_f64 v[148:149], v[150:151], v[146:147]
	v_add_f64 v[160:161], v[148:149], -v[150:151]
	v_add_f64 v[164:165], v[148:149], -v[160:161]
	;; [unrolled: 1-line block ×4, first 2 shown]
	v_add_f64 v[146:147], v[146:147], v[150:151]
	v_add_f64 v[150:151], v[162:163], v[144:145]
	v_add_f64 v[160:161], v[150:151], -v[162:163]
	v_add_f64 v[146:147], v[150:151], v[146:147]
	v_add_f64 v[164:165], v[150:151], -v[160:161]
	;; [unrolled: 2-line block ×3, first 2 shown]
	v_add_f64 v[144:145], v[144:145], -v[160:161]
	v_add_f64 v[148:149], v[150:151], -v[148:149]
	v_add_f64 v[144:145], v[144:145], v[162:163]
	v_add_f64 v[146:147], v[146:147], -v[148:149]
	s_mov_b32 s4, 0
	v_add_f64 v[144:145], v[144:145], v[146:147]
	s_mov_b32 s5, 0x7ff00000
	v_add_f64 v[144:145], v[150:151], v[144:145]
	v_cmp_eq_f64_e64 s[4:5], s[4:5], v[6:7]
	s_nop 1
	v_cndmask_b32_e64 v71, v144, v6, s[4:5]
	v_cndmask_b32_e64 v144, v145, v7, s[4:5]
	v_mov_b32_e32 v145, 0x7ff80000
	v_cmp_ngt_f64_e64 s[4:5], -1.0, v[6:7]
	s_nop 1
	v_cndmask_b32_e64 v145, v145, v144, s[4:5]
	v_cmp_nge_f64_e64 s[4:5], -1.0, v[6:7]
	s_nop 1
	v_cndmask_b32_e64 v144, 0, v71, s[4:5]
	v_mov_b32_e32 v71, 0xfff00000
	v_cmp_neq_f64_e64 s[4:5], -1.0, v[6:7]
	s_nop 1
	v_cndmask_b32_e64 v145, v71, v145, s[4:5]
	v_add_f64 v[6:7], v[4:5], v[144:145]
.LBB70_327:
	s_or_b64 exec, exec, s[38:39]
	ds_read_b64 v[4:5], v53 offset:16
	v_max_f64 v[146:147], v[6:7], v[6:7]
	v_cmp_u_f64_e64 s[4:5], v[6:7], v[6:7]
	s_movk_i32 s46, 0x1f8
	ds_write_b64 v53, v[6:7] offset:8
	s_waitcnt lgkmcnt(1)
	v_max_f64 v[148:149], v[4:5], v[4:5]
	v_min_f64 v[144:145], v[146:147], v[148:149]
	v_cndmask_b32_e64 v71, v144, v6, s[4:5]
	v_cndmask_b32_e64 v144, v145, v7, s[4:5]
	v_cmp_u_f64_e64 s[36:37], v[4:5], v[4:5]
	v_max_f64 v[146:147], v[146:147], v[148:149]
	s_nop 0
	v_cndmask_b32_e64 v145, v144, v5, s[36:37]
	v_cndmask_b32_e64 v144, v71, v4, s[36:37]
	;; [unrolled: 1-line block ×6, first 2 shown]
	v_cmp_neq_f64_e64 s[4:5], v[144:145], v[4:5]
	v_cmp_class_f64_e64 s[36:37], v[144:145], s46
	s_or_b64 s[4:5], s[4:5], s[36:37]
	s_and_saveexec_b64 s[38:39], s[4:5]
	s_cbranch_execz .LBB70_329
; %bb.328:
	s_mov_b32 s4, 0x652b82fe
	v_add_f64 v[6:7], v[144:145], -v[4:5]
	s_mov_b32 s5, 0x3ff71547
	v_mul_f64 v[144:145], v[6:7], s[4:5]
	v_rndne_f64_e32 v[144:145], v[144:145]
	s_mov_b32 s41, 0xbfe62e42
	s_mov_b32 s40, 0xfefa39ef
	v_fma_f64 v[146:147], s[40:41], v[144:145], v[6:7]
	s_mov_b32 s45, 0xbc7abc9e
	s_mov_b32 s44, 0x3b39803f
	;; [unrolled: 1-line block ×3, first 2 shown]
	v_fmac_f64_e32 v[146:147], s[44:45], v[144:145]
	v_mov_b32_e32 v148, 0xfca7ab0c
	v_mov_b32_e32 v149, 0x3e928af3
	s_mov_b32 s5, 0x3e5ade15
	v_fmac_f64_e32 v[148:149], s[4:5], v[146:147]
	v_mov_b32_e32 v150, 0x623fde64
	v_mov_b32_e32 v151, 0x3ec71dee
	v_fmac_f64_e32 v[150:151], v[146:147], v[148:149]
	v_mov_b32_e32 v148, 0x7c89e6b0
	v_mov_b32_e32 v149, 0x3efa0199
	;; [unrolled: 3-line block ×8, first 2 shown]
	v_fmac_f64_e32 v[148:149], v[146:147], v[150:151]
	v_fma_f64 v[148:149], v[146:147], v[148:149], 1.0
	s_mov_b32 s4, 0
	s_mov_b32 s36, 0
	v_fma_f64 v[146:147], v[146:147], v[148:149], 1.0
	v_cvt_i32_f64_e32 v71, v[144:145]
	s_mov_b32 s5, 0x40900000
	s_mov_b32 s37, 0xc090cc00
	v_ldexp_f64 v[144:145], v[146:147], v71
	v_mov_b32_e32 v71, 0x7ff00000
	v_cmp_nlt_f64_e64 s[4:5], s[4:5], v[6:7]
	v_cmp_ngt_f64_e64 s[36:37], s[36:37], v[6:7]
	s_mov_b32 s41, 0x3fe62e42
	v_cndmask_b32_e64 v71, v71, v145, s[4:5]
	s_and_b64 s[4:5], s[36:37], s[4:5]
	v_cndmask_b32_e64 v7, 0, v71, s[36:37]
	v_cndmask_b32_e64 v6, 0, v144, s[4:5]
	v_add_f64 v[144:145], v[6:7], 1.0
	v_add_f64 v[146:147], v[144:145], -1.0
	v_add_f64 v[148:149], v[146:147], -v[144:145]
	v_add_f64 v[148:149], v[148:149], 1.0
	v_add_f64 v[146:147], v[6:7], -v[146:147]
	s_mov_b32 s4, 0x55555555
	v_add_f64 v[146:147], v[146:147], v[148:149]
	v_frexp_mant_f64_e32 v[148:149], v[144:145]
	s_mov_b32 s5, 0x3fe55555
	v_frexp_exp_i32_f64_e32 v71, v[144:145]
	v_cmp_gt_f64_e64 s[4:5], s[4:5], v[148:149]
	s_mov_b32 s45, 0x3c7abc9e
	s_nop 0
	v_subbrev_co_u32_e64 v71, s[4:5], 0, v71, s[4:5]
	v_sub_u32_e32 v148, 0, v71
	v_ldexp_f64 v[144:145], v[144:145], v148
	v_ldexp_f64 v[146:147], v[146:147], v148
	v_add_f64 v[148:149], v[144:145], -1.0
	v_add_f64 v[162:163], v[144:145], 1.0
	v_add_f64 v[150:151], v[148:149], 1.0
	v_add_f64 v[164:165], v[162:163], -1.0
	v_add_f64 v[150:151], v[144:145], -v[150:151]
	v_add_f64 v[144:145], v[144:145], -v[164:165]
	v_add_f64 v[144:145], v[146:147], v[144:145]
	v_add_f64 v[150:151], v[146:147], v[150:151]
	;; [unrolled: 1-line block ×3, first 2 shown]
	v_rcp_f64_e32 v[164:165], v[146:147]
	v_add_f64 v[160:161], v[148:149], v[150:151]
	v_add_f64 v[148:149], v[160:161], -v[148:149]
	v_add_f64 v[148:149], v[150:151], -v[148:149]
	;; [unrolled: 1-line block ×4, first 2 shown]
	v_fma_f64 v[150:151], -v[146:147], v[164:165], 1.0
	v_fmac_f64_e32 v[164:165], v[150:151], v[164:165]
	v_fma_f64 v[150:151], -v[146:147], v[164:165], 1.0
	v_fmac_f64_e32 v[164:165], v[150:151], v[164:165]
	v_mul_f64 v[150:151], v[160:161], v[164:165]
	v_mul_f64 v[162:163], v[146:147], v[150:151]
	v_fma_f64 v[166:167], v[150:151], v[146:147], -v[162:163]
	v_fmac_f64_e32 v[166:167], v[150:151], v[144:145]
	v_add_f64 v[176:177], v[162:163], v[166:167]
	v_add_f64 v[178:179], v[160:161], -v[176:177]
	v_add_f64 v[160:161], v[160:161], -v[178:179]
	;; [unrolled: 1-line block ×4, first 2 shown]
	v_add_f64 v[148:149], v[148:149], v[160:161]
	v_add_f64 v[160:161], v[162:163], -v[166:167]
	v_add_f64 v[148:149], v[160:161], v[148:149]
	v_add_f64 v[160:161], v[178:179], v[148:149]
	v_add_f64 v[162:163], v[178:179], -v[160:161]
	v_add_f64 v[148:149], v[148:149], v[162:163]
	v_mul_f64 v[162:163], v[164:165], v[160:161]
	v_mul_f64 v[166:167], v[146:147], v[162:163]
	v_fma_f64 v[146:147], v[162:163], v[146:147], -v[166:167]
	v_fmac_f64_e32 v[146:147], v[162:163], v[144:145]
	v_add_f64 v[144:145], v[166:167], v[146:147]
	v_add_f64 v[176:177], v[160:161], -v[144:145]
	v_add_f64 v[160:161], v[160:161], -v[176:177]
	;; [unrolled: 1-line block ×4, first 2 shown]
	v_add_f64 v[144:145], v[148:149], v[144:145]
	v_add_f64 v[146:147], v[166:167], -v[146:147]
	v_add_f64 v[144:145], v[146:147], v[144:145]
	v_add_f64 v[146:147], v[150:151], v[162:163]
	;; [unrolled: 1-line block ×3, first 2 shown]
	v_add_f64 v[148:149], v[146:147], -v[150:151]
	v_mul_f64 v[144:145], v[164:165], v[144:145]
	v_add_f64 v[148:149], v[162:163], -v[148:149]
	v_add_f64 v[144:145], v[148:149], v[144:145]
	v_add_f64 v[148:149], v[146:147], v[144:145]
	v_add_f64 v[146:147], v[148:149], -v[146:147]
	s_mov_b32 s4, 0xbf559e2b
	v_add_f64 v[144:145], v[144:145], -v[146:147]
	v_mul_f64 v[146:147], v[148:149], v[148:149]
	v_mov_b32_e32 v150, 0x6b47b09a
	v_mov_b32_e32 v151, 0x3fc38538
	s_mov_b32 s5, 0x3fc3ab76
	v_fmac_f64_e32 v[150:151], s[4:5], v[146:147]
	v_mov_b32_e32 v160, 0xd7f4df2e
	v_mov_b32_e32 v161, 0x3fc7474d
	v_fmac_f64_e32 v[160:161], v[146:147], v[150:151]
	v_mov_b32_e32 v150, 0x16291751
	v_mov_b32_e32 v151, 0x3fcc71c0
	;; [unrolled: 3-line block ×5, first 2 shown]
	v_fmac_f64_e32 v[160:161], v[146:147], v[150:151]
	v_cvt_f64_i32_e32 v[150:151], v71
	v_mul_f64 v[162:163], v[150:151], s[40:41]
	v_fma_f64 v[164:165], v[150:151], s[40:41], -v[162:163]
	v_fmac_f64_e32 v[164:165], s[44:45], v[150:151]
	v_add_f64 v[150:151], v[162:163], v[164:165]
	v_add_f64 v[162:163], v[150:151], -v[162:163]
	v_mul_f64 v[146:147], v[148:149], v[146:147]
	v_add_f64 v[162:163], v[164:165], -v[162:163]
	v_ldexp_f64 v[164:165], v[148:149], 1
	v_mul_f64 v[146:147], v[146:147], v[160:161]
	v_add_f64 v[148:149], v[164:165], v[146:147]
	v_add_f64 v[160:161], v[148:149], -v[164:165]
	v_ldexp_f64 v[144:145], v[144:145], 1
	v_add_f64 v[146:147], v[146:147], -v[160:161]
	v_add_f64 v[144:145], v[144:145], v[146:147]
	v_add_f64 v[146:147], v[148:149], v[144:145]
	v_add_f64 v[148:149], v[146:147], -v[148:149]
	v_add_f64 v[144:145], v[144:145], -v[148:149]
	v_add_f64 v[148:149], v[150:151], v[146:147]
	v_add_f64 v[160:161], v[148:149], -v[150:151]
	v_add_f64 v[164:165], v[148:149], -v[160:161]
	;; [unrolled: 1-line block ×4, first 2 shown]
	v_add_f64 v[146:147], v[146:147], v[150:151]
	v_add_f64 v[150:151], v[162:163], v[144:145]
	v_add_f64 v[160:161], v[150:151], -v[162:163]
	v_add_f64 v[146:147], v[150:151], v[146:147]
	v_add_f64 v[164:165], v[150:151], -v[160:161]
	;; [unrolled: 2-line block ×3, first 2 shown]
	v_add_f64 v[144:145], v[144:145], -v[160:161]
	v_add_f64 v[148:149], v[150:151], -v[148:149]
	v_add_f64 v[144:145], v[144:145], v[162:163]
	v_add_f64 v[146:147], v[146:147], -v[148:149]
	s_mov_b32 s4, 0
	v_add_f64 v[144:145], v[144:145], v[146:147]
	s_mov_b32 s5, 0x7ff00000
	v_add_f64 v[144:145], v[150:151], v[144:145]
	v_cmp_eq_f64_e64 s[4:5], s[4:5], v[6:7]
	s_nop 1
	v_cndmask_b32_e64 v71, v144, v6, s[4:5]
	v_cndmask_b32_e64 v144, v145, v7, s[4:5]
	v_mov_b32_e32 v145, 0x7ff80000
	v_cmp_ngt_f64_e64 s[4:5], -1.0, v[6:7]
	s_nop 1
	v_cndmask_b32_e64 v145, v145, v144, s[4:5]
	v_cmp_nge_f64_e64 s[4:5], -1.0, v[6:7]
	s_nop 1
	v_cndmask_b32_e64 v144, 0, v71, s[4:5]
	v_mov_b32_e32 v71, 0xfff00000
	v_cmp_neq_f64_e64 s[4:5], -1.0, v[6:7]
	s_nop 1
	v_cndmask_b32_e64 v145, v71, v145, s[4:5]
	v_add_f64 v[6:7], v[4:5], v[144:145]
.LBB70_329:
	s_or_b64 exec, exec, s[38:39]
	ds_read_b64 v[4:5], v53 offset:24
	v_max_f64 v[146:147], v[6:7], v[6:7]
	v_cmp_u_f64_e64 s[4:5], v[6:7], v[6:7]
	ds_write_b64 v53, v[6:7] offset:16
	s_waitcnt lgkmcnt(1)
	v_max_f64 v[148:149], v[4:5], v[4:5]
	v_min_f64 v[144:145], v[146:147], v[148:149]
	v_cndmask_b32_e64 v71, v144, v6, s[4:5]
	v_cndmask_b32_e64 v144, v145, v7, s[4:5]
	v_cmp_u_f64_e64 s[36:37], v[4:5], v[4:5]
	v_max_f64 v[146:147], v[146:147], v[148:149]
	s_nop 0
	v_cndmask_b32_e64 v145, v144, v5, s[36:37]
	v_cndmask_b32_e64 v144, v71, v4, s[36:37]
	v_cndmask_b32_e64 v71, v146, v6, s[4:5]
	v_cndmask_b32_e64 v146, v147, v7, s[4:5]
	v_cndmask_b32_e64 v5, v146, v5, s[36:37]
	v_cndmask_b32_e64 v4, v71, v4, s[36:37]
	v_cmp_neq_f64_e64 s[4:5], v[144:145], v[4:5]
	v_cmp_class_f64_e64 s[36:37], v[144:145], s46
	s_or_b64 s[4:5], s[4:5], s[36:37]
	s_and_saveexec_b64 s[38:39], s[4:5]
	s_cbranch_execz .LBB70_331
; %bb.330:
	s_mov_b32 s4, 0x652b82fe
	v_add_f64 v[6:7], v[144:145], -v[4:5]
	s_mov_b32 s5, 0x3ff71547
	v_mul_f64 v[144:145], v[6:7], s[4:5]
	v_rndne_f64_e32 v[144:145], v[144:145]
	s_mov_b32 s41, 0xbfe62e42
	s_mov_b32 s40, 0xfefa39ef
	v_fma_f64 v[146:147], s[40:41], v[144:145], v[6:7]
	s_mov_b32 s45, 0xbc7abc9e
	s_mov_b32 s44, 0x3b39803f
	;; [unrolled: 1-line block ×3, first 2 shown]
	v_fmac_f64_e32 v[146:147], s[44:45], v[144:145]
	v_mov_b32_e32 v148, 0xfca7ab0c
	v_mov_b32_e32 v149, 0x3e928af3
	s_mov_b32 s5, 0x3e5ade15
	v_fmac_f64_e32 v[148:149], s[4:5], v[146:147]
	v_mov_b32_e32 v150, 0x623fde64
	v_mov_b32_e32 v151, 0x3ec71dee
	v_fmac_f64_e32 v[150:151], v[146:147], v[148:149]
	v_mov_b32_e32 v148, 0x7c89e6b0
	v_mov_b32_e32 v149, 0x3efa0199
	;; [unrolled: 3-line block ×8, first 2 shown]
	v_fmac_f64_e32 v[148:149], v[146:147], v[150:151]
	v_fma_f64 v[148:149], v[146:147], v[148:149], 1.0
	s_mov_b32 s4, 0
	s_mov_b32 s36, 0
	v_fma_f64 v[146:147], v[146:147], v[148:149], 1.0
	v_cvt_i32_f64_e32 v71, v[144:145]
	s_mov_b32 s5, 0x40900000
	s_mov_b32 s37, 0xc090cc00
	v_ldexp_f64 v[144:145], v[146:147], v71
	v_mov_b32_e32 v71, 0x7ff00000
	v_cmp_nlt_f64_e64 s[4:5], s[4:5], v[6:7]
	v_cmp_ngt_f64_e64 s[36:37], s[36:37], v[6:7]
	s_mov_b32 s41, 0x3fe62e42
	v_cndmask_b32_e64 v71, v71, v145, s[4:5]
	s_and_b64 s[4:5], s[36:37], s[4:5]
	v_cndmask_b32_e64 v7, 0, v71, s[36:37]
	v_cndmask_b32_e64 v6, 0, v144, s[4:5]
	v_add_f64 v[144:145], v[6:7], 1.0
	v_add_f64 v[146:147], v[144:145], -1.0
	v_add_f64 v[148:149], v[146:147], -v[144:145]
	v_add_f64 v[148:149], v[148:149], 1.0
	v_add_f64 v[146:147], v[6:7], -v[146:147]
	s_mov_b32 s4, 0x55555555
	v_add_f64 v[146:147], v[146:147], v[148:149]
	v_frexp_mant_f64_e32 v[148:149], v[144:145]
	s_mov_b32 s5, 0x3fe55555
	v_frexp_exp_i32_f64_e32 v71, v[144:145]
	v_cmp_gt_f64_e64 s[4:5], s[4:5], v[148:149]
	s_mov_b32 s45, 0x3c7abc9e
	s_nop 0
	v_subbrev_co_u32_e64 v71, s[4:5], 0, v71, s[4:5]
	v_sub_u32_e32 v148, 0, v71
	v_ldexp_f64 v[144:145], v[144:145], v148
	v_ldexp_f64 v[146:147], v[146:147], v148
	v_add_f64 v[148:149], v[144:145], -1.0
	v_add_f64 v[162:163], v[144:145], 1.0
	v_add_f64 v[150:151], v[148:149], 1.0
	v_add_f64 v[164:165], v[162:163], -1.0
	v_add_f64 v[150:151], v[144:145], -v[150:151]
	v_add_f64 v[144:145], v[144:145], -v[164:165]
	v_add_f64 v[144:145], v[146:147], v[144:145]
	v_add_f64 v[150:151], v[146:147], v[150:151]
	;; [unrolled: 1-line block ×3, first 2 shown]
	v_rcp_f64_e32 v[164:165], v[146:147]
	v_add_f64 v[160:161], v[148:149], v[150:151]
	v_add_f64 v[148:149], v[160:161], -v[148:149]
	v_add_f64 v[148:149], v[150:151], -v[148:149]
	;; [unrolled: 1-line block ×4, first 2 shown]
	v_fma_f64 v[150:151], -v[146:147], v[164:165], 1.0
	v_fmac_f64_e32 v[164:165], v[150:151], v[164:165]
	v_fma_f64 v[150:151], -v[146:147], v[164:165], 1.0
	v_fmac_f64_e32 v[164:165], v[150:151], v[164:165]
	v_mul_f64 v[150:151], v[160:161], v[164:165]
	v_mul_f64 v[162:163], v[146:147], v[150:151]
	v_fma_f64 v[166:167], v[150:151], v[146:147], -v[162:163]
	v_fmac_f64_e32 v[166:167], v[150:151], v[144:145]
	v_add_f64 v[176:177], v[162:163], v[166:167]
	v_add_f64 v[178:179], v[160:161], -v[176:177]
	v_add_f64 v[160:161], v[160:161], -v[178:179]
	;; [unrolled: 1-line block ×4, first 2 shown]
	v_add_f64 v[148:149], v[148:149], v[160:161]
	v_add_f64 v[160:161], v[162:163], -v[166:167]
	v_add_f64 v[148:149], v[160:161], v[148:149]
	v_add_f64 v[160:161], v[178:179], v[148:149]
	v_add_f64 v[162:163], v[178:179], -v[160:161]
	v_add_f64 v[148:149], v[148:149], v[162:163]
	v_mul_f64 v[162:163], v[164:165], v[160:161]
	v_mul_f64 v[166:167], v[146:147], v[162:163]
	v_fma_f64 v[146:147], v[162:163], v[146:147], -v[166:167]
	v_fmac_f64_e32 v[146:147], v[162:163], v[144:145]
	v_add_f64 v[144:145], v[166:167], v[146:147]
	v_add_f64 v[176:177], v[160:161], -v[144:145]
	v_add_f64 v[160:161], v[160:161], -v[176:177]
	;; [unrolled: 1-line block ×4, first 2 shown]
	v_add_f64 v[144:145], v[148:149], v[144:145]
	v_add_f64 v[146:147], v[166:167], -v[146:147]
	v_add_f64 v[144:145], v[146:147], v[144:145]
	v_add_f64 v[146:147], v[150:151], v[162:163]
	;; [unrolled: 1-line block ×3, first 2 shown]
	v_add_f64 v[148:149], v[146:147], -v[150:151]
	v_mul_f64 v[144:145], v[164:165], v[144:145]
	v_add_f64 v[148:149], v[162:163], -v[148:149]
	v_add_f64 v[144:145], v[148:149], v[144:145]
	v_add_f64 v[148:149], v[146:147], v[144:145]
	v_add_f64 v[146:147], v[148:149], -v[146:147]
	s_mov_b32 s4, 0xbf559e2b
	v_add_f64 v[144:145], v[144:145], -v[146:147]
	v_mul_f64 v[146:147], v[148:149], v[148:149]
	v_mov_b32_e32 v150, 0x6b47b09a
	v_mov_b32_e32 v151, 0x3fc38538
	s_mov_b32 s5, 0x3fc3ab76
	v_fmac_f64_e32 v[150:151], s[4:5], v[146:147]
	v_mov_b32_e32 v160, 0xd7f4df2e
	v_mov_b32_e32 v161, 0x3fc7474d
	v_fmac_f64_e32 v[160:161], v[146:147], v[150:151]
	v_mov_b32_e32 v150, 0x16291751
	v_mov_b32_e32 v151, 0x3fcc71c0
	;; [unrolled: 3-line block ×5, first 2 shown]
	v_fmac_f64_e32 v[160:161], v[146:147], v[150:151]
	v_cvt_f64_i32_e32 v[150:151], v71
	v_mul_f64 v[162:163], v[150:151], s[40:41]
	v_fma_f64 v[164:165], v[150:151], s[40:41], -v[162:163]
	v_fmac_f64_e32 v[164:165], s[44:45], v[150:151]
	v_add_f64 v[150:151], v[162:163], v[164:165]
	v_add_f64 v[162:163], v[150:151], -v[162:163]
	v_mul_f64 v[146:147], v[148:149], v[146:147]
	v_add_f64 v[162:163], v[164:165], -v[162:163]
	v_ldexp_f64 v[164:165], v[148:149], 1
	v_mul_f64 v[146:147], v[146:147], v[160:161]
	v_add_f64 v[148:149], v[164:165], v[146:147]
	v_add_f64 v[160:161], v[148:149], -v[164:165]
	v_ldexp_f64 v[144:145], v[144:145], 1
	v_add_f64 v[146:147], v[146:147], -v[160:161]
	v_add_f64 v[144:145], v[144:145], v[146:147]
	v_add_f64 v[146:147], v[148:149], v[144:145]
	v_add_f64 v[148:149], v[146:147], -v[148:149]
	v_add_f64 v[144:145], v[144:145], -v[148:149]
	v_add_f64 v[148:149], v[150:151], v[146:147]
	v_add_f64 v[160:161], v[148:149], -v[150:151]
	v_add_f64 v[164:165], v[148:149], -v[160:161]
	;; [unrolled: 1-line block ×4, first 2 shown]
	v_add_f64 v[146:147], v[146:147], v[150:151]
	v_add_f64 v[150:151], v[162:163], v[144:145]
	v_add_f64 v[160:161], v[150:151], -v[162:163]
	v_add_f64 v[146:147], v[150:151], v[146:147]
	v_add_f64 v[164:165], v[150:151], -v[160:161]
	;; [unrolled: 2-line block ×3, first 2 shown]
	v_add_f64 v[144:145], v[144:145], -v[160:161]
	v_add_f64 v[148:149], v[150:151], -v[148:149]
	v_add_f64 v[144:145], v[144:145], v[162:163]
	v_add_f64 v[146:147], v[146:147], -v[148:149]
	s_mov_b32 s4, 0
	v_add_f64 v[144:145], v[144:145], v[146:147]
	s_mov_b32 s5, 0x7ff00000
	v_add_f64 v[144:145], v[150:151], v[144:145]
	v_cmp_eq_f64_e64 s[4:5], s[4:5], v[6:7]
	s_nop 1
	v_cndmask_b32_e64 v71, v144, v6, s[4:5]
	v_cndmask_b32_e64 v144, v145, v7, s[4:5]
	v_mov_b32_e32 v145, 0x7ff80000
	v_cmp_ngt_f64_e64 s[4:5], -1.0, v[6:7]
	s_nop 1
	v_cndmask_b32_e64 v145, v145, v144, s[4:5]
	v_cmp_nge_f64_e64 s[4:5], -1.0, v[6:7]
	s_nop 1
	v_cndmask_b32_e64 v144, 0, v71, s[4:5]
	v_mov_b32_e32 v71, 0xfff00000
	v_cmp_neq_f64_e64 s[4:5], -1.0, v[6:7]
	s_nop 1
	v_cndmask_b32_e64 v145, v71, v145, s[4:5]
	v_add_f64 v[6:7], v[4:5], v[144:145]
.LBB70_331:
	s_or_b64 exec, exec, s[38:39]
	ds_write_b64 v53, v[6:7] offset:24
.LBB70_332:
	s_or_b64 exec, exec, s[42:43]
	s_waitcnt lgkmcnt(0)
	s_barrier
	s_and_saveexec_b64 s[4:5], s[2:3]
	s_cbranch_execz .LBB70_334
; %bb.333:
	v_add_u32_e32 v4, -1, v70
	v_lshrrev_b32_e32 v5, 5, v4
	v_add_lshl_u32 v4, v5, v4, 3
	ds_read_b64 v[134:135], v4
.LBB70_334:
	s_or_b64 exec, exec, s[4:5]
	s_and_saveexec_b64 s[36:37], s[2:3]
	s_cbranch_execz .LBB70_338
; %bb.335:
	s_waitcnt lgkmcnt(0)
	v_max_f64 v[6:7], v[134:135], v[134:135]
	v_min_f64 v[4:5], v[6:7], v[34:35]
	v_cmp_u_f64_e64 s[2:3], v[134:135], v[134:135]
	v_max_f64 v[6:7], v[6:7], v[34:35]
	s_movk_i32 s4, 0x1f8
	v_cndmask_b32_e64 v4, v4, v134, s[2:3]
	v_cndmask_b32_e64 v5, v5, v135, s[2:3]
	;; [unrolled: 1-line block ×8, first 2 shown]
	v_cmp_neq_f64_e64 s[2:3], v[4:5], v[0:1]
	v_cmp_class_f64_e64 s[4:5], v[4:5], s4
	s_or_b64 s[2:3], s[2:3], s[4:5]
	s_and_saveexec_b64 s[34:35], s[2:3]
	s_cbranch_execz .LBB70_337
; %bb.336:
	s_mov_b32 s2, 0x652b82fe
	v_add_f64 v[4:5], v[4:5], -v[0:1]
	s_mov_b32 s3, 0x3ff71547
	v_mul_f64 v[6:7], v[4:5], s[2:3]
	v_rndne_f64_e32 v[6:7], v[6:7]
	s_mov_b32 s39, 0xbfe62e42
	s_mov_b32 s38, 0xfefa39ef
	v_fma_f64 v[34:35], s[38:39], v[6:7], v[4:5]
	s_mov_b32 s41, 0xbc7abc9e
	s_mov_b32 s40, 0x3b39803f
	s_mov_b32 s2, 0x6a5dcb37
	v_fmac_f64_e32 v[34:35], s[40:41], v[6:7]
	v_mov_b32_e32 v36, 0xfca7ab0c
	v_mov_b32_e32 v37, 0x3e928af3
	s_mov_b32 s3, 0x3e5ade15
	v_fmac_f64_e32 v[36:37], s[2:3], v[34:35]
	v_mov_b32_e32 v48, 0x623fde64
	v_mov_b32_e32 v49, 0x3ec71dee
	v_fmac_f64_e32 v[48:49], v[34:35], v[36:37]
	v_mov_b32_e32 v36, 0x7c89e6b0
	v_mov_b32_e32 v37, 0x3efa0199
	;; [unrolled: 3-line block ×8, first 2 shown]
	v_fmac_f64_e32 v[36:37], v[34:35], v[48:49]
	v_fma_f64 v[36:37], v[34:35], v[36:37], 1.0
	s_mov_b32 s2, 0
	s_mov_b32 s4, 0
	v_fma_f64 v[34:35], v[34:35], v[36:37], 1.0
	v_cvt_i32_f64_e32 v6, v[6:7]
	s_mov_b32 s3, 0x40900000
	s_mov_b32 s5, 0xc090cc00
	v_ldexp_f64 v[6:7], v[34:35], v6
	v_mov_b32_e32 v34, 0x7ff00000
	v_cmp_nlt_f64_e64 s[2:3], s[2:3], v[4:5]
	v_cmp_ngt_f64_e64 s[4:5], s[4:5], v[4:5]
	s_mov_b32 s39, 0x3fe62e42
	v_cndmask_b32_e64 v7, v34, v7, s[2:3]
	s_and_b64 s[2:3], s[4:5], s[2:3]
	v_cndmask_b32_e64 v5, 0, v7, s[4:5]
	v_cndmask_b32_e64 v4, 0, v6, s[2:3]
	v_add_f64 v[6:7], v[4:5], 1.0
	v_add_f64 v[34:35], v[6:7], -1.0
	v_add_f64 v[36:37], v[34:35], -v[6:7]
	v_add_f64 v[36:37], v[36:37], 1.0
	v_add_f64 v[34:35], v[4:5], -v[34:35]
	s_mov_b32 s2, 0x55555555
	v_add_f64 v[34:35], v[34:35], v[36:37]
	v_frexp_mant_f64_e32 v[36:37], v[6:7]
	s_mov_b32 s3, 0x3fe55555
	v_frexp_exp_i32_f64_e32 v48, v[6:7]
	v_cmp_gt_f64_e64 s[2:3], s[2:3], v[36:37]
	s_mov_b32 s41, 0x3c7abc9e
	s_nop 0
	v_subbrev_co_u32_e64 v53, s[2:3], 0, v48, s[2:3]
	v_sub_u32_e32 v36, 0, v53
	v_ldexp_f64 v[6:7], v[6:7], v36
	v_ldexp_f64 v[34:35], v[34:35], v36
	v_add_f64 v[36:37], v[6:7], -1.0
	v_add_f64 v[144:145], v[6:7], 1.0
	v_add_f64 v[48:49], v[36:37], 1.0
	v_add_f64 v[146:147], v[144:145], -1.0
	v_add_f64 v[48:49], v[6:7], -v[48:49]
	v_add_f64 v[6:7], v[6:7], -v[146:147]
	v_add_f64 v[6:7], v[34:35], v[6:7]
	v_add_f64 v[48:49], v[34:35], v[48:49]
	;; [unrolled: 1-line block ×3, first 2 shown]
	v_rcp_f64_e32 v[146:147], v[34:35]
	v_add_f64 v[134:135], v[36:37], v[48:49]
	v_add_f64 v[36:37], v[134:135], -v[36:37]
	v_add_f64 v[36:37], v[48:49], -v[36:37]
	;; [unrolled: 1-line block ×4, first 2 shown]
	v_fma_f64 v[48:49], -v[34:35], v[146:147], 1.0
	v_fmac_f64_e32 v[146:147], v[48:49], v[146:147]
	v_fma_f64 v[48:49], -v[34:35], v[146:147], 1.0
	v_fmac_f64_e32 v[146:147], v[48:49], v[146:147]
	v_mul_f64 v[48:49], v[134:135], v[146:147]
	v_mul_f64 v[144:145], v[34:35], v[48:49]
	v_fma_f64 v[148:149], v[48:49], v[34:35], -v[144:145]
	v_fmac_f64_e32 v[148:149], v[48:49], v[6:7]
	v_add_f64 v[150:151], v[144:145], v[148:149]
	v_add_f64 v[160:161], v[134:135], -v[150:151]
	v_add_f64 v[134:135], v[134:135], -v[160:161]
	;; [unrolled: 1-line block ×4, first 2 shown]
	v_add_f64 v[36:37], v[36:37], v[134:135]
	v_add_f64 v[134:135], v[144:145], -v[148:149]
	v_add_f64 v[36:37], v[134:135], v[36:37]
	v_add_f64 v[134:135], v[160:161], v[36:37]
	v_add_f64 v[144:145], v[160:161], -v[134:135]
	v_add_f64 v[36:37], v[36:37], v[144:145]
	v_mul_f64 v[144:145], v[146:147], v[134:135]
	v_mul_f64 v[148:149], v[34:35], v[144:145]
	v_fma_f64 v[34:35], v[144:145], v[34:35], -v[148:149]
	v_fmac_f64_e32 v[34:35], v[144:145], v[6:7]
	v_add_f64 v[6:7], v[148:149], v[34:35]
	v_add_f64 v[150:151], v[134:135], -v[6:7]
	v_add_f64 v[134:135], v[134:135], -v[150:151]
	;; [unrolled: 1-line block ×4, first 2 shown]
	v_add_f64 v[6:7], v[36:37], v[6:7]
	v_add_f64 v[34:35], v[148:149], -v[34:35]
	v_add_f64 v[6:7], v[34:35], v[6:7]
	v_add_f64 v[34:35], v[48:49], v[144:145]
	;; [unrolled: 1-line block ×3, first 2 shown]
	v_add_f64 v[36:37], v[34:35], -v[48:49]
	v_mul_f64 v[6:7], v[146:147], v[6:7]
	v_add_f64 v[36:37], v[144:145], -v[36:37]
	v_add_f64 v[6:7], v[36:37], v[6:7]
	v_add_f64 v[36:37], v[34:35], v[6:7]
	v_add_f64 v[34:35], v[36:37], -v[34:35]
	s_mov_b32 s2, 0xbf559e2b
	v_add_f64 v[6:7], v[6:7], -v[34:35]
	v_mul_f64 v[34:35], v[36:37], v[36:37]
	v_mov_b32_e32 v48, 0x6b47b09a
	v_mov_b32_e32 v49, 0x3fc38538
	s_mov_b32 s3, 0x3fc3ab76
	v_fmac_f64_e32 v[48:49], s[2:3], v[34:35]
	v_mov_b32_e32 v134, 0xd7f4df2e
	v_mov_b32_e32 v135, 0x3fc7474d
	v_fmac_f64_e32 v[134:135], v[34:35], v[48:49]
	v_mov_b32_e32 v48, 0x16291751
	v_mov_b32_e32 v49, 0x3fcc71c0
	;; [unrolled: 3-line block ×5, first 2 shown]
	v_fmac_f64_e32 v[134:135], v[34:35], v[48:49]
	v_cvt_f64_i32_e32 v[48:49], v53
	v_mul_f64 v[144:145], v[48:49], s[38:39]
	v_fma_f64 v[146:147], v[48:49], s[38:39], -v[144:145]
	v_fmac_f64_e32 v[146:147], s[40:41], v[48:49]
	v_add_f64 v[48:49], v[144:145], v[146:147]
	v_add_f64 v[144:145], v[48:49], -v[144:145]
	v_mul_f64 v[34:35], v[36:37], v[34:35]
	v_add_f64 v[144:145], v[146:147], -v[144:145]
	v_ldexp_f64 v[146:147], v[36:37], 1
	v_mul_f64 v[34:35], v[34:35], v[134:135]
	v_add_f64 v[36:37], v[146:147], v[34:35]
	v_add_f64 v[134:135], v[36:37], -v[146:147]
	v_ldexp_f64 v[6:7], v[6:7], 1
	v_add_f64 v[34:35], v[34:35], -v[134:135]
	v_add_f64 v[6:7], v[6:7], v[34:35]
	v_add_f64 v[34:35], v[36:37], v[6:7]
	v_add_f64 v[36:37], v[34:35], -v[36:37]
	v_add_f64 v[6:7], v[6:7], -v[36:37]
	v_add_f64 v[36:37], v[48:49], v[34:35]
	v_add_f64 v[134:135], v[36:37], -v[48:49]
	v_add_f64 v[146:147], v[36:37], -v[134:135]
	;; [unrolled: 1-line block ×4, first 2 shown]
	v_add_f64 v[34:35], v[34:35], v[48:49]
	v_add_f64 v[48:49], v[144:145], v[6:7]
	v_add_f64 v[134:135], v[48:49], -v[144:145]
	v_add_f64 v[34:35], v[48:49], v[34:35]
	v_add_f64 v[146:147], v[48:49], -v[134:135]
	;; [unrolled: 2-line block ×3, first 2 shown]
	v_add_f64 v[6:7], v[6:7], -v[134:135]
	v_add_f64 v[36:37], v[48:49], -v[36:37]
	v_add_f64 v[6:7], v[6:7], v[144:145]
	v_add_f64 v[34:35], v[34:35], -v[36:37]
	s_mov_b32 s2, 0
	v_add_f64 v[6:7], v[6:7], v[34:35]
	s_mov_b32 s3, 0x7ff00000
	v_add_f64 v[6:7], v[48:49], v[6:7]
	v_cmp_eq_f64_e64 s[2:3], s[2:3], v[4:5]
	v_mov_b32_e32 v34, 0x7ff80000
	s_nop 0
	v_cndmask_b32_e64 v6, v6, v4, s[2:3]
	v_cndmask_b32_e64 v7, v7, v5, s[2:3]
	v_cmp_ngt_f64_e64 s[2:3], -1.0, v[4:5]
	s_nop 1
	v_cndmask_b32_e64 v7, v34, v7, s[2:3]
	v_cmp_nge_f64_e64 s[2:3], -1.0, v[4:5]
	v_mov_b32_e32 v34, 0xfff00000
	s_nop 0
	v_cndmask_b32_e64 v6, 0, v6, s[2:3]
	v_cmp_neq_f64_e64 s[2:3], -1.0, v[4:5]
	s_nop 1
	v_cndmask_b32_e64 v7, v34, v7, s[2:3]
	v_add_f64 v[134:135], v[0:1], v[6:7]
.LBB70_337:
	s_or_b64 exec, exec, s[34:35]
	v_max_f64 v[0:1], v[134:135], v[134:135]
	v_min_f64 v[36:37], v[0:1], v[132:133]
	v_max_f64 v[48:49], v[0:1], v[132:133]
	v_mov_b64_e32 v[0:1], v[134:135]
	;;#ASMSTART
	;;#ASMEND
.LBB70_338:
	s_or_b64 exec, exec, s[36:37]
	v_cmp_u_f64_e64 s[2:3], v[0:1], v[0:1]
	s_movk_i32 s38, 0x1f8
	s_nop 0
	v_cndmask_b32_e64 v4, v36, v0, s[2:3]
	v_cndmask_b32_e64 v5, v37, v1, s[2:3]
	v_cndmask_b32_e32 v7, v5, v3, vcc
	v_cndmask_b32_e32 v6, v4, v2, vcc
	v_cndmask_b32_e64 v4, v48, v0, s[2:3]
	v_cndmask_b32_e64 v5, v49, v1, s[2:3]
	v_cndmask_b32_e32 v5, v5, v3, vcc
	v_cndmask_b32_e32 v4, v4, v2, vcc
	v_cmp_neq_f64_e32 vcc, v[6:7], v[4:5]
	v_cmp_class_f64_e64 s[2:3], v[6:7], s38
	s_or_b64 s[2:3], vcc, s[2:3]
	v_mov_b64_e32 v[2:3], v[0:1]
	s_and_saveexec_b64 s[4:5], s[2:3]
	s_cbranch_execz .LBB70_340
; %bb.339:
	s_mov_b32 s2, 0x652b82fe
	v_add_f64 v[2:3], v[6:7], -v[4:5]
	s_mov_b32 s3, 0x3ff71547
	v_mul_f64 v[6:7], v[2:3], s[2:3]
	v_rndne_f64_e32 v[6:7], v[6:7]
	s_mov_b32 s35, 0xbfe62e42
	s_mov_b32 s34, 0xfefa39ef
	v_fma_f64 v[34:35], s[34:35], v[6:7], v[2:3]
	s_mov_b32 s37, 0xbc7abc9e
	s_mov_b32 s36, 0x3b39803f
	s_mov_b32 s2, 0x6a5dcb37
	v_fmac_f64_e32 v[34:35], s[36:37], v[6:7]
	v_mov_b32_e32 v36, 0xfca7ab0c
	v_mov_b32_e32 v37, 0x3e928af3
	s_mov_b32 s3, 0x3e5ade15
	v_fmac_f64_e32 v[36:37], s[2:3], v[34:35]
	v_mov_b32_e32 v48, 0x623fde64
	v_mov_b32_e32 v49, 0x3ec71dee
	v_fmac_f64_e32 v[48:49], v[34:35], v[36:37]
	v_mov_b32_e32 v36, 0x7c89e6b0
	v_mov_b32_e32 v37, 0x3efa0199
	v_fmac_f64_e32 v[36:37], v[34:35], v[48:49]
	v_mov_b32_e32 v48, 0x14761f6e
	v_mov_b32_e32 v49, 0x3f2a01a0
	v_fmac_f64_e32 v[48:49], v[34:35], v[36:37]
	v_mov_b32_e32 v36, 0x1852b7b0
	v_mov_b32_e32 v37, 0x3f56c16c
	v_fmac_f64_e32 v[36:37], v[34:35], v[48:49]
	v_mov_b32_e32 v48, 0x11122322
	v_mov_b32_e32 v49, 0x3f811111
	v_fmac_f64_e32 v[48:49], v[34:35], v[36:37]
	v_mov_b32_e32 v36, 0x555502a1
	v_mov_b32_e32 v37, 0x3fa55555
	v_fmac_f64_e32 v[36:37], v[34:35], v[48:49]
	v_mov_b32_e32 v48, 0x55555511
	v_mov_b32_e32 v49, 0x3fc55555
	v_fmac_f64_e32 v[48:49], v[34:35], v[36:37]
	v_mov_b32_e32 v36, 11
	v_mov_b32_e32 v37, 0x3fe00000
	s_mov_b32 s2, 0
	v_fmac_f64_e32 v[36:37], v[34:35], v[48:49]
	s_mov_b32 s3, 0x40900000
	v_fma_f64 v[36:37], v[34:35], v[36:37], 1.0
	v_cmp_nlt_f64_e32 vcc, s[2:3], v[2:3]
	s_mov_b32 s2, 0
	v_fma_f64 v[34:35], v[34:35], v[36:37], 1.0
	v_cvt_i32_f64_e32 v6, v[6:7]
	s_mov_b32 s3, 0xc090cc00
	v_ldexp_f64 v[6:7], v[34:35], v6
	v_mov_b32_e32 v34, 0x7ff00000
	v_cmp_ngt_f64_e64 s[2:3], s[2:3], v[2:3]
	v_cndmask_b32_e32 v7, v34, v7, vcc
	s_and_b64 vcc, s[2:3], vcc
	v_cndmask_b32_e64 v3, 0, v7, s[2:3]
	v_cndmask_b32_e32 v2, 0, v6, vcc
	v_add_f64 v[6:7], v[2:3], 1.0
	v_add_f64 v[34:35], v[6:7], -1.0
	v_add_f64 v[36:37], v[34:35], -v[6:7]
	v_add_f64 v[36:37], v[36:37], 1.0
	v_add_f64 v[34:35], v[2:3], -v[34:35]
	s_mov_b32 s2, 0x55555555
	v_add_f64 v[34:35], v[34:35], v[36:37]
	v_frexp_mant_f64_e32 v[36:37], v[6:7]
	s_mov_b32 s3, 0x3fe55555
	v_frexp_exp_i32_f64_e32 v48, v[6:7]
	v_cmp_gt_f64_e32 vcc, s[2:3], v[36:37]
	s_mov_b32 s2, 0xbf559e2b
	s_mov_b32 s3, 0x3fc3ab76
	v_subbrev_co_u32_e32 v53, vcc, 0, v48, vcc
	v_sub_u32_e32 v36, 0, v53
	v_ldexp_f64 v[6:7], v[6:7], v36
	v_ldexp_f64 v[34:35], v[34:35], v36
	v_add_f64 v[36:37], v[6:7], -1.0
	s_waitcnt lgkmcnt(0)
	v_add_f64 v[134:135], v[6:7], 1.0
	v_add_f64 v[48:49], v[36:37], 1.0
	v_add_f64 v[144:145], v[134:135], -1.0
	v_add_f64 v[48:49], v[6:7], -v[48:49]
	v_add_f64 v[6:7], v[6:7], -v[144:145]
	v_add_f64 v[6:7], v[34:35], v[6:7]
	v_add_f64 v[48:49], v[34:35], v[48:49]
	;; [unrolled: 1-line block ×3, first 2 shown]
	v_rcp_f64_e32 v[144:145], v[34:35]
	v_add_f64 v[132:133], v[36:37], v[48:49]
	v_add_f64 v[36:37], v[132:133], -v[36:37]
	v_add_f64 v[36:37], v[48:49], -v[36:37]
	;; [unrolled: 1-line block ×4, first 2 shown]
	v_fma_f64 v[48:49], -v[34:35], v[144:145], 1.0
	v_fmac_f64_e32 v[144:145], v[48:49], v[144:145]
	v_fma_f64 v[48:49], -v[34:35], v[144:145], 1.0
	v_fmac_f64_e32 v[144:145], v[48:49], v[144:145]
	v_mul_f64 v[48:49], v[132:133], v[144:145]
	v_mul_f64 v[134:135], v[34:35], v[48:49]
	v_fma_f64 v[146:147], v[48:49], v[34:35], -v[134:135]
	v_fmac_f64_e32 v[146:147], v[48:49], v[6:7]
	v_add_f64 v[148:149], v[134:135], v[146:147]
	v_add_f64 v[150:151], v[132:133], -v[148:149]
	v_add_f64 v[132:133], v[132:133], -v[150:151]
	v_add_f64 v[134:135], v[148:149], -v[134:135]
	v_add_f64 v[132:133], v[132:133], -v[148:149]
	v_add_f64 v[36:37], v[36:37], v[132:133]
	v_add_f64 v[132:133], v[134:135], -v[146:147]
	v_add_f64 v[36:37], v[132:133], v[36:37]
	v_add_f64 v[132:133], v[150:151], v[36:37]
	v_add_f64 v[134:135], v[150:151], -v[132:133]
	v_add_f64 v[36:37], v[36:37], v[134:135]
	v_mul_f64 v[134:135], v[144:145], v[132:133]
	v_mul_f64 v[146:147], v[34:35], v[134:135]
	v_fma_f64 v[34:35], v[134:135], v[34:35], -v[146:147]
	v_fmac_f64_e32 v[34:35], v[134:135], v[6:7]
	v_add_f64 v[6:7], v[146:147], v[34:35]
	v_add_f64 v[148:149], v[132:133], -v[6:7]
	v_add_f64 v[132:133], v[132:133], -v[148:149]
	;; [unrolled: 1-line block ×4, first 2 shown]
	v_add_f64 v[6:7], v[36:37], v[6:7]
	v_add_f64 v[34:35], v[146:147], -v[34:35]
	v_add_f64 v[6:7], v[34:35], v[6:7]
	v_add_f64 v[34:35], v[48:49], v[134:135]
	;; [unrolled: 1-line block ×3, first 2 shown]
	v_add_f64 v[36:37], v[34:35], -v[48:49]
	v_mul_f64 v[6:7], v[144:145], v[6:7]
	v_add_f64 v[36:37], v[134:135], -v[36:37]
	v_add_f64 v[6:7], v[36:37], v[6:7]
	v_add_f64 v[36:37], v[34:35], v[6:7]
	v_add_f64 v[34:35], v[36:37], -v[34:35]
	v_add_f64 v[6:7], v[6:7], -v[34:35]
	v_mul_f64 v[34:35], v[36:37], v[36:37]
	v_mov_b32_e32 v48, 0x6b47b09a
	v_mov_b32_e32 v49, 0x3fc38538
	v_fmac_f64_e32 v[48:49], s[2:3], v[34:35]
	v_mov_b32_e32 v132, 0xd7f4df2e
	v_mov_b32_e32 v133, 0x3fc7474d
	v_fmac_f64_e32 v[132:133], v[34:35], v[48:49]
	;; [unrolled: 3-line block ×6, first 2 shown]
	v_cvt_f64_i32_e32 v[48:49], v53
	s_mov_b32 s35, 0x3fe62e42
	v_mul_f64 v[134:135], v[48:49], s[34:35]
	v_fma_f64 v[144:145], v[48:49], s[34:35], -v[134:135]
	s_mov_b32 s37, 0x3c7abc9e
	v_fmac_f64_e32 v[144:145], s[36:37], v[48:49]
	v_add_f64 v[48:49], v[134:135], v[144:145]
	v_add_f64 v[134:135], v[48:49], -v[134:135]
	v_mul_f64 v[34:35], v[36:37], v[34:35]
	v_add_f64 v[134:135], v[144:145], -v[134:135]
	v_ldexp_f64 v[144:145], v[36:37], 1
	v_mul_f64 v[34:35], v[34:35], v[132:133]
	v_add_f64 v[36:37], v[144:145], v[34:35]
	v_add_f64 v[132:133], v[36:37], -v[144:145]
	v_ldexp_f64 v[6:7], v[6:7], 1
	v_add_f64 v[34:35], v[34:35], -v[132:133]
	v_add_f64 v[6:7], v[6:7], v[34:35]
	v_add_f64 v[34:35], v[36:37], v[6:7]
	v_add_f64 v[36:37], v[34:35], -v[36:37]
	v_add_f64 v[6:7], v[6:7], -v[36:37]
	v_add_f64 v[36:37], v[48:49], v[34:35]
	v_add_f64 v[132:133], v[36:37], -v[48:49]
	v_add_f64 v[144:145], v[36:37], -v[132:133]
	;; [unrolled: 1-line block ×4, first 2 shown]
	v_add_f64 v[34:35], v[34:35], v[48:49]
	v_add_f64 v[48:49], v[134:135], v[6:7]
	v_add_f64 v[132:133], v[48:49], -v[134:135]
	v_add_f64 v[34:35], v[48:49], v[34:35]
	v_add_f64 v[144:145], v[48:49], -v[132:133]
	;; [unrolled: 2-line block ×3, first 2 shown]
	v_add_f64 v[6:7], v[6:7], -v[132:133]
	v_add_f64 v[36:37], v[48:49], -v[36:37]
	v_add_f64 v[6:7], v[6:7], v[134:135]
	v_add_f64 v[34:35], v[34:35], -v[36:37]
	s_mov_b32 s2, 0
	v_add_f64 v[6:7], v[6:7], v[34:35]
	s_mov_b32 s3, 0x7ff00000
	v_add_f64 v[6:7], v[48:49], v[6:7]
	v_cmp_eq_f64_e32 vcc, s[2:3], v[2:3]
	v_mov_b32_e32 v34, 0x7ff80000
	s_nop 0
	v_cndmask_b32_e32 v6, v6, v2, vcc
	v_cndmask_b32_e32 v7, v7, v3, vcc
	v_cmp_ngt_f64_e32 vcc, -1.0, v[2:3]
	s_nop 1
	v_cndmask_b32_e32 v7, v34, v7, vcc
	v_cmp_nge_f64_e32 vcc, -1.0, v[2:3]
	v_mov_b32_e32 v34, 0xfff00000
	s_nop 0
	v_cndmask_b32_e32 v6, 0, v6, vcc
	v_cmp_neq_f64_e32 vcc, -1.0, v[2:3]
	s_nop 1
	v_cndmask_b32_e32 v7, v34, v7, vcc
	v_add_f64 v[2:3], v[4:5], v[6:7]
.LBB70_340:
	s_or_b64 exec, exec, s[4:5]
	v_max_f64 v[4:5], v[2:3], v[2:3]
	v_min_f64 v[6:7], v[4:5], v[8:9]
	v_cmp_u_f64_e32 vcc, v[2:3], v[2:3]
	v_max_f64 v[4:5], v[4:5], v[8:9]
	s_nop 0
	v_cndmask_b32_e32 v6, v6, v2, vcc
	v_cndmask_b32_e32 v7, v7, v3, vcc
	;; [unrolled: 1-line block ×4, first 2 shown]
	v_cndmask_b32_e64 v35, v7, v113, s[6:7]
	v_cndmask_b32_e64 v34, v6, v112, s[6:7]
	;; [unrolled: 1-line block ×4, first 2 shown]
	v_cmp_neq_f64_e32 vcc, v[34:35], v[6:7]
	v_cmp_class_f64_e64 s[2:3], v[34:35], s38
	s_or_b64 s[2:3], vcc, s[2:3]
	v_mov_b64_e32 v[4:5], v[2:3]
	s_and_saveexec_b64 s[4:5], s[2:3]
	s_cbranch_execz .LBB70_342
; %bb.341:
	s_mov_b32 s2, 0x652b82fe
	v_add_f64 v[4:5], v[34:35], -v[6:7]
	s_mov_b32 s3, 0x3ff71547
	v_mul_f64 v[8:9], v[4:5], s[2:3]
	v_rndne_f64_e32 v[8:9], v[8:9]
	s_mov_b32 s7, 0xbfe62e42
	s_mov_b32 s6, 0xfefa39ef
	v_fma_f64 v[34:35], s[6:7], v[8:9], v[4:5]
	s_mov_b32 s35, 0xbc7abc9e
	s_mov_b32 s34, 0x3b39803f
	;; [unrolled: 1-line block ×3, first 2 shown]
	v_fmac_f64_e32 v[34:35], s[34:35], v[8:9]
	v_mov_b32_e32 v36, 0xfca7ab0c
	v_mov_b32_e32 v37, 0x3e928af3
	s_mov_b32 s3, 0x3e5ade15
	v_fmac_f64_e32 v[36:37], s[2:3], v[34:35]
	v_mov_b32_e32 v48, 0x623fde64
	v_mov_b32_e32 v49, 0x3ec71dee
	v_fmac_f64_e32 v[48:49], v[34:35], v[36:37]
	v_mov_b32_e32 v36, 0x7c89e6b0
	v_mov_b32_e32 v37, 0x3efa0199
	;; [unrolled: 3-line block ×8, first 2 shown]
	s_mov_b32 s2, 0
	v_fmac_f64_e32 v[36:37], v[34:35], v[48:49]
	s_mov_b32 s3, 0x40900000
	v_fma_f64 v[36:37], v[34:35], v[36:37], 1.0
	v_cmp_nlt_f64_e32 vcc, s[2:3], v[4:5]
	s_mov_b32 s2, 0
	v_fma_f64 v[34:35], v[34:35], v[36:37], 1.0
	v_cvt_i32_f64_e32 v8, v[8:9]
	s_mov_b32 s3, 0xc090cc00
	v_ldexp_f64 v[8:9], v[34:35], v8
	v_mov_b32_e32 v34, 0x7ff00000
	v_cmp_ngt_f64_e64 s[2:3], s[2:3], v[4:5]
	v_cndmask_b32_e32 v9, v34, v9, vcc
	s_and_b64 vcc, s[2:3], vcc
	v_cndmask_b32_e64 v5, 0, v9, s[2:3]
	v_cndmask_b32_e32 v4, 0, v8, vcc
	v_add_f64 v[8:9], v[4:5], 1.0
	v_add_f64 v[34:35], v[8:9], -1.0
	v_add_f64 v[36:37], v[34:35], -v[8:9]
	v_add_f64 v[36:37], v[36:37], 1.0
	v_add_f64 v[34:35], v[4:5], -v[34:35]
	s_mov_b32 s2, 0x55555555
	v_add_f64 v[34:35], v[34:35], v[36:37]
	v_frexp_mant_f64_e32 v[36:37], v[8:9]
	s_mov_b32 s3, 0x3fe55555
	v_frexp_exp_i32_f64_e32 v48, v[8:9]
	v_cmp_gt_f64_e32 vcc, s[2:3], v[36:37]
	s_mov_b32 s2, 0xbf559e2b
	s_mov_b32 s3, 0x3fc3ab76
	v_subbrev_co_u32_e32 v53, vcc, 0, v48, vcc
	v_sub_u32_e32 v36, 0, v53
	v_ldexp_f64 v[8:9], v[8:9], v36
	v_ldexp_f64 v[34:35], v[34:35], v36
	v_add_f64 v[36:37], v[8:9], -1.0
	v_add_f64 v[132:133], v[8:9], 1.0
	v_add_f64 v[48:49], v[36:37], 1.0
	s_waitcnt lgkmcnt(0)
	v_add_f64 v[134:135], v[132:133], -1.0
	v_add_f64 v[48:49], v[8:9], -v[48:49]
	v_add_f64 v[8:9], v[8:9], -v[134:135]
	v_add_f64 v[8:9], v[34:35], v[8:9]
	v_add_f64 v[48:49], v[34:35], v[48:49]
	;; [unrolled: 1-line block ×3, first 2 shown]
	v_rcp_f64_e32 v[134:135], v[34:35]
	v_add_f64 v[112:113], v[36:37], v[48:49]
	v_add_f64 v[36:37], v[112:113], -v[36:37]
	v_add_f64 v[36:37], v[48:49], -v[36:37]
	;; [unrolled: 1-line block ×4, first 2 shown]
	v_fma_f64 v[48:49], -v[34:35], v[134:135], 1.0
	v_fmac_f64_e32 v[134:135], v[48:49], v[134:135]
	v_fma_f64 v[48:49], -v[34:35], v[134:135], 1.0
	v_fmac_f64_e32 v[134:135], v[48:49], v[134:135]
	v_mul_f64 v[48:49], v[112:113], v[134:135]
	v_mul_f64 v[132:133], v[34:35], v[48:49]
	v_fma_f64 v[144:145], v[48:49], v[34:35], -v[132:133]
	v_fmac_f64_e32 v[144:145], v[48:49], v[8:9]
	v_add_f64 v[146:147], v[132:133], v[144:145]
	v_add_f64 v[148:149], v[112:113], -v[146:147]
	v_add_f64 v[112:113], v[112:113], -v[148:149]
	;; [unrolled: 1-line block ×4, first 2 shown]
	v_add_f64 v[36:37], v[36:37], v[112:113]
	v_add_f64 v[112:113], v[132:133], -v[144:145]
	v_add_f64 v[36:37], v[112:113], v[36:37]
	v_add_f64 v[112:113], v[148:149], v[36:37]
	v_add_f64 v[132:133], v[148:149], -v[112:113]
	v_add_f64 v[36:37], v[36:37], v[132:133]
	v_mul_f64 v[132:133], v[134:135], v[112:113]
	v_mul_f64 v[144:145], v[34:35], v[132:133]
	v_fma_f64 v[34:35], v[132:133], v[34:35], -v[144:145]
	v_fmac_f64_e32 v[34:35], v[132:133], v[8:9]
	v_add_f64 v[8:9], v[144:145], v[34:35]
	v_add_f64 v[146:147], v[112:113], -v[8:9]
	v_add_f64 v[112:113], v[112:113], -v[146:147]
	;; [unrolled: 1-line block ×4, first 2 shown]
	v_add_f64 v[8:9], v[36:37], v[8:9]
	v_add_f64 v[34:35], v[144:145], -v[34:35]
	v_add_f64 v[8:9], v[34:35], v[8:9]
	v_add_f64 v[34:35], v[48:49], v[132:133]
	;; [unrolled: 1-line block ×3, first 2 shown]
	v_add_f64 v[36:37], v[34:35], -v[48:49]
	v_mul_f64 v[8:9], v[134:135], v[8:9]
	v_add_f64 v[36:37], v[132:133], -v[36:37]
	v_add_f64 v[8:9], v[36:37], v[8:9]
	v_add_f64 v[36:37], v[34:35], v[8:9]
	v_add_f64 v[34:35], v[36:37], -v[34:35]
	v_add_f64 v[8:9], v[8:9], -v[34:35]
	v_mul_f64 v[34:35], v[36:37], v[36:37]
	v_mov_b32_e32 v48, 0x6b47b09a
	v_mov_b32_e32 v49, 0x3fc38538
	v_fmac_f64_e32 v[48:49], s[2:3], v[34:35]
	v_mov_b32_e32 v112, 0xd7f4df2e
	v_mov_b32_e32 v113, 0x3fc7474d
	v_fmac_f64_e32 v[112:113], v[34:35], v[48:49]
	;; [unrolled: 3-line block ×6, first 2 shown]
	v_cvt_f64_i32_e32 v[48:49], v53
	s_mov_b32 s7, 0x3fe62e42
	v_mul_f64 v[132:133], v[48:49], s[6:7]
	v_fma_f64 v[134:135], v[48:49], s[6:7], -v[132:133]
	s_mov_b32 s35, 0x3c7abc9e
	v_fmac_f64_e32 v[134:135], s[34:35], v[48:49]
	v_add_f64 v[48:49], v[132:133], v[134:135]
	v_add_f64 v[132:133], v[48:49], -v[132:133]
	v_mul_f64 v[34:35], v[36:37], v[34:35]
	v_add_f64 v[132:133], v[134:135], -v[132:133]
	v_ldexp_f64 v[134:135], v[36:37], 1
	v_mul_f64 v[34:35], v[34:35], v[112:113]
	v_add_f64 v[36:37], v[134:135], v[34:35]
	v_add_f64 v[112:113], v[36:37], -v[134:135]
	v_ldexp_f64 v[8:9], v[8:9], 1
	v_add_f64 v[34:35], v[34:35], -v[112:113]
	v_add_f64 v[8:9], v[8:9], v[34:35]
	v_add_f64 v[34:35], v[36:37], v[8:9]
	v_add_f64 v[36:37], v[34:35], -v[36:37]
	v_add_f64 v[8:9], v[8:9], -v[36:37]
	v_add_f64 v[36:37], v[48:49], v[34:35]
	v_add_f64 v[112:113], v[36:37], -v[48:49]
	v_add_f64 v[134:135], v[36:37], -v[112:113]
	;; [unrolled: 1-line block ×4, first 2 shown]
	v_add_f64 v[34:35], v[34:35], v[48:49]
	v_add_f64 v[48:49], v[132:133], v[8:9]
	v_add_f64 v[112:113], v[48:49], -v[132:133]
	v_add_f64 v[34:35], v[48:49], v[34:35]
	v_add_f64 v[134:135], v[48:49], -v[112:113]
	;; [unrolled: 2-line block ×3, first 2 shown]
	v_add_f64 v[8:9], v[8:9], -v[112:113]
	v_add_f64 v[36:37], v[48:49], -v[36:37]
	v_add_f64 v[8:9], v[8:9], v[132:133]
	v_add_f64 v[34:35], v[34:35], -v[36:37]
	s_mov_b32 s2, 0
	v_add_f64 v[8:9], v[8:9], v[34:35]
	s_mov_b32 s3, 0x7ff00000
	v_add_f64 v[8:9], v[48:49], v[8:9]
	v_cmp_eq_f64_e32 vcc, s[2:3], v[4:5]
	v_mov_b32_e32 v34, 0x7ff80000
	s_nop 0
	v_cndmask_b32_e32 v8, v8, v4, vcc
	v_cndmask_b32_e32 v9, v9, v5, vcc
	v_cmp_ngt_f64_e32 vcc, -1.0, v[4:5]
	s_nop 1
	v_cndmask_b32_e32 v9, v34, v9, vcc
	v_cmp_nge_f64_e32 vcc, -1.0, v[4:5]
	v_mov_b32_e32 v34, 0xfff00000
	s_nop 0
	v_cndmask_b32_e32 v8, 0, v8, vcc
	v_cmp_neq_f64_e32 vcc, -1.0, v[4:5]
	s_nop 1
	v_cndmask_b32_e32 v9, v34, v9, vcc
	v_add_f64 v[4:5], v[6:7], v[8:9]
.LBB70_342:
	s_or_b64 exec, exec, s[4:5]
	v_max_f64 v[6:7], v[4:5], v[4:5]
	v_min_f64 v[8:9], v[6:7], v[10:11]
	v_cmp_u_f64_e32 vcc, v[4:5], v[4:5]
	v_max_f64 v[6:7], v[6:7], v[10:11]
	s_movk_i32 s34, 0x1f8
	v_cndmask_b32_e32 v8, v8, v4, vcc
	v_cndmask_b32_e32 v9, v9, v5, vcc
	;; [unrolled: 1-line block ×4, first 2 shown]
	v_cndmask_b32_e64 v35, v9, v115, s[8:9]
	v_cndmask_b32_e64 v34, v8, v114, s[8:9]
	;; [unrolled: 1-line block ×4, first 2 shown]
	v_cmp_neq_f64_e32 vcc, v[34:35], v[8:9]
	v_cmp_class_f64_e64 s[2:3], v[34:35], s34
	s_or_b64 s[2:3], vcc, s[2:3]
	v_mov_b64_e32 v[6:7], v[4:5]
	s_and_saveexec_b64 s[4:5], s[2:3]
	s_cbranch_execz .LBB70_344
; %bb.343:
	s_mov_b32 s2, 0x652b82fe
	v_add_f64 v[6:7], v[34:35], -v[8:9]
	s_mov_b32 s3, 0x3ff71547
	v_mul_f64 v[10:11], v[6:7], s[2:3]
	v_rndne_f64_e32 v[10:11], v[10:11]
	s_mov_b32 s7, 0xbfe62e42
	s_mov_b32 s6, 0xfefa39ef
	v_fma_f64 v[34:35], s[6:7], v[10:11], v[6:7]
	s_mov_b32 s9, 0xbc7abc9e
	s_mov_b32 s8, 0x3b39803f
	;; [unrolled: 1-line block ×3, first 2 shown]
	v_fmac_f64_e32 v[34:35], s[8:9], v[10:11]
	v_mov_b32_e32 v36, 0xfca7ab0c
	v_mov_b32_e32 v37, 0x3e928af3
	s_mov_b32 s3, 0x3e5ade15
	v_fmac_f64_e32 v[36:37], s[2:3], v[34:35]
	v_mov_b32_e32 v48, 0x623fde64
	v_mov_b32_e32 v49, 0x3ec71dee
	v_fmac_f64_e32 v[48:49], v[34:35], v[36:37]
	v_mov_b32_e32 v36, 0x7c89e6b0
	v_mov_b32_e32 v37, 0x3efa0199
	;; [unrolled: 3-line block ×8, first 2 shown]
	s_mov_b32 s2, 0
	v_fmac_f64_e32 v[36:37], v[34:35], v[48:49]
	s_mov_b32 s3, 0x40900000
	v_fma_f64 v[36:37], v[34:35], v[36:37], 1.0
	v_cmp_nlt_f64_e32 vcc, s[2:3], v[6:7]
	s_mov_b32 s2, 0
	v_fma_f64 v[34:35], v[34:35], v[36:37], 1.0
	v_cvt_i32_f64_e32 v10, v[10:11]
	s_mov_b32 s3, 0xc090cc00
	v_ldexp_f64 v[10:11], v[34:35], v10
	v_mov_b32_e32 v34, 0x7ff00000
	v_cmp_ngt_f64_e64 s[2:3], s[2:3], v[6:7]
	v_cndmask_b32_e32 v11, v34, v11, vcc
	s_and_b64 vcc, s[2:3], vcc
	v_cndmask_b32_e64 v7, 0, v11, s[2:3]
	v_cndmask_b32_e32 v6, 0, v10, vcc
	v_add_f64 v[10:11], v[6:7], 1.0
	v_add_f64 v[34:35], v[10:11], -1.0
	v_add_f64 v[36:37], v[34:35], -v[10:11]
	v_add_f64 v[36:37], v[36:37], 1.0
	v_add_f64 v[34:35], v[6:7], -v[34:35]
	s_mov_b32 s2, 0x55555555
	v_add_f64 v[34:35], v[34:35], v[36:37]
	v_frexp_mant_f64_e32 v[36:37], v[10:11]
	s_mov_b32 s3, 0x3fe55555
	v_frexp_exp_i32_f64_e32 v48, v[10:11]
	v_cmp_gt_f64_e32 vcc, s[2:3], v[36:37]
	s_mov_b32 s2, 0xbf559e2b
	s_mov_b32 s3, 0x3fc3ab76
	v_subbrev_co_u32_e32 v53, vcc, 0, v48, vcc
	v_sub_u32_e32 v36, 0, v53
	v_ldexp_f64 v[10:11], v[10:11], v36
	v_ldexp_f64 v[34:35], v[34:35], v36
	v_add_f64 v[36:37], v[10:11], -1.0
	v_add_f64 v[114:115], v[10:11], 1.0
	v_add_f64 v[48:49], v[36:37], 1.0
	v_add_f64 v[132:133], v[114:115], -1.0
	v_add_f64 v[48:49], v[10:11], -v[48:49]
	v_add_f64 v[10:11], v[10:11], -v[132:133]
	v_add_f64 v[10:11], v[34:35], v[10:11]
	v_add_f64 v[48:49], v[34:35], v[48:49]
	;; [unrolled: 1-line block ×3, first 2 shown]
	v_rcp_f64_e32 v[132:133], v[34:35]
	v_add_f64 v[112:113], v[36:37], v[48:49]
	v_add_f64 v[36:37], v[112:113], -v[36:37]
	v_add_f64 v[36:37], v[48:49], -v[36:37]
	;; [unrolled: 1-line block ×4, first 2 shown]
	v_fma_f64 v[48:49], -v[34:35], v[132:133], 1.0
	v_fmac_f64_e32 v[132:133], v[48:49], v[132:133]
	v_fma_f64 v[48:49], -v[34:35], v[132:133], 1.0
	v_fmac_f64_e32 v[132:133], v[48:49], v[132:133]
	v_mul_f64 v[48:49], v[112:113], v[132:133]
	v_mul_f64 v[114:115], v[34:35], v[48:49]
	s_waitcnt lgkmcnt(0)
	v_fma_f64 v[134:135], v[48:49], v[34:35], -v[114:115]
	v_fmac_f64_e32 v[134:135], v[48:49], v[10:11]
	v_add_f64 v[144:145], v[114:115], v[134:135]
	v_add_f64 v[146:147], v[112:113], -v[144:145]
	v_add_f64 v[112:113], v[112:113], -v[146:147]
	;; [unrolled: 1-line block ×4, first 2 shown]
	v_add_f64 v[36:37], v[36:37], v[112:113]
	v_add_f64 v[112:113], v[114:115], -v[134:135]
	v_add_f64 v[36:37], v[112:113], v[36:37]
	v_add_f64 v[112:113], v[146:147], v[36:37]
	v_add_f64 v[114:115], v[146:147], -v[112:113]
	v_add_f64 v[36:37], v[36:37], v[114:115]
	v_mul_f64 v[114:115], v[132:133], v[112:113]
	v_mul_f64 v[134:135], v[34:35], v[114:115]
	v_fma_f64 v[34:35], v[114:115], v[34:35], -v[134:135]
	v_fmac_f64_e32 v[34:35], v[114:115], v[10:11]
	v_add_f64 v[10:11], v[134:135], v[34:35]
	v_add_f64 v[144:145], v[112:113], -v[10:11]
	v_add_f64 v[112:113], v[112:113], -v[144:145]
	;; [unrolled: 1-line block ×4, first 2 shown]
	v_add_f64 v[10:11], v[36:37], v[10:11]
	v_add_f64 v[34:35], v[134:135], -v[34:35]
	v_add_f64 v[10:11], v[34:35], v[10:11]
	v_add_f64 v[34:35], v[48:49], v[114:115]
	;; [unrolled: 1-line block ×3, first 2 shown]
	v_add_f64 v[36:37], v[34:35], -v[48:49]
	v_mul_f64 v[10:11], v[132:133], v[10:11]
	v_add_f64 v[36:37], v[114:115], -v[36:37]
	v_add_f64 v[10:11], v[36:37], v[10:11]
	v_add_f64 v[36:37], v[34:35], v[10:11]
	v_add_f64 v[34:35], v[36:37], -v[34:35]
	v_add_f64 v[10:11], v[10:11], -v[34:35]
	v_mul_f64 v[34:35], v[36:37], v[36:37]
	v_mov_b32_e32 v48, 0x6b47b09a
	v_mov_b32_e32 v49, 0x3fc38538
	v_fmac_f64_e32 v[48:49], s[2:3], v[34:35]
	v_mov_b32_e32 v112, 0xd7f4df2e
	v_mov_b32_e32 v113, 0x3fc7474d
	v_fmac_f64_e32 v[112:113], v[34:35], v[48:49]
	;; [unrolled: 3-line block ×6, first 2 shown]
	v_cvt_f64_i32_e32 v[48:49], v53
	s_mov_b32 s7, 0x3fe62e42
	v_mul_f64 v[114:115], v[48:49], s[6:7]
	v_fma_f64 v[132:133], v[48:49], s[6:7], -v[114:115]
	s_mov_b32 s9, 0x3c7abc9e
	v_fmac_f64_e32 v[132:133], s[8:9], v[48:49]
	v_add_f64 v[48:49], v[114:115], v[132:133]
	v_add_f64 v[114:115], v[48:49], -v[114:115]
	v_mul_f64 v[34:35], v[36:37], v[34:35]
	v_add_f64 v[114:115], v[132:133], -v[114:115]
	v_ldexp_f64 v[132:133], v[36:37], 1
	v_mul_f64 v[34:35], v[34:35], v[112:113]
	v_add_f64 v[36:37], v[132:133], v[34:35]
	v_add_f64 v[112:113], v[36:37], -v[132:133]
	v_ldexp_f64 v[10:11], v[10:11], 1
	v_add_f64 v[34:35], v[34:35], -v[112:113]
	v_add_f64 v[10:11], v[10:11], v[34:35]
	v_add_f64 v[34:35], v[36:37], v[10:11]
	v_add_f64 v[36:37], v[34:35], -v[36:37]
	v_add_f64 v[10:11], v[10:11], -v[36:37]
	v_add_f64 v[36:37], v[48:49], v[34:35]
	v_add_f64 v[112:113], v[36:37], -v[48:49]
	v_add_f64 v[132:133], v[36:37], -v[112:113]
	;; [unrolled: 1-line block ×4, first 2 shown]
	v_add_f64 v[34:35], v[34:35], v[48:49]
	v_add_f64 v[48:49], v[114:115], v[10:11]
	v_add_f64 v[112:113], v[48:49], -v[114:115]
	v_add_f64 v[34:35], v[48:49], v[34:35]
	v_add_f64 v[132:133], v[48:49], -v[112:113]
	;; [unrolled: 2-line block ×3, first 2 shown]
	v_add_f64 v[10:11], v[10:11], -v[112:113]
	v_add_f64 v[36:37], v[48:49], -v[36:37]
	v_add_f64 v[10:11], v[10:11], v[114:115]
	v_add_f64 v[34:35], v[34:35], -v[36:37]
	s_mov_b32 s2, 0
	v_add_f64 v[10:11], v[10:11], v[34:35]
	s_mov_b32 s3, 0x7ff00000
	v_add_f64 v[10:11], v[48:49], v[10:11]
	v_cmp_eq_f64_e32 vcc, s[2:3], v[6:7]
	v_mov_b32_e32 v34, 0x7ff80000
	s_nop 0
	v_cndmask_b32_e32 v10, v10, v6, vcc
	v_cndmask_b32_e32 v11, v11, v7, vcc
	v_cmp_ngt_f64_e32 vcc, -1.0, v[6:7]
	s_nop 1
	v_cndmask_b32_e32 v11, v34, v11, vcc
	v_cmp_nge_f64_e32 vcc, -1.0, v[6:7]
	v_mov_b32_e32 v34, 0xfff00000
	s_nop 0
	v_cndmask_b32_e32 v10, 0, v10, vcc
	v_cmp_neq_f64_e32 vcc, -1.0, v[6:7]
	s_nop 1
	v_cndmask_b32_e32 v11, v34, v11, vcc
	v_add_f64 v[6:7], v[8:9], v[10:11]
.LBB70_344:
	s_or_b64 exec, exec, s[4:5]
	v_max_f64 v[8:9], v[6:7], v[6:7]
	v_min_f64 v[10:11], v[8:9], v[12:13]
	v_cmp_u_f64_e32 vcc, v[6:7], v[6:7]
	v_max_f64 v[8:9], v[8:9], v[12:13]
	s_nop 0
	v_cndmask_b32_e32 v10, v10, v6, vcc
	v_cndmask_b32_e32 v11, v11, v7, vcc
	;; [unrolled: 1-line block ×4, first 2 shown]
	v_cndmask_b32_e64 v35, v11, v101, s[10:11]
	v_cndmask_b32_e64 v34, v10, v100, s[10:11]
	v_cndmask_b32_e64 v11, v9, v101, s[10:11]
	v_cndmask_b32_e64 v10, v8, v100, s[10:11]
	v_cmp_neq_f64_e32 vcc, v[34:35], v[10:11]
	v_cmp_class_f64_e64 s[2:3], v[34:35], s34
	s_or_b64 s[2:3], vcc, s[2:3]
	v_mov_b64_e32 v[8:9], v[6:7]
	s_and_saveexec_b64 s[4:5], s[2:3]
	s_cbranch_execz .LBB70_346
; %bb.345:
	s_mov_b32 s2, 0x652b82fe
	v_add_f64 v[8:9], v[34:35], -v[10:11]
	s_mov_b32 s3, 0x3ff71547
	v_mul_f64 v[12:13], v[8:9], s[2:3]
	v_rndne_f64_e32 v[12:13], v[12:13]
	s_mov_b32 s7, 0xbfe62e42
	s_mov_b32 s6, 0xfefa39ef
	v_fma_f64 v[34:35], s[6:7], v[12:13], v[8:9]
	s_mov_b32 s9, 0xbc7abc9e
	s_mov_b32 s8, 0x3b39803f
	;; [unrolled: 1-line block ×3, first 2 shown]
	v_fmac_f64_e32 v[34:35], s[8:9], v[12:13]
	v_mov_b32_e32 v36, 0xfca7ab0c
	v_mov_b32_e32 v37, 0x3e928af3
	s_mov_b32 s3, 0x3e5ade15
	v_fmac_f64_e32 v[36:37], s[2:3], v[34:35]
	v_mov_b32_e32 v48, 0x623fde64
	v_mov_b32_e32 v49, 0x3ec71dee
	v_fmac_f64_e32 v[48:49], v[34:35], v[36:37]
	v_mov_b32_e32 v36, 0x7c89e6b0
	v_mov_b32_e32 v37, 0x3efa0199
	;; [unrolled: 3-line block ×8, first 2 shown]
	s_mov_b32 s2, 0
	v_fmac_f64_e32 v[36:37], v[34:35], v[48:49]
	s_mov_b32 s3, 0x40900000
	v_fma_f64 v[36:37], v[34:35], v[36:37], 1.0
	v_cmp_nlt_f64_e32 vcc, s[2:3], v[8:9]
	s_mov_b32 s2, 0
	v_fma_f64 v[34:35], v[34:35], v[36:37], 1.0
	v_cvt_i32_f64_e32 v12, v[12:13]
	s_mov_b32 s3, 0xc090cc00
	v_ldexp_f64 v[12:13], v[34:35], v12
	v_mov_b32_e32 v34, 0x7ff00000
	v_cmp_ngt_f64_e64 s[2:3], s[2:3], v[8:9]
	v_cndmask_b32_e32 v13, v34, v13, vcc
	s_and_b64 vcc, s[2:3], vcc
	v_cndmask_b32_e64 v9, 0, v13, s[2:3]
	v_cndmask_b32_e32 v8, 0, v12, vcc
	v_add_f64 v[12:13], v[8:9], 1.0
	v_add_f64 v[34:35], v[12:13], -1.0
	v_add_f64 v[36:37], v[34:35], -v[12:13]
	v_add_f64 v[36:37], v[36:37], 1.0
	v_add_f64 v[34:35], v[8:9], -v[34:35]
	s_mov_b32 s2, 0x55555555
	v_add_f64 v[34:35], v[34:35], v[36:37]
	v_frexp_mant_f64_e32 v[36:37], v[12:13]
	s_mov_b32 s3, 0x3fe55555
	v_frexp_exp_i32_f64_e32 v48, v[12:13]
	v_cmp_gt_f64_e32 vcc, s[2:3], v[36:37]
	s_mov_b32 s2, 0xbf559e2b
	s_mov_b32 s3, 0x3fc3ab76
	v_subbrev_co_u32_e32 v53, vcc, 0, v48, vcc
	v_sub_u32_e32 v36, 0, v53
	v_ldexp_f64 v[12:13], v[12:13], v36
	v_ldexp_f64 v[34:35], v[34:35], v36
	v_add_f64 v[36:37], v[12:13], -1.0
	v_add_f64 v[112:113], v[12:13], 1.0
	v_add_f64 v[48:49], v[36:37], 1.0
	v_add_f64 v[114:115], v[112:113], -1.0
	v_add_f64 v[48:49], v[12:13], -v[48:49]
	v_add_f64 v[12:13], v[12:13], -v[114:115]
	v_add_f64 v[12:13], v[34:35], v[12:13]
	v_add_f64 v[48:49], v[34:35], v[48:49]
	;; [unrolled: 1-line block ×3, first 2 shown]
	v_rcp_f64_e32 v[114:115], v[34:35]
	v_add_f64 v[100:101], v[36:37], v[48:49]
	v_add_f64 v[36:37], v[100:101], -v[36:37]
	v_add_f64 v[36:37], v[48:49], -v[36:37]
	;; [unrolled: 1-line block ×4, first 2 shown]
	v_fma_f64 v[48:49], -v[34:35], v[114:115], 1.0
	v_fmac_f64_e32 v[114:115], v[48:49], v[114:115]
	v_fma_f64 v[48:49], -v[34:35], v[114:115], 1.0
	v_fmac_f64_e32 v[114:115], v[48:49], v[114:115]
	v_mul_f64 v[48:49], v[100:101], v[114:115]
	v_mul_f64 v[112:113], v[34:35], v[48:49]
	v_fma_f64 v[132:133], v[48:49], v[34:35], -v[112:113]
	v_fmac_f64_e32 v[132:133], v[48:49], v[12:13]
	s_waitcnt lgkmcnt(0)
	v_add_f64 v[134:135], v[112:113], v[132:133]
	v_add_f64 v[144:145], v[100:101], -v[134:135]
	v_add_f64 v[100:101], v[100:101], -v[144:145]
	;; [unrolled: 1-line block ×4, first 2 shown]
	v_add_f64 v[36:37], v[36:37], v[100:101]
	v_add_f64 v[100:101], v[112:113], -v[132:133]
	v_add_f64 v[36:37], v[100:101], v[36:37]
	v_add_f64 v[100:101], v[144:145], v[36:37]
	v_add_f64 v[112:113], v[144:145], -v[100:101]
	v_add_f64 v[36:37], v[36:37], v[112:113]
	v_mul_f64 v[112:113], v[114:115], v[100:101]
	v_mul_f64 v[132:133], v[34:35], v[112:113]
	v_fma_f64 v[34:35], v[112:113], v[34:35], -v[132:133]
	v_fmac_f64_e32 v[34:35], v[112:113], v[12:13]
	v_add_f64 v[12:13], v[132:133], v[34:35]
	v_add_f64 v[134:135], v[100:101], -v[12:13]
	v_add_f64 v[100:101], v[100:101], -v[134:135]
	;; [unrolled: 1-line block ×4, first 2 shown]
	v_add_f64 v[12:13], v[36:37], v[12:13]
	v_add_f64 v[34:35], v[132:133], -v[34:35]
	v_add_f64 v[12:13], v[34:35], v[12:13]
	v_add_f64 v[34:35], v[48:49], v[112:113]
	;; [unrolled: 1-line block ×3, first 2 shown]
	v_add_f64 v[36:37], v[34:35], -v[48:49]
	v_mul_f64 v[12:13], v[114:115], v[12:13]
	v_add_f64 v[36:37], v[112:113], -v[36:37]
	v_add_f64 v[12:13], v[36:37], v[12:13]
	v_add_f64 v[36:37], v[34:35], v[12:13]
	v_add_f64 v[34:35], v[36:37], -v[34:35]
	v_add_f64 v[12:13], v[12:13], -v[34:35]
	v_mul_f64 v[34:35], v[36:37], v[36:37]
	v_mov_b32_e32 v48, 0x6b47b09a
	v_mov_b32_e32 v49, 0x3fc38538
	v_fmac_f64_e32 v[48:49], s[2:3], v[34:35]
	v_mov_b32_e32 v100, 0xd7f4df2e
	v_mov_b32_e32 v101, 0x3fc7474d
	v_fmac_f64_e32 v[100:101], v[34:35], v[48:49]
	v_mov_b32_e32 v48, 0x16291751
	v_mov_b32_e32 v49, 0x3fcc71c0
	v_fmac_f64_e32 v[48:49], v[34:35], v[100:101]
	v_mov_b32_e32 v100, 0x9b27acf1
	v_mov_b32_e32 v101, 0x3fd24924
	v_fmac_f64_e32 v[100:101], v[34:35], v[48:49]
	v_mov_b32_e32 v48, 0x998ef7b6
	v_mov_b32_e32 v49, 0x3fd99999
	v_fmac_f64_e32 v[48:49], v[34:35], v[100:101]
	v_mov_b32_e32 v100, 0x55555780
	v_mov_b32_e32 v101, 0x3fe55555
	v_fmac_f64_e32 v[100:101], v[34:35], v[48:49]
	v_cvt_f64_i32_e32 v[48:49], v53
	s_mov_b32 s7, 0x3fe62e42
	v_mul_f64 v[112:113], v[48:49], s[6:7]
	v_fma_f64 v[114:115], v[48:49], s[6:7], -v[112:113]
	s_mov_b32 s9, 0x3c7abc9e
	v_fmac_f64_e32 v[114:115], s[8:9], v[48:49]
	v_add_f64 v[48:49], v[112:113], v[114:115]
	v_add_f64 v[112:113], v[48:49], -v[112:113]
	v_mul_f64 v[34:35], v[36:37], v[34:35]
	v_add_f64 v[112:113], v[114:115], -v[112:113]
	v_ldexp_f64 v[114:115], v[36:37], 1
	v_mul_f64 v[34:35], v[34:35], v[100:101]
	v_add_f64 v[36:37], v[114:115], v[34:35]
	v_add_f64 v[100:101], v[36:37], -v[114:115]
	v_ldexp_f64 v[12:13], v[12:13], 1
	v_add_f64 v[34:35], v[34:35], -v[100:101]
	v_add_f64 v[12:13], v[12:13], v[34:35]
	v_add_f64 v[34:35], v[36:37], v[12:13]
	v_add_f64 v[36:37], v[34:35], -v[36:37]
	v_add_f64 v[12:13], v[12:13], -v[36:37]
	v_add_f64 v[36:37], v[48:49], v[34:35]
	v_add_f64 v[100:101], v[36:37], -v[48:49]
	v_add_f64 v[114:115], v[36:37], -v[100:101]
	;; [unrolled: 1-line block ×4, first 2 shown]
	v_add_f64 v[34:35], v[34:35], v[48:49]
	v_add_f64 v[48:49], v[112:113], v[12:13]
	v_add_f64 v[100:101], v[48:49], -v[112:113]
	v_add_f64 v[34:35], v[48:49], v[34:35]
	v_add_f64 v[114:115], v[48:49], -v[100:101]
	;; [unrolled: 2-line block ×3, first 2 shown]
	v_add_f64 v[12:13], v[12:13], -v[100:101]
	v_add_f64 v[36:37], v[48:49], -v[36:37]
	v_add_f64 v[12:13], v[12:13], v[112:113]
	v_add_f64 v[34:35], v[34:35], -v[36:37]
	s_mov_b32 s2, 0
	v_add_f64 v[12:13], v[12:13], v[34:35]
	s_mov_b32 s3, 0x7ff00000
	v_add_f64 v[12:13], v[48:49], v[12:13]
	v_cmp_eq_f64_e32 vcc, s[2:3], v[8:9]
	v_mov_b32_e32 v34, 0x7ff80000
	s_nop 0
	v_cndmask_b32_e32 v12, v12, v8, vcc
	v_cndmask_b32_e32 v13, v13, v9, vcc
	v_cmp_ngt_f64_e32 vcc, -1.0, v[8:9]
	s_nop 1
	v_cndmask_b32_e32 v13, v34, v13, vcc
	v_cmp_nge_f64_e32 vcc, -1.0, v[8:9]
	v_mov_b32_e32 v34, 0xfff00000
	s_nop 0
	v_cndmask_b32_e32 v12, 0, v12, vcc
	v_cmp_neq_f64_e32 vcc, -1.0, v[8:9]
	s_nop 1
	v_cndmask_b32_e32 v13, v34, v13, vcc
	v_add_f64 v[8:9], v[10:11], v[12:13]
.LBB70_346:
	s_or_b64 exec, exec, s[4:5]
	v_max_f64 v[10:11], v[8:9], v[8:9]
	v_min_f64 v[12:13], v[10:11], v[14:15]
	v_cmp_u_f64_e32 vcc, v[8:9], v[8:9]
	v_max_f64 v[10:11], v[10:11], v[14:15]
	s_movk_i32 s10, 0x1f8
	v_cndmask_b32_e32 v12, v12, v8, vcc
	v_cndmask_b32_e32 v13, v13, v9, vcc
	;; [unrolled: 1-line block ×4, first 2 shown]
	v_cndmask_b32_e64 v35, v13, v103, s[12:13]
	v_cndmask_b32_e64 v34, v12, v102, s[12:13]
	;; [unrolled: 1-line block ×4, first 2 shown]
	v_cmp_neq_f64_e32 vcc, v[34:35], v[12:13]
	v_cmp_class_f64_e64 s[2:3], v[34:35], s10
	s_or_b64 s[2:3], vcc, s[2:3]
	v_mov_b64_e32 v[10:11], v[8:9]
	s_and_saveexec_b64 s[4:5], s[2:3]
	s_cbranch_execz .LBB70_348
; %bb.347:
	s_mov_b32 s2, 0x652b82fe
	v_add_f64 v[10:11], v[34:35], -v[12:13]
	s_mov_b32 s3, 0x3ff71547
	v_mul_f64 v[14:15], v[10:11], s[2:3]
	v_rndne_f64_e32 v[14:15], v[14:15]
	s_mov_b32 s7, 0xbfe62e42
	s_mov_b32 s6, 0xfefa39ef
	v_fma_f64 v[34:35], s[6:7], v[14:15], v[10:11]
	s_mov_b32 s9, 0xbc7abc9e
	s_mov_b32 s8, 0x3b39803f
	s_mov_b32 s2, 0x6a5dcb37
	v_fmac_f64_e32 v[34:35], s[8:9], v[14:15]
	v_mov_b32_e32 v36, 0xfca7ab0c
	v_mov_b32_e32 v37, 0x3e928af3
	s_mov_b32 s3, 0x3e5ade15
	v_fmac_f64_e32 v[36:37], s[2:3], v[34:35]
	v_mov_b32_e32 v48, 0x623fde64
	v_mov_b32_e32 v49, 0x3ec71dee
	v_fmac_f64_e32 v[48:49], v[34:35], v[36:37]
	v_mov_b32_e32 v36, 0x7c89e6b0
	v_mov_b32_e32 v37, 0x3efa0199
	;; [unrolled: 3-line block ×8, first 2 shown]
	s_mov_b32 s2, 0
	v_fmac_f64_e32 v[36:37], v[34:35], v[48:49]
	s_mov_b32 s3, 0x40900000
	v_fma_f64 v[36:37], v[34:35], v[36:37], 1.0
	v_cmp_nlt_f64_e32 vcc, s[2:3], v[10:11]
	s_mov_b32 s2, 0
	v_fma_f64 v[34:35], v[34:35], v[36:37], 1.0
	v_cvt_i32_f64_e32 v14, v[14:15]
	s_mov_b32 s3, 0xc090cc00
	v_ldexp_f64 v[14:15], v[34:35], v14
	v_mov_b32_e32 v34, 0x7ff00000
	v_cmp_ngt_f64_e64 s[2:3], s[2:3], v[10:11]
	v_cndmask_b32_e32 v15, v34, v15, vcc
	s_and_b64 vcc, s[2:3], vcc
	v_cndmask_b32_e64 v11, 0, v15, s[2:3]
	v_cndmask_b32_e32 v10, 0, v14, vcc
	v_add_f64 v[14:15], v[10:11], 1.0
	v_add_f64 v[34:35], v[14:15], -1.0
	v_add_f64 v[36:37], v[34:35], -v[14:15]
	v_add_f64 v[36:37], v[36:37], 1.0
	v_add_f64 v[34:35], v[10:11], -v[34:35]
	s_mov_b32 s2, 0x55555555
	v_add_f64 v[34:35], v[34:35], v[36:37]
	v_frexp_mant_f64_e32 v[36:37], v[14:15]
	s_mov_b32 s3, 0x3fe55555
	v_frexp_exp_i32_f64_e32 v48, v[14:15]
	v_cmp_gt_f64_e32 vcc, s[2:3], v[36:37]
	s_mov_b32 s2, 0xbf559e2b
	s_mov_b32 s3, 0x3fc3ab76
	v_subbrev_co_u32_e32 v53, vcc, 0, v48, vcc
	v_sub_u32_e32 v36, 0, v53
	v_ldexp_f64 v[14:15], v[14:15], v36
	v_ldexp_f64 v[34:35], v[34:35], v36
	v_add_f64 v[36:37], v[14:15], -1.0
	v_add_f64 v[102:103], v[14:15], 1.0
	v_add_f64 v[48:49], v[36:37], 1.0
	v_add_f64 v[112:113], v[102:103], -1.0
	v_add_f64 v[48:49], v[14:15], -v[48:49]
	v_add_f64 v[14:15], v[14:15], -v[112:113]
	v_add_f64 v[14:15], v[34:35], v[14:15]
	v_add_f64 v[48:49], v[34:35], v[48:49]
	;; [unrolled: 1-line block ×3, first 2 shown]
	v_rcp_f64_e32 v[112:113], v[34:35]
	v_add_f64 v[100:101], v[36:37], v[48:49]
	v_add_f64 v[36:37], v[100:101], -v[36:37]
	v_add_f64 v[36:37], v[48:49], -v[36:37]
	;; [unrolled: 1-line block ×4, first 2 shown]
	v_fma_f64 v[48:49], -v[34:35], v[112:113], 1.0
	v_fmac_f64_e32 v[112:113], v[48:49], v[112:113]
	v_fma_f64 v[48:49], -v[34:35], v[112:113], 1.0
	v_fmac_f64_e32 v[112:113], v[48:49], v[112:113]
	v_mul_f64 v[48:49], v[100:101], v[112:113]
	v_mul_f64 v[102:103], v[34:35], v[48:49]
	v_fma_f64 v[114:115], v[48:49], v[34:35], -v[102:103]
	v_fmac_f64_e32 v[114:115], v[48:49], v[14:15]
	v_add_f64 v[132:133], v[102:103], v[114:115]
	s_waitcnt lgkmcnt(0)
	v_add_f64 v[134:135], v[100:101], -v[132:133]
	v_add_f64 v[100:101], v[100:101], -v[134:135]
	;; [unrolled: 1-line block ×4, first 2 shown]
	v_add_f64 v[36:37], v[36:37], v[100:101]
	v_add_f64 v[100:101], v[102:103], -v[114:115]
	v_add_f64 v[36:37], v[100:101], v[36:37]
	v_add_f64 v[100:101], v[134:135], v[36:37]
	v_add_f64 v[102:103], v[134:135], -v[100:101]
	v_add_f64 v[36:37], v[36:37], v[102:103]
	v_mul_f64 v[102:103], v[112:113], v[100:101]
	v_mul_f64 v[114:115], v[34:35], v[102:103]
	v_fma_f64 v[34:35], v[102:103], v[34:35], -v[114:115]
	v_fmac_f64_e32 v[34:35], v[102:103], v[14:15]
	v_add_f64 v[14:15], v[114:115], v[34:35]
	v_add_f64 v[132:133], v[100:101], -v[14:15]
	v_add_f64 v[100:101], v[100:101], -v[132:133]
	;; [unrolled: 1-line block ×4, first 2 shown]
	v_add_f64 v[14:15], v[36:37], v[14:15]
	v_add_f64 v[34:35], v[114:115], -v[34:35]
	v_add_f64 v[14:15], v[34:35], v[14:15]
	v_add_f64 v[34:35], v[48:49], v[102:103]
	v_add_f64 v[14:15], v[132:133], v[14:15]
	v_add_f64 v[36:37], v[34:35], -v[48:49]
	v_mul_f64 v[14:15], v[112:113], v[14:15]
	v_add_f64 v[36:37], v[102:103], -v[36:37]
	v_add_f64 v[14:15], v[36:37], v[14:15]
	v_add_f64 v[36:37], v[34:35], v[14:15]
	v_add_f64 v[34:35], v[36:37], -v[34:35]
	v_add_f64 v[14:15], v[14:15], -v[34:35]
	v_mul_f64 v[34:35], v[36:37], v[36:37]
	v_mov_b32_e32 v48, 0x6b47b09a
	v_mov_b32_e32 v49, 0x3fc38538
	v_fmac_f64_e32 v[48:49], s[2:3], v[34:35]
	v_mov_b32_e32 v100, 0xd7f4df2e
	v_mov_b32_e32 v101, 0x3fc7474d
	v_fmac_f64_e32 v[100:101], v[34:35], v[48:49]
	;; [unrolled: 3-line block ×6, first 2 shown]
	v_cvt_f64_i32_e32 v[48:49], v53
	s_mov_b32 s7, 0x3fe62e42
	v_mul_f64 v[102:103], v[48:49], s[6:7]
	v_fma_f64 v[112:113], v[48:49], s[6:7], -v[102:103]
	s_mov_b32 s9, 0x3c7abc9e
	v_fmac_f64_e32 v[112:113], s[8:9], v[48:49]
	v_add_f64 v[48:49], v[102:103], v[112:113]
	v_add_f64 v[102:103], v[48:49], -v[102:103]
	v_mul_f64 v[34:35], v[36:37], v[34:35]
	v_add_f64 v[102:103], v[112:113], -v[102:103]
	v_ldexp_f64 v[112:113], v[36:37], 1
	v_mul_f64 v[34:35], v[34:35], v[100:101]
	v_add_f64 v[36:37], v[112:113], v[34:35]
	v_add_f64 v[100:101], v[36:37], -v[112:113]
	v_ldexp_f64 v[14:15], v[14:15], 1
	v_add_f64 v[34:35], v[34:35], -v[100:101]
	v_add_f64 v[14:15], v[14:15], v[34:35]
	v_add_f64 v[34:35], v[36:37], v[14:15]
	v_add_f64 v[36:37], v[34:35], -v[36:37]
	v_add_f64 v[14:15], v[14:15], -v[36:37]
	v_add_f64 v[36:37], v[48:49], v[34:35]
	v_add_f64 v[100:101], v[36:37], -v[48:49]
	v_add_f64 v[112:113], v[36:37], -v[100:101]
	;; [unrolled: 1-line block ×4, first 2 shown]
	v_add_f64 v[34:35], v[34:35], v[48:49]
	v_add_f64 v[48:49], v[102:103], v[14:15]
	v_add_f64 v[100:101], v[48:49], -v[102:103]
	v_add_f64 v[34:35], v[48:49], v[34:35]
	v_add_f64 v[112:113], v[48:49], -v[100:101]
	;; [unrolled: 2-line block ×3, first 2 shown]
	v_add_f64 v[14:15], v[14:15], -v[100:101]
	v_add_f64 v[36:37], v[48:49], -v[36:37]
	v_add_f64 v[14:15], v[14:15], v[102:103]
	v_add_f64 v[34:35], v[34:35], -v[36:37]
	s_mov_b32 s2, 0
	v_add_f64 v[14:15], v[14:15], v[34:35]
	s_mov_b32 s3, 0x7ff00000
	v_add_f64 v[14:15], v[48:49], v[14:15]
	v_cmp_eq_f64_e32 vcc, s[2:3], v[10:11]
	v_mov_b32_e32 v34, 0x7ff80000
	s_nop 0
	v_cndmask_b32_e32 v14, v14, v10, vcc
	v_cndmask_b32_e32 v15, v15, v11, vcc
	v_cmp_ngt_f64_e32 vcc, -1.0, v[10:11]
	s_nop 1
	v_cndmask_b32_e32 v15, v34, v15, vcc
	v_cmp_nge_f64_e32 vcc, -1.0, v[10:11]
	v_mov_b32_e32 v34, 0xfff00000
	s_nop 0
	v_cndmask_b32_e32 v14, 0, v14, vcc
	v_cmp_neq_f64_e32 vcc, -1.0, v[10:11]
	s_nop 1
	v_cndmask_b32_e32 v15, v34, v15, vcc
	v_add_f64 v[10:11], v[12:13], v[14:15]
.LBB70_348:
	s_or_b64 exec, exec, s[4:5]
	v_max_f64 v[12:13], v[10:11], v[10:11]
	v_min_f64 v[14:15], v[12:13], v[16:17]
	v_cmp_u_f64_e32 vcc, v[10:11], v[10:11]
	v_max_f64 v[12:13], v[12:13], v[16:17]
	s_nop 0
	v_cndmask_b32_e32 v14, v14, v10, vcc
	v_cndmask_b32_e32 v15, v15, v11, vcc
	;; [unrolled: 1-line block ×4, first 2 shown]
	v_cndmask_b32_e64 v35, v15, v97, s[14:15]
	v_cndmask_b32_e64 v34, v14, v96, s[14:15]
	;; [unrolled: 1-line block ×4, first 2 shown]
	v_cmp_neq_f64_e32 vcc, v[34:35], v[14:15]
	v_cmp_class_f64_e64 s[2:3], v[34:35], s10
	s_or_b64 s[2:3], vcc, s[2:3]
	v_mov_b64_e32 v[12:13], v[10:11]
	s_and_saveexec_b64 s[4:5], s[2:3]
	s_cbranch_execz .LBB70_350
; %bb.349:
	s_mov_b32 s2, 0x652b82fe
	v_add_f64 v[12:13], v[34:35], -v[14:15]
	s_mov_b32 s3, 0x3ff71547
	v_mul_f64 v[16:17], v[12:13], s[2:3]
	v_rndne_f64_e32 v[16:17], v[16:17]
	s_mov_b32 s7, 0xbfe62e42
	s_mov_b32 s6, 0xfefa39ef
	v_fma_f64 v[34:35], s[6:7], v[16:17], v[12:13]
	s_mov_b32 s9, 0xbc7abc9e
	s_mov_b32 s8, 0x3b39803f
	;; [unrolled: 1-line block ×3, first 2 shown]
	v_fmac_f64_e32 v[34:35], s[8:9], v[16:17]
	v_mov_b32_e32 v36, 0xfca7ab0c
	v_mov_b32_e32 v37, 0x3e928af3
	s_mov_b32 s3, 0x3e5ade15
	v_fmac_f64_e32 v[36:37], s[2:3], v[34:35]
	v_mov_b32_e32 v48, 0x623fde64
	v_mov_b32_e32 v49, 0x3ec71dee
	v_fmac_f64_e32 v[48:49], v[34:35], v[36:37]
	v_mov_b32_e32 v36, 0x7c89e6b0
	v_mov_b32_e32 v37, 0x3efa0199
	;; [unrolled: 3-line block ×8, first 2 shown]
	s_mov_b32 s2, 0
	v_fmac_f64_e32 v[36:37], v[34:35], v[48:49]
	s_mov_b32 s3, 0x40900000
	v_fma_f64 v[36:37], v[34:35], v[36:37], 1.0
	v_cmp_nlt_f64_e32 vcc, s[2:3], v[12:13]
	s_mov_b32 s2, 0
	v_fma_f64 v[34:35], v[34:35], v[36:37], 1.0
	v_cvt_i32_f64_e32 v16, v[16:17]
	s_mov_b32 s3, 0xc090cc00
	v_ldexp_f64 v[16:17], v[34:35], v16
	v_mov_b32_e32 v34, 0x7ff00000
	v_cmp_ngt_f64_e64 s[2:3], s[2:3], v[12:13]
	v_cndmask_b32_e32 v17, v34, v17, vcc
	s_and_b64 vcc, s[2:3], vcc
	v_cndmask_b32_e64 v13, 0, v17, s[2:3]
	v_cndmask_b32_e32 v12, 0, v16, vcc
	v_add_f64 v[16:17], v[12:13], 1.0
	v_add_f64 v[34:35], v[16:17], -1.0
	v_add_f64 v[36:37], v[34:35], -v[16:17]
	v_add_f64 v[36:37], v[36:37], 1.0
	v_add_f64 v[34:35], v[12:13], -v[34:35]
	s_mov_b32 s2, 0x55555555
	v_add_f64 v[34:35], v[34:35], v[36:37]
	v_frexp_mant_f64_e32 v[36:37], v[16:17]
	s_mov_b32 s3, 0x3fe55555
	v_frexp_exp_i32_f64_e32 v48, v[16:17]
	v_cmp_gt_f64_e32 vcc, s[2:3], v[36:37]
	s_mov_b32 s2, 0xbf559e2b
	s_mov_b32 s3, 0x3fc3ab76
	v_subbrev_co_u32_e32 v53, vcc, 0, v48, vcc
	v_sub_u32_e32 v36, 0, v53
	v_ldexp_f64 v[16:17], v[16:17], v36
	v_ldexp_f64 v[34:35], v[34:35], v36
	v_add_f64 v[36:37], v[16:17], -1.0
	v_add_f64 v[100:101], v[16:17], 1.0
	v_add_f64 v[48:49], v[36:37], 1.0
	v_add_f64 v[102:103], v[100:101], -1.0
	v_add_f64 v[48:49], v[16:17], -v[48:49]
	v_add_f64 v[16:17], v[16:17], -v[102:103]
	v_add_f64 v[16:17], v[34:35], v[16:17]
	v_add_f64 v[48:49], v[34:35], v[48:49]
	;; [unrolled: 1-line block ×3, first 2 shown]
	v_rcp_f64_e32 v[102:103], v[34:35]
	v_add_f64 v[96:97], v[36:37], v[48:49]
	v_add_f64 v[36:37], v[96:97], -v[36:37]
	v_add_f64 v[36:37], v[48:49], -v[36:37]
	;; [unrolled: 1-line block ×4, first 2 shown]
	v_fma_f64 v[48:49], -v[34:35], v[102:103], 1.0
	v_fmac_f64_e32 v[102:103], v[48:49], v[102:103]
	v_fma_f64 v[48:49], -v[34:35], v[102:103], 1.0
	v_fmac_f64_e32 v[102:103], v[48:49], v[102:103]
	v_mul_f64 v[48:49], v[96:97], v[102:103]
	v_mul_f64 v[100:101], v[34:35], v[48:49]
	v_fma_f64 v[112:113], v[48:49], v[34:35], -v[100:101]
	v_fmac_f64_e32 v[112:113], v[48:49], v[16:17]
	v_add_f64 v[114:115], v[100:101], v[112:113]
	v_add_f64 v[132:133], v[96:97], -v[114:115]
	v_add_f64 v[96:97], v[96:97], -v[132:133]
	v_add_f64 v[100:101], v[114:115], -v[100:101]
	v_add_f64 v[96:97], v[96:97], -v[114:115]
	v_add_f64 v[36:37], v[36:37], v[96:97]
	v_add_f64 v[96:97], v[100:101], -v[112:113]
	v_add_f64 v[36:37], v[96:97], v[36:37]
	v_add_f64 v[96:97], v[132:133], v[36:37]
	v_add_f64 v[100:101], v[132:133], -v[96:97]
	v_add_f64 v[36:37], v[36:37], v[100:101]
	v_mul_f64 v[100:101], v[102:103], v[96:97]
	v_mul_f64 v[112:113], v[34:35], v[100:101]
	v_fma_f64 v[34:35], v[100:101], v[34:35], -v[112:113]
	v_fmac_f64_e32 v[34:35], v[100:101], v[16:17]
	v_add_f64 v[16:17], v[112:113], v[34:35]
	v_add_f64 v[114:115], v[96:97], -v[16:17]
	v_add_f64 v[96:97], v[96:97], -v[114:115]
	;; [unrolled: 1-line block ×4, first 2 shown]
	v_add_f64 v[16:17], v[36:37], v[16:17]
	v_add_f64 v[34:35], v[112:113], -v[34:35]
	v_add_f64 v[16:17], v[34:35], v[16:17]
	v_add_f64 v[34:35], v[48:49], v[100:101]
	;; [unrolled: 1-line block ×3, first 2 shown]
	v_add_f64 v[36:37], v[34:35], -v[48:49]
	v_mul_f64 v[16:17], v[102:103], v[16:17]
	v_add_f64 v[36:37], v[100:101], -v[36:37]
	v_add_f64 v[16:17], v[36:37], v[16:17]
	v_add_f64 v[36:37], v[34:35], v[16:17]
	v_add_f64 v[34:35], v[36:37], -v[34:35]
	v_add_f64 v[16:17], v[16:17], -v[34:35]
	v_mul_f64 v[34:35], v[36:37], v[36:37]
	v_mov_b32_e32 v48, 0x6b47b09a
	v_mov_b32_e32 v49, 0x3fc38538
	v_fmac_f64_e32 v[48:49], s[2:3], v[34:35]
	v_mov_b32_e32 v96, 0xd7f4df2e
	v_mov_b32_e32 v97, 0x3fc7474d
	v_fmac_f64_e32 v[96:97], v[34:35], v[48:49]
	;; [unrolled: 3-line block ×6, first 2 shown]
	v_cvt_f64_i32_e32 v[48:49], v53
	s_mov_b32 s7, 0x3fe62e42
	v_mul_f64 v[100:101], v[48:49], s[6:7]
	v_fma_f64 v[102:103], v[48:49], s[6:7], -v[100:101]
	s_mov_b32 s9, 0x3c7abc9e
	v_fmac_f64_e32 v[102:103], s[8:9], v[48:49]
	v_add_f64 v[48:49], v[100:101], v[102:103]
	v_add_f64 v[100:101], v[48:49], -v[100:101]
	v_mul_f64 v[34:35], v[36:37], v[34:35]
	v_add_f64 v[100:101], v[102:103], -v[100:101]
	v_ldexp_f64 v[102:103], v[36:37], 1
	v_mul_f64 v[34:35], v[34:35], v[96:97]
	v_add_f64 v[36:37], v[102:103], v[34:35]
	v_add_f64 v[96:97], v[36:37], -v[102:103]
	v_ldexp_f64 v[16:17], v[16:17], 1
	v_add_f64 v[34:35], v[34:35], -v[96:97]
	v_add_f64 v[16:17], v[16:17], v[34:35]
	v_add_f64 v[34:35], v[36:37], v[16:17]
	v_add_f64 v[36:37], v[34:35], -v[36:37]
	v_add_f64 v[16:17], v[16:17], -v[36:37]
	v_add_f64 v[36:37], v[48:49], v[34:35]
	v_add_f64 v[96:97], v[36:37], -v[48:49]
	v_add_f64 v[102:103], v[36:37], -v[96:97]
	;; [unrolled: 1-line block ×4, first 2 shown]
	v_add_f64 v[34:35], v[34:35], v[48:49]
	v_add_f64 v[48:49], v[100:101], v[16:17]
	v_add_f64 v[96:97], v[48:49], -v[100:101]
	v_add_f64 v[34:35], v[48:49], v[34:35]
	v_add_f64 v[102:103], v[48:49], -v[96:97]
	;; [unrolled: 2-line block ×3, first 2 shown]
	v_add_f64 v[16:17], v[16:17], -v[96:97]
	v_add_f64 v[36:37], v[48:49], -v[36:37]
	v_add_f64 v[16:17], v[16:17], v[100:101]
	v_add_f64 v[34:35], v[34:35], -v[36:37]
	s_mov_b32 s2, 0
	v_add_f64 v[16:17], v[16:17], v[34:35]
	s_mov_b32 s3, 0x7ff00000
	v_add_f64 v[16:17], v[48:49], v[16:17]
	v_cmp_eq_f64_e32 vcc, s[2:3], v[12:13]
	v_mov_b32_e32 v34, 0x7ff80000
	s_nop 0
	v_cndmask_b32_e32 v16, v16, v12, vcc
	v_cndmask_b32_e32 v17, v17, v13, vcc
	v_cmp_ngt_f64_e32 vcc, -1.0, v[12:13]
	s_nop 1
	v_cndmask_b32_e32 v17, v34, v17, vcc
	v_cmp_nge_f64_e32 vcc, -1.0, v[12:13]
	v_mov_b32_e32 v34, 0xfff00000
	s_nop 0
	v_cndmask_b32_e32 v16, 0, v16, vcc
	v_cmp_neq_f64_e32 vcc, -1.0, v[12:13]
	s_nop 1
	v_cndmask_b32_e32 v17, v34, v17, vcc
	v_add_f64 v[12:13], v[14:15], v[16:17]
.LBB70_350:
	s_or_b64 exec, exec, s[4:5]
	v_max_f64 v[14:15], v[12:13], v[12:13]
	v_min_f64 v[16:17], v[14:15], v[18:19]
	v_cmp_u_f64_e32 vcc, v[12:13], v[12:13]
	v_max_f64 v[14:15], v[14:15], v[18:19]
	s_nop 0
	v_cndmask_b32_e32 v16, v16, v12, vcc
	v_cndmask_b32_e32 v17, v17, v13, vcc
	;; [unrolled: 1-line block ×4, first 2 shown]
	v_cndmask_b32_e64 v35, v17, v99, s[16:17]
	v_cndmask_b32_e64 v34, v16, v98, s[16:17]
	v_cndmask_b32_e64 v17, v15, v99, s[16:17]
	v_cndmask_b32_e64 v16, v14, v98, s[16:17]
	v_cmp_neq_f64_e32 vcc, v[34:35], v[16:17]
	v_cmp_class_f64_e64 s[2:3], v[34:35], s10
	s_or_b64 s[2:3], vcc, s[2:3]
	v_mov_b64_e32 v[14:15], v[12:13]
	s_and_saveexec_b64 s[4:5], s[2:3]
	s_cbranch_execz .LBB70_352
; %bb.351:
	s_mov_b32 s2, 0x652b82fe
	v_add_f64 v[14:15], v[34:35], -v[16:17]
	s_mov_b32 s3, 0x3ff71547
	v_mul_f64 v[18:19], v[14:15], s[2:3]
	v_rndne_f64_e32 v[18:19], v[18:19]
	s_mov_b32 s7, 0xbfe62e42
	s_mov_b32 s6, 0xfefa39ef
	v_fma_f64 v[34:35], s[6:7], v[18:19], v[14:15]
	s_mov_b32 s9, 0xbc7abc9e
	s_mov_b32 s8, 0x3b39803f
	;; [unrolled: 1-line block ×3, first 2 shown]
	v_fmac_f64_e32 v[34:35], s[8:9], v[18:19]
	v_mov_b32_e32 v36, 0xfca7ab0c
	v_mov_b32_e32 v37, 0x3e928af3
	s_mov_b32 s3, 0x3e5ade15
	v_fmac_f64_e32 v[36:37], s[2:3], v[34:35]
	v_mov_b32_e32 v48, 0x623fde64
	v_mov_b32_e32 v49, 0x3ec71dee
	v_fmac_f64_e32 v[48:49], v[34:35], v[36:37]
	v_mov_b32_e32 v36, 0x7c89e6b0
	v_mov_b32_e32 v37, 0x3efa0199
	;; [unrolled: 3-line block ×8, first 2 shown]
	s_mov_b32 s2, 0
	v_fmac_f64_e32 v[36:37], v[34:35], v[48:49]
	s_mov_b32 s3, 0x40900000
	v_fma_f64 v[36:37], v[34:35], v[36:37], 1.0
	v_cmp_nlt_f64_e32 vcc, s[2:3], v[14:15]
	s_mov_b32 s2, 0
	v_fma_f64 v[34:35], v[34:35], v[36:37], 1.0
	v_cvt_i32_f64_e32 v18, v[18:19]
	s_mov_b32 s3, 0xc090cc00
	v_ldexp_f64 v[18:19], v[34:35], v18
	v_mov_b32_e32 v34, 0x7ff00000
	v_cmp_ngt_f64_e64 s[2:3], s[2:3], v[14:15]
	v_cndmask_b32_e32 v19, v34, v19, vcc
	s_and_b64 vcc, s[2:3], vcc
	v_cndmask_b32_e64 v15, 0, v19, s[2:3]
	v_cndmask_b32_e32 v14, 0, v18, vcc
	v_add_f64 v[18:19], v[14:15], 1.0
	v_add_f64 v[34:35], v[18:19], -1.0
	v_add_f64 v[36:37], v[34:35], -v[18:19]
	v_add_f64 v[36:37], v[36:37], 1.0
	v_add_f64 v[34:35], v[14:15], -v[34:35]
	s_mov_b32 s2, 0x55555555
	v_add_f64 v[34:35], v[34:35], v[36:37]
	v_frexp_mant_f64_e32 v[36:37], v[18:19]
	s_mov_b32 s3, 0x3fe55555
	v_frexp_exp_i32_f64_e32 v48, v[18:19]
	v_cmp_gt_f64_e32 vcc, s[2:3], v[36:37]
	s_mov_b32 s2, 0xbf559e2b
	s_mov_b32 s3, 0x3fc3ab76
	v_subbrev_co_u32_e32 v53, vcc, 0, v48, vcc
	v_sub_u32_e32 v36, 0, v53
	v_ldexp_f64 v[18:19], v[18:19], v36
	v_ldexp_f64 v[34:35], v[34:35], v36
	v_add_f64 v[36:37], v[18:19], -1.0
	v_add_f64 v[98:99], v[18:19], 1.0
	v_add_f64 v[48:49], v[36:37], 1.0
	v_add_f64 v[100:101], v[98:99], -1.0
	v_add_f64 v[48:49], v[18:19], -v[48:49]
	v_add_f64 v[18:19], v[18:19], -v[100:101]
	v_add_f64 v[18:19], v[34:35], v[18:19]
	v_add_f64 v[48:49], v[34:35], v[48:49]
	;; [unrolled: 1-line block ×3, first 2 shown]
	v_rcp_f64_e32 v[100:101], v[34:35]
	v_add_f64 v[96:97], v[36:37], v[48:49]
	v_add_f64 v[36:37], v[96:97], -v[36:37]
	v_add_f64 v[36:37], v[48:49], -v[36:37]
	;; [unrolled: 1-line block ×4, first 2 shown]
	v_fma_f64 v[48:49], -v[34:35], v[100:101], 1.0
	v_fmac_f64_e32 v[100:101], v[48:49], v[100:101]
	v_fma_f64 v[48:49], -v[34:35], v[100:101], 1.0
	v_fmac_f64_e32 v[100:101], v[48:49], v[100:101]
	v_mul_f64 v[48:49], v[96:97], v[100:101]
	v_mul_f64 v[98:99], v[34:35], v[48:49]
	v_fma_f64 v[102:103], v[48:49], v[34:35], -v[98:99]
	v_fmac_f64_e32 v[102:103], v[48:49], v[18:19]
	v_add_f64 v[112:113], v[98:99], v[102:103]
	v_add_f64 v[114:115], v[96:97], -v[112:113]
	v_add_f64 v[96:97], v[96:97], -v[114:115]
	;; [unrolled: 1-line block ×4, first 2 shown]
	v_add_f64 v[36:37], v[36:37], v[96:97]
	v_add_f64 v[96:97], v[98:99], -v[102:103]
	v_add_f64 v[36:37], v[96:97], v[36:37]
	v_add_f64 v[96:97], v[114:115], v[36:37]
	v_add_f64 v[98:99], v[114:115], -v[96:97]
	v_add_f64 v[36:37], v[36:37], v[98:99]
	v_mul_f64 v[98:99], v[100:101], v[96:97]
	v_mul_f64 v[102:103], v[34:35], v[98:99]
	v_fma_f64 v[34:35], v[98:99], v[34:35], -v[102:103]
	v_fmac_f64_e32 v[34:35], v[98:99], v[18:19]
	v_add_f64 v[18:19], v[102:103], v[34:35]
	v_add_f64 v[112:113], v[96:97], -v[18:19]
	v_add_f64 v[96:97], v[96:97], -v[112:113]
	;; [unrolled: 1-line block ×4, first 2 shown]
	v_add_f64 v[18:19], v[36:37], v[18:19]
	v_add_f64 v[34:35], v[102:103], -v[34:35]
	v_add_f64 v[18:19], v[34:35], v[18:19]
	v_add_f64 v[34:35], v[48:49], v[98:99]
	;; [unrolled: 1-line block ×3, first 2 shown]
	v_add_f64 v[36:37], v[34:35], -v[48:49]
	v_mul_f64 v[18:19], v[100:101], v[18:19]
	v_add_f64 v[36:37], v[98:99], -v[36:37]
	v_add_f64 v[18:19], v[36:37], v[18:19]
	v_add_f64 v[36:37], v[34:35], v[18:19]
	v_add_f64 v[34:35], v[36:37], -v[34:35]
	v_add_f64 v[18:19], v[18:19], -v[34:35]
	v_mul_f64 v[34:35], v[36:37], v[36:37]
	v_mov_b32_e32 v48, 0x6b47b09a
	v_mov_b32_e32 v49, 0x3fc38538
	v_fmac_f64_e32 v[48:49], s[2:3], v[34:35]
	v_mov_b32_e32 v96, 0xd7f4df2e
	v_mov_b32_e32 v97, 0x3fc7474d
	v_fmac_f64_e32 v[96:97], v[34:35], v[48:49]
	;; [unrolled: 3-line block ×6, first 2 shown]
	v_cvt_f64_i32_e32 v[48:49], v53
	s_mov_b32 s7, 0x3fe62e42
	v_mul_f64 v[98:99], v[48:49], s[6:7]
	v_fma_f64 v[100:101], v[48:49], s[6:7], -v[98:99]
	s_mov_b32 s9, 0x3c7abc9e
	v_fmac_f64_e32 v[100:101], s[8:9], v[48:49]
	v_add_f64 v[48:49], v[98:99], v[100:101]
	v_add_f64 v[98:99], v[48:49], -v[98:99]
	v_mul_f64 v[34:35], v[36:37], v[34:35]
	v_add_f64 v[98:99], v[100:101], -v[98:99]
	v_ldexp_f64 v[100:101], v[36:37], 1
	v_mul_f64 v[34:35], v[34:35], v[96:97]
	v_add_f64 v[36:37], v[100:101], v[34:35]
	v_add_f64 v[96:97], v[36:37], -v[100:101]
	v_ldexp_f64 v[18:19], v[18:19], 1
	v_add_f64 v[34:35], v[34:35], -v[96:97]
	v_add_f64 v[18:19], v[18:19], v[34:35]
	v_add_f64 v[34:35], v[36:37], v[18:19]
	v_add_f64 v[36:37], v[34:35], -v[36:37]
	v_add_f64 v[18:19], v[18:19], -v[36:37]
	v_add_f64 v[36:37], v[48:49], v[34:35]
	v_add_f64 v[96:97], v[36:37], -v[48:49]
	v_add_f64 v[100:101], v[36:37], -v[96:97]
	;; [unrolled: 1-line block ×4, first 2 shown]
	v_add_f64 v[34:35], v[34:35], v[48:49]
	v_add_f64 v[48:49], v[98:99], v[18:19]
	v_add_f64 v[96:97], v[48:49], -v[98:99]
	v_add_f64 v[34:35], v[48:49], v[34:35]
	v_add_f64 v[100:101], v[48:49], -v[96:97]
	;; [unrolled: 2-line block ×3, first 2 shown]
	v_add_f64 v[18:19], v[18:19], -v[96:97]
	v_add_f64 v[36:37], v[48:49], -v[36:37]
	v_add_f64 v[18:19], v[18:19], v[98:99]
	v_add_f64 v[34:35], v[34:35], -v[36:37]
	s_mov_b32 s2, 0
	v_add_f64 v[18:19], v[18:19], v[34:35]
	s_mov_b32 s3, 0x7ff00000
	v_add_f64 v[18:19], v[48:49], v[18:19]
	v_cmp_eq_f64_e32 vcc, s[2:3], v[14:15]
	v_mov_b32_e32 v34, 0x7ff80000
	s_nop 0
	v_cndmask_b32_e32 v18, v18, v14, vcc
	v_cndmask_b32_e32 v19, v19, v15, vcc
	v_cmp_ngt_f64_e32 vcc, -1.0, v[14:15]
	s_nop 1
	v_cndmask_b32_e32 v19, v34, v19, vcc
	v_cmp_nge_f64_e32 vcc, -1.0, v[14:15]
	v_mov_b32_e32 v34, 0xfff00000
	s_nop 0
	v_cndmask_b32_e32 v18, 0, v18, vcc
	v_cmp_neq_f64_e32 vcc, -1.0, v[14:15]
	s_nop 1
	v_cndmask_b32_e32 v19, v34, v19, vcc
	v_add_f64 v[14:15], v[16:17], v[18:19]
.LBB70_352:
	s_or_b64 exec, exec, s[4:5]
	v_max_f64 v[16:17], v[14:15], v[14:15]
	v_min_f64 v[18:19], v[16:17], v[20:21]
	v_cmp_u_f64_e32 vcc, v[14:15], v[14:15]
	v_max_f64 v[16:17], v[16:17], v[20:21]
	s_nop 0
	v_cndmask_b32_e32 v18, v18, v14, vcc
	v_cndmask_b32_e32 v19, v19, v15, vcc
	;; [unrolled: 1-line block ×4, first 2 shown]
	v_cndmask_b32_e64 v35, v19, v85, s[18:19]
	v_cndmask_b32_e64 v34, v18, v84, s[18:19]
	;; [unrolled: 1-line block ×4, first 2 shown]
	v_cmp_neq_f64_e32 vcc, v[34:35], v[18:19]
	v_cmp_class_f64_e64 s[2:3], v[34:35], s10
	s_or_b64 s[2:3], vcc, s[2:3]
	v_mov_b64_e32 v[16:17], v[14:15]
	s_and_saveexec_b64 s[4:5], s[2:3]
	s_cbranch_execz .LBB70_354
; %bb.353:
	s_mov_b32 s2, 0x652b82fe
	v_add_f64 v[16:17], v[34:35], -v[18:19]
	s_mov_b32 s3, 0x3ff71547
	v_mul_f64 v[20:21], v[16:17], s[2:3]
	v_rndne_f64_e32 v[20:21], v[20:21]
	s_mov_b32 s7, 0xbfe62e42
	s_mov_b32 s6, 0xfefa39ef
	v_fma_f64 v[34:35], s[6:7], v[20:21], v[16:17]
	s_mov_b32 s9, 0xbc7abc9e
	s_mov_b32 s8, 0x3b39803f
	;; [unrolled: 1-line block ×3, first 2 shown]
	v_fmac_f64_e32 v[34:35], s[8:9], v[20:21]
	v_mov_b32_e32 v36, 0xfca7ab0c
	v_mov_b32_e32 v37, 0x3e928af3
	s_mov_b32 s3, 0x3e5ade15
	v_fmac_f64_e32 v[36:37], s[2:3], v[34:35]
	v_mov_b32_e32 v48, 0x623fde64
	v_mov_b32_e32 v49, 0x3ec71dee
	v_fmac_f64_e32 v[48:49], v[34:35], v[36:37]
	v_mov_b32_e32 v36, 0x7c89e6b0
	v_mov_b32_e32 v37, 0x3efa0199
	;; [unrolled: 3-line block ×8, first 2 shown]
	s_mov_b32 s2, 0
	v_fmac_f64_e32 v[36:37], v[34:35], v[48:49]
	s_mov_b32 s3, 0x40900000
	v_fma_f64 v[36:37], v[34:35], v[36:37], 1.0
	v_cmp_nlt_f64_e32 vcc, s[2:3], v[16:17]
	s_mov_b32 s2, 0
	v_fma_f64 v[34:35], v[34:35], v[36:37], 1.0
	v_cvt_i32_f64_e32 v20, v[20:21]
	s_mov_b32 s3, 0xc090cc00
	v_ldexp_f64 v[20:21], v[34:35], v20
	v_mov_b32_e32 v34, 0x7ff00000
	v_cmp_ngt_f64_e64 s[2:3], s[2:3], v[16:17]
	v_cndmask_b32_e32 v21, v34, v21, vcc
	s_and_b64 vcc, s[2:3], vcc
	v_cndmask_b32_e64 v17, 0, v21, s[2:3]
	v_cndmask_b32_e32 v16, 0, v20, vcc
	v_add_f64 v[20:21], v[16:17], 1.0
	v_add_f64 v[34:35], v[20:21], -1.0
	v_add_f64 v[36:37], v[34:35], -v[20:21]
	v_add_f64 v[36:37], v[36:37], 1.0
	v_add_f64 v[34:35], v[16:17], -v[34:35]
	s_mov_b32 s2, 0x55555555
	v_add_f64 v[34:35], v[34:35], v[36:37]
	v_frexp_mant_f64_e32 v[36:37], v[20:21]
	s_mov_b32 s3, 0x3fe55555
	v_frexp_exp_i32_f64_e32 v48, v[20:21]
	v_cmp_gt_f64_e32 vcc, s[2:3], v[36:37]
	s_mov_b32 s2, 0xbf559e2b
	s_mov_b32 s3, 0x3fc3ab76
	v_subbrev_co_u32_e32 v53, vcc, 0, v48, vcc
	v_sub_u32_e32 v36, 0, v53
	v_ldexp_f64 v[20:21], v[20:21], v36
	v_ldexp_f64 v[34:35], v[34:35], v36
	v_add_f64 v[36:37], v[20:21], -1.0
	v_add_f64 v[96:97], v[20:21], 1.0
	v_add_f64 v[48:49], v[36:37], 1.0
	v_add_f64 v[98:99], v[96:97], -1.0
	v_add_f64 v[48:49], v[20:21], -v[48:49]
	v_add_f64 v[20:21], v[20:21], -v[98:99]
	v_add_f64 v[20:21], v[34:35], v[20:21]
	v_add_f64 v[48:49], v[34:35], v[48:49]
	;; [unrolled: 1-line block ×3, first 2 shown]
	v_rcp_f64_e32 v[98:99], v[34:35]
	v_add_f64 v[84:85], v[36:37], v[48:49]
	v_add_f64 v[36:37], v[84:85], -v[36:37]
	v_add_f64 v[36:37], v[48:49], -v[36:37]
	v_add_f64 v[48:49], v[34:35], -v[96:97]
	v_add_f64 v[20:21], v[20:21], -v[48:49]
	v_fma_f64 v[48:49], -v[34:35], v[98:99], 1.0
	v_fmac_f64_e32 v[98:99], v[48:49], v[98:99]
	v_fma_f64 v[48:49], -v[34:35], v[98:99], 1.0
	v_fmac_f64_e32 v[98:99], v[48:49], v[98:99]
	v_mul_f64 v[48:49], v[84:85], v[98:99]
	v_mul_f64 v[96:97], v[34:35], v[48:49]
	v_fma_f64 v[100:101], v[48:49], v[34:35], -v[96:97]
	v_fmac_f64_e32 v[100:101], v[48:49], v[20:21]
	v_add_f64 v[102:103], v[96:97], v[100:101]
	v_add_f64 v[112:113], v[84:85], -v[102:103]
	v_add_f64 v[84:85], v[84:85], -v[112:113]
	;; [unrolled: 1-line block ×4, first 2 shown]
	v_add_f64 v[36:37], v[36:37], v[84:85]
	v_add_f64 v[84:85], v[96:97], -v[100:101]
	v_add_f64 v[36:37], v[84:85], v[36:37]
	v_add_f64 v[84:85], v[112:113], v[36:37]
	v_add_f64 v[96:97], v[112:113], -v[84:85]
	v_add_f64 v[36:37], v[36:37], v[96:97]
	v_mul_f64 v[96:97], v[98:99], v[84:85]
	v_mul_f64 v[100:101], v[34:35], v[96:97]
	v_fma_f64 v[34:35], v[96:97], v[34:35], -v[100:101]
	v_fmac_f64_e32 v[34:35], v[96:97], v[20:21]
	v_add_f64 v[20:21], v[100:101], v[34:35]
	v_add_f64 v[102:103], v[84:85], -v[20:21]
	v_add_f64 v[84:85], v[84:85], -v[102:103]
	;; [unrolled: 1-line block ×4, first 2 shown]
	v_add_f64 v[20:21], v[36:37], v[20:21]
	v_add_f64 v[34:35], v[100:101], -v[34:35]
	v_add_f64 v[20:21], v[34:35], v[20:21]
	v_add_f64 v[34:35], v[48:49], v[96:97]
	;; [unrolled: 1-line block ×3, first 2 shown]
	v_add_f64 v[36:37], v[34:35], -v[48:49]
	v_mul_f64 v[20:21], v[98:99], v[20:21]
	v_add_f64 v[36:37], v[96:97], -v[36:37]
	v_add_f64 v[20:21], v[36:37], v[20:21]
	v_add_f64 v[36:37], v[34:35], v[20:21]
	v_add_f64 v[34:35], v[36:37], -v[34:35]
	v_add_f64 v[20:21], v[20:21], -v[34:35]
	v_mul_f64 v[34:35], v[36:37], v[36:37]
	v_mov_b32_e32 v48, 0x6b47b09a
	v_mov_b32_e32 v49, 0x3fc38538
	v_fmac_f64_e32 v[48:49], s[2:3], v[34:35]
	v_mov_b32_e32 v84, 0xd7f4df2e
	v_mov_b32_e32 v85, 0x3fc7474d
	v_fmac_f64_e32 v[84:85], v[34:35], v[48:49]
	v_mov_b32_e32 v48, 0x16291751
	v_mov_b32_e32 v49, 0x3fcc71c0
	v_fmac_f64_e32 v[48:49], v[34:35], v[84:85]
	v_mov_b32_e32 v84, 0x9b27acf1
	v_mov_b32_e32 v85, 0x3fd24924
	v_fmac_f64_e32 v[84:85], v[34:35], v[48:49]
	v_mov_b32_e32 v48, 0x998ef7b6
	v_mov_b32_e32 v49, 0x3fd99999
	v_fmac_f64_e32 v[48:49], v[34:35], v[84:85]
	v_mov_b32_e32 v84, 0x55555780
	v_mov_b32_e32 v85, 0x3fe55555
	v_fmac_f64_e32 v[84:85], v[34:35], v[48:49]
	v_cvt_f64_i32_e32 v[48:49], v53
	s_mov_b32 s7, 0x3fe62e42
	v_mul_f64 v[96:97], v[48:49], s[6:7]
	v_fma_f64 v[98:99], v[48:49], s[6:7], -v[96:97]
	s_mov_b32 s9, 0x3c7abc9e
	v_fmac_f64_e32 v[98:99], s[8:9], v[48:49]
	v_add_f64 v[48:49], v[96:97], v[98:99]
	v_add_f64 v[96:97], v[48:49], -v[96:97]
	v_mul_f64 v[34:35], v[36:37], v[34:35]
	v_add_f64 v[96:97], v[98:99], -v[96:97]
	v_ldexp_f64 v[98:99], v[36:37], 1
	v_mul_f64 v[34:35], v[34:35], v[84:85]
	v_add_f64 v[36:37], v[98:99], v[34:35]
	v_add_f64 v[84:85], v[36:37], -v[98:99]
	v_ldexp_f64 v[20:21], v[20:21], 1
	v_add_f64 v[34:35], v[34:35], -v[84:85]
	v_add_f64 v[20:21], v[20:21], v[34:35]
	v_add_f64 v[34:35], v[36:37], v[20:21]
	v_add_f64 v[36:37], v[34:35], -v[36:37]
	v_add_f64 v[20:21], v[20:21], -v[36:37]
	v_add_f64 v[36:37], v[48:49], v[34:35]
	v_add_f64 v[84:85], v[36:37], -v[48:49]
	v_add_f64 v[98:99], v[36:37], -v[84:85]
	;; [unrolled: 1-line block ×4, first 2 shown]
	v_add_f64 v[34:35], v[34:35], v[48:49]
	v_add_f64 v[48:49], v[96:97], v[20:21]
	v_add_f64 v[84:85], v[48:49], -v[96:97]
	v_add_f64 v[34:35], v[48:49], v[34:35]
	v_add_f64 v[98:99], v[48:49], -v[84:85]
	;; [unrolled: 2-line block ×3, first 2 shown]
	v_add_f64 v[20:21], v[20:21], -v[84:85]
	v_add_f64 v[36:37], v[48:49], -v[36:37]
	v_add_f64 v[20:21], v[20:21], v[96:97]
	v_add_f64 v[34:35], v[34:35], -v[36:37]
	s_mov_b32 s2, 0
	v_add_f64 v[20:21], v[20:21], v[34:35]
	s_mov_b32 s3, 0x7ff00000
	v_add_f64 v[20:21], v[48:49], v[20:21]
	v_cmp_eq_f64_e32 vcc, s[2:3], v[16:17]
	v_mov_b32_e32 v34, 0x7ff80000
	s_nop 0
	v_cndmask_b32_e32 v20, v20, v16, vcc
	v_cndmask_b32_e32 v21, v21, v17, vcc
	v_cmp_ngt_f64_e32 vcc, -1.0, v[16:17]
	s_nop 1
	v_cndmask_b32_e32 v21, v34, v21, vcc
	v_cmp_nge_f64_e32 vcc, -1.0, v[16:17]
	v_mov_b32_e32 v34, 0xfff00000
	s_nop 0
	v_cndmask_b32_e32 v20, 0, v20, vcc
	v_cmp_neq_f64_e32 vcc, -1.0, v[16:17]
	s_nop 1
	v_cndmask_b32_e32 v21, v34, v21, vcc
	v_add_f64 v[16:17], v[18:19], v[20:21]
.LBB70_354:
	s_or_b64 exec, exec, s[4:5]
	v_max_f64 v[18:19], v[16:17], v[16:17]
	v_min_f64 v[20:21], v[18:19], v[22:23]
	v_cmp_u_f64_e32 vcc, v[16:17], v[16:17]
	v_max_f64 v[18:19], v[18:19], v[22:23]
	s_nop 0
	v_cndmask_b32_e32 v20, v20, v16, vcc
	v_cndmask_b32_e32 v21, v21, v17, vcc
	;; [unrolled: 1-line block ×4, first 2 shown]
	v_cndmask_b32_e64 v35, v21, v87, s[20:21]
	v_cndmask_b32_e64 v34, v20, v86, s[20:21]
	;; [unrolled: 1-line block ×4, first 2 shown]
	v_cmp_neq_f64_e32 vcc, v[34:35], v[20:21]
	v_cmp_class_f64_e64 s[2:3], v[34:35], s10
	s_or_b64 s[2:3], vcc, s[2:3]
	v_mov_b64_e32 v[18:19], v[16:17]
	s_and_saveexec_b64 s[4:5], s[2:3]
	s_cbranch_execz .LBB70_356
; %bb.355:
	s_mov_b32 s2, 0x652b82fe
	v_add_f64 v[18:19], v[34:35], -v[20:21]
	s_mov_b32 s3, 0x3ff71547
	v_mul_f64 v[22:23], v[18:19], s[2:3]
	v_rndne_f64_e32 v[22:23], v[22:23]
	s_mov_b32 s7, 0xbfe62e42
	s_mov_b32 s6, 0xfefa39ef
	v_fma_f64 v[34:35], s[6:7], v[22:23], v[18:19]
	s_mov_b32 s9, 0xbc7abc9e
	s_mov_b32 s8, 0x3b39803f
	s_mov_b32 s2, 0x6a5dcb37
	v_fmac_f64_e32 v[34:35], s[8:9], v[22:23]
	v_mov_b32_e32 v36, 0xfca7ab0c
	v_mov_b32_e32 v37, 0x3e928af3
	s_mov_b32 s3, 0x3e5ade15
	v_fmac_f64_e32 v[36:37], s[2:3], v[34:35]
	v_mov_b32_e32 v48, 0x623fde64
	v_mov_b32_e32 v49, 0x3ec71dee
	v_fmac_f64_e32 v[48:49], v[34:35], v[36:37]
	v_mov_b32_e32 v36, 0x7c89e6b0
	v_mov_b32_e32 v37, 0x3efa0199
	;; [unrolled: 3-line block ×8, first 2 shown]
	s_mov_b32 s2, 0
	v_fmac_f64_e32 v[36:37], v[34:35], v[48:49]
	s_mov_b32 s3, 0x40900000
	v_fma_f64 v[36:37], v[34:35], v[36:37], 1.0
	v_cmp_nlt_f64_e32 vcc, s[2:3], v[18:19]
	s_mov_b32 s2, 0
	v_fma_f64 v[34:35], v[34:35], v[36:37], 1.0
	v_cvt_i32_f64_e32 v22, v[22:23]
	s_mov_b32 s3, 0xc090cc00
	v_ldexp_f64 v[22:23], v[34:35], v22
	v_mov_b32_e32 v34, 0x7ff00000
	v_cmp_ngt_f64_e64 s[2:3], s[2:3], v[18:19]
	v_cndmask_b32_e32 v23, v34, v23, vcc
	s_and_b64 vcc, s[2:3], vcc
	v_cndmask_b32_e64 v19, 0, v23, s[2:3]
	v_cndmask_b32_e32 v18, 0, v22, vcc
	v_add_f64 v[22:23], v[18:19], 1.0
	v_add_f64 v[34:35], v[22:23], -1.0
	v_add_f64 v[36:37], v[34:35], -v[22:23]
	v_add_f64 v[36:37], v[36:37], 1.0
	v_add_f64 v[34:35], v[18:19], -v[34:35]
	s_mov_b32 s2, 0x55555555
	v_add_f64 v[34:35], v[34:35], v[36:37]
	v_frexp_mant_f64_e32 v[36:37], v[22:23]
	s_mov_b32 s3, 0x3fe55555
	v_frexp_exp_i32_f64_e32 v48, v[22:23]
	v_cmp_gt_f64_e32 vcc, s[2:3], v[36:37]
	s_mov_b32 s2, 0xbf559e2b
	s_mov_b32 s3, 0x3fc3ab76
	v_subbrev_co_u32_e32 v53, vcc, 0, v48, vcc
	v_sub_u32_e32 v36, 0, v53
	v_ldexp_f64 v[22:23], v[22:23], v36
	v_ldexp_f64 v[34:35], v[34:35], v36
	v_add_f64 v[36:37], v[22:23], -1.0
	v_add_f64 v[86:87], v[22:23], 1.0
	v_add_f64 v[48:49], v[36:37], 1.0
	v_add_f64 v[96:97], v[86:87], -1.0
	v_add_f64 v[48:49], v[22:23], -v[48:49]
	v_add_f64 v[22:23], v[22:23], -v[96:97]
	v_add_f64 v[22:23], v[34:35], v[22:23]
	v_add_f64 v[48:49], v[34:35], v[48:49]
	;; [unrolled: 1-line block ×3, first 2 shown]
	v_rcp_f64_e32 v[96:97], v[34:35]
	v_add_f64 v[84:85], v[36:37], v[48:49]
	v_add_f64 v[36:37], v[84:85], -v[36:37]
	v_add_f64 v[36:37], v[48:49], -v[36:37]
	v_add_f64 v[48:49], v[34:35], -v[86:87]
	v_add_f64 v[22:23], v[22:23], -v[48:49]
	v_fma_f64 v[48:49], -v[34:35], v[96:97], 1.0
	v_fmac_f64_e32 v[96:97], v[48:49], v[96:97]
	v_fma_f64 v[48:49], -v[34:35], v[96:97], 1.0
	v_fmac_f64_e32 v[96:97], v[48:49], v[96:97]
	v_mul_f64 v[48:49], v[84:85], v[96:97]
	v_mul_f64 v[86:87], v[34:35], v[48:49]
	v_fma_f64 v[98:99], v[48:49], v[34:35], -v[86:87]
	v_fmac_f64_e32 v[98:99], v[48:49], v[22:23]
	v_add_f64 v[100:101], v[86:87], v[98:99]
	v_add_f64 v[102:103], v[84:85], -v[100:101]
	v_add_f64 v[84:85], v[84:85], -v[102:103]
	;; [unrolled: 1-line block ×4, first 2 shown]
	v_add_f64 v[36:37], v[36:37], v[84:85]
	v_add_f64 v[84:85], v[86:87], -v[98:99]
	v_add_f64 v[36:37], v[84:85], v[36:37]
	v_add_f64 v[84:85], v[102:103], v[36:37]
	v_add_f64 v[86:87], v[102:103], -v[84:85]
	v_add_f64 v[36:37], v[36:37], v[86:87]
	v_mul_f64 v[86:87], v[96:97], v[84:85]
	v_mul_f64 v[98:99], v[34:35], v[86:87]
	v_fma_f64 v[34:35], v[86:87], v[34:35], -v[98:99]
	v_fmac_f64_e32 v[34:35], v[86:87], v[22:23]
	v_add_f64 v[22:23], v[98:99], v[34:35]
	v_add_f64 v[100:101], v[84:85], -v[22:23]
	v_add_f64 v[84:85], v[84:85], -v[100:101]
	;; [unrolled: 1-line block ×4, first 2 shown]
	v_add_f64 v[22:23], v[36:37], v[22:23]
	v_add_f64 v[34:35], v[98:99], -v[34:35]
	v_add_f64 v[22:23], v[34:35], v[22:23]
	v_add_f64 v[34:35], v[48:49], v[86:87]
	;; [unrolled: 1-line block ×3, first 2 shown]
	v_add_f64 v[36:37], v[34:35], -v[48:49]
	v_mul_f64 v[22:23], v[96:97], v[22:23]
	v_add_f64 v[36:37], v[86:87], -v[36:37]
	v_add_f64 v[22:23], v[36:37], v[22:23]
	v_add_f64 v[36:37], v[34:35], v[22:23]
	v_add_f64 v[34:35], v[36:37], -v[34:35]
	v_add_f64 v[22:23], v[22:23], -v[34:35]
	v_mul_f64 v[34:35], v[36:37], v[36:37]
	v_mov_b32_e32 v48, 0x6b47b09a
	v_mov_b32_e32 v49, 0x3fc38538
	v_fmac_f64_e32 v[48:49], s[2:3], v[34:35]
	v_mov_b32_e32 v84, 0xd7f4df2e
	v_mov_b32_e32 v85, 0x3fc7474d
	v_fmac_f64_e32 v[84:85], v[34:35], v[48:49]
	;; [unrolled: 3-line block ×6, first 2 shown]
	v_cvt_f64_i32_e32 v[48:49], v53
	s_mov_b32 s7, 0x3fe62e42
	v_mul_f64 v[86:87], v[48:49], s[6:7]
	v_fma_f64 v[96:97], v[48:49], s[6:7], -v[86:87]
	s_mov_b32 s9, 0x3c7abc9e
	v_fmac_f64_e32 v[96:97], s[8:9], v[48:49]
	v_add_f64 v[48:49], v[86:87], v[96:97]
	v_add_f64 v[86:87], v[48:49], -v[86:87]
	v_mul_f64 v[34:35], v[36:37], v[34:35]
	v_add_f64 v[86:87], v[96:97], -v[86:87]
	v_ldexp_f64 v[96:97], v[36:37], 1
	v_mul_f64 v[34:35], v[34:35], v[84:85]
	v_add_f64 v[36:37], v[96:97], v[34:35]
	v_add_f64 v[84:85], v[36:37], -v[96:97]
	v_ldexp_f64 v[22:23], v[22:23], 1
	v_add_f64 v[34:35], v[34:35], -v[84:85]
	v_add_f64 v[22:23], v[22:23], v[34:35]
	v_add_f64 v[34:35], v[36:37], v[22:23]
	v_add_f64 v[36:37], v[34:35], -v[36:37]
	v_add_f64 v[22:23], v[22:23], -v[36:37]
	v_add_f64 v[36:37], v[48:49], v[34:35]
	v_add_f64 v[84:85], v[36:37], -v[48:49]
	v_add_f64 v[96:97], v[36:37], -v[84:85]
	;; [unrolled: 1-line block ×4, first 2 shown]
	v_add_f64 v[34:35], v[34:35], v[48:49]
	v_add_f64 v[48:49], v[86:87], v[22:23]
	v_add_f64 v[84:85], v[48:49], -v[86:87]
	v_add_f64 v[34:35], v[48:49], v[34:35]
	v_add_f64 v[96:97], v[48:49], -v[84:85]
	;; [unrolled: 2-line block ×3, first 2 shown]
	v_add_f64 v[22:23], v[22:23], -v[84:85]
	v_add_f64 v[36:37], v[48:49], -v[36:37]
	v_add_f64 v[22:23], v[22:23], v[86:87]
	v_add_f64 v[34:35], v[34:35], -v[36:37]
	s_mov_b32 s2, 0
	v_add_f64 v[22:23], v[22:23], v[34:35]
	s_mov_b32 s3, 0x7ff00000
	v_add_f64 v[22:23], v[48:49], v[22:23]
	v_cmp_eq_f64_e32 vcc, s[2:3], v[18:19]
	v_mov_b32_e32 v34, 0x7ff80000
	s_nop 0
	v_cndmask_b32_e32 v22, v22, v18, vcc
	v_cndmask_b32_e32 v23, v23, v19, vcc
	v_cmp_ngt_f64_e32 vcc, -1.0, v[18:19]
	s_nop 1
	v_cndmask_b32_e32 v23, v34, v23, vcc
	v_cmp_nge_f64_e32 vcc, -1.0, v[18:19]
	v_mov_b32_e32 v34, 0xfff00000
	s_nop 0
	v_cndmask_b32_e32 v22, 0, v22, vcc
	v_cmp_neq_f64_e32 vcc, -1.0, v[18:19]
	s_nop 1
	v_cndmask_b32_e32 v23, v34, v23, vcc
	v_add_f64 v[18:19], v[20:21], v[22:23]
.LBB70_356:
	s_or_b64 exec, exec, s[4:5]
	v_max_f64 v[20:21], v[18:19], v[18:19]
	v_min_f64 v[22:23], v[20:21], v[24:25]
	v_cmp_u_f64_e32 vcc, v[18:19], v[18:19]
	v_max_f64 v[20:21], v[20:21], v[24:25]
	s_nop 0
	v_cndmask_b32_e32 v22, v22, v18, vcc
	v_cndmask_b32_e32 v23, v23, v19, vcc
	;; [unrolled: 1-line block ×4, first 2 shown]
	v_cndmask_b32_e64 v35, v23, v81, s[22:23]
	v_cndmask_b32_e64 v34, v22, v80, s[22:23]
	;; [unrolled: 1-line block ×4, first 2 shown]
	v_cmp_neq_f64_e32 vcc, v[34:35], v[22:23]
	v_cmp_class_f64_e64 s[2:3], v[34:35], s10
	s_or_b64 s[2:3], vcc, s[2:3]
	v_mov_b64_e32 v[20:21], v[18:19]
	s_and_saveexec_b64 s[4:5], s[2:3]
	s_cbranch_execz .LBB70_358
; %bb.357:
	s_mov_b32 s2, 0x652b82fe
	v_add_f64 v[20:21], v[34:35], -v[22:23]
	s_mov_b32 s3, 0x3ff71547
	v_mul_f64 v[24:25], v[20:21], s[2:3]
	v_rndne_f64_e32 v[24:25], v[24:25]
	s_mov_b32 s7, 0xbfe62e42
	s_mov_b32 s6, 0xfefa39ef
	v_fma_f64 v[34:35], s[6:7], v[24:25], v[20:21]
	s_mov_b32 s9, 0xbc7abc9e
	s_mov_b32 s8, 0x3b39803f
	;; [unrolled: 1-line block ×3, first 2 shown]
	v_fmac_f64_e32 v[34:35], s[8:9], v[24:25]
	v_mov_b32_e32 v36, 0xfca7ab0c
	v_mov_b32_e32 v37, 0x3e928af3
	s_mov_b32 s3, 0x3e5ade15
	v_fmac_f64_e32 v[36:37], s[2:3], v[34:35]
	v_mov_b32_e32 v48, 0x623fde64
	v_mov_b32_e32 v49, 0x3ec71dee
	v_fmac_f64_e32 v[48:49], v[34:35], v[36:37]
	v_mov_b32_e32 v36, 0x7c89e6b0
	v_mov_b32_e32 v37, 0x3efa0199
	v_fmac_f64_e32 v[36:37], v[34:35], v[48:49]
	v_mov_b32_e32 v48, 0x14761f6e
	v_mov_b32_e32 v49, 0x3f2a01a0
	v_fmac_f64_e32 v[48:49], v[34:35], v[36:37]
	v_mov_b32_e32 v36, 0x1852b7b0
	v_mov_b32_e32 v37, 0x3f56c16c
	v_fmac_f64_e32 v[36:37], v[34:35], v[48:49]
	v_mov_b32_e32 v48, 0x11122322
	v_mov_b32_e32 v49, 0x3f811111
	v_fmac_f64_e32 v[48:49], v[34:35], v[36:37]
	v_mov_b32_e32 v36, 0x555502a1
	v_mov_b32_e32 v37, 0x3fa55555
	v_fmac_f64_e32 v[36:37], v[34:35], v[48:49]
	v_mov_b32_e32 v48, 0x55555511
	v_mov_b32_e32 v49, 0x3fc55555
	v_fmac_f64_e32 v[48:49], v[34:35], v[36:37]
	v_mov_b32_e32 v36, 11
	v_mov_b32_e32 v37, 0x3fe00000
	s_mov_b32 s2, 0
	v_fmac_f64_e32 v[36:37], v[34:35], v[48:49]
	s_mov_b32 s3, 0x40900000
	v_fma_f64 v[36:37], v[34:35], v[36:37], 1.0
	v_cmp_nlt_f64_e32 vcc, s[2:3], v[20:21]
	s_mov_b32 s2, 0
	v_fma_f64 v[34:35], v[34:35], v[36:37], 1.0
	v_cvt_i32_f64_e32 v24, v[24:25]
	s_mov_b32 s3, 0xc090cc00
	v_ldexp_f64 v[24:25], v[34:35], v24
	v_mov_b32_e32 v34, 0x7ff00000
	v_cmp_ngt_f64_e64 s[2:3], s[2:3], v[20:21]
	v_cndmask_b32_e32 v25, v34, v25, vcc
	s_and_b64 vcc, s[2:3], vcc
	v_cndmask_b32_e64 v21, 0, v25, s[2:3]
	v_cndmask_b32_e32 v20, 0, v24, vcc
	v_add_f64 v[24:25], v[20:21], 1.0
	v_add_f64 v[34:35], v[24:25], -1.0
	v_add_f64 v[36:37], v[34:35], -v[24:25]
	v_add_f64 v[36:37], v[36:37], 1.0
	v_add_f64 v[34:35], v[20:21], -v[34:35]
	s_mov_b32 s2, 0x55555555
	v_add_f64 v[34:35], v[34:35], v[36:37]
	v_frexp_mant_f64_e32 v[36:37], v[24:25]
	s_mov_b32 s3, 0x3fe55555
	v_frexp_exp_i32_f64_e32 v48, v[24:25]
	v_cmp_gt_f64_e32 vcc, s[2:3], v[36:37]
	s_mov_b32 s2, 0xbf559e2b
	s_mov_b32 s3, 0x3fc3ab76
	v_subbrev_co_u32_e32 v53, vcc, 0, v48, vcc
	v_sub_u32_e32 v36, 0, v53
	v_ldexp_f64 v[24:25], v[24:25], v36
	v_ldexp_f64 v[34:35], v[34:35], v36
	v_add_f64 v[36:37], v[24:25], -1.0
	v_add_f64 v[84:85], v[24:25], 1.0
	v_add_f64 v[48:49], v[36:37], 1.0
	v_add_f64 v[86:87], v[84:85], -1.0
	v_add_f64 v[48:49], v[24:25], -v[48:49]
	v_add_f64 v[24:25], v[24:25], -v[86:87]
	v_add_f64 v[24:25], v[34:35], v[24:25]
	v_add_f64 v[48:49], v[34:35], v[48:49]
	;; [unrolled: 1-line block ×3, first 2 shown]
	v_rcp_f64_e32 v[86:87], v[34:35]
	v_add_f64 v[80:81], v[36:37], v[48:49]
	v_add_f64 v[36:37], v[80:81], -v[36:37]
	v_add_f64 v[36:37], v[48:49], -v[36:37]
	;; [unrolled: 1-line block ×4, first 2 shown]
	v_fma_f64 v[48:49], -v[34:35], v[86:87], 1.0
	v_fmac_f64_e32 v[86:87], v[48:49], v[86:87]
	v_fma_f64 v[48:49], -v[34:35], v[86:87], 1.0
	v_fmac_f64_e32 v[86:87], v[48:49], v[86:87]
	v_mul_f64 v[48:49], v[80:81], v[86:87]
	v_mul_f64 v[84:85], v[34:35], v[48:49]
	v_fma_f64 v[96:97], v[48:49], v[34:35], -v[84:85]
	v_fmac_f64_e32 v[96:97], v[48:49], v[24:25]
	v_add_f64 v[98:99], v[84:85], v[96:97]
	v_add_f64 v[100:101], v[80:81], -v[98:99]
	v_add_f64 v[80:81], v[80:81], -v[100:101]
	;; [unrolled: 1-line block ×4, first 2 shown]
	v_add_f64 v[36:37], v[36:37], v[80:81]
	v_add_f64 v[80:81], v[84:85], -v[96:97]
	v_add_f64 v[36:37], v[80:81], v[36:37]
	v_add_f64 v[80:81], v[100:101], v[36:37]
	v_add_f64 v[84:85], v[100:101], -v[80:81]
	v_add_f64 v[36:37], v[36:37], v[84:85]
	v_mul_f64 v[84:85], v[86:87], v[80:81]
	v_mul_f64 v[96:97], v[34:35], v[84:85]
	v_fma_f64 v[34:35], v[84:85], v[34:35], -v[96:97]
	v_fmac_f64_e32 v[34:35], v[84:85], v[24:25]
	v_add_f64 v[24:25], v[96:97], v[34:35]
	v_add_f64 v[98:99], v[80:81], -v[24:25]
	v_add_f64 v[80:81], v[80:81], -v[98:99]
	;; [unrolled: 1-line block ×4, first 2 shown]
	v_add_f64 v[24:25], v[36:37], v[24:25]
	v_add_f64 v[34:35], v[96:97], -v[34:35]
	v_add_f64 v[24:25], v[34:35], v[24:25]
	v_add_f64 v[34:35], v[48:49], v[84:85]
	v_add_f64 v[24:25], v[98:99], v[24:25]
	v_add_f64 v[36:37], v[34:35], -v[48:49]
	v_mul_f64 v[24:25], v[86:87], v[24:25]
	v_add_f64 v[36:37], v[84:85], -v[36:37]
	v_add_f64 v[24:25], v[36:37], v[24:25]
	v_add_f64 v[36:37], v[34:35], v[24:25]
	v_add_f64 v[34:35], v[36:37], -v[34:35]
	v_add_f64 v[24:25], v[24:25], -v[34:35]
	v_mul_f64 v[34:35], v[36:37], v[36:37]
	v_mov_b32_e32 v48, 0x6b47b09a
	v_mov_b32_e32 v49, 0x3fc38538
	v_fmac_f64_e32 v[48:49], s[2:3], v[34:35]
	v_mov_b32_e32 v80, 0xd7f4df2e
	v_mov_b32_e32 v81, 0x3fc7474d
	v_fmac_f64_e32 v[80:81], v[34:35], v[48:49]
	;; [unrolled: 3-line block ×6, first 2 shown]
	v_cvt_f64_i32_e32 v[48:49], v53
	s_mov_b32 s7, 0x3fe62e42
	v_mul_f64 v[84:85], v[48:49], s[6:7]
	v_fma_f64 v[86:87], v[48:49], s[6:7], -v[84:85]
	s_mov_b32 s9, 0x3c7abc9e
	v_fmac_f64_e32 v[86:87], s[8:9], v[48:49]
	v_add_f64 v[48:49], v[84:85], v[86:87]
	v_add_f64 v[84:85], v[48:49], -v[84:85]
	v_mul_f64 v[34:35], v[36:37], v[34:35]
	v_add_f64 v[84:85], v[86:87], -v[84:85]
	v_ldexp_f64 v[86:87], v[36:37], 1
	v_mul_f64 v[34:35], v[34:35], v[80:81]
	v_add_f64 v[36:37], v[86:87], v[34:35]
	v_add_f64 v[80:81], v[36:37], -v[86:87]
	v_ldexp_f64 v[24:25], v[24:25], 1
	v_add_f64 v[34:35], v[34:35], -v[80:81]
	v_add_f64 v[24:25], v[24:25], v[34:35]
	v_add_f64 v[34:35], v[36:37], v[24:25]
	v_add_f64 v[36:37], v[34:35], -v[36:37]
	v_add_f64 v[24:25], v[24:25], -v[36:37]
	v_add_f64 v[36:37], v[48:49], v[34:35]
	v_add_f64 v[80:81], v[36:37], -v[48:49]
	v_add_f64 v[86:87], v[36:37], -v[80:81]
	;; [unrolled: 1-line block ×4, first 2 shown]
	v_add_f64 v[34:35], v[34:35], v[48:49]
	v_add_f64 v[48:49], v[84:85], v[24:25]
	v_add_f64 v[80:81], v[48:49], -v[84:85]
	v_add_f64 v[34:35], v[48:49], v[34:35]
	v_add_f64 v[86:87], v[48:49], -v[80:81]
	;; [unrolled: 2-line block ×3, first 2 shown]
	v_add_f64 v[24:25], v[24:25], -v[80:81]
	v_add_f64 v[36:37], v[48:49], -v[36:37]
	v_add_f64 v[24:25], v[24:25], v[84:85]
	v_add_f64 v[34:35], v[34:35], -v[36:37]
	s_mov_b32 s2, 0
	v_add_f64 v[24:25], v[24:25], v[34:35]
	s_mov_b32 s3, 0x7ff00000
	v_add_f64 v[24:25], v[48:49], v[24:25]
	v_cmp_eq_f64_e32 vcc, s[2:3], v[20:21]
	v_mov_b32_e32 v34, 0x7ff80000
	s_nop 0
	v_cndmask_b32_e32 v24, v24, v20, vcc
	v_cndmask_b32_e32 v25, v25, v21, vcc
	v_cmp_ngt_f64_e32 vcc, -1.0, v[20:21]
	s_nop 1
	v_cndmask_b32_e32 v25, v34, v25, vcc
	v_cmp_nge_f64_e32 vcc, -1.0, v[20:21]
	v_mov_b32_e32 v34, 0xfff00000
	s_nop 0
	v_cndmask_b32_e32 v24, 0, v24, vcc
	v_cmp_neq_f64_e32 vcc, -1.0, v[20:21]
	s_nop 1
	v_cndmask_b32_e32 v25, v34, v25, vcc
	v_add_f64 v[20:21], v[22:23], v[24:25]
.LBB70_358:
	s_or_b64 exec, exec, s[4:5]
	v_max_f64 v[22:23], v[20:21], v[20:21]
	v_min_f64 v[24:25], v[22:23], v[26:27]
	v_cmp_u_f64_e32 vcc, v[20:21], v[20:21]
	v_max_f64 v[22:23], v[22:23], v[26:27]
	s_nop 0
	v_cndmask_b32_e32 v24, v24, v20, vcc
	v_cndmask_b32_e32 v25, v25, v21, vcc
	;; [unrolled: 1-line block ×4, first 2 shown]
	v_cndmask_b32_e64 v35, v25, v83, s[24:25]
	v_cndmask_b32_e64 v34, v24, v82, s[24:25]
	;; [unrolled: 1-line block ×4, first 2 shown]
	v_cmp_neq_f64_e32 vcc, v[34:35], v[24:25]
	v_cmp_class_f64_e64 s[2:3], v[34:35], s10
	s_or_b64 s[2:3], vcc, s[2:3]
	v_mov_b64_e32 v[22:23], v[20:21]
	s_and_saveexec_b64 s[4:5], s[2:3]
	s_cbranch_execz .LBB70_360
; %bb.359:
	s_mov_b32 s2, 0x652b82fe
	v_add_f64 v[22:23], v[34:35], -v[24:25]
	s_mov_b32 s3, 0x3ff71547
	v_mul_f64 v[26:27], v[22:23], s[2:3]
	v_rndne_f64_e32 v[26:27], v[26:27]
	s_mov_b32 s7, 0xbfe62e42
	s_mov_b32 s6, 0xfefa39ef
	v_fma_f64 v[34:35], s[6:7], v[26:27], v[22:23]
	s_mov_b32 s9, 0xbc7abc9e
	s_mov_b32 s8, 0x3b39803f
	;; [unrolled: 1-line block ×3, first 2 shown]
	v_fmac_f64_e32 v[34:35], s[8:9], v[26:27]
	v_mov_b32_e32 v36, 0xfca7ab0c
	v_mov_b32_e32 v37, 0x3e928af3
	s_mov_b32 s3, 0x3e5ade15
	v_fmac_f64_e32 v[36:37], s[2:3], v[34:35]
	v_mov_b32_e32 v48, 0x623fde64
	v_mov_b32_e32 v49, 0x3ec71dee
	v_fmac_f64_e32 v[48:49], v[34:35], v[36:37]
	v_mov_b32_e32 v36, 0x7c89e6b0
	v_mov_b32_e32 v37, 0x3efa0199
	;; [unrolled: 3-line block ×8, first 2 shown]
	s_mov_b32 s2, 0
	v_fmac_f64_e32 v[36:37], v[34:35], v[48:49]
	s_mov_b32 s3, 0x40900000
	v_fma_f64 v[36:37], v[34:35], v[36:37], 1.0
	v_cmp_nlt_f64_e32 vcc, s[2:3], v[22:23]
	s_mov_b32 s2, 0
	v_fma_f64 v[34:35], v[34:35], v[36:37], 1.0
	v_cvt_i32_f64_e32 v26, v[26:27]
	s_mov_b32 s3, 0xc090cc00
	v_ldexp_f64 v[26:27], v[34:35], v26
	v_mov_b32_e32 v34, 0x7ff00000
	v_cmp_ngt_f64_e64 s[2:3], s[2:3], v[22:23]
	v_cndmask_b32_e32 v27, v34, v27, vcc
	s_and_b64 vcc, s[2:3], vcc
	v_cndmask_b32_e64 v23, 0, v27, s[2:3]
	v_cndmask_b32_e32 v22, 0, v26, vcc
	v_add_f64 v[26:27], v[22:23], 1.0
	v_add_f64 v[34:35], v[26:27], -1.0
	v_add_f64 v[36:37], v[34:35], -v[26:27]
	v_add_f64 v[36:37], v[36:37], 1.0
	v_add_f64 v[34:35], v[22:23], -v[34:35]
	s_mov_b32 s2, 0x55555555
	v_add_f64 v[34:35], v[34:35], v[36:37]
	v_frexp_mant_f64_e32 v[36:37], v[26:27]
	s_mov_b32 s3, 0x3fe55555
	v_frexp_exp_i32_f64_e32 v48, v[26:27]
	v_cmp_gt_f64_e32 vcc, s[2:3], v[36:37]
	s_mov_b32 s2, 0xbf559e2b
	s_mov_b32 s3, 0x3fc3ab76
	v_subbrev_co_u32_e32 v53, vcc, 0, v48, vcc
	v_sub_u32_e32 v36, 0, v53
	v_ldexp_f64 v[26:27], v[26:27], v36
	v_ldexp_f64 v[34:35], v[34:35], v36
	v_add_f64 v[36:37], v[26:27], -1.0
	v_add_f64 v[82:83], v[26:27], 1.0
	v_add_f64 v[48:49], v[36:37], 1.0
	v_add_f64 v[84:85], v[82:83], -1.0
	v_add_f64 v[48:49], v[26:27], -v[48:49]
	v_add_f64 v[26:27], v[26:27], -v[84:85]
	v_add_f64 v[26:27], v[34:35], v[26:27]
	v_add_f64 v[48:49], v[34:35], v[48:49]
	;; [unrolled: 1-line block ×3, first 2 shown]
	v_rcp_f64_e32 v[84:85], v[34:35]
	v_add_f64 v[80:81], v[36:37], v[48:49]
	v_add_f64 v[36:37], v[80:81], -v[36:37]
	v_add_f64 v[36:37], v[48:49], -v[36:37]
	;; [unrolled: 1-line block ×4, first 2 shown]
	v_fma_f64 v[48:49], -v[34:35], v[84:85], 1.0
	v_fmac_f64_e32 v[84:85], v[48:49], v[84:85]
	v_fma_f64 v[48:49], -v[34:35], v[84:85], 1.0
	v_fmac_f64_e32 v[84:85], v[48:49], v[84:85]
	v_mul_f64 v[48:49], v[80:81], v[84:85]
	v_mul_f64 v[82:83], v[34:35], v[48:49]
	v_fma_f64 v[86:87], v[48:49], v[34:35], -v[82:83]
	v_fmac_f64_e32 v[86:87], v[48:49], v[26:27]
	v_add_f64 v[96:97], v[82:83], v[86:87]
	v_add_f64 v[98:99], v[80:81], -v[96:97]
	v_add_f64 v[80:81], v[80:81], -v[98:99]
	;; [unrolled: 1-line block ×4, first 2 shown]
	v_add_f64 v[36:37], v[36:37], v[80:81]
	v_add_f64 v[80:81], v[82:83], -v[86:87]
	v_add_f64 v[36:37], v[80:81], v[36:37]
	v_add_f64 v[80:81], v[98:99], v[36:37]
	v_add_f64 v[82:83], v[98:99], -v[80:81]
	v_add_f64 v[36:37], v[36:37], v[82:83]
	v_mul_f64 v[82:83], v[84:85], v[80:81]
	v_mul_f64 v[86:87], v[34:35], v[82:83]
	v_fma_f64 v[34:35], v[82:83], v[34:35], -v[86:87]
	v_fmac_f64_e32 v[34:35], v[82:83], v[26:27]
	v_add_f64 v[26:27], v[86:87], v[34:35]
	v_add_f64 v[96:97], v[80:81], -v[26:27]
	v_add_f64 v[80:81], v[80:81], -v[96:97]
	;; [unrolled: 1-line block ×4, first 2 shown]
	v_add_f64 v[26:27], v[36:37], v[26:27]
	v_add_f64 v[34:35], v[86:87], -v[34:35]
	v_add_f64 v[26:27], v[34:35], v[26:27]
	v_add_f64 v[34:35], v[48:49], v[82:83]
	;; [unrolled: 1-line block ×3, first 2 shown]
	v_add_f64 v[36:37], v[34:35], -v[48:49]
	v_mul_f64 v[26:27], v[84:85], v[26:27]
	v_add_f64 v[36:37], v[82:83], -v[36:37]
	v_add_f64 v[26:27], v[36:37], v[26:27]
	v_add_f64 v[36:37], v[34:35], v[26:27]
	v_add_f64 v[34:35], v[36:37], -v[34:35]
	v_add_f64 v[26:27], v[26:27], -v[34:35]
	v_mul_f64 v[34:35], v[36:37], v[36:37]
	v_mov_b32_e32 v48, 0x6b47b09a
	v_mov_b32_e32 v49, 0x3fc38538
	v_fmac_f64_e32 v[48:49], s[2:3], v[34:35]
	v_mov_b32_e32 v80, 0xd7f4df2e
	v_mov_b32_e32 v81, 0x3fc7474d
	v_fmac_f64_e32 v[80:81], v[34:35], v[48:49]
	;; [unrolled: 3-line block ×6, first 2 shown]
	v_cvt_f64_i32_e32 v[48:49], v53
	s_mov_b32 s7, 0x3fe62e42
	v_mul_f64 v[82:83], v[48:49], s[6:7]
	v_fma_f64 v[84:85], v[48:49], s[6:7], -v[82:83]
	s_mov_b32 s9, 0x3c7abc9e
	v_fmac_f64_e32 v[84:85], s[8:9], v[48:49]
	v_add_f64 v[48:49], v[82:83], v[84:85]
	v_add_f64 v[82:83], v[48:49], -v[82:83]
	v_mul_f64 v[34:35], v[36:37], v[34:35]
	v_add_f64 v[82:83], v[84:85], -v[82:83]
	v_ldexp_f64 v[84:85], v[36:37], 1
	v_mul_f64 v[34:35], v[34:35], v[80:81]
	v_add_f64 v[36:37], v[84:85], v[34:35]
	v_add_f64 v[80:81], v[36:37], -v[84:85]
	v_ldexp_f64 v[26:27], v[26:27], 1
	v_add_f64 v[34:35], v[34:35], -v[80:81]
	v_add_f64 v[26:27], v[26:27], v[34:35]
	v_add_f64 v[34:35], v[36:37], v[26:27]
	v_add_f64 v[36:37], v[34:35], -v[36:37]
	v_add_f64 v[26:27], v[26:27], -v[36:37]
	v_add_f64 v[36:37], v[48:49], v[34:35]
	v_add_f64 v[80:81], v[36:37], -v[48:49]
	v_add_f64 v[84:85], v[36:37], -v[80:81]
	;; [unrolled: 1-line block ×4, first 2 shown]
	v_add_f64 v[34:35], v[34:35], v[48:49]
	v_add_f64 v[48:49], v[82:83], v[26:27]
	v_add_f64 v[80:81], v[48:49], -v[82:83]
	v_add_f64 v[34:35], v[48:49], v[34:35]
	v_add_f64 v[84:85], v[48:49], -v[80:81]
	;; [unrolled: 2-line block ×3, first 2 shown]
	v_add_f64 v[26:27], v[26:27], -v[80:81]
	v_add_f64 v[36:37], v[48:49], -v[36:37]
	v_add_f64 v[26:27], v[26:27], v[82:83]
	v_add_f64 v[34:35], v[34:35], -v[36:37]
	s_mov_b32 s2, 0
	v_add_f64 v[26:27], v[26:27], v[34:35]
	s_mov_b32 s3, 0x7ff00000
	v_add_f64 v[26:27], v[48:49], v[26:27]
	v_cmp_eq_f64_e32 vcc, s[2:3], v[22:23]
	v_mov_b32_e32 v34, 0x7ff80000
	s_nop 0
	v_cndmask_b32_e32 v26, v26, v22, vcc
	v_cndmask_b32_e32 v27, v27, v23, vcc
	v_cmp_ngt_f64_e32 vcc, -1.0, v[22:23]
	s_nop 1
	v_cndmask_b32_e32 v27, v34, v27, vcc
	v_cmp_nge_f64_e32 vcc, -1.0, v[22:23]
	v_mov_b32_e32 v34, 0xfff00000
	s_nop 0
	v_cndmask_b32_e32 v26, 0, v26, vcc
	v_cmp_neq_f64_e32 vcc, -1.0, v[22:23]
	s_nop 1
	v_cndmask_b32_e32 v27, v34, v27, vcc
	v_add_f64 v[22:23], v[24:25], v[26:27]
.LBB70_360:
	s_or_b64 exec, exec, s[4:5]
	v_max_f64 v[24:25], v[22:23], v[22:23]
	v_min_f64 v[26:27], v[24:25], v[28:29]
	v_cmp_u_f64_e32 vcc, v[22:23], v[22:23]
	v_max_f64 v[24:25], v[24:25], v[28:29]
	s_nop 0
	v_cndmask_b32_e32 v26, v26, v22, vcc
	v_cndmask_b32_e32 v27, v27, v23, vcc
	;; [unrolled: 1-line block ×4, first 2 shown]
	v_cndmask_b32_e64 v35, v27, v67, s[26:27]
	v_cndmask_b32_e64 v34, v26, v66, s[26:27]
	;; [unrolled: 1-line block ×4, first 2 shown]
	v_cmp_neq_f64_e32 vcc, v[34:35], v[26:27]
	v_cmp_class_f64_e64 s[2:3], v[34:35], s10
	s_or_b64 s[2:3], vcc, s[2:3]
	v_mov_b64_e32 v[24:25], v[22:23]
	s_and_saveexec_b64 s[4:5], s[2:3]
	s_cbranch_execz .LBB70_362
; %bb.361:
	s_mov_b32 s2, 0x652b82fe
	v_add_f64 v[24:25], v[34:35], -v[26:27]
	s_mov_b32 s3, 0x3ff71547
	v_mul_f64 v[28:29], v[24:25], s[2:3]
	v_rndne_f64_e32 v[28:29], v[28:29]
	s_mov_b32 s7, 0xbfe62e42
	s_mov_b32 s6, 0xfefa39ef
	v_fma_f64 v[34:35], s[6:7], v[28:29], v[24:25]
	s_mov_b32 s9, 0xbc7abc9e
	s_mov_b32 s8, 0x3b39803f
	;; [unrolled: 1-line block ×3, first 2 shown]
	v_fmac_f64_e32 v[34:35], s[8:9], v[28:29]
	v_mov_b32_e32 v36, 0xfca7ab0c
	v_mov_b32_e32 v37, 0x3e928af3
	s_mov_b32 s3, 0x3e5ade15
	v_fmac_f64_e32 v[36:37], s[2:3], v[34:35]
	v_mov_b32_e32 v48, 0x623fde64
	v_mov_b32_e32 v49, 0x3ec71dee
	v_fmac_f64_e32 v[48:49], v[34:35], v[36:37]
	v_mov_b32_e32 v36, 0x7c89e6b0
	v_mov_b32_e32 v37, 0x3efa0199
	;; [unrolled: 3-line block ×8, first 2 shown]
	s_mov_b32 s2, 0
	v_fmac_f64_e32 v[36:37], v[34:35], v[48:49]
	s_mov_b32 s3, 0x40900000
	v_fma_f64 v[36:37], v[34:35], v[36:37], 1.0
	v_cmp_nlt_f64_e32 vcc, s[2:3], v[24:25]
	s_mov_b32 s2, 0
	v_fma_f64 v[34:35], v[34:35], v[36:37], 1.0
	v_cvt_i32_f64_e32 v28, v[28:29]
	s_mov_b32 s3, 0xc090cc00
	v_ldexp_f64 v[28:29], v[34:35], v28
	v_mov_b32_e32 v34, 0x7ff00000
	v_cmp_ngt_f64_e64 s[2:3], s[2:3], v[24:25]
	v_cndmask_b32_e32 v29, v34, v29, vcc
	s_and_b64 vcc, s[2:3], vcc
	v_cndmask_b32_e64 v25, 0, v29, s[2:3]
	v_cndmask_b32_e32 v24, 0, v28, vcc
	v_add_f64 v[28:29], v[24:25], 1.0
	v_add_f64 v[34:35], v[28:29], -1.0
	v_add_f64 v[36:37], v[34:35], -v[28:29]
	v_add_f64 v[36:37], v[36:37], 1.0
	v_add_f64 v[34:35], v[24:25], -v[34:35]
	s_mov_b32 s2, 0x55555555
	v_add_f64 v[34:35], v[34:35], v[36:37]
	v_frexp_mant_f64_e32 v[36:37], v[28:29]
	s_mov_b32 s3, 0x3fe55555
	v_frexp_exp_i32_f64_e32 v48, v[28:29]
	v_cmp_gt_f64_e32 vcc, s[2:3], v[36:37]
	s_mov_b32 s2, 0xbf559e2b
	s_mov_b32 s3, 0x3fc3ab76
	v_subbrev_co_u32_e32 v53, vcc, 0, v48, vcc
	v_sub_u32_e32 v36, 0, v53
	v_ldexp_f64 v[28:29], v[28:29], v36
	v_ldexp_f64 v[34:35], v[34:35], v36
	v_add_f64 v[36:37], v[28:29], -1.0
	v_add_f64 v[80:81], v[28:29], 1.0
	v_add_f64 v[48:49], v[36:37], 1.0
	v_add_f64 v[82:83], v[80:81], -1.0
	v_add_f64 v[48:49], v[28:29], -v[48:49]
	v_add_f64 v[28:29], v[28:29], -v[82:83]
	v_add_f64 v[28:29], v[34:35], v[28:29]
	v_add_f64 v[48:49], v[34:35], v[48:49]
	;; [unrolled: 1-line block ×3, first 2 shown]
	v_rcp_f64_e32 v[82:83], v[34:35]
	v_add_f64 v[66:67], v[36:37], v[48:49]
	v_add_f64 v[36:37], v[66:67], -v[36:37]
	v_add_f64 v[36:37], v[48:49], -v[36:37]
	;; [unrolled: 1-line block ×4, first 2 shown]
	v_fma_f64 v[48:49], -v[34:35], v[82:83], 1.0
	v_fmac_f64_e32 v[82:83], v[48:49], v[82:83]
	v_fma_f64 v[48:49], -v[34:35], v[82:83], 1.0
	v_fmac_f64_e32 v[82:83], v[48:49], v[82:83]
	v_mul_f64 v[48:49], v[66:67], v[82:83]
	v_mul_f64 v[80:81], v[34:35], v[48:49]
	v_fma_f64 v[84:85], v[48:49], v[34:35], -v[80:81]
	v_fmac_f64_e32 v[84:85], v[48:49], v[28:29]
	v_add_f64 v[86:87], v[80:81], v[84:85]
	v_add_f64 v[96:97], v[66:67], -v[86:87]
	v_add_f64 v[66:67], v[66:67], -v[96:97]
	v_add_f64 v[80:81], v[86:87], -v[80:81]
	v_add_f64 v[66:67], v[66:67], -v[86:87]
	v_add_f64 v[36:37], v[36:37], v[66:67]
	v_add_f64 v[66:67], v[80:81], -v[84:85]
	v_add_f64 v[36:37], v[66:67], v[36:37]
	v_add_f64 v[66:67], v[96:97], v[36:37]
	v_add_f64 v[80:81], v[96:97], -v[66:67]
	v_add_f64 v[36:37], v[36:37], v[80:81]
	v_mul_f64 v[80:81], v[82:83], v[66:67]
	v_mul_f64 v[84:85], v[34:35], v[80:81]
	v_fma_f64 v[34:35], v[80:81], v[34:35], -v[84:85]
	v_fmac_f64_e32 v[34:35], v[80:81], v[28:29]
	v_add_f64 v[28:29], v[84:85], v[34:35]
	v_add_f64 v[86:87], v[66:67], -v[28:29]
	v_add_f64 v[66:67], v[66:67], -v[86:87]
	;; [unrolled: 1-line block ×4, first 2 shown]
	v_add_f64 v[28:29], v[36:37], v[28:29]
	v_add_f64 v[34:35], v[84:85], -v[34:35]
	v_add_f64 v[28:29], v[34:35], v[28:29]
	v_add_f64 v[34:35], v[48:49], v[80:81]
	;; [unrolled: 1-line block ×3, first 2 shown]
	v_add_f64 v[36:37], v[34:35], -v[48:49]
	v_mul_f64 v[28:29], v[82:83], v[28:29]
	v_add_f64 v[36:37], v[80:81], -v[36:37]
	v_add_f64 v[28:29], v[36:37], v[28:29]
	v_add_f64 v[36:37], v[34:35], v[28:29]
	v_add_f64 v[34:35], v[36:37], -v[34:35]
	v_add_f64 v[28:29], v[28:29], -v[34:35]
	v_mul_f64 v[34:35], v[36:37], v[36:37]
	v_mov_b32_e32 v48, 0x6b47b09a
	v_mov_b32_e32 v49, 0x3fc38538
	v_fmac_f64_e32 v[48:49], s[2:3], v[34:35]
	v_mov_b32_e32 v66, 0xd7f4df2e
	v_mov_b32_e32 v67, 0x3fc7474d
	v_fmac_f64_e32 v[66:67], v[34:35], v[48:49]
	;; [unrolled: 3-line block ×6, first 2 shown]
	v_cvt_f64_i32_e32 v[48:49], v53
	s_mov_b32 s7, 0x3fe62e42
	v_mul_f64 v[80:81], v[48:49], s[6:7]
	v_fma_f64 v[82:83], v[48:49], s[6:7], -v[80:81]
	s_mov_b32 s9, 0x3c7abc9e
	v_fmac_f64_e32 v[82:83], s[8:9], v[48:49]
	v_add_f64 v[48:49], v[80:81], v[82:83]
	v_add_f64 v[80:81], v[48:49], -v[80:81]
	v_mul_f64 v[34:35], v[36:37], v[34:35]
	v_add_f64 v[80:81], v[82:83], -v[80:81]
	v_ldexp_f64 v[82:83], v[36:37], 1
	v_mul_f64 v[34:35], v[34:35], v[66:67]
	v_add_f64 v[36:37], v[82:83], v[34:35]
	v_add_f64 v[66:67], v[36:37], -v[82:83]
	v_ldexp_f64 v[28:29], v[28:29], 1
	v_add_f64 v[34:35], v[34:35], -v[66:67]
	v_add_f64 v[28:29], v[28:29], v[34:35]
	v_add_f64 v[34:35], v[36:37], v[28:29]
	v_add_f64 v[36:37], v[34:35], -v[36:37]
	v_add_f64 v[28:29], v[28:29], -v[36:37]
	v_add_f64 v[36:37], v[48:49], v[34:35]
	v_add_f64 v[66:67], v[36:37], -v[48:49]
	v_add_f64 v[82:83], v[36:37], -v[66:67]
	;; [unrolled: 1-line block ×4, first 2 shown]
	v_add_f64 v[34:35], v[34:35], v[48:49]
	v_add_f64 v[48:49], v[80:81], v[28:29]
	v_add_f64 v[66:67], v[48:49], -v[80:81]
	v_add_f64 v[34:35], v[48:49], v[34:35]
	v_add_f64 v[82:83], v[48:49], -v[66:67]
	;; [unrolled: 2-line block ×3, first 2 shown]
	v_add_f64 v[28:29], v[28:29], -v[66:67]
	v_add_f64 v[36:37], v[48:49], -v[36:37]
	v_add_f64 v[28:29], v[28:29], v[80:81]
	v_add_f64 v[34:35], v[34:35], -v[36:37]
	s_mov_b32 s2, 0
	v_add_f64 v[28:29], v[28:29], v[34:35]
	s_mov_b32 s3, 0x7ff00000
	v_add_f64 v[28:29], v[48:49], v[28:29]
	v_cmp_eq_f64_e32 vcc, s[2:3], v[24:25]
	v_mov_b32_e32 v34, 0x7ff80000
	s_nop 0
	v_cndmask_b32_e32 v28, v28, v24, vcc
	v_cndmask_b32_e32 v29, v29, v25, vcc
	v_cmp_ngt_f64_e32 vcc, -1.0, v[24:25]
	s_nop 1
	v_cndmask_b32_e32 v29, v34, v29, vcc
	v_cmp_nge_f64_e32 vcc, -1.0, v[24:25]
	v_mov_b32_e32 v34, 0xfff00000
	s_nop 0
	v_cndmask_b32_e32 v28, 0, v28, vcc
	v_cmp_neq_f64_e32 vcc, -1.0, v[24:25]
	s_nop 1
	v_cndmask_b32_e32 v29, v34, v29, vcc
	v_add_f64 v[24:25], v[26:27], v[28:29]
.LBB70_362:
	s_or_b64 exec, exec, s[4:5]
	v_max_f64 v[26:27], v[24:25], v[24:25]
	v_min_f64 v[28:29], v[26:27], v[30:31]
	v_cmp_u_f64_e32 vcc, v[24:25], v[24:25]
	v_max_f64 v[26:27], v[26:27], v[30:31]
	s_nop 0
	v_cndmask_b32_e32 v28, v28, v24, vcc
	v_cndmask_b32_e32 v29, v29, v25, vcc
	;; [unrolled: 1-line block ×4, first 2 shown]
	v_cndmask_b32_e64 v35, v29, v69, s[28:29]
	v_cndmask_b32_e64 v34, v28, v68, s[28:29]
	;; [unrolled: 1-line block ×4, first 2 shown]
	v_cmp_neq_f64_e32 vcc, v[34:35], v[28:29]
	v_cmp_class_f64_e64 s[2:3], v[34:35], s10
	s_or_b64 s[2:3], vcc, s[2:3]
	v_mov_b64_e32 v[26:27], v[24:25]
	s_and_saveexec_b64 s[4:5], s[2:3]
	s_cbranch_execz .LBB70_364
; %bb.363:
	s_mov_b32 s2, 0x652b82fe
	v_add_f64 v[26:27], v[34:35], -v[28:29]
	s_mov_b32 s3, 0x3ff71547
	v_mul_f64 v[30:31], v[26:27], s[2:3]
	v_rndne_f64_e32 v[30:31], v[30:31]
	s_mov_b32 s7, 0xbfe62e42
	s_mov_b32 s6, 0xfefa39ef
	v_fma_f64 v[34:35], s[6:7], v[30:31], v[26:27]
	s_mov_b32 s9, 0xbc7abc9e
	s_mov_b32 s8, 0x3b39803f
	;; [unrolled: 1-line block ×3, first 2 shown]
	v_fmac_f64_e32 v[34:35], s[8:9], v[30:31]
	v_mov_b32_e32 v36, 0xfca7ab0c
	v_mov_b32_e32 v37, 0x3e928af3
	s_mov_b32 s3, 0x3e5ade15
	v_fmac_f64_e32 v[36:37], s[2:3], v[34:35]
	v_mov_b32_e32 v48, 0x623fde64
	v_mov_b32_e32 v49, 0x3ec71dee
	v_fmac_f64_e32 v[48:49], v[34:35], v[36:37]
	v_mov_b32_e32 v36, 0x7c89e6b0
	v_mov_b32_e32 v37, 0x3efa0199
	;; [unrolled: 3-line block ×8, first 2 shown]
	s_mov_b32 s2, 0
	v_fmac_f64_e32 v[36:37], v[34:35], v[48:49]
	s_mov_b32 s3, 0x40900000
	v_fma_f64 v[36:37], v[34:35], v[36:37], 1.0
	v_cmp_nlt_f64_e32 vcc, s[2:3], v[26:27]
	s_mov_b32 s2, 0
	v_fma_f64 v[34:35], v[34:35], v[36:37], 1.0
	v_cvt_i32_f64_e32 v30, v[30:31]
	s_mov_b32 s3, 0xc090cc00
	v_ldexp_f64 v[30:31], v[34:35], v30
	v_mov_b32_e32 v34, 0x7ff00000
	v_cmp_ngt_f64_e64 s[2:3], s[2:3], v[26:27]
	v_cndmask_b32_e32 v31, v34, v31, vcc
	s_and_b64 vcc, s[2:3], vcc
	v_cndmask_b32_e64 v27, 0, v31, s[2:3]
	v_cndmask_b32_e32 v26, 0, v30, vcc
	v_add_f64 v[30:31], v[26:27], 1.0
	v_add_f64 v[34:35], v[30:31], -1.0
	v_add_f64 v[36:37], v[34:35], -v[30:31]
	v_add_f64 v[36:37], v[36:37], 1.0
	v_add_f64 v[34:35], v[26:27], -v[34:35]
	s_mov_b32 s2, 0x55555555
	v_add_f64 v[34:35], v[34:35], v[36:37]
	v_frexp_mant_f64_e32 v[36:37], v[30:31]
	s_mov_b32 s3, 0x3fe55555
	v_frexp_exp_i32_f64_e32 v48, v[30:31]
	v_cmp_gt_f64_e32 vcc, s[2:3], v[36:37]
	s_mov_b32 s2, 0xbf559e2b
	s_mov_b32 s3, 0x3fc3ab76
	v_subbrev_co_u32_e32 v53, vcc, 0, v48, vcc
	v_sub_u32_e32 v36, 0, v53
	v_ldexp_f64 v[30:31], v[30:31], v36
	v_ldexp_f64 v[34:35], v[34:35], v36
	v_add_f64 v[36:37], v[30:31], -1.0
	v_add_f64 v[68:69], v[30:31], 1.0
	v_add_f64 v[48:49], v[36:37], 1.0
	v_add_f64 v[80:81], v[68:69], -1.0
	v_add_f64 v[48:49], v[30:31], -v[48:49]
	v_add_f64 v[30:31], v[30:31], -v[80:81]
	v_add_f64 v[30:31], v[34:35], v[30:31]
	v_add_f64 v[48:49], v[34:35], v[48:49]
	;; [unrolled: 1-line block ×3, first 2 shown]
	v_rcp_f64_e32 v[80:81], v[34:35]
	v_add_f64 v[66:67], v[36:37], v[48:49]
	v_add_f64 v[36:37], v[66:67], -v[36:37]
	v_add_f64 v[36:37], v[48:49], -v[36:37]
	;; [unrolled: 1-line block ×4, first 2 shown]
	v_fma_f64 v[48:49], -v[34:35], v[80:81], 1.0
	v_fmac_f64_e32 v[80:81], v[48:49], v[80:81]
	v_fma_f64 v[48:49], -v[34:35], v[80:81], 1.0
	v_fmac_f64_e32 v[80:81], v[48:49], v[80:81]
	v_mul_f64 v[48:49], v[66:67], v[80:81]
	v_mul_f64 v[68:69], v[34:35], v[48:49]
	v_fma_f64 v[82:83], v[48:49], v[34:35], -v[68:69]
	v_fmac_f64_e32 v[82:83], v[48:49], v[30:31]
	v_add_f64 v[84:85], v[68:69], v[82:83]
	v_add_f64 v[86:87], v[66:67], -v[84:85]
	v_add_f64 v[66:67], v[66:67], -v[86:87]
	;; [unrolled: 1-line block ×4, first 2 shown]
	v_add_f64 v[36:37], v[36:37], v[66:67]
	v_add_f64 v[66:67], v[68:69], -v[82:83]
	v_add_f64 v[36:37], v[66:67], v[36:37]
	v_add_f64 v[66:67], v[86:87], v[36:37]
	v_add_f64 v[68:69], v[86:87], -v[66:67]
	v_add_f64 v[36:37], v[36:37], v[68:69]
	v_mul_f64 v[68:69], v[80:81], v[66:67]
	v_mul_f64 v[82:83], v[34:35], v[68:69]
	v_fma_f64 v[34:35], v[68:69], v[34:35], -v[82:83]
	v_fmac_f64_e32 v[34:35], v[68:69], v[30:31]
	v_add_f64 v[30:31], v[82:83], v[34:35]
	v_add_f64 v[84:85], v[66:67], -v[30:31]
	v_add_f64 v[66:67], v[66:67], -v[84:85]
	;; [unrolled: 1-line block ×4, first 2 shown]
	v_add_f64 v[30:31], v[36:37], v[30:31]
	v_add_f64 v[34:35], v[82:83], -v[34:35]
	v_add_f64 v[30:31], v[34:35], v[30:31]
	v_add_f64 v[34:35], v[48:49], v[68:69]
	v_add_f64 v[30:31], v[84:85], v[30:31]
	v_add_f64 v[36:37], v[34:35], -v[48:49]
	v_mul_f64 v[30:31], v[80:81], v[30:31]
	v_add_f64 v[36:37], v[68:69], -v[36:37]
	v_add_f64 v[30:31], v[36:37], v[30:31]
	v_add_f64 v[36:37], v[34:35], v[30:31]
	v_add_f64 v[34:35], v[36:37], -v[34:35]
	v_add_f64 v[30:31], v[30:31], -v[34:35]
	v_mul_f64 v[34:35], v[36:37], v[36:37]
	v_mov_b32_e32 v48, 0x6b47b09a
	v_mov_b32_e32 v49, 0x3fc38538
	v_fmac_f64_e32 v[48:49], s[2:3], v[34:35]
	v_mov_b32_e32 v66, 0xd7f4df2e
	v_mov_b32_e32 v67, 0x3fc7474d
	v_fmac_f64_e32 v[66:67], v[34:35], v[48:49]
	;; [unrolled: 3-line block ×6, first 2 shown]
	v_cvt_f64_i32_e32 v[48:49], v53
	s_mov_b32 s7, 0x3fe62e42
	v_mul_f64 v[68:69], v[48:49], s[6:7]
	v_fma_f64 v[80:81], v[48:49], s[6:7], -v[68:69]
	s_mov_b32 s9, 0x3c7abc9e
	v_fmac_f64_e32 v[80:81], s[8:9], v[48:49]
	v_add_f64 v[48:49], v[68:69], v[80:81]
	v_add_f64 v[68:69], v[48:49], -v[68:69]
	v_mul_f64 v[34:35], v[36:37], v[34:35]
	v_add_f64 v[68:69], v[80:81], -v[68:69]
	v_ldexp_f64 v[80:81], v[36:37], 1
	v_mul_f64 v[34:35], v[34:35], v[66:67]
	v_add_f64 v[36:37], v[80:81], v[34:35]
	v_add_f64 v[66:67], v[36:37], -v[80:81]
	v_ldexp_f64 v[30:31], v[30:31], 1
	v_add_f64 v[34:35], v[34:35], -v[66:67]
	v_add_f64 v[30:31], v[30:31], v[34:35]
	v_add_f64 v[34:35], v[36:37], v[30:31]
	v_add_f64 v[36:37], v[34:35], -v[36:37]
	v_add_f64 v[30:31], v[30:31], -v[36:37]
	v_add_f64 v[36:37], v[48:49], v[34:35]
	v_add_f64 v[66:67], v[36:37], -v[48:49]
	v_add_f64 v[80:81], v[36:37], -v[66:67]
	;; [unrolled: 1-line block ×4, first 2 shown]
	v_add_f64 v[34:35], v[34:35], v[48:49]
	v_add_f64 v[48:49], v[68:69], v[30:31]
	v_add_f64 v[66:67], v[48:49], -v[68:69]
	v_add_f64 v[34:35], v[48:49], v[34:35]
	v_add_f64 v[80:81], v[48:49], -v[66:67]
	;; [unrolled: 2-line block ×3, first 2 shown]
	v_add_f64 v[30:31], v[30:31], -v[66:67]
	v_add_f64 v[36:37], v[48:49], -v[36:37]
	v_add_f64 v[30:31], v[30:31], v[68:69]
	v_add_f64 v[34:35], v[34:35], -v[36:37]
	s_mov_b32 s2, 0
	v_add_f64 v[30:31], v[30:31], v[34:35]
	s_mov_b32 s3, 0x7ff00000
	v_add_f64 v[30:31], v[48:49], v[30:31]
	v_cmp_eq_f64_e32 vcc, s[2:3], v[26:27]
	v_mov_b32_e32 v34, 0x7ff80000
	s_nop 0
	v_cndmask_b32_e32 v30, v30, v26, vcc
	v_cndmask_b32_e32 v31, v31, v27, vcc
	v_cmp_ngt_f64_e32 vcc, -1.0, v[26:27]
	s_nop 1
	v_cndmask_b32_e32 v31, v34, v31, vcc
	v_cmp_nge_f64_e32 vcc, -1.0, v[26:27]
	v_mov_b32_e32 v34, 0xfff00000
	s_nop 0
	v_cndmask_b32_e32 v30, 0, v30, vcc
	v_cmp_neq_f64_e32 vcc, -1.0, v[26:27]
	s_nop 1
	v_cndmask_b32_e32 v31, v34, v31, vcc
	v_add_f64 v[26:27], v[28:29], v[30:31]
.LBB70_364:
	s_or_b64 exec, exec, s[4:5]
	v_max_f64 v[28:29], v[26:27], v[26:27]
	v_min_f64 v[30:31], v[28:29], v[32:33]
	v_cmp_u_f64_e32 vcc, v[26:27], v[26:27]
	v_max_f64 v[28:29], v[28:29], v[32:33]
	s_nop 0
	v_cndmask_b32_e32 v30, v30, v26, vcc
	v_cndmask_b32_e32 v31, v31, v27, vcc
	;; [unrolled: 1-line block ×4, first 2 shown]
	v_cndmask_b32_e64 v35, v31, v131, s[30:31]
	v_cndmask_b32_e64 v34, v30, v130, s[30:31]
	;; [unrolled: 1-line block ×4, first 2 shown]
	v_cmp_neq_f64_e32 vcc, v[34:35], v[30:31]
	v_cmp_class_f64_e64 s[2:3], v[34:35], s10
	s_or_b64 s[2:3], vcc, s[2:3]
	v_mov_b64_e32 v[28:29], v[26:27]
	s_and_saveexec_b64 s[4:5], s[2:3]
	s_cbranch_execz .LBB70_366
; %bb.365:
	s_mov_b32 s2, 0x652b82fe
	v_add_f64 v[28:29], v[34:35], -v[30:31]
	s_mov_b32 s3, 0x3ff71547
	v_mul_f64 v[32:33], v[28:29], s[2:3]
	v_rndne_f64_e32 v[32:33], v[32:33]
	s_mov_b32 s7, 0xbfe62e42
	s_mov_b32 s6, 0xfefa39ef
	v_fma_f64 v[34:35], s[6:7], v[32:33], v[28:29]
	s_mov_b32 s9, 0xbc7abc9e
	s_mov_b32 s8, 0x3b39803f
	;; [unrolled: 1-line block ×3, first 2 shown]
	v_fmac_f64_e32 v[34:35], s[8:9], v[32:33]
	v_mov_b32_e32 v36, 0xfca7ab0c
	v_mov_b32_e32 v37, 0x3e928af3
	s_mov_b32 s3, 0x3e5ade15
	v_fmac_f64_e32 v[36:37], s[2:3], v[34:35]
	v_mov_b32_e32 v48, 0x623fde64
	v_mov_b32_e32 v49, 0x3ec71dee
	v_fmac_f64_e32 v[48:49], v[34:35], v[36:37]
	v_mov_b32_e32 v36, 0x7c89e6b0
	v_mov_b32_e32 v37, 0x3efa0199
	;; [unrolled: 3-line block ×8, first 2 shown]
	s_mov_b32 s2, 0
	v_fmac_f64_e32 v[36:37], v[34:35], v[48:49]
	s_mov_b32 s3, 0x40900000
	v_fma_f64 v[36:37], v[34:35], v[36:37], 1.0
	v_cmp_nlt_f64_e32 vcc, s[2:3], v[28:29]
	s_mov_b32 s2, 0
	v_fma_f64 v[34:35], v[34:35], v[36:37], 1.0
	v_cvt_i32_f64_e32 v32, v[32:33]
	s_mov_b32 s3, 0xc090cc00
	v_ldexp_f64 v[32:33], v[34:35], v32
	v_mov_b32_e32 v34, 0x7ff00000
	v_cmp_ngt_f64_e64 s[2:3], s[2:3], v[28:29]
	v_cndmask_b32_e32 v33, v34, v33, vcc
	s_and_b64 vcc, s[2:3], vcc
	v_cndmask_b32_e64 v29, 0, v33, s[2:3]
	v_cndmask_b32_e32 v28, 0, v32, vcc
	v_add_f64 v[32:33], v[28:29], 1.0
	v_add_f64 v[34:35], v[32:33], -1.0
	v_add_f64 v[36:37], v[34:35], -v[32:33]
	v_add_f64 v[36:37], v[36:37], 1.0
	v_add_f64 v[34:35], v[28:29], -v[34:35]
	s_mov_b32 s2, 0x55555555
	v_add_f64 v[34:35], v[34:35], v[36:37]
	v_frexp_mant_f64_e32 v[36:37], v[32:33]
	s_mov_b32 s3, 0x3fe55555
	v_frexp_exp_i32_f64_e32 v48, v[32:33]
	v_cmp_gt_f64_e32 vcc, s[2:3], v[36:37]
	s_mov_b32 s2, 0xbf559e2b
	s_mov_b32 s3, 0x3fc3ab76
	v_subbrev_co_u32_e32 v53, vcc, 0, v48, vcc
	v_sub_u32_e32 v36, 0, v53
	v_ldexp_f64 v[32:33], v[32:33], v36
	v_ldexp_f64 v[34:35], v[34:35], v36
	v_add_f64 v[36:37], v[32:33], -1.0
	v_add_f64 v[68:69], v[32:33], 1.0
	v_add_f64 v[48:49], v[36:37], 1.0
	v_add_f64 v[80:81], v[68:69], -1.0
	v_add_f64 v[48:49], v[32:33], -v[48:49]
	v_add_f64 v[32:33], v[32:33], -v[80:81]
	v_add_f64 v[32:33], v[34:35], v[32:33]
	v_add_f64 v[48:49], v[34:35], v[48:49]
	;; [unrolled: 1-line block ×3, first 2 shown]
	v_rcp_f64_e32 v[80:81], v[34:35]
	v_add_f64 v[66:67], v[36:37], v[48:49]
	v_add_f64 v[36:37], v[66:67], -v[36:37]
	v_add_f64 v[36:37], v[48:49], -v[36:37]
	;; [unrolled: 1-line block ×4, first 2 shown]
	v_fma_f64 v[48:49], -v[34:35], v[80:81], 1.0
	v_fmac_f64_e32 v[80:81], v[48:49], v[80:81]
	v_fma_f64 v[48:49], -v[34:35], v[80:81], 1.0
	v_fmac_f64_e32 v[80:81], v[48:49], v[80:81]
	v_mul_f64 v[48:49], v[66:67], v[80:81]
	v_mul_f64 v[68:69], v[34:35], v[48:49]
	v_fma_f64 v[82:83], v[48:49], v[34:35], -v[68:69]
	v_fmac_f64_e32 v[82:83], v[48:49], v[32:33]
	v_add_f64 v[84:85], v[68:69], v[82:83]
	v_add_f64 v[86:87], v[66:67], -v[84:85]
	v_add_f64 v[66:67], v[66:67], -v[86:87]
	;; [unrolled: 1-line block ×4, first 2 shown]
	v_add_f64 v[36:37], v[36:37], v[66:67]
	v_add_f64 v[66:67], v[68:69], -v[82:83]
	v_add_f64 v[36:37], v[66:67], v[36:37]
	v_add_f64 v[66:67], v[86:87], v[36:37]
	v_add_f64 v[68:69], v[86:87], -v[66:67]
	v_add_f64 v[36:37], v[36:37], v[68:69]
	v_mul_f64 v[68:69], v[80:81], v[66:67]
	v_mul_f64 v[82:83], v[34:35], v[68:69]
	v_fma_f64 v[34:35], v[68:69], v[34:35], -v[82:83]
	v_fmac_f64_e32 v[34:35], v[68:69], v[32:33]
	v_add_f64 v[32:33], v[82:83], v[34:35]
	v_add_f64 v[84:85], v[66:67], -v[32:33]
	v_add_f64 v[66:67], v[66:67], -v[84:85]
	;; [unrolled: 1-line block ×4, first 2 shown]
	v_add_f64 v[32:33], v[36:37], v[32:33]
	v_add_f64 v[34:35], v[82:83], -v[34:35]
	v_add_f64 v[32:33], v[34:35], v[32:33]
	v_add_f64 v[34:35], v[48:49], v[68:69]
	;; [unrolled: 1-line block ×3, first 2 shown]
	v_add_f64 v[36:37], v[34:35], -v[48:49]
	v_mul_f64 v[32:33], v[80:81], v[32:33]
	v_add_f64 v[36:37], v[68:69], -v[36:37]
	v_add_f64 v[32:33], v[36:37], v[32:33]
	v_add_f64 v[36:37], v[34:35], v[32:33]
	v_add_f64 v[34:35], v[36:37], -v[34:35]
	v_add_f64 v[32:33], v[32:33], -v[34:35]
	v_mul_f64 v[34:35], v[36:37], v[36:37]
	v_mov_b32_e32 v48, 0x6b47b09a
	v_mov_b32_e32 v49, 0x3fc38538
	v_fmac_f64_e32 v[48:49], s[2:3], v[34:35]
	v_mov_b32_e32 v66, 0xd7f4df2e
	v_mov_b32_e32 v67, 0x3fc7474d
	v_fmac_f64_e32 v[66:67], v[34:35], v[48:49]
	;; [unrolled: 3-line block ×6, first 2 shown]
	v_cvt_f64_i32_e32 v[48:49], v53
	s_mov_b32 s7, 0x3fe62e42
	v_mul_f64 v[68:69], v[48:49], s[6:7]
	v_fma_f64 v[80:81], v[48:49], s[6:7], -v[68:69]
	s_mov_b32 s9, 0x3c7abc9e
	v_fmac_f64_e32 v[80:81], s[8:9], v[48:49]
	v_add_f64 v[48:49], v[68:69], v[80:81]
	v_add_f64 v[68:69], v[48:49], -v[68:69]
	v_mul_f64 v[34:35], v[36:37], v[34:35]
	v_add_f64 v[68:69], v[80:81], -v[68:69]
	v_ldexp_f64 v[80:81], v[36:37], 1
	v_mul_f64 v[34:35], v[34:35], v[66:67]
	v_add_f64 v[36:37], v[80:81], v[34:35]
	v_add_f64 v[66:67], v[36:37], -v[80:81]
	v_ldexp_f64 v[32:33], v[32:33], 1
	v_add_f64 v[34:35], v[34:35], -v[66:67]
	v_add_f64 v[32:33], v[32:33], v[34:35]
	v_add_f64 v[34:35], v[36:37], v[32:33]
	v_add_f64 v[36:37], v[34:35], -v[36:37]
	v_add_f64 v[32:33], v[32:33], -v[36:37]
	v_add_f64 v[36:37], v[48:49], v[34:35]
	v_add_f64 v[66:67], v[36:37], -v[48:49]
	v_add_f64 v[80:81], v[36:37], -v[66:67]
	;; [unrolled: 1-line block ×4, first 2 shown]
	v_add_f64 v[34:35], v[34:35], v[48:49]
	v_add_f64 v[48:49], v[68:69], v[32:33]
	v_add_f64 v[66:67], v[48:49], -v[68:69]
	v_add_f64 v[34:35], v[48:49], v[34:35]
	v_add_f64 v[80:81], v[48:49], -v[66:67]
	;; [unrolled: 2-line block ×3, first 2 shown]
	v_add_f64 v[32:33], v[32:33], -v[66:67]
	v_add_f64 v[36:37], v[48:49], -v[36:37]
	v_add_f64 v[32:33], v[32:33], v[68:69]
	v_add_f64 v[34:35], v[34:35], -v[36:37]
	s_mov_b32 s2, 0
	v_add_f64 v[32:33], v[32:33], v[34:35]
	s_mov_b32 s3, 0x7ff00000
	v_add_f64 v[32:33], v[48:49], v[32:33]
	v_cmp_eq_f64_e32 vcc, s[2:3], v[28:29]
	v_mov_b32_e32 v34, 0x7ff80000
	s_nop 0
	v_cndmask_b32_e32 v32, v32, v28, vcc
	v_cndmask_b32_e32 v33, v33, v29, vcc
	v_cmp_ngt_f64_e32 vcc, -1.0, v[28:29]
	s_nop 1
	v_cndmask_b32_e32 v33, v34, v33, vcc
	v_cmp_nge_f64_e32 vcc, -1.0, v[28:29]
	v_mov_b32_e32 v34, 0xfff00000
	s_nop 0
	v_cndmask_b32_e32 v32, 0, v32, vcc
	v_cmp_neq_f64_e32 vcc, -1.0, v[28:29]
	s_nop 1
	v_cndmask_b32_e32 v33, v34, v33, vcc
	v_add_f64 v[28:29], v[30:31], v[32:33]
.LBB70_366:
	s_or_b64 exec, exec, s[4:5]
	s_movk_i32 s2, 0xff
	v_cmp_eq_u32_e32 vcc, s2, v70
	s_and_saveexec_b64 s[2:3], vcc
	s_cbranch_execz .LBB70_376
; %bb.367:
	s_mov_b64 s[4:5], 0x400
	v_lshl_add_u64 v[32:33], v[116:117], 0, s[4:5]
	s_mov_b64 s[4:5], src_shared_base
	v_cmp_ne_u32_e32 vcc, s5, v33
	s_and_saveexec_b64 s[4:5], vcc
	s_xor_b64 s[4:5], exec, s[4:5]
	s_cbranch_execz .LBB70_373
; %bb.368:
	s_mov_b64 s[6:7], src_private_base
	v_cmp_ne_u32_e32 vcc, s7, v33
	s_and_saveexec_b64 s[6:7], vcc
	s_xor_b64 s[6:7], exec, s[6:7]
	s_cbranch_execz .LBB70_370
; %bb.369:
	v_mov_b32_e32 v31, 0
	v_mov_b32_e32 v30, 2
	;;#ASMSTART
	global_store_dwordx4 v[32:33], v[28:31] off sc1	
s_waitcnt vmcnt(0)
	;;#ASMEND
                                        ; implicit-def: $vgpr32_vgpr33
.LBB70_370:
	s_andn2_saveexec_b64 s[6:7], s[6:7]
	s_cbranch_execz .LBB70_372
; %bb.371:
	v_mov_b32_e32 v31, 0
	v_mov_b32_e32 v30, 2
	;;#ASMSTART
	flat_store_dwordx4 v[32:33], v[28:31] sc1	
s_waitcnt vmcnt(0)
	;;#ASMEND
.LBB70_372:
	s_or_b64 exec, exec, s[6:7]
                                        ; implicit-def: $vgpr32_vgpr33
.LBB70_373:
	s_andn2_saveexec_b64 s[4:5], s[4:5]
	s_cbranch_execz .LBB70_375
; %bb.374:
	v_cmp_ne_u64_e32 vcc, 0, v[32:33]
	v_mov_b32_e32 v35, 0
	v_mov_b32_e32 v34, 2
	v_cndmask_b32_e32 v36, -1, v32, vcc
	v_mov_b32_e32 v32, v28
	v_mov_b32_e32 v33, v29
	;;#ASMSTART
	ds_write_b128 v36, v[32:35] 	
s_waitcnt lgkmcnt(0)
	;;#ASMEND
.LBB70_375:
	s_or_b64 exec, exec, s[4:5]
.LBB70_376:
	s_or_b64 exec, exec, s[2:3]
	v_mov_b64_e32 v[34:35], v[30:31]
	v_mov_b64_e32 v[32:33], v[28:29]
	;; [unrolled: 1-line block ×16, first 2 shown]
.LBB70_377:
	v_lshl_add_u64 v[0:1], v[54:55], 3, v[64:65]
	v_lshl_add_u64 v[34:35], v[128:129], 3, v[0:1]
	s_waitcnt lgkmcnt(0)
	s_barrier
	s_and_saveexec_b64 s[2:3], s[0:1]
	s_xor_b64 s[0:1], exec, s[2:3]
	s_cbranch_execz .LBB70_379
; %bb.378:
	v_mul_u32_u24_e32 v0, 0x78, v70
	s_movk_i32 s2, 0x78
	ds_write2_b64 v0, v[4:5], v[6:7] offset1:1
	ds_write2_b64 v0, v[8:9], v[10:11] offset0:2 offset1:3
	ds_write2_b64 v0, v[12:13], v[14:15] offset0:4 offset1:5
	;; [unrolled: 1-line block ×6, first 2 shown]
	ds_write_b64 v0, v[32:33] offset:112
	v_mul_i32_i24_e32 v0, 0xffffff90, v70
	v_mad_u32_u24 v28, v70, s2, v0
	v_mov_b32_e32 v53, 0
	s_waitcnt lgkmcnt(0)
	s_barrier
	ds_read2st64_b64 v[0:3], v28 offset1:4
	ds_read2st64_b64 v[4:7], v28 offset0:8 offset1:12
	ds_read2st64_b64 v[8:11], v28 offset0:16 offset1:20
	;; [unrolled: 1-line block ×6, first 2 shown]
	ds_read_b64 v[28:29], v28 offset:28672
	v_lshl_add_u64 v[30:31], v[34:35], 0, v[52:53]
	s_movk_i32 s2, 0x1000
	s_waitcnt lgkmcnt(7)
	flat_store_dwordx2 v[30:31], v[0:1]
	flat_store_dwordx2 v[30:31], v[2:3] offset:2048
	v_add_co_u32_e32 v0, vcc, s2, v30
	s_movk_i32 s2, 0x2000
	s_nop 0
	v_addc_co_u32_e32 v1, vcc, 0, v31, vcc
	s_waitcnt lgkmcnt(0)
	flat_store_dwordx2 v[0:1], v[4:5]
	flat_store_dwordx2 v[0:1], v[6:7] offset:2048
	v_add_co_u32_e32 v0, vcc, s2, v30
	s_movk_i32 s2, 0x3000
	s_nop 0
	v_addc_co_u32_e32 v1, vcc, 0, v31, vcc
	flat_store_dwordx2 v[0:1], v[8:9]
	flat_store_dwordx2 v[0:1], v[10:11] offset:2048
	v_add_co_u32_e32 v0, vcc, s2, v30
	s_movk_i32 s2, 0x4000
	s_nop 0
	v_addc_co_u32_e32 v1, vcc, 0, v31, vcc
	;; [unrolled: 6-line block ×3, first 2 shown]
	flat_store_dwordx2 v[0:1], v[16:17]
	flat_store_dwordx2 v[0:1], v[18:19] offset:2048
	v_add_co_u32_e32 v0, vcc, s2, v30
                                        ; implicit-def: $vgpr36_vgpr37_vgpr38_vgpr39
                                        ; implicit-def: $vgpr48_vgpr49_vgpr50_vgpr51
                                        ; implicit-def: $vgpr70
                                        ; implicit-def: $vgpr118_vgpr119
                                        ; implicit-def: $vgpr40
                                        ; implicit-def: $vgpr52
	s_nop 1
	v_addc_co_u32_e32 v1, vcc, 0, v31, vcc
	flat_store_dwordx2 v[0:1], v[20:21]
	flat_store_dwordx2 v[0:1], v[22:23] offset:2048
	v_add_co_u32_e32 v0, vcc, 0x6000, v30
	s_nop 1
	v_addc_co_u32_e32 v1, vcc, 0, v31, vcc
	flat_store_dwordx2 v[0:1], v[24:25]
	flat_store_dwordx2 v[0:1], v[26:27] offset:2048
	v_add_co_u32_e32 v0, vcc, 0x7000, v30
	s_nop 1
	v_addc_co_u32_e32 v1, vcc, 0, v31, vcc
	flat_store_dwordx2 v[0:1], v[28:29]
                                        ; implicit-def: $vgpr4_vgpr5_vgpr6_vgpr7_vgpr8_vgpr9_vgpr10_vgpr11_vgpr12_vgpr13_vgpr14_vgpr15_vgpr16_vgpr17_vgpr18_vgpr19_vgpr20_vgpr21_vgpr22_vgpr23_vgpr24_vgpr25_vgpr26_vgpr27_vgpr28_vgpr29_vgpr30_vgpr31_vgpr32_vgpr33_vgpr34_vgpr35
                                        ; implicit-def: $vgpr34_vgpr35
.LBB70_379:
	s_andn2_saveexec_b64 s[2:3], s[0:1]
	s_cbranch_execz .LBB70_466
; %bb.380:
	v_mul_u32_u24_e32 v0, 0x78, v70
	s_movk_i32 s0, 0x78
	ds_write2_b64 v0, v[4:5], v[6:7] offset1:1
	ds_write2_b64 v0, v[8:9], v[10:11] offset0:2 offset1:3
	ds_write2_b64 v0, v[12:13], v[14:15] offset0:4 offset1:5
	;; [unrolled: 1-line block ×6, first 2 shown]
	ds_write_b64 v0, v[32:33] offset:112
	v_mul_i32_i24_e32 v0, 0xffffff90, v70
	v_mad_u32_u24 v28, v70, s0, v0
	s_waitcnt lgkmcnt(0)
	s_barrier
	ds_read2st64_b64 v[4:7], v28 offset1:4
	ds_read2st64_b64 v[12:15], v28 offset0:8 offset1:12
	ds_read2st64_b64 v[8:11], v28 offset0:16 offset1:20
	;; [unrolled: 1-line block ×6, first 2 shown]
	ds_read_b64 v[28:29], v28 offset:28672
	v_mov_b32_e32 v53, 0
	v_lshl_add_u64 v[30:31], v[34:35], 0, v[52:53]
	v_cmp_lt_u32_e32 vcc, v70, v118
	s_and_saveexec_b64 s[0:1], vcc
	s_cbranch_execz .LBB70_382
; %bb.381:
	s_waitcnt lgkmcnt(0)
	flat_store_dwordx2 v[30:31], v[4:5]
.LBB70_382:
	s_or_b64 exec, exec, s[0:1]
	v_add_u32_e32 v32, 0x100, v70
	v_cmp_lt_u32_e32 vcc, v32, v118
	s_and_saveexec_b64 s[0:1], vcc
	s_cbranch_execz .LBB70_384
; %bb.383:
	s_waitcnt lgkmcnt(0)
	flat_store_dwordx2 v[30:31], v[6:7] offset:2048
.LBB70_384:
	s_or_b64 exec, exec, s[0:1]
	v_add_u32_e32 v32, 0x200, v70
	v_cmp_lt_u32_e32 vcc, v32, v118
	s_and_saveexec_b64 s[0:1], vcc
	s_cbranch_execz .LBB70_386
; %bb.385:
	v_add_co_u32_e32 v32, vcc, 0x1000, v30
	s_nop 1
	v_addc_co_u32_e32 v33, vcc, 0, v31, vcc
	s_waitcnt lgkmcnt(0)
	flat_store_dwordx2 v[32:33], v[12:13]
.LBB70_386:
	s_or_b64 exec, exec, s[0:1]
	v_add_u32_e32 v32, 0x300, v70
	v_cmp_lt_u32_e32 vcc, v32, v118
	s_and_saveexec_b64 s[0:1], vcc
	s_cbranch_execz .LBB70_388
; %bb.387:
	v_add_co_u32_e32 v32, vcc, 0x1000, v30
	s_nop 1
	v_addc_co_u32_e32 v33, vcc, 0, v31, vcc
	s_waitcnt lgkmcnt(0)
	flat_store_dwordx2 v[32:33], v[14:15] offset:2048
.LBB70_388:
	s_or_b64 exec, exec, s[0:1]
	v_or_b32_e32 v32, 0x400, v70
	v_cmp_lt_u32_e32 vcc, v32, v118
	s_and_saveexec_b64 s[0:1], vcc
	s_cbranch_execz .LBB70_390
; %bb.389:
	v_add_co_u32_e32 v32, vcc, 0x2000, v30
	s_nop 1
	v_addc_co_u32_e32 v33, vcc, 0, v31, vcc
	s_waitcnt lgkmcnt(0)
	flat_store_dwordx2 v[32:33], v[8:9]
.LBB70_390:
	s_or_b64 exec, exec, s[0:1]
	v_add_u32_e32 v32, 0x500, v70
	v_cmp_lt_u32_e32 vcc, v32, v118
	s_and_saveexec_b64 s[0:1], vcc
	s_cbranch_execz .LBB70_392
; %bb.391:
	v_add_co_u32_e32 v32, vcc, 0x2000, v30
	s_nop 1
	v_addc_co_u32_e32 v33, vcc, 0, v31, vcc
	s_waitcnt lgkmcnt(0)
	flat_store_dwordx2 v[32:33], v[10:11] offset:2048
.LBB70_392:
	s_or_b64 exec, exec, s[0:1]
	v_add_u32_e32 v32, 0x600, v70
	v_cmp_lt_u32_e32 vcc, v32, v118
	s_and_saveexec_b64 s[0:1], vcc
	s_cbranch_execz .LBB70_394
; %bb.393:
	v_add_co_u32_e32 v32, vcc, 0x3000, v30
	s_nop 1
	v_addc_co_u32_e32 v33, vcc, 0, v31, vcc
	s_waitcnt lgkmcnt(0)
	flat_store_dwordx2 v[32:33], v[24:25]
.LBB70_394:
	s_or_b64 exec, exec, s[0:1]
	v_add_u32_e32 v32, 0x700, v70
	v_cmp_lt_u32_e32 vcc, v32, v118
	s_and_saveexec_b64 s[0:1], vcc
	s_cbranch_execz .LBB70_396
; %bb.395:
	v_add_co_u32_e32 v32, vcc, 0x3000, v30
	s_nop 1
	v_addc_co_u32_e32 v33, vcc, 0, v31, vcc
	s_waitcnt lgkmcnt(0)
	flat_store_dwordx2 v[32:33], v[26:27] offset:2048
.LBB70_396:
	s_or_b64 exec, exec, s[0:1]
	v_or_b32_e32 v32, 0x800, v70
	v_cmp_lt_u32_e32 vcc, v32, v118
	s_and_saveexec_b64 s[0:1], vcc
	s_cbranch_execz .LBB70_398
; %bb.397:
	v_add_co_u32_e32 v32, vcc, 0x4000, v30
	s_nop 1
	v_addc_co_u32_e32 v33, vcc, 0, v31, vcc
	s_waitcnt lgkmcnt(0)
	flat_store_dwordx2 v[32:33], v[16:17]
.LBB70_398:
	s_or_b64 exec, exec, s[0:1]
	v_add_u32_e32 v32, 0x900, v70
	v_cmp_lt_u32_e32 vcc, v32, v118
	s_and_saveexec_b64 s[0:1], vcc
	s_cbranch_execz .LBB70_400
; %bb.399:
	v_add_co_u32_e32 v32, vcc, 0x4000, v30
	s_nop 1
	v_addc_co_u32_e32 v33, vcc, 0, v31, vcc
	s_waitcnt lgkmcnt(0)
	flat_store_dwordx2 v[32:33], v[18:19] offset:2048
.LBB70_400:
	;; [unrolled: 48-line block ×3, first 2 shown]
	s_or_b64 exec, exec, s[0:1]
	v_add_u32_e32 v32, 0xe00, v70
	v_cmp_lt_u32_e32 vcc, v32, v118
	s_and_saveexec_b64 s[0:1], vcc
	s_cbranch_execz .LBB70_410
; %bb.409:
	v_add_co_u32_e32 v30, vcc, 0x7000, v30
	s_nop 1
	v_addc_co_u32_e32 v31, vcc, 0, v31, vcc
	s_waitcnt lgkmcnt(0)
	flat_store_dwordx2 v[30:31], v[28:29]
.LBB70_410:
	s_or_b64 exec, exec, s[0:1]
	v_cmp_lt_u64_e32 vcc, 1, v[50:51]
	s_and_saveexec_b64 s[4:5], vcc
	s_cbranch_execz .LBB70_465
; %bb.411:
	s_add_u32 s0, 0, 0x11108400
	s_addc_u32 s1, 0, 49
	s_add_i32 s1, s1, 0x111110e0
	s_mul_hi_u32 s9, s0, -15
	s_sub_i32 s9, s9, s0
	s_mul_i32 s10, s1, -15
	s_mul_i32 s6, s0, -15
	s_add_i32 s9, s9, s10
	s_mul_hi_u32 s7, s1, s6
	s_mul_i32 s8, s1, s6
	s_mul_i32 s11, s0, s9
	s_mul_hi_u32 s6, s0, s6
	s_mul_hi_u32 s10, s0, s9
	s_add_u32 s6, s6, s11
	s_addc_u32 s10, 0, s10
	s_add_u32 s6, s6, s8
	s_mul_hi_u32 s11, s1, s9
	s_addc_u32 s6, s10, s7
	s_addc_u32 s7, s11, 0
	s_mul_i32 s8, s1, s9
	s_add_u32 s6, s6, s8
	v_mov_b32_e32 v32, s6
	s_addc_u32 s7, 0, s7
	v_add_co_u32_e32 v48, vcc, s0, v32
	s_cmp_lg_u64 vcc, 0
	v_lshl_add_u64 v[30:31], v[118:119], 0, -1
	s_addc_u32 s6, s1, s7
	v_mad_u64_u32 v[32:33], s[0:1], v30, s6, 0
	v_mul_hi_u32 v34, v30, v48
	v_mov_b32_e32 v35, 0
	v_lshl_add_u64 v[32:33], v[34:35], 0, v[32:33]
	v_mad_u64_u32 v[48:49], s[0:1], v31, v48, 0
	v_add_co_u32_e32 v32, vcc, v32, v48
	v_mad_u64_u32 v[36:37], s[0:1], v31, s6, 0
	s_nop 0
	v_addc_co_u32_e32 v34, vcc, v33, v49, vcc
	v_mov_b32_e32 v71, v53
	s_nop 0
	v_addc_co_u32_e32 v37, vcc, 0, v37, vcc
	v_lshl_add_u64 v[32:33], v[34:35], 0, v[36:37]
	v_mad_u64_u32 v[34:35], s[0:1], v32, 15, 0
	v_mov_b32_e32 v36, v35
	v_mad_u64_u32 v[36:37], s[0:1], v33, 15, v[36:37]
	v_sub_co_u32_e32 v48, vcc, v30, v34
	v_cmp_lt_u32_e64 s[0:1], 14, v48
	s_nop 0
	v_subb_co_u32_e32 v49, vcc, v31, v36, vcc
	v_subrev_co_u32_e32 v34, vcc, 15, v48
	v_lshl_add_u64 v[36:37], v[32:33], 0, 1
	s_nop 0
	v_subbrev_co_u32_e32 v35, vcc, 0, v49, vcc
	v_cmp_lt_u32_e32 vcc, 14, v34
	s_nop 1
	v_cndmask_b32_e64 v34, 0, -1, vcc
	v_cmp_eq_u32_e32 vcc, 0, v35
	s_nop 1
	v_cndmask_b32_e32 v50, -1, v34, vcc
	v_lshl_add_u64 v[34:35], v[32:33], 0, 2
	v_cmp_ne_u32_e32 vcc, 0, v50
	s_nop 1
	v_cndmask_b32_e32 v35, v37, v35, vcc
	v_cndmask_b32_e64 v37, 0, -1, s[0:1]
	v_cmp_eq_u32_e64 s[0:1], 0, v49
	v_cndmask_b32_e32 v34, v36, v34, vcc
	s_nop 0
	v_cndmask_b32_e64 v37, -1, v37, s[0:1]
	v_cmp_ne_u32_e64 s[0:1], 0, v37
	s_nop 1
	v_cndmask_b32_e64 v33, v33, v35, s[0:1]
	v_cndmask_b32_e64 v32, v32, v34, s[0:1]
	v_cmp_eq_u64_e32 vcc, v[32:33], v[70:71]
	s_and_b64 exec, exec, vcc
	s_cbranch_execz .LBB70_465
; %bb.412:
	v_mul_hi_u32_u24_e32 v32, 15, v70
	v_sub_co_u32_e32 v30, vcc, v30, v40
	s_nop 1
	v_subb_co_u32_e32 v31, vcc, v31, v32, vcc
	v_cmp_lt_i64_e32 vcc, 7, v[30:31]
	s_and_saveexec_b64 s[0:1], vcc
	s_xor_b64 s[0:1], exec, s[0:1]
	s_cbranch_execz .LBB70_438
; %bb.413:
	v_cmp_lt_i64_e32 vcc, 10, v[30:31]
	s_and_saveexec_b64 s[6:7], vcc
	s_xor_b64 s[6:7], exec, s[6:7]
	s_cbranch_execz .LBB70_427
; %bb.414:
	;; [unrolled: 5-line block ×4, first 2 shown]
	s_waitcnt lgkmcnt(0)
	flat_store_dwordx2 v[38:39], v[28:29]
                                        ; implicit-def: $vgpr38_vgpr39
                                        ; implicit-def: $vgpr20_vgpr21_vgpr22_vgpr23
.LBB70_417:
	s_andn2_saveexec_b64 s[10:11], s[10:11]
	s_cbranch_execz .LBB70_419
; %bb.418:
	s_waitcnt lgkmcnt(0)
	flat_store_dwordx2 v[38:39], v[22:23]
.LBB70_419:
	s_or_b64 exec, exec, s[10:11]
                                        ; implicit-def: $vgpr38_vgpr39
                                        ; implicit-def: $vgpr0_vgpr1_vgpr2_vgpr3
                                        ; implicit-def: $vgpr30_vgpr31
                                        ; implicit-def: $vgpr20_vgpr21_vgpr22_vgpr23
.LBB70_420:
	s_andn2_saveexec_b64 s[8:9], s[8:9]
	s_cbranch_execz .LBB70_426
; %bb.421:
	v_cmp_lt_i64_e32 vcc, 11, v[30:31]
	s_and_saveexec_b64 s[10:11], vcc
	s_xor_b64 s[10:11], exec, s[10:11]
	s_cbranch_execz .LBB70_423
; %bb.422:
	s_waitcnt lgkmcnt(0)
	flat_store_dwordx2 v[38:39], v[20:21]
                                        ; implicit-def: $vgpr38_vgpr39
                                        ; implicit-def: $vgpr0_vgpr1_vgpr2_vgpr3
.LBB70_423:
	s_andn2_saveexec_b64 s[10:11], s[10:11]
	s_cbranch_execz .LBB70_425
; %bb.424:
	s_waitcnt lgkmcnt(0)
	flat_store_dwordx2 v[38:39], v[2:3]
.LBB70_425:
	s_or_b64 exec, exec, s[10:11]
.LBB70_426:
	s_or_b64 exec, exec, s[8:9]
                                        ; implicit-def: $vgpr38_vgpr39
                                        ; implicit-def: $vgpr16_vgpr17_vgpr18_vgpr19
                                        ; implicit-def: $vgpr30_vgpr31
                                        ; implicit-def: $vgpr0_vgpr1_vgpr2_vgpr3
.LBB70_427:
	s_andn2_saveexec_b64 s[6:7], s[6:7]
	s_cbranch_execz .LBB70_437
; %bb.428:
	v_cmp_lt_i64_e32 vcc, 8, v[30:31]
	s_and_saveexec_b64 s[8:9], vcc
	s_xor_b64 s[8:9], exec, s[8:9]
	s_cbranch_execz .LBB70_434
; %bb.429:
	v_cmp_lt_i64_e32 vcc, 9, v[30:31]
	s_and_saveexec_b64 s[10:11], vcc
	s_xor_b64 s[10:11], exec, s[10:11]
	s_cbranch_execz .LBB70_431
; %bb.430:
	s_waitcnt lgkmcnt(0)
	flat_store_dwordx2 v[38:39], v[0:1]
                                        ; implicit-def: $vgpr38_vgpr39
                                        ; implicit-def: $vgpr16_vgpr17_vgpr18_vgpr19
.LBB70_431:
	s_andn2_saveexec_b64 s[10:11], s[10:11]
	s_cbranch_execz .LBB70_433
; %bb.432:
	s_waitcnt lgkmcnt(0)
	flat_store_dwordx2 v[38:39], v[18:19]
.LBB70_433:
	s_or_b64 exec, exec, s[10:11]
                                        ; implicit-def: $vgpr38_vgpr39
                                        ; implicit-def: $vgpr16_vgpr17_vgpr18_vgpr19
.LBB70_434:
	s_andn2_saveexec_b64 s[8:9], s[8:9]
	s_cbranch_execz .LBB70_436
; %bb.435:
	s_waitcnt lgkmcnt(0)
	flat_store_dwordx2 v[38:39], v[16:17]
.LBB70_436:
	s_or_b64 exec, exec, s[8:9]
.LBB70_437:
	s_or_b64 exec, exec, s[6:7]
                                        ; implicit-def: $vgpr30_vgpr31
                                        ; implicit-def: $vgpr38_vgpr39
                                        ; implicit-def: $vgpr4_vgpr5_vgpr6_vgpr7
                                        ; implicit-def: $vgpr8_vgpr9_vgpr10_vgpr11
                                        ; implicit-def: $vgpr12_vgpr13_vgpr14_vgpr15
                                        ; implicit-def: $vgpr24_vgpr25_vgpr26_vgpr27
.LBB70_438:
	s_andn2_saveexec_b64 s[0:1], s[0:1]
	s_cbranch_execz .LBB70_465
; %bb.439:
	v_cmp_lt_i64_e32 vcc, 3, v[30:31]
	s_and_saveexec_b64 s[0:1], vcc
	s_xor_b64 s[0:1], exec, s[0:1]
	s_cbranch_execz .LBB70_453
; %bb.440:
	v_cmp_lt_i64_e32 vcc, 5, v[30:31]
	s_and_saveexec_b64 s[6:7], vcc
	s_xor_b64 s[6:7], exec, s[6:7]
	;; [unrolled: 5-line block ×3, first 2 shown]
	s_cbranch_execz .LBB70_443
; %bb.442:
	s_waitcnt lgkmcnt(0)
	flat_store_dwordx2 v[38:39], v[26:27]
                                        ; implicit-def: $vgpr38_vgpr39
                                        ; implicit-def: $vgpr24_vgpr25_vgpr26_vgpr27
.LBB70_443:
	s_andn2_saveexec_b64 s[8:9], s[8:9]
	s_cbranch_execz .LBB70_445
; %bb.444:
	s_waitcnt lgkmcnt(0)
	flat_store_dwordx2 v[38:39], v[24:25]
.LBB70_445:
	s_or_b64 exec, exec, s[8:9]
                                        ; implicit-def: $vgpr38_vgpr39
                                        ; implicit-def: $vgpr8_vgpr9_vgpr10_vgpr11
                                        ; implicit-def: $vgpr30_vgpr31
.LBB70_446:
	s_andn2_saveexec_b64 s[6:7], s[6:7]
	s_cbranch_execz .LBB70_452
; %bb.447:
	v_cmp_lt_i64_e32 vcc, 4, v[30:31]
	s_and_saveexec_b64 s[8:9], vcc
	s_xor_b64 s[8:9], exec, s[8:9]
	s_cbranch_execz .LBB70_449
; %bb.448:
	s_waitcnt lgkmcnt(0)
	flat_store_dwordx2 v[38:39], v[10:11]
                                        ; implicit-def: $vgpr38_vgpr39
                                        ; implicit-def: $vgpr8_vgpr9_vgpr10_vgpr11
.LBB70_449:
	s_andn2_saveexec_b64 s[8:9], s[8:9]
	s_cbranch_execz .LBB70_451
; %bb.450:
	s_waitcnt lgkmcnt(0)
	flat_store_dwordx2 v[38:39], v[8:9]
.LBB70_451:
	s_or_b64 exec, exec, s[8:9]
.LBB70_452:
	s_or_b64 exec, exec, s[6:7]
                                        ; implicit-def: $vgpr30_vgpr31
                                        ; implicit-def: $vgpr38_vgpr39
                                        ; implicit-def: $vgpr4_vgpr5_vgpr6_vgpr7
                                        ; implicit-def: $vgpr12_vgpr13_vgpr14_vgpr15
.LBB70_453:
	s_andn2_saveexec_b64 s[0:1], s[0:1]
	s_cbranch_execz .LBB70_465
; %bb.454:
	v_cmp_lt_i64_e32 vcc, 1, v[30:31]
	s_and_saveexec_b64 s[0:1], vcc
	s_xor_b64 s[0:1], exec, s[0:1]
	s_cbranch_execz .LBB70_460
; %bb.455:
	v_cmp_lt_i64_e32 vcc, 2, v[30:31]
	s_and_saveexec_b64 s[6:7], vcc
	s_xor_b64 s[6:7], exec, s[6:7]
	s_cbranch_execz .LBB70_457
; %bb.456:
	s_waitcnt lgkmcnt(0)
	flat_store_dwordx2 v[38:39], v[14:15]
                                        ; implicit-def: $vgpr38_vgpr39
                                        ; implicit-def: $vgpr12_vgpr13_vgpr14_vgpr15
.LBB70_457:
	s_andn2_saveexec_b64 s[6:7], s[6:7]
	s_cbranch_execz .LBB70_459
; %bb.458:
	s_waitcnt lgkmcnt(0)
	flat_store_dwordx2 v[38:39], v[12:13]
.LBB70_459:
	s_or_b64 exec, exec, s[6:7]
                                        ; implicit-def: $vgpr38_vgpr39
                                        ; implicit-def: $vgpr4_vgpr5_vgpr6_vgpr7
                                        ; implicit-def: $vgpr30_vgpr31
.LBB70_460:
	s_andn2_saveexec_b64 s[0:1], s[0:1]
	s_cbranch_execz .LBB70_465
; %bb.461:
	v_cmp_ne_u64_e32 vcc, 1, v[30:31]
	s_and_saveexec_b64 s[0:1], vcc
	s_xor_b64 s[0:1], exec, s[0:1]
	s_cbranch_execz .LBB70_463
; %bb.462:
	s_waitcnt lgkmcnt(0)
	flat_store_dwordx2 v[38:39], v[4:5]
                                        ; implicit-def: $vgpr38_vgpr39
                                        ; implicit-def: $vgpr4_vgpr5_vgpr6_vgpr7
.LBB70_463:
	s_andn2_saveexec_b64 s[0:1], s[0:1]
	s_cbranch_execz .LBB70_465
; %bb.464:
	s_waitcnt lgkmcnt(0)
	flat_store_dwordx2 v[38:39], v[6:7]
.LBB70_465:
	s_or_b64 exec, exec, s[4:5]
.LBB70_466:
	s_or_b64 exec, exec, s[2:3]
	v_readlane_b32 s30, v77, 0
	v_readlane_b32 s31, v77, 1
	s_or_saveexec_b64 s[0:1], -1
	scratch_load_dword v77, off, s32        ; 4-byte Folded Reload
	s_mov_b64 exec, s[0:1]
	s_waitcnt vmcnt(0) lgkmcnt(0)
	s_setpc_b64 s[30:31]
.Lfunc_end70:
	.size	_ZZZN7rocprim17ROCPRIM_400000_NS6detail9scan_implILNS1_25lookback_scan_determinismE0ELb0ELb0ENS0_14default_configEPKdPddZZZN2at6native31launch_logcumsumexp_cuda_kernelERKNS8_10TensorBaseESC_lENKUlvE_clEvENKUlvE_clEvEUlddE_dEEDaPvRmT3_T4_T5_mT6_P12ihipStream_tbENKUlT_T0_E_clISt17integral_constantIbLb0EESS_IbLb1EEEEDaSO_SP_ENKUlSO_E_clINS1_13target_configIS4_NS1_20scan_config_selectorIdEENS1_11comp_targetILNS1_3genE5ELNS1_11target_archE942ELNS1_3gpuE9ELNS1_3repE0EEELNS0_4arch9wavefront6targetE1EEEEEDaSO_, .Lfunc_end70-_ZZZN7rocprim17ROCPRIM_400000_NS6detail9scan_implILNS1_25lookback_scan_determinismE0ELb0ELb0ENS0_14default_configEPKdPddZZZN2at6native31launch_logcumsumexp_cuda_kernelERKNS8_10TensorBaseESC_lENKUlvE_clEvENKUlvE_clEvEUlddE_dEEDaPvRmT3_T4_T5_mT6_P12ihipStream_tbENKUlT_T0_E_clISt17integral_constantIbLb0EESS_IbLb1EEEEDaSO_SP_ENKUlSO_E_clINS1_13target_configIS4_NS1_20scan_config_selectorIdEENS1_11comp_targetILNS1_3genE5ELNS1_11target_archE942ELNS1_3gpuE9ELNS1_3repE0EEELNS0_4arch9wavefront6targetE1EEEEEDaSO_
                                        ; -- End function
	.section	.AMDGPU.csdata,"",@progbits
; Function info:
; codeLenInByte = 163928
; NumSgprs: 84
; NumVgprs: 248
; NumAgprs: 0
; TotalNumVgprs: 248
; ScratchSize: 8
; MemoryBound: 0
	.section	.text._ZN7rocprim17ROCPRIM_400000_NS6detail17trampoline_kernelINS0_14default_configENS1_20scan_config_selectorIdEEZZNS1_9scan_implILNS1_25lookback_scan_determinismE0ELb0ELb0ES3_PKdPddZZZN2at6native31launch_logcumsumexp_cuda_kernelERKNSB_10TensorBaseESF_lENKUlvE_clEvENKUlvE_clEvEUlddE_dEEDaPvRmT3_T4_T5_mT6_P12ihipStream_tbENKUlT_T0_E_clISt17integral_constantIbLb0EESV_IbLb1EEEEDaSR_SS_EUlSR_E_NS1_11comp_targetILNS1_3genE5ELNS1_11target_archE942ELNS1_3gpuE9ELNS1_3repE0EEENS1_30default_config_static_selectorELNS0_4arch9wavefront6targetE1EEEvT1_,"axG",@progbits,_ZN7rocprim17ROCPRIM_400000_NS6detail17trampoline_kernelINS0_14default_configENS1_20scan_config_selectorIdEEZZNS1_9scan_implILNS1_25lookback_scan_determinismE0ELb0ELb0ES3_PKdPddZZZN2at6native31launch_logcumsumexp_cuda_kernelERKNSB_10TensorBaseESF_lENKUlvE_clEvENKUlvE_clEvEUlddE_dEEDaPvRmT3_T4_T5_mT6_P12ihipStream_tbENKUlT_T0_E_clISt17integral_constantIbLb0EESV_IbLb1EEEEDaSR_SS_EUlSR_E_NS1_11comp_targetILNS1_3genE5ELNS1_11target_archE942ELNS1_3gpuE9ELNS1_3repE0EEENS1_30default_config_static_selectorELNS0_4arch9wavefront6targetE1EEEvT1_,comdat
	.globl	_ZN7rocprim17ROCPRIM_400000_NS6detail17trampoline_kernelINS0_14default_configENS1_20scan_config_selectorIdEEZZNS1_9scan_implILNS1_25lookback_scan_determinismE0ELb0ELb0ES3_PKdPddZZZN2at6native31launch_logcumsumexp_cuda_kernelERKNSB_10TensorBaseESF_lENKUlvE_clEvENKUlvE_clEvEUlddE_dEEDaPvRmT3_T4_T5_mT6_P12ihipStream_tbENKUlT_T0_E_clISt17integral_constantIbLb0EESV_IbLb1EEEEDaSR_SS_EUlSR_E_NS1_11comp_targetILNS1_3genE5ELNS1_11target_archE942ELNS1_3gpuE9ELNS1_3repE0EEENS1_30default_config_static_selectorELNS0_4arch9wavefront6targetE1EEEvT1_ ; -- Begin function _ZN7rocprim17ROCPRIM_400000_NS6detail17trampoline_kernelINS0_14default_configENS1_20scan_config_selectorIdEEZZNS1_9scan_implILNS1_25lookback_scan_determinismE0ELb0ELb0ES3_PKdPddZZZN2at6native31launch_logcumsumexp_cuda_kernelERKNSB_10TensorBaseESF_lENKUlvE_clEvENKUlvE_clEvEUlddE_dEEDaPvRmT3_T4_T5_mT6_P12ihipStream_tbENKUlT_T0_E_clISt17integral_constantIbLb0EESV_IbLb1EEEEDaSR_SS_EUlSR_E_NS1_11comp_targetILNS1_3genE5ELNS1_11target_archE942ELNS1_3gpuE9ELNS1_3repE0EEENS1_30default_config_static_selectorELNS0_4arch9wavefront6targetE1EEEvT1_
	.p2align	8
	.type	_ZN7rocprim17ROCPRIM_400000_NS6detail17trampoline_kernelINS0_14default_configENS1_20scan_config_selectorIdEEZZNS1_9scan_implILNS1_25lookback_scan_determinismE0ELb0ELb0ES3_PKdPddZZZN2at6native31launch_logcumsumexp_cuda_kernelERKNSB_10TensorBaseESF_lENKUlvE_clEvENKUlvE_clEvEUlddE_dEEDaPvRmT3_T4_T5_mT6_P12ihipStream_tbENKUlT_T0_E_clISt17integral_constantIbLb0EESV_IbLb1EEEEDaSR_SS_EUlSR_E_NS1_11comp_targetILNS1_3genE5ELNS1_11target_archE942ELNS1_3gpuE9ELNS1_3repE0EEENS1_30default_config_static_selectorELNS0_4arch9wavefront6targetE1EEEvT1_,@function
_ZN7rocprim17ROCPRIM_400000_NS6detail17trampoline_kernelINS0_14default_configENS1_20scan_config_selectorIdEEZZNS1_9scan_implILNS1_25lookback_scan_determinismE0ELb0ELb0ES3_PKdPddZZZN2at6native31launch_logcumsumexp_cuda_kernelERKNSB_10TensorBaseESF_lENKUlvE_clEvENKUlvE_clEvEUlddE_dEEDaPvRmT3_T4_T5_mT6_P12ihipStream_tbENKUlT_T0_E_clISt17integral_constantIbLb0EESV_IbLb1EEEEDaSR_SS_EUlSR_E_NS1_11comp_targetILNS1_3genE5ELNS1_11target_archE942ELNS1_3gpuE9ELNS1_3repE0EEENS1_30default_config_static_selectorELNS0_4arch9wavefront6targetE1EEEvT1_: ; @_ZN7rocprim17ROCPRIM_400000_NS6detail17trampoline_kernelINS0_14default_configENS1_20scan_config_selectorIdEEZZNS1_9scan_implILNS1_25lookback_scan_determinismE0ELb0ELb0ES3_PKdPddZZZN2at6native31launch_logcumsumexp_cuda_kernelERKNSB_10TensorBaseESF_lENKUlvE_clEvENKUlvE_clEvEUlddE_dEEDaPvRmT3_T4_T5_mT6_P12ihipStream_tbENKUlT_T0_E_clISt17integral_constantIbLb0EESV_IbLb1EEEEDaSR_SS_EUlSR_E_NS1_11comp_targetILNS1_3genE5ELNS1_11target_archE942ELNS1_3gpuE9ELNS1_3repE0EEENS1_30default_config_static_selectorELNS0_4arch9wavefront6targetE1EEEvT1_
; %bb.0:
	s_load_dwordx8 s[4:11], s[0:1], 0x0
	s_load_dwordx8 s[12:19], s[0:1], 0x20
	s_mov_b64 s[2:3], src_private_base
	v_mov_b32_e32 v31, v0
	v_mov_b32_e32 v0, 0
	s_waitcnt lgkmcnt(0)
	v_mov_b64_e32 v[2:3], s[4:5]
	v_mov_b64_e32 v[6:7], s[8:9]
	;; [unrolled: 1-line block ×4, first 2 shown]
	s_load_dwordx8 s[4:11], s[0:1], 0x40
	scratch_store_dwordx4 off, v[2:5], off
	scratch_store_dwordx4 off, v[6:9], off offset:16
	v_mov_b32_e32 v1, s3
	v_mov_b64_e32 v[2:3], s[12:13]
	v_mov_b64_e32 v[4:5], s[14:15]
	scratch_store_dwordx4 off, v[2:5], off offset:32
	s_load_dwordx2 s[12:13], s[0:1], 0x60
	s_movk_i32 s32, 0x70
	v_mov_b64_e32 v[2:3], s[16:17]
	v_mov_b64_e32 v[4:5], s[18:19]
	scratch_store_dwordx4 off, v[2:5], off offset:48
	s_waitcnt lgkmcnt(0)
	s_nop 0
	v_mov_b64_e32 v[2:3], s[4:5]
	v_mov_b64_e32 v[4:5], s[6:7]
	scratch_store_dwordx4 off, v[2:5], off offset:64
	s_nop 1
	v_mov_b64_e32 v[2:3], s[8:9]
	v_mov_b64_e32 v[4:5], s[10:11]
	s_add_u32 s8, s0, 0x68
	scratch_store_dwordx4 off, v[2:5], off offset:80
	s_addc_u32 s9, s1, 0
	s_getpc_b64 s[0:1]
	s_add_u32 s0, s0, _ZZZN7rocprim17ROCPRIM_400000_NS6detail9scan_implILNS1_25lookback_scan_determinismE0ELb0ELb0ENS0_14default_configEPKdPddZZZN2at6native31launch_logcumsumexp_cuda_kernelERKNS8_10TensorBaseESC_lENKUlvE_clEvENKUlvE_clEvEUlddE_dEEDaPvRmT3_T4_T5_mT6_P12ihipStream_tbENKUlT_T0_E_clISt17integral_constantIbLb0EESS_IbLb1EEEEDaSO_SP_ENKUlSO_E_clINS1_13target_configIS4_NS1_20scan_config_selectorIdEENS1_11comp_targetILNS1_3genE5ELNS1_11target_archE942ELNS1_3gpuE9ELNS1_3repE0EEELNS0_4arch9wavefront6targetE1EEEEEDaSO_@rel32@lo+4
	s_addc_u32 s1, s1, _ZZZN7rocprim17ROCPRIM_400000_NS6detail9scan_implILNS1_25lookback_scan_determinismE0ELb0ELb0ENS0_14default_configEPKdPddZZZN2at6native31launch_logcumsumexp_cuda_kernelERKNS8_10TensorBaseESC_lENKUlvE_clEvENKUlvE_clEvEUlddE_dEEDaPvRmT3_T4_T5_mT6_P12ihipStream_tbENKUlT_T0_E_clISt17integral_constantIbLb0EESS_IbLb1EEEEDaSO_SP_ENKUlSO_E_clINS1_13target_configIS4_NS1_20scan_config_selectorIdEENS1_11comp_targetILNS1_3genE5ELNS1_11target_archE942ELNS1_3gpuE9ELNS1_3repE0EEELNS0_4arch9wavefront6targetE1EEEEEDaSO_@rel32@hi+12
	v_mov_b64_e32 v[2:3], s[12:13]
	scratch_store_dwordx2 off, v[2:3], off offset:96
	s_swappc_b64 s[30:31], s[0:1]
	s_endpgm
	.section	.rodata,"a",@progbits
	.p2align	6, 0x0
	.amdhsa_kernel _ZN7rocprim17ROCPRIM_400000_NS6detail17trampoline_kernelINS0_14default_configENS1_20scan_config_selectorIdEEZZNS1_9scan_implILNS1_25lookback_scan_determinismE0ELb0ELb0ES3_PKdPddZZZN2at6native31launch_logcumsumexp_cuda_kernelERKNSB_10TensorBaseESF_lENKUlvE_clEvENKUlvE_clEvEUlddE_dEEDaPvRmT3_T4_T5_mT6_P12ihipStream_tbENKUlT_T0_E_clISt17integral_constantIbLb0EESV_IbLb1EEEEDaSR_SS_EUlSR_E_NS1_11comp_targetILNS1_3genE5ELNS1_11target_archE942ELNS1_3gpuE9ELNS1_3repE0EEENS1_30default_config_static_selectorELNS0_4arch9wavefront6targetE1EEEvT1_
		.amdhsa_group_segment_fixed_size 30720
		.amdhsa_private_segment_fixed_size 120
		.amdhsa_kernarg_size 360
		.amdhsa_user_sgpr_count 2
		.amdhsa_user_sgpr_dispatch_ptr 0
		.amdhsa_user_sgpr_queue_ptr 0
		.amdhsa_user_sgpr_kernarg_segment_ptr 1
		.amdhsa_user_sgpr_dispatch_id 0
		.amdhsa_user_sgpr_kernarg_preload_length 0
		.amdhsa_user_sgpr_kernarg_preload_offset 0
		.amdhsa_user_sgpr_private_segment_size 0
		.amdhsa_uses_dynamic_stack 0
		.amdhsa_enable_private_segment 1
		.amdhsa_system_sgpr_workgroup_id_x 1
		.amdhsa_system_sgpr_workgroup_id_y 0
		.amdhsa_system_sgpr_workgroup_id_z 0
		.amdhsa_system_sgpr_workgroup_info 0
		.amdhsa_system_vgpr_workitem_id 0
		.amdhsa_next_free_vgpr 248
		.amdhsa_next_free_sgpr 78
		.amdhsa_accum_offset 248
		.amdhsa_reserve_vcc 1
		.amdhsa_float_round_mode_32 0
		.amdhsa_float_round_mode_16_64 0
		.amdhsa_float_denorm_mode_32 3
		.amdhsa_float_denorm_mode_16_64 3
		.amdhsa_dx10_clamp 1
		.amdhsa_ieee_mode 1
		.amdhsa_fp16_overflow 0
		.amdhsa_tg_split 0
		.amdhsa_exception_fp_ieee_invalid_op 0
		.amdhsa_exception_fp_denorm_src 0
		.amdhsa_exception_fp_ieee_div_zero 0
		.amdhsa_exception_fp_ieee_overflow 0
		.amdhsa_exception_fp_ieee_underflow 0
		.amdhsa_exception_fp_ieee_inexact 0
		.amdhsa_exception_int_div_zero 0
	.end_amdhsa_kernel
	.section	.text._ZN7rocprim17ROCPRIM_400000_NS6detail17trampoline_kernelINS0_14default_configENS1_20scan_config_selectorIdEEZZNS1_9scan_implILNS1_25lookback_scan_determinismE0ELb0ELb0ES3_PKdPddZZZN2at6native31launch_logcumsumexp_cuda_kernelERKNSB_10TensorBaseESF_lENKUlvE_clEvENKUlvE_clEvEUlddE_dEEDaPvRmT3_T4_T5_mT6_P12ihipStream_tbENKUlT_T0_E_clISt17integral_constantIbLb0EESV_IbLb1EEEEDaSR_SS_EUlSR_E_NS1_11comp_targetILNS1_3genE5ELNS1_11target_archE942ELNS1_3gpuE9ELNS1_3repE0EEENS1_30default_config_static_selectorELNS0_4arch9wavefront6targetE1EEEvT1_,"axG",@progbits,_ZN7rocprim17ROCPRIM_400000_NS6detail17trampoline_kernelINS0_14default_configENS1_20scan_config_selectorIdEEZZNS1_9scan_implILNS1_25lookback_scan_determinismE0ELb0ELb0ES3_PKdPddZZZN2at6native31launch_logcumsumexp_cuda_kernelERKNSB_10TensorBaseESF_lENKUlvE_clEvENKUlvE_clEvEUlddE_dEEDaPvRmT3_T4_T5_mT6_P12ihipStream_tbENKUlT_T0_E_clISt17integral_constantIbLb0EESV_IbLb1EEEEDaSR_SS_EUlSR_E_NS1_11comp_targetILNS1_3genE5ELNS1_11target_archE942ELNS1_3gpuE9ELNS1_3repE0EEENS1_30default_config_static_selectorELNS0_4arch9wavefront6targetE1EEEvT1_,comdat
.Lfunc_end71:
	.size	_ZN7rocprim17ROCPRIM_400000_NS6detail17trampoline_kernelINS0_14default_configENS1_20scan_config_selectorIdEEZZNS1_9scan_implILNS1_25lookback_scan_determinismE0ELb0ELb0ES3_PKdPddZZZN2at6native31launch_logcumsumexp_cuda_kernelERKNSB_10TensorBaseESF_lENKUlvE_clEvENKUlvE_clEvEUlddE_dEEDaPvRmT3_T4_T5_mT6_P12ihipStream_tbENKUlT_T0_E_clISt17integral_constantIbLb0EESV_IbLb1EEEEDaSR_SS_EUlSR_E_NS1_11comp_targetILNS1_3genE5ELNS1_11target_archE942ELNS1_3gpuE9ELNS1_3repE0EEENS1_30default_config_static_selectorELNS0_4arch9wavefront6targetE1EEEvT1_, .Lfunc_end71-_ZN7rocprim17ROCPRIM_400000_NS6detail17trampoline_kernelINS0_14default_configENS1_20scan_config_selectorIdEEZZNS1_9scan_implILNS1_25lookback_scan_determinismE0ELb0ELb0ES3_PKdPddZZZN2at6native31launch_logcumsumexp_cuda_kernelERKNSB_10TensorBaseESF_lENKUlvE_clEvENKUlvE_clEvEUlddE_dEEDaPvRmT3_T4_T5_mT6_P12ihipStream_tbENKUlT_T0_E_clISt17integral_constantIbLb0EESV_IbLb1EEEEDaSR_SS_EUlSR_E_NS1_11comp_targetILNS1_3genE5ELNS1_11target_archE942ELNS1_3gpuE9ELNS1_3repE0EEENS1_30default_config_static_selectorELNS0_4arch9wavefront6targetE1EEEvT1_
                                        ; -- End function
	.section	.AMDGPU.csdata,"",@progbits
; Kernel info:
; codeLenInByte = 216
; NumSgprs: 84
; NumVgprs: 248
; NumAgprs: 0
; TotalNumVgprs: 248
; ScratchSize: 120
; MemoryBound: 0
; FloatMode: 240
; IeeeMode: 1
; LDSByteSize: 30720 bytes/workgroup (compile time only)
; SGPRBlocks: 10
; VGPRBlocks: 30
; NumSGPRsForWavesPerEU: 84
; NumVGPRsForWavesPerEU: 248
; AccumOffset: 248
; Occupancy: 2
; WaveLimiterHint : 1
; COMPUTE_PGM_RSRC2:SCRATCH_EN: 1
; COMPUTE_PGM_RSRC2:USER_SGPR: 2
; COMPUTE_PGM_RSRC2:TRAP_HANDLER: 0
; COMPUTE_PGM_RSRC2:TGID_X_EN: 1
; COMPUTE_PGM_RSRC2:TGID_Y_EN: 0
; COMPUTE_PGM_RSRC2:TGID_Z_EN: 0
; COMPUTE_PGM_RSRC2:TIDIG_COMP_CNT: 0
; COMPUTE_PGM_RSRC3_GFX90A:ACCUM_OFFSET: 61
; COMPUTE_PGM_RSRC3_GFX90A:TG_SPLIT: 0
	.section	.text._ZN7rocprim17ROCPRIM_400000_NS6detail17trampoline_kernelINS0_14default_configENS1_20scan_config_selectorIdEEZZNS1_9scan_implILNS1_25lookback_scan_determinismE0ELb0ELb0ES3_PKdPddZZZN2at6native31launch_logcumsumexp_cuda_kernelERKNSB_10TensorBaseESF_lENKUlvE_clEvENKUlvE_clEvEUlddE_dEEDaPvRmT3_T4_T5_mT6_P12ihipStream_tbENKUlT_T0_E_clISt17integral_constantIbLb0EESV_IbLb1EEEEDaSR_SS_EUlSR_E_NS1_11comp_targetILNS1_3genE4ELNS1_11target_archE910ELNS1_3gpuE8ELNS1_3repE0EEENS1_30default_config_static_selectorELNS0_4arch9wavefront6targetE1EEEvT1_,"axG",@progbits,_ZN7rocprim17ROCPRIM_400000_NS6detail17trampoline_kernelINS0_14default_configENS1_20scan_config_selectorIdEEZZNS1_9scan_implILNS1_25lookback_scan_determinismE0ELb0ELb0ES3_PKdPddZZZN2at6native31launch_logcumsumexp_cuda_kernelERKNSB_10TensorBaseESF_lENKUlvE_clEvENKUlvE_clEvEUlddE_dEEDaPvRmT3_T4_T5_mT6_P12ihipStream_tbENKUlT_T0_E_clISt17integral_constantIbLb0EESV_IbLb1EEEEDaSR_SS_EUlSR_E_NS1_11comp_targetILNS1_3genE4ELNS1_11target_archE910ELNS1_3gpuE8ELNS1_3repE0EEENS1_30default_config_static_selectorELNS0_4arch9wavefront6targetE1EEEvT1_,comdat
	.globl	_ZN7rocprim17ROCPRIM_400000_NS6detail17trampoline_kernelINS0_14default_configENS1_20scan_config_selectorIdEEZZNS1_9scan_implILNS1_25lookback_scan_determinismE0ELb0ELb0ES3_PKdPddZZZN2at6native31launch_logcumsumexp_cuda_kernelERKNSB_10TensorBaseESF_lENKUlvE_clEvENKUlvE_clEvEUlddE_dEEDaPvRmT3_T4_T5_mT6_P12ihipStream_tbENKUlT_T0_E_clISt17integral_constantIbLb0EESV_IbLb1EEEEDaSR_SS_EUlSR_E_NS1_11comp_targetILNS1_3genE4ELNS1_11target_archE910ELNS1_3gpuE8ELNS1_3repE0EEENS1_30default_config_static_selectorELNS0_4arch9wavefront6targetE1EEEvT1_ ; -- Begin function _ZN7rocprim17ROCPRIM_400000_NS6detail17trampoline_kernelINS0_14default_configENS1_20scan_config_selectorIdEEZZNS1_9scan_implILNS1_25lookback_scan_determinismE0ELb0ELb0ES3_PKdPddZZZN2at6native31launch_logcumsumexp_cuda_kernelERKNSB_10TensorBaseESF_lENKUlvE_clEvENKUlvE_clEvEUlddE_dEEDaPvRmT3_T4_T5_mT6_P12ihipStream_tbENKUlT_T0_E_clISt17integral_constantIbLb0EESV_IbLb1EEEEDaSR_SS_EUlSR_E_NS1_11comp_targetILNS1_3genE4ELNS1_11target_archE910ELNS1_3gpuE8ELNS1_3repE0EEENS1_30default_config_static_selectorELNS0_4arch9wavefront6targetE1EEEvT1_
	.p2align	8
	.type	_ZN7rocprim17ROCPRIM_400000_NS6detail17trampoline_kernelINS0_14default_configENS1_20scan_config_selectorIdEEZZNS1_9scan_implILNS1_25lookback_scan_determinismE0ELb0ELb0ES3_PKdPddZZZN2at6native31launch_logcumsumexp_cuda_kernelERKNSB_10TensorBaseESF_lENKUlvE_clEvENKUlvE_clEvEUlddE_dEEDaPvRmT3_T4_T5_mT6_P12ihipStream_tbENKUlT_T0_E_clISt17integral_constantIbLb0EESV_IbLb1EEEEDaSR_SS_EUlSR_E_NS1_11comp_targetILNS1_3genE4ELNS1_11target_archE910ELNS1_3gpuE8ELNS1_3repE0EEENS1_30default_config_static_selectorELNS0_4arch9wavefront6targetE1EEEvT1_,@function
_ZN7rocprim17ROCPRIM_400000_NS6detail17trampoline_kernelINS0_14default_configENS1_20scan_config_selectorIdEEZZNS1_9scan_implILNS1_25lookback_scan_determinismE0ELb0ELb0ES3_PKdPddZZZN2at6native31launch_logcumsumexp_cuda_kernelERKNSB_10TensorBaseESF_lENKUlvE_clEvENKUlvE_clEvEUlddE_dEEDaPvRmT3_T4_T5_mT6_P12ihipStream_tbENKUlT_T0_E_clISt17integral_constantIbLb0EESV_IbLb1EEEEDaSR_SS_EUlSR_E_NS1_11comp_targetILNS1_3genE4ELNS1_11target_archE910ELNS1_3gpuE8ELNS1_3repE0EEENS1_30default_config_static_selectorELNS0_4arch9wavefront6targetE1EEEvT1_: ; @_ZN7rocprim17ROCPRIM_400000_NS6detail17trampoline_kernelINS0_14default_configENS1_20scan_config_selectorIdEEZZNS1_9scan_implILNS1_25lookback_scan_determinismE0ELb0ELb0ES3_PKdPddZZZN2at6native31launch_logcumsumexp_cuda_kernelERKNSB_10TensorBaseESF_lENKUlvE_clEvENKUlvE_clEvEUlddE_dEEDaPvRmT3_T4_T5_mT6_P12ihipStream_tbENKUlT_T0_E_clISt17integral_constantIbLb0EESV_IbLb1EEEEDaSR_SS_EUlSR_E_NS1_11comp_targetILNS1_3genE4ELNS1_11target_archE910ELNS1_3gpuE8ELNS1_3repE0EEENS1_30default_config_static_selectorELNS0_4arch9wavefront6targetE1EEEvT1_
; %bb.0:
	.section	.rodata,"a",@progbits
	.p2align	6, 0x0
	.amdhsa_kernel _ZN7rocprim17ROCPRIM_400000_NS6detail17trampoline_kernelINS0_14default_configENS1_20scan_config_selectorIdEEZZNS1_9scan_implILNS1_25lookback_scan_determinismE0ELb0ELb0ES3_PKdPddZZZN2at6native31launch_logcumsumexp_cuda_kernelERKNSB_10TensorBaseESF_lENKUlvE_clEvENKUlvE_clEvEUlddE_dEEDaPvRmT3_T4_T5_mT6_P12ihipStream_tbENKUlT_T0_E_clISt17integral_constantIbLb0EESV_IbLb1EEEEDaSR_SS_EUlSR_E_NS1_11comp_targetILNS1_3genE4ELNS1_11target_archE910ELNS1_3gpuE8ELNS1_3repE0EEENS1_30default_config_static_selectorELNS0_4arch9wavefront6targetE1EEEvT1_
		.amdhsa_group_segment_fixed_size 0
		.amdhsa_private_segment_fixed_size 0
		.amdhsa_kernarg_size 104
		.amdhsa_user_sgpr_count 2
		.amdhsa_user_sgpr_dispatch_ptr 0
		.amdhsa_user_sgpr_queue_ptr 0
		.amdhsa_user_sgpr_kernarg_segment_ptr 1
		.amdhsa_user_sgpr_dispatch_id 0
		.amdhsa_user_sgpr_kernarg_preload_length 0
		.amdhsa_user_sgpr_kernarg_preload_offset 0
		.amdhsa_user_sgpr_private_segment_size 0
		.amdhsa_uses_dynamic_stack 0
		.amdhsa_enable_private_segment 0
		.amdhsa_system_sgpr_workgroup_id_x 1
		.amdhsa_system_sgpr_workgroup_id_y 0
		.amdhsa_system_sgpr_workgroup_id_z 0
		.amdhsa_system_sgpr_workgroup_info 0
		.amdhsa_system_vgpr_workitem_id 0
		.amdhsa_next_free_vgpr 1
		.amdhsa_next_free_sgpr 0
		.amdhsa_accum_offset 4
		.amdhsa_reserve_vcc 0
		.amdhsa_float_round_mode_32 0
		.amdhsa_float_round_mode_16_64 0
		.amdhsa_float_denorm_mode_32 3
		.amdhsa_float_denorm_mode_16_64 3
		.amdhsa_dx10_clamp 1
		.amdhsa_ieee_mode 1
		.amdhsa_fp16_overflow 0
		.amdhsa_tg_split 0
		.amdhsa_exception_fp_ieee_invalid_op 0
		.amdhsa_exception_fp_denorm_src 0
		.amdhsa_exception_fp_ieee_div_zero 0
		.amdhsa_exception_fp_ieee_overflow 0
		.amdhsa_exception_fp_ieee_underflow 0
		.amdhsa_exception_fp_ieee_inexact 0
		.amdhsa_exception_int_div_zero 0
	.end_amdhsa_kernel
	.section	.text._ZN7rocprim17ROCPRIM_400000_NS6detail17trampoline_kernelINS0_14default_configENS1_20scan_config_selectorIdEEZZNS1_9scan_implILNS1_25lookback_scan_determinismE0ELb0ELb0ES3_PKdPddZZZN2at6native31launch_logcumsumexp_cuda_kernelERKNSB_10TensorBaseESF_lENKUlvE_clEvENKUlvE_clEvEUlddE_dEEDaPvRmT3_T4_T5_mT6_P12ihipStream_tbENKUlT_T0_E_clISt17integral_constantIbLb0EESV_IbLb1EEEEDaSR_SS_EUlSR_E_NS1_11comp_targetILNS1_3genE4ELNS1_11target_archE910ELNS1_3gpuE8ELNS1_3repE0EEENS1_30default_config_static_selectorELNS0_4arch9wavefront6targetE1EEEvT1_,"axG",@progbits,_ZN7rocprim17ROCPRIM_400000_NS6detail17trampoline_kernelINS0_14default_configENS1_20scan_config_selectorIdEEZZNS1_9scan_implILNS1_25lookback_scan_determinismE0ELb0ELb0ES3_PKdPddZZZN2at6native31launch_logcumsumexp_cuda_kernelERKNSB_10TensorBaseESF_lENKUlvE_clEvENKUlvE_clEvEUlddE_dEEDaPvRmT3_T4_T5_mT6_P12ihipStream_tbENKUlT_T0_E_clISt17integral_constantIbLb0EESV_IbLb1EEEEDaSR_SS_EUlSR_E_NS1_11comp_targetILNS1_3genE4ELNS1_11target_archE910ELNS1_3gpuE8ELNS1_3repE0EEENS1_30default_config_static_selectorELNS0_4arch9wavefront6targetE1EEEvT1_,comdat
.Lfunc_end72:
	.size	_ZN7rocprim17ROCPRIM_400000_NS6detail17trampoline_kernelINS0_14default_configENS1_20scan_config_selectorIdEEZZNS1_9scan_implILNS1_25lookback_scan_determinismE0ELb0ELb0ES3_PKdPddZZZN2at6native31launch_logcumsumexp_cuda_kernelERKNSB_10TensorBaseESF_lENKUlvE_clEvENKUlvE_clEvEUlddE_dEEDaPvRmT3_T4_T5_mT6_P12ihipStream_tbENKUlT_T0_E_clISt17integral_constantIbLb0EESV_IbLb1EEEEDaSR_SS_EUlSR_E_NS1_11comp_targetILNS1_3genE4ELNS1_11target_archE910ELNS1_3gpuE8ELNS1_3repE0EEENS1_30default_config_static_selectorELNS0_4arch9wavefront6targetE1EEEvT1_, .Lfunc_end72-_ZN7rocprim17ROCPRIM_400000_NS6detail17trampoline_kernelINS0_14default_configENS1_20scan_config_selectorIdEEZZNS1_9scan_implILNS1_25lookback_scan_determinismE0ELb0ELb0ES3_PKdPddZZZN2at6native31launch_logcumsumexp_cuda_kernelERKNSB_10TensorBaseESF_lENKUlvE_clEvENKUlvE_clEvEUlddE_dEEDaPvRmT3_T4_T5_mT6_P12ihipStream_tbENKUlT_T0_E_clISt17integral_constantIbLb0EESV_IbLb1EEEEDaSR_SS_EUlSR_E_NS1_11comp_targetILNS1_3genE4ELNS1_11target_archE910ELNS1_3gpuE8ELNS1_3repE0EEENS1_30default_config_static_selectorELNS0_4arch9wavefront6targetE1EEEvT1_
                                        ; -- End function
	.section	.AMDGPU.csdata,"",@progbits
; Kernel info:
; codeLenInByte = 0
; NumSgprs: 6
; NumVgprs: 0
; NumAgprs: 0
; TotalNumVgprs: 0
; ScratchSize: 0
; MemoryBound: 0
; FloatMode: 240
; IeeeMode: 1
; LDSByteSize: 0 bytes/workgroup (compile time only)
; SGPRBlocks: 0
; VGPRBlocks: 0
; NumSGPRsForWavesPerEU: 6
; NumVGPRsForWavesPerEU: 1
; AccumOffset: 4
; Occupancy: 8
; WaveLimiterHint : 0
; COMPUTE_PGM_RSRC2:SCRATCH_EN: 0
; COMPUTE_PGM_RSRC2:USER_SGPR: 2
; COMPUTE_PGM_RSRC2:TRAP_HANDLER: 0
; COMPUTE_PGM_RSRC2:TGID_X_EN: 1
; COMPUTE_PGM_RSRC2:TGID_Y_EN: 0
; COMPUTE_PGM_RSRC2:TGID_Z_EN: 0
; COMPUTE_PGM_RSRC2:TIDIG_COMP_CNT: 0
; COMPUTE_PGM_RSRC3_GFX90A:ACCUM_OFFSET: 0
; COMPUTE_PGM_RSRC3_GFX90A:TG_SPLIT: 0
	.section	.text._ZN7rocprim17ROCPRIM_400000_NS6detail17trampoline_kernelINS0_14default_configENS1_20scan_config_selectorIdEEZZNS1_9scan_implILNS1_25lookback_scan_determinismE0ELb0ELb0ES3_PKdPddZZZN2at6native31launch_logcumsumexp_cuda_kernelERKNSB_10TensorBaseESF_lENKUlvE_clEvENKUlvE_clEvEUlddE_dEEDaPvRmT3_T4_T5_mT6_P12ihipStream_tbENKUlT_T0_E_clISt17integral_constantIbLb0EESV_IbLb1EEEEDaSR_SS_EUlSR_E_NS1_11comp_targetILNS1_3genE3ELNS1_11target_archE908ELNS1_3gpuE7ELNS1_3repE0EEENS1_30default_config_static_selectorELNS0_4arch9wavefront6targetE1EEEvT1_,"axG",@progbits,_ZN7rocprim17ROCPRIM_400000_NS6detail17trampoline_kernelINS0_14default_configENS1_20scan_config_selectorIdEEZZNS1_9scan_implILNS1_25lookback_scan_determinismE0ELb0ELb0ES3_PKdPddZZZN2at6native31launch_logcumsumexp_cuda_kernelERKNSB_10TensorBaseESF_lENKUlvE_clEvENKUlvE_clEvEUlddE_dEEDaPvRmT3_T4_T5_mT6_P12ihipStream_tbENKUlT_T0_E_clISt17integral_constantIbLb0EESV_IbLb1EEEEDaSR_SS_EUlSR_E_NS1_11comp_targetILNS1_3genE3ELNS1_11target_archE908ELNS1_3gpuE7ELNS1_3repE0EEENS1_30default_config_static_selectorELNS0_4arch9wavefront6targetE1EEEvT1_,comdat
	.globl	_ZN7rocprim17ROCPRIM_400000_NS6detail17trampoline_kernelINS0_14default_configENS1_20scan_config_selectorIdEEZZNS1_9scan_implILNS1_25lookback_scan_determinismE0ELb0ELb0ES3_PKdPddZZZN2at6native31launch_logcumsumexp_cuda_kernelERKNSB_10TensorBaseESF_lENKUlvE_clEvENKUlvE_clEvEUlddE_dEEDaPvRmT3_T4_T5_mT6_P12ihipStream_tbENKUlT_T0_E_clISt17integral_constantIbLb0EESV_IbLb1EEEEDaSR_SS_EUlSR_E_NS1_11comp_targetILNS1_3genE3ELNS1_11target_archE908ELNS1_3gpuE7ELNS1_3repE0EEENS1_30default_config_static_selectorELNS0_4arch9wavefront6targetE1EEEvT1_ ; -- Begin function _ZN7rocprim17ROCPRIM_400000_NS6detail17trampoline_kernelINS0_14default_configENS1_20scan_config_selectorIdEEZZNS1_9scan_implILNS1_25lookback_scan_determinismE0ELb0ELb0ES3_PKdPddZZZN2at6native31launch_logcumsumexp_cuda_kernelERKNSB_10TensorBaseESF_lENKUlvE_clEvENKUlvE_clEvEUlddE_dEEDaPvRmT3_T4_T5_mT6_P12ihipStream_tbENKUlT_T0_E_clISt17integral_constantIbLb0EESV_IbLb1EEEEDaSR_SS_EUlSR_E_NS1_11comp_targetILNS1_3genE3ELNS1_11target_archE908ELNS1_3gpuE7ELNS1_3repE0EEENS1_30default_config_static_selectorELNS0_4arch9wavefront6targetE1EEEvT1_
	.p2align	8
	.type	_ZN7rocprim17ROCPRIM_400000_NS6detail17trampoline_kernelINS0_14default_configENS1_20scan_config_selectorIdEEZZNS1_9scan_implILNS1_25lookback_scan_determinismE0ELb0ELb0ES3_PKdPddZZZN2at6native31launch_logcumsumexp_cuda_kernelERKNSB_10TensorBaseESF_lENKUlvE_clEvENKUlvE_clEvEUlddE_dEEDaPvRmT3_T4_T5_mT6_P12ihipStream_tbENKUlT_T0_E_clISt17integral_constantIbLb0EESV_IbLb1EEEEDaSR_SS_EUlSR_E_NS1_11comp_targetILNS1_3genE3ELNS1_11target_archE908ELNS1_3gpuE7ELNS1_3repE0EEENS1_30default_config_static_selectorELNS0_4arch9wavefront6targetE1EEEvT1_,@function
_ZN7rocprim17ROCPRIM_400000_NS6detail17trampoline_kernelINS0_14default_configENS1_20scan_config_selectorIdEEZZNS1_9scan_implILNS1_25lookback_scan_determinismE0ELb0ELb0ES3_PKdPddZZZN2at6native31launch_logcumsumexp_cuda_kernelERKNSB_10TensorBaseESF_lENKUlvE_clEvENKUlvE_clEvEUlddE_dEEDaPvRmT3_T4_T5_mT6_P12ihipStream_tbENKUlT_T0_E_clISt17integral_constantIbLb0EESV_IbLb1EEEEDaSR_SS_EUlSR_E_NS1_11comp_targetILNS1_3genE3ELNS1_11target_archE908ELNS1_3gpuE7ELNS1_3repE0EEENS1_30default_config_static_selectorELNS0_4arch9wavefront6targetE1EEEvT1_: ; @_ZN7rocprim17ROCPRIM_400000_NS6detail17trampoline_kernelINS0_14default_configENS1_20scan_config_selectorIdEEZZNS1_9scan_implILNS1_25lookback_scan_determinismE0ELb0ELb0ES3_PKdPddZZZN2at6native31launch_logcumsumexp_cuda_kernelERKNSB_10TensorBaseESF_lENKUlvE_clEvENKUlvE_clEvEUlddE_dEEDaPvRmT3_T4_T5_mT6_P12ihipStream_tbENKUlT_T0_E_clISt17integral_constantIbLb0EESV_IbLb1EEEEDaSR_SS_EUlSR_E_NS1_11comp_targetILNS1_3genE3ELNS1_11target_archE908ELNS1_3gpuE7ELNS1_3repE0EEENS1_30default_config_static_selectorELNS0_4arch9wavefront6targetE1EEEvT1_
; %bb.0:
	.section	.rodata,"a",@progbits
	.p2align	6, 0x0
	.amdhsa_kernel _ZN7rocprim17ROCPRIM_400000_NS6detail17trampoline_kernelINS0_14default_configENS1_20scan_config_selectorIdEEZZNS1_9scan_implILNS1_25lookback_scan_determinismE0ELb0ELb0ES3_PKdPddZZZN2at6native31launch_logcumsumexp_cuda_kernelERKNSB_10TensorBaseESF_lENKUlvE_clEvENKUlvE_clEvEUlddE_dEEDaPvRmT3_T4_T5_mT6_P12ihipStream_tbENKUlT_T0_E_clISt17integral_constantIbLb0EESV_IbLb1EEEEDaSR_SS_EUlSR_E_NS1_11comp_targetILNS1_3genE3ELNS1_11target_archE908ELNS1_3gpuE7ELNS1_3repE0EEENS1_30default_config_static_selectorELNS0_4arch9wavefront6targetE1EEEvT1_
		.amdhsa_group_segment_fixed_size 0
		.amdhsa_private_segment_fixed_size 0
		.amdhsa_kernarg_size 104
		.amdhsa_user_sgpr_count 2
		.amdhsa_user_sgpr_dispatch_ptr 0
		.amdhsa_user_sgpr_queue_ptr 0
		.amdhsa_user_sgpr_kernarg_segment_ptr 1
		.amdhsa_user_sgpr_dispatch_id 0
		.amdhsa_user_sgpr_kernarg_preload_length 0
		.amdhsa_user_sgpr_kernarg_preload_offset 0
		.amdhsa_user_sgpr_private_segment_size 0
		.amdhsa_uses_dynamic_stack 0
		.amdhsa_enable_private_segment 0
		.amdhsa_system_sgpr_workgroup_id_x 1
		.amdhsa_system_sgpr_workgroup_id_y 0
		.amdhsa_system_sgpr_workgroup_id_z 0
		.amdhsa_system_sgpr_workgroup_info 0
		.amdhsa_system_vgpr_workitem_id 0
		.amdhsa_next_free_vgpr 1
		.amdhsa_next_free_sgpr 0
		.amdhsa_accum_offset 4
		.amdhsa_reserve_vcc 0
		.amdhsa_float_round_mode_32 0
		.amdhsa_float_round_mode_16_64 0
		.amdhsa_float_denorm_mode_32 3
		.amdhsa_float_denorm_mode_16_64 3
		.amdhsa_dx10_clamp 1
		.amdhsa_ieee_mode 1
		.amdhsa_fp16_overflow 0
		.amdhsa_tg_split 0
		.amdhsa_exception_fp_ieee_invalid_op 0
		.amdhsa_exception_fp_denorm_src 0
		.amdhsa_exception_fp_ieee_div_zero 0
		.amdhsa_exception_fp_ieee_overflow 0
		.amdhsa_exception_fp_ieee_underflow 0
		.amdhsa_exception_fp_ieee_inexact 0
		.amdhsa_exception_int_div_zero 0
	.end_amdhsa_kernel
	.section	.text._ZN7rocprim17ROCPRIM_400000_NS6detail17trampoline_kernelINS0_14default_configENS1_20scan_config_selectorIdEEZZNS1_9scan_implILNS1_25lookback_scan_determinismE0ELb0ELb0ES3_PKdPddZZZN2at6native31launch_logcumsumexp_cuda_kernelERKNSB_10TensorBaseESF_lENKUlvE_clEvENKUlvE_clEvEUlddE_dEEDaPvRmT3_T4_T5_mT6_P12ihipStream_tbENKUlT_T0_E_clISt17integral_constantIbLb0EESV_IbLb1EEEEDaSR_SS_EUlSR_E_NS1_11comp_targetILNS1_3genE3ELNS1_11target_archE908ELNS1_3gpuE7ELNS1_3repE0EEENS1_30default_config_static_selectorELNS0_4arch9wavefront6targetE1EEEvT1_,"axG",@progbits,_ZN7rocprim17ROCPRIM_400000_NS6detail17trampoline_kernelINS0_14default_configENS1_20scan_config_selectorIdEEZZNS1_9scan_implILNS1_25lookback_scan_determinismE0ELb0ELb0ES3_PKdPddZZZN2at6native31launch_logcumsumexp_cuda_kernelERKNSB_10TensorBaseESF_lENKUlvE_clEvENKUlvE_clEvEUlddE_dEEDaPvRmT3_T4_T5_mT6_P12ihipStream_tbENKUlT_T0_E_clISt17integral_constantIbLb0EESV_IbLb1EEEEDaSR_SS_EUlSR_E_NS1_11comp_targetILNS1_3genE3ELNS1_11target_archE908ELNS1_3gpuE7ELNS1_3repE0EEENS1_30default_config_static_selectorELNS0_4arch9wavefront6targetE1EEEvT1_,comdat
.Lfunc_end73:
	.size	_ZN7rocprim17ROCPRIM_400000_NS6detail17trampoline_kernelINS0_14default_configENS1_20scan_config_selectorIdEEZZNS1_9scan_implILNS1_25lookback_scan_determinismE0ELb0ELb0ES3_PKdPddZZZN2at6native31launch_logcumsumexp_cuda_kernelERKNSB_10TensorBaseESF_lENKUlvE_clEvENKUlvE_clEvEUlddE_dEEDaPvRmT3_T4_T5_mT6_P12ihipStream_tbENKUlT_T0_E_clISt17integral_constantIbLb0EESV_IbLb1EEEEDaSR_SS_EUlSR_E_NS1_11comp_targetILNS1_3genE3ELNS1_11target_archE908ELNS1_3gpuE7ELNS1_3repE0EEENS1_30default_config_static_selectorELNS0_4arch9wavefront6targetE1EEEvT1_, .Lfunc_end73-_ZN7rocprim17ROCPRIM_400000_NS6detail17trampoline_kernelINS0_14default_configENS1_20scan_config_selectorIdEEZZNS1_9scan_implILNS1_25lookback_scan_determinismE0ELb0ELb0ES3_PKdPddZZZN2at6native31launch_logcumsumexp_cuda_kernelERKNSB_10TensorBaseESF_lENKUlvE_clEvENKUlvE_clEvEUlddE_dEEDaPvRmT3_T4_T5_mT6_P12ihipStream_tbENKUlT_T0_E_clISt17integral_constantIbLb0EESV_IbLb1EEEEDaSR_SS_EUlSR_E_NS1_11comp_targetILNS1_3genE3ELNS1_11target_archE908ELNS1_3gpuE7ELNS1_3repE0EEENS1_30default_config_static_selectorELNS0_4arch9wavefront6targetE1EEEvT1_
                                        ; -- End function
	.section	.AMDGPU.csdata,"",@progbits
; Kernel info:
; codeLenInByte = 0
; NumSgprs: 6
; NumVgprs: 0
; NumAgprs: 0
; TotalNumVgprs: 0
; ScratchSize: 0
; MemoryBound: 0
; FloatMode: 240
; IeeeMode: 1
; LDSByteSize: 0 bytes/workgroup (compile time only)
; SGPRBlocks: 0
; VGPRBlocks: 0
; NumSGPRsForWavesPerEU: 6
; NumVGPRsForWavesPerEU: 1
; AccumOffset: 4
; Occupancy: 8
; WaveLimiterHint : 0
; COMPUTE_PGM_RSRC2:SCRATCH_EN: 0
; COMPUTE_PGM_RSRC2:USER_SGPR: 2
; COMPUTE_PGM_RSRC2:TRAP_HANDLER: 0
; COMPUTE_PGM_RSRC2:TGID_X_EN: 1
; COMPUTE_PGM_RSRC2:TGID_Y_EN: 0
; COMPUTE_PGM_RSRC2:TGID_Z_EN: 0
; COMPUTE_PGM_RSRC2:TIDIG_COMP_CNT: 0
; COMPUTE_PGM_RSRC3_GFX90A:ACCUM_OFFSET: 0
; COMPUTE_PGM_RSRC3_GFX90A:TG_SPLIT: 0
	.section	.text._ZN7rocprim17ROCPRIM_400000_NS6detail17trampoline_kernelINS0_14default_configENS1_20scan_config_selectorIdEEZZNS1_9scan_implILNS1_25lookback_scan_determinismE0ELb0ELb0ES3_PKdPddZZZN2at6native31launch_logcumsumexp_cuda_kernelERKNSB_10TensorBaseESF_lENKUlvE_clEvENKUlvE_clEvEUlddE_dEEDaPvRmT3_T4_T5_mT6_P12ihipStream_tbENKUlT_T0_E_clISt17integral_constantIbLb0EESV_IbLb1EEEEDaSR_SS_EUlSR_E_NS1_11comp_targetILNS1_3genE2ELNS1_11target_archE906ELNS1_3gpuE6ELNS1_3repE0EEENS1_30default_config_static_selectorELNS0_4arch9wavefront6targetE1EEEvT1_,"axG",@progbits,_ZN7rocprim17ROCPRIM_400000_NS6detail17trampoline_kernelINS0_14default_configENS1_20scan_config_selectorIdEEZZNS1_9scan_implILNS1_25lookback_scan_determinismE0ELb0ELb0ES3_PKdPddZZZN2at6native31launch_logcumsumexp_cuda_kernelERKNSB_10TensorBaseESF_lENKUlvE_clEvENKUlvE_clEvEUlddE_dEEDaPvRmT3_T4_T5_mT6_P12ihipStream_tbENKUlT_T0_E_clISt17integral_constantIbLb0EESV_IbLb1EEEEDaSR_SS_EUlSR_E_NS1_11comp_targetILNS1_3genE2ELNS1_11target_archE906ELNS1_3gpuE6ELNS1_3repE0EEENS1_30default_config_static_selectorELNS0_4arch9wavefront6targetE1EEEvT1_,comdat
	.globl	_ZN7rocprim17ROCPRIM_400000_NS6detail17trampoline_kernelINS0_14default_configENS1_20scan_config_selectorIdEEZZNS1_9scan_implILNS1_25lookback_scan_determinismE0ELb0ELb0ES3_PKdPddZZZN2at6native31launch_logcumsumexp_cuda_kernelERKNSB_10TensorBaseESF_lENKUlvE_clEvENKUlvE_clEvEUlddE_dEEDaPvRmT3_T4_T5_mT6_P12ihipStream_tbENKUlT_T0_E_clISt17integral_constantIbLb0EESV_IbLb1EEEEDaSR_SS_EUlSR_E_NS1_11comp_targetILNS1_3genE2ELNS1_11target_archE906ELNS1_3gpuE6ELNS1_3repE0EEENS1_30default_config_static_selectorELNS0_4arch9wavefront6targetE1EEEvT1_ ; -- Begin function _ZN7rocprim17ROCPRIM_400000_NS6detail17trampoline_kernelINS0_14default_configENS1_20scan_config_selectorIdEEZZNS1_9scan_implILNS1_25lookback_scan_determinismE0ELb0ELb0ES3_PKdPddZZZN2at6native31launch_logcumsumexp_cuda_kernelERKNSB_10TensorBaseESF_lENKUlvE_clEvENKUlvE_clEvEUlddE_dEEDaPvRmT3_T4_T5_mT6_P12ihipStream_tbENKUlT_T0_E_clISt17integral_constantIbLb0EESV_IbLb1EEEEDaSR_SS_EUlSR_E_NS1_11comp_targetILNS1_3genE2ELNS1_11target_archE906ELNS1_3gpuE6ELNS1_3repE0EEENS1_30default_config_static_selectorELNS0_4arch9wavefront6targetE1EEEvT1_
	.p2align	8
	.type	_ZN7rocprim17ROCPRIM_400000_NS6detail17trampoline_kernelINS0_14default_configENS1_20scan_config_selectorIdEEZZNS1_9scan_implILNS1_25lookback_scan_determinismE0ELb0ELb0ES3_PKdPddZZZN2at6native31launch_logcumsumexp_cuda_kernelERKNSB_10TensorBaseESF_lENKUlvE_clEvENKUlvE_clEvEUlddE_dEEDaPvRmT3_T4_T5_mT6_P12ihipStream_tbENKUlT_T0_E_clISt17integral_constantIbLb0EESV_IbLb1EEEEDaSR_SS_EUlSR_E_NS1_11comp_targetILNS1_3genE2ELNS1_11target_archE906ELNS1_3gpuE6ELNS1_3repE0EEENS1_30default_config_static_selectorELNS0_4arch9wavefront6targetE1EEEvT1_,@function
_ZN7rocprim17ROCPRIM_400000_NS6detail17trampoline_kernelINS0_14default_configENS1_20scan_config_selectorIdEEZZNS1_9scan_implILNS1_25lookback_scan_determinismE0ELb0ELb0ES3_PKdPddZZZN2at6native31launch_logcumsumexp_cuda_kernelERKNSB_10TensorBaseESF_lENKUlvE_clEvENKUlvE_clEvEUlddE_dEEDaPvRmT3_T4_T5_mT6_P12ihipStream_tbENKUlT_T0_E_clISt17integral_constantIbLb0EESV_IbLb1EEEEDaSR_SS_EUlSR_E_NS1_11comp_targetILNS1_3genE2ELNS1_11target_archE906ELNS1_3gpuE6ELNS1_3repE0EEENS1_30default_config_static_selectorELNS0_4arch9wavefront6targetE1EEEvT1_: ; @_ZN7rocprim17ROCPRIM_400000_NS6detail17trampoline_kernelINS0_14default_configENS1_20scan_config_selectorIdEEZZNS1_9scan_implILNS1_25lookback_scan_determinismE0ELb0ELb0ES3_PKdPddZZZN2at6native31launch_logcumsumexp_cuda_kernelERKNSB_10TensorBaseESF_lENKUlvE_clEvENKUlvE_clEvEUlddE_dEEDaPvRmT3_T4_T5_mT6_P12ihipStream_tbENKUlT_T0_E_clISt17integral_constantIbLb0EESV_IbLb1EEEEDaSR_SS_EUlSR_E_NS1_11comp_targetILNS1_3genE2ELNS1_11target_archE906ELNS1_3gpuE6ELNS1_3repE0EEENS1_30default_config_static_selectorELNS0_4arch9wavefront6targetE1EEEvT1_
; %bb.0:
	.section	.rodata,"a",@progbits
	.p2align	6, 0x0
	.amdhsa_kernel _ZN7rocprim17ROCPRIM_400000_NS6detail17trampoline_kernelINS0_14default_configENS1_20scan_config_selectorIdEEZZNS1_9scan_implILNS1_25lookback_scan_determinismE0ELb0ELb0ES3_PKdPddZZZN2at6native31launch_logcumsumexp_cuda_kernelERKNSB_10TensorBaseESF_lENKUlvE_clEvENKUlvE_clEvEUlddE_dEEDaPvRmT3_T4_T5_mT6_P12ihipStream_tbENKUlT_T0_E_clISt17integral_constantIbLb0EESV_IbLb1EEEEDaSR_SS_EUlSR_E_NS1_11comp_targetILNS1_3genE2ELNS1_11target_archE906ELNS1_3gpuE6ELNS1_3repE0EEENS1_30default_config_static_selectorELNS0_4arch9wavefront6targetE1EEEvT1_
		.amdhsa_group_segment_fixed_size 0
		.amdhsa_private_segment_fixed_size 0
		.amdhsa_kernarg_size 104
		.amdhsa_user_sgpr_count 2
		.amdhsa_user_sgpr_dispatch_ptr 0
		.amdhsa_user_sgpr_queue_ptr 0
		.amdhsa_user_sgpr_kernarg_segment_ptr 1
		.amdhsa_user_sgpr_dispatch_id 0
		.amdhsa_user_sgpr_kernarg_preload_length 0
		.amdhsa_user_sgpr_kernarg_preload_offset 0
		.amdhsa_user_sgpr_private_segment_size 0
		.amdhsa_uses_dynamic_stack 0
		.amdhsa_enable_private_segment 0
		.amdhsa_system_sgpr_workgroup_id_x 1
		.amdhsa_system_sgpr_workgroup_id_y 0
		.amdhsa_system_sgpr_workgroup_id_z 0
		.amdhsa_system_sgpr_workgroup_info 0
		.amdhsa_system_vgpr_workitem_id 0
		.amdhsa_next_free_vgpr 1
		.amdhsa_next_free_sgpr 0
		.amdhsa_accum_offset 4
		.amdhsa_reserve_vcc 0
		.amdhsa_float_round_mode_32 0
		.amdhsa_float_round_mode_16_64 0
		.amdhsa_float_denorm_mode_32 3
		.amdhsa_float_denorm_mode_16_64 3
		.amdhsa_dx10_clamp 1
		.amdhsa_ieee_mode 1
		.amdhsa_fp16_overflow 0
		.amdhsa_tg_split 0
		.amdhsa_exception_fp_ieee_invalid_op 0
		.amdhsa_exception_fp_denorm_src 0
		.amdhsa_exception_fp_ieee_div_zero 0
		.amdhsa_exception_fp_ieee_overflow 0
		.amdhsa_exception_fp_ieee_underflow 0
		.amdhsa_exception_fp_ieee_inexact 0
		.amdhsa_exception_int_div_zero 0
	.end_amdhsa_kernel
	.section	.text._ZN7rocprim17ROCPRIM_400000_NS6detail17trampoline_kernelINS0_14default_configENS1_20scan_config_selectorIdEEZZNS1_9scan_implILNS1_25lookback_scan_determinismE0ELb0ELb0ES3_PKdPddZZZN2at6native31launch_logcumsumexp_cuda_kernelERKNSB_10TensorBaseESF_lENKUlvE_clEvENKUlvE_clEvEUlddE_dEEDaPvRmT3_T4_T5_mT6_P12ihipStream_tbENKUlT_T0_E_clISt17integral_constantIbLb0EESV_IbLb1EEEEDaSR_SS_EUlSR_E_NS1_11comp_targetILNS1_3genE2ELNS1_11target_archE906ELNS1_3gpuE6ELNS1_3repE0EEENS1_30default_config_static_selectorELNS0_4arch9wavefront6targetE1EEEvT1_,"axG",@progbits,_ZN7rocprim17ROCPRIM_400000_NS6detail17trampoline_kernelINS0_14default_configENS1_20scan_config_selectorIdEEZZNS1_9scan_implILNS1_25lookback_scan_determinismE0ELb0ELb0ES3_PKdPddZZZN2at6native31launch_logcumsumexp_cuda_kernelERKNSB_10TensorBaseESF_lENKUlvE_clEvENKUlvE_clEvEUlddE_dEEDaPvRmT3_T4_T5_mT6_P12ihipStream_tbENKUlT_T0_E_clISt17integral_constantIbLb0EESV_IbLb1EEEEDaSR_SS_EUlSR_E_NS1_11comp_targetILNS1_3genE2ELNS1_11target_archE906ELNS1_3gpuE6ELNS1_3repE0EEENS1_30default_config_static_selectorELNS0_4arch9wavefront6targetE1EEEvT1_,comdat
.Lfunc_end74:
	.size	_ZN7rocprim17ROCPRIM_400000_NS6detail17trampoline_kernelINS0_14default_configENS1_20scan_config_selectorIdEEZZNS1_9scan_implILNS1_25lookback_scan_determinismE0ELb0ELb0ES3_PKdPddZZZN2at6native31launch_logcumsumexp_cuda_kernelERKNSB_10TensorBaseESF_lENKUlvE_clEvENKUlvE_clEvEUlddE_dEEDaPvRmT3_T4_T5_mT6_P12ihipStream_tbENKUlT_T0_E_clISt17integral_constantIbLb0EESV_IbLb1EEEEDaSR_SS_EUlSR_E_NS1_11comp_targetILNS1_3genE2ELNS1_11target_archE906ELNS1_3gpuE6ELNS1_3repE0EEENS1_30default_config_static_selectorELNS0_4arch9wavefront6targetE1EEEvT1_, .Lfunc_end74-_ZN7rocprim17ROCPRIM_400000_NS6detail17trampoline_kernelINS0_14default_configENS1_20scan_config_selectorIdEEZZNS1_9scan_implILNS1_25lookback_scan_determinismE0ELb0ELb0ES3_PKdPddZZZN2at6native31launch_logcumsumexp_cuda_kernelERKNSB_10TensorBaseESF_lENKUlvE_clEvENKUlvE_clEvEUlddE_dEEDaPvRmT3_T4_T5_mT6_P12ihipStream_tbENKUlT_T0_E_clISt17integral_constantIbLb0EESV_IbLb1EEEEDaSR_SS_EUlSR_E_NS1_11comp_targetILNS1_3genE2ELNS1_11target_archE906ELNS1_3gpuE6ELNS1_3repE0EEENS1_30default_config_static_selectorELNS0_4arch9wavefront6targetE1EEEvT1_
                                        ; -- End function
	.section	.AMDGPU.csdata,"",@progbits
; Kernel info:
; codeLenInByte = 0
; NumSgprs: 6
; NumVgprs: 0
; NumAgprs: 0
; TotalNumVgprs: 0
; ScratchSize: 0
; MemoryBound: 0
; FloatMode: 240
; IeeeMode: 1
; LDSByteSize: 0 bytes/workgroup (compile time only)
; SGPRBlocks: 0
; VGPRBlocks: 0
; NumSGPRsForWavesPerEU: 6
; NumVGPRsForWavesPerEU: 1
; AccumOffset: 4
; Occupancy: 8
; WaveLimiterHint : 0
; COMPUTE_PGM_RSRC2:SCRATCH_EN: 0
; COMPUTE_PGM_RSRC2:USER_SGPR: 2
; COMPUTE_PGM_RSRC2:TRAP_HANDLER: 0
; COMPUTE_PGM_RSRC2:TGID_X_EN: 1
; COMPUTE_PGM_RSRC2:TGID_Y_EN: 0
; COMPUTE_PGM_RSRC2:TGID_Z_EN: 0
; COMPUTE_PGM_RSRC2:TIDIG_COMP_CNT: 0
; COMPUTE_PGM_RSRC3_GFX90A:ACCUM_OFFSET: 0
; COMPUTE_PGM_RSRC3_GFX90A:TG_SPLIT: 0
	.section	.text._ZN7rocprim17ROCPRIM_400000_NS6detail17trampoline_kernelINS0_14default_configENS1_20scan_config_selectorIdEEZZNS1_9scan_implILNS1_25lookback_scan_determinismE0ELb0ELb0ES3_PKdPddZZZN2at6native31launch_logcumsumexp_cuda_kernelERKNSB_10TensorBaseESF_lENKUlvE_clEvENKUlvE_clEvEUlddE_dEEDaPvRmT3_T4_T5_mT6_P12ihipStream_tbENKUlT_T0_E_clISt17integral_constantIbLb0EESV_IbLb1EEEEDaSR_SS_EUlSR_E_NS1_11comp_targetILNS1_3genE10ELNS1_11target_archE1201ELNS1_3gpuE5ELNS1_3repE0EEENS1_30default_config_static_selectorELNS0_4arch9wavefront6targetE1EEEvT1_,"axG",@progbits,_ZN7rocprim17ROCPRIM_400000_NS6detail17trampoline_kernelINS0_14default_configENS1_20scan_config_selectorIdEEZZNS1_9scan_implILNS1_25lookback_scan_determinismE0ELb0ELb0ES3_PKdPddZZZN2at6native31launch_logcumsumexp_cuda_kernelERKNSB_10TensorBaseESF_lENKUlvE_clEvENKUlvE_clEvEUlddE_dEEDaPvRmT3_T4_T5_mT6_P12ihipStream_tbENKUlT_T0_E_clISt17integral_constantIbLb0EESV_IbLb1EEEEDaSR_SS_EUlSR_E_NS1_11comp_targetILNS1_3genE10ELNS1_11target_archE1201ELNS1_3gpuE5ELNS1_3repE0EEENS1_30default_config_static_selectorELNS0_4arch9wavefront6targetE1EEEvT1_,comdat
	.globl	_ZN7rocprim17ROCPRIM_400000_NS6detail17trampoline_kernelINS0_14default_configENS1_20scan_config_selectorIdEEZZNS1_9scan_implILNS1_25lookback_scan_determinismE0ELb0ELb0ES3_PKdPddZZZN2at6native31launch_logcumsumexp_cuda_kernelERKNSB_10TensorBaseESF_lENKUlvE_clEvENKUlvE_clEvEUlddE_dEEDaPvRmT3_T4_T5_mT6_P12ihipStream_tbENKUlT_T0_E_clISt17integral_constantIbLb0EESV_IbLb1EEEEDaSR_SS_EUlSR_E_NS1_11comp_targetILNS1_3genE10ELNS1_11target_archE1201ELNS1_3gpuE5ELNS1_3repE0EEENS1_30default_config_static_selectorELNS0_4arch9wavefront6targetE1EEEvT1_ ; -- Begin function _ZN7rocprim17ROCPRIM_400000_NS6detail17trampoline_kernelINS0_14default_configENS1_20scan_config_selectorIdEEZZNS1_9scan_implILNS1_25lookback_scan_determinismE0ELb0ELb0ES3_PKdPddZZZN2at6native31launch_logcumsumexp_cuda_kernelERKNSB_10TensorBaseESF_lENKUlvE_clEvENKUlvE_clEvEUlddE_dEEDaPvRmT3_T4_T5_mT6_P12ihipStream_tbENKUlT_T0_E_clISt17integral_constantIbLb0EESV_IbLb1EEEEDaSR_SS_EUlSR_E_NS1_11comp_targetILNS1_3genE10ELNS1_11target_archE1201ELNS1_3gpuE5ELNS1_3repE0EEENS1_30default_config_static_selectorELNS0_4arch9wavefront6targetE1EEEvT1_
	.p2align	8
	.type	_ZN7rocprim17ROCPRIM_400000_NS6detail17trampoline_kernelINS0_14default_configENS1_20scan_config_selectorIdEEZZNS1_9scan_implILNS1_25lookback_scan_determinismE0ELb0ELb0ES3_PKdPddZZZN2at6native31launch_logcumsumexp_cuda_kernelERKNSB_10TensorBaseESF_lENKUlvE_clEvENKUlvE_clEvEUlddE_dEEDaPvRmT3_T4_T5_mT6_P12ihipStream_tbENKUlT_T0_E_clISt17integral_constantIbLb0EESV_IbLb1EEEEDaSR_SS_EUlSR_E_NS1_11comp_targetILNS1_3genE10ELNS1_11target_archE1201ELNS1_3gpuE5ELNS1_3repE0EEENS1_30default_config_static_selectorELNS0_4arch9wavefront6targetE1EEEvT1_,@function
_ZN7rocprim17ROCPRIM_400000_NS6detail17trampoline_kernelINS0_14default_configENS1_20scan_config_selectorIdEEZZNS1_9scan_implILNS1_25lookback_scan_determinismE0ELb0ELb0ES3_PKdPddZZZN2at6native31launch_logcumsumexp_cuda_kernelERKNSB_10TensorBaseESF_lENKUlvE_clEvENKUlvE_clEvEUlddE_dEEDaPvRmT3_T4_T5_mT6_P12ihipStream_tbENKUlT_T0_E_clISt17integral_constantIbLb0EESV_IbLb1EEEEDaSR_SS_EUlSR_E_NS1_11comp_targetILNS1_3genE10ELNS1_11target_archE1201ELNS1_3gpuE5ELNS1_3repE0EEENS1_30default_config_static_selectorELNS0_4arch9wavefront6targetE1EEEvT1_: ; @_ZN7rocprim17ROCPRIM_400000_NS6detail17trampoline_kernelINS0_14default_configENS1_20scan_config_selectorIdEEZZNS1_9scan_implILNS1_25lookback_scan_determinismE0ELb0ELb0ES3_PKdPddZZZN2at6native31launch_logcumsumexp_cuda_kernelERKNSB_10TensorBaseESF_lENKUlvE_clEvENKUlvE_clEvEUlddE_dEEDaPvRmT3_T4_T5_mT6_P12ihipStream_tbENKUlT_T0_E_clISt17integral_constantIbLb0EESV_IbLb1EEEEDaSR_SS_EUlSR_E_NS1_11comp_targetILNS1_3genE10ELNS1_11target_archE1201ELNS1_3gpuE5ELNS1_3repE0EEENS1_30default_config_static_selectorELNS0_4arch9wavefront6targetE1EEEvT1_
; %bb.0:
	.section	.rodata,"a",@progbits
	.p2align	6, 0x0
	.amdhsa_kernel _ZN7rocprim17ROCPRIM_400000_NS6detail17trampoline_kernelINS0_14default_configENS1_20scan_config_selectorIdEEZZNS1_9scan_implILNS1_25lookback_scan_determinismE0ELb0ELb0ES3_PKdPddZZZN2at6native31launch_logcumsumexp_cuda_kernelERKNSB_10TensorBaseESF_lENKUlvE_clEvENKUlvE_clEvEUlddE_dEEDaPvRmT3_T4_T5_mT6_P12ihipStream_tbENKUlT_T0_E_clISt17integral_constantIbLb0EESV_IbLb1EEEEDaSR_SS_EUlSR_E_NS1_11comp_targetILNS1_3genE10ELNS1_11target_archE1201ELNS1_3gpuE5ELNS1_3repE0EEENS1_30default_config_static_selectorELNS0_4arch9wavefront6targetE1EEEvT1_
		.amdhsa_group_segment_fixed_size 0
		.amdhsa_private_segment_fixed_size 0
		.amdhsa_kernarg_size 104
		.amdhsa_user_sgpr_count 2
		.amdhsa_user_sgpr_dispatch_ptr 0
		.amdhsa_user_sgpr_queue_ptr 0
		.amdhsa_user_sgpr_kernarg_segment_ptr 1
		.amdhsa_user_sgpr_dispatch_id 0
		.amdhsa_user_sgpr_kernarg_preload_length 0
		.amdhsa_user_sgpr_kernarg_preload_offset 0
		.amdhsa_user_sgpr_private_segment_size 0
		.amdhsa_uses_dynamic_stack 0
		.amdhsa_enable_private_segment 0
		.amdhsa_system_sgpr_workgroup_id_x 1
		.amdhsa_system_sgpr_workgroup_id_y 0
		.amdhsa_system_sgpr_workgroup_id_z 0
		.amdhsa_system_sgpr_workgroup_info 0
		.amdhsa_system_vgpr_workitem_id 0
		.amdhsa_next_free_vgpr 1
		.amdhsa_next_free_sgpr 0
		.amdhsa_accum_offset 4
		.amdhsa_reserve_vcc 0
		.amdhsa_float_round_mode_32 0
		.amdhsa_float_round_mode_16_64 0
		.amdhsa_float_denorm_mode_32 3
		.amdhsa_float_denorm_mode_16_64 3
		.amdhsa_dx10_clamp 1
		.amdhsa_ieee_mode 1
		.amdhsa_fp16_overflow 0
		.amdhsa_tg_split 0
		.amdhsa_exception_fp_ieee_invalid_op 0
		.amdhsa_exception_fp_denorm_src 0
		.amdhsa_exception_fp_ieee_div_zero 0
		.amdhsa_exception_fp_ieee_overflow 0
		.amdhsa_exception_fp_ieee_underflow 0
		.amdhsa_exception_fp_ieee_inexact 0
		.amdhsa_exception_int_div_zero 0
	.end_amdhsa_kernel
	.section	.text._ZN7rocprim17ROCPRIM_400000_NS6detail17trampoline_kernelINS0_14default_configENS1_20scan_config_selectorIdEEZZNS1_9scan_implILNS1_25lookback_scan_determinismE0ELb0ELb0ES3_PKdPddZZZN2at6native31launch_logcumsumexp_cuda_kernelERKNSB_10TensorBaseESF_lENKUlvE_clEvENKUlvE_clEvEUlddE_dEEDaPvRmT3_T4_T5_mT6_P12ihipStream_tbENKUlT_T0_E_clISt17integral_constantIbLb0EESV_IbLb1EEEEDaSR_SS_EUlSR_E_NS1_11comp_targetILNS1_3genE10ELNS1_11target_archE1201ELNS1_3gpuE5ELNS1_3repE0EEENS1_30default_config_static_selectorELNS0_4arch9wavefront6targetE1EEEvT1_,"axG",@progbits,_ZN7rocprim17ROCPRIM_400000_NS6detail17trampoline_kernelINS0_14default_configENS1_20scan_config_selectorIdEEZZNS1_9scan_implILNS1_25lookback_scan_determinismE0ELb0ELb0ES3_PKdPddZZZN2at6native31launch_logcumsumexp_cuda_kernelERKNSB_10TensorBaseESF_lENKUlvE_clEvENKUlvE_clEvEUlddE_dEEDaPvRmT3_T4_T5_mT6_P12ihipStream_tbENKUlT_T0_E_clISt17integral_constantIbLb0EESV_IbLb1EEEEDaSR_SS_EUlSR_E_NS1_11comp_targetILNS1_3genE10ELNS1_11target_archE1201ELNS1_3gpuE5ELNS1_3repE0EEENS1_30default_config_static_selectorELNS0_4arch9wavefront6targetE1EEEvT1_,comdat
.Lfunc_end75:
	.size	_ZN7rocprim17ROCPRIM_400000_NS6detail17trampoline_kernelINS0_14default_configENS1_20scan_config_selectorIdEEZZNS1_9scan_implILNS1_25lookback_scan_determinismE0ELb0ELb0ES3_PKdPddZZZN2at6native31launch_logcumsumexp_cuda_kernelERKNSB_10TensorBaseESF_lENKUlvE_clEvENKUlvE_clEvEUlddE_dEEDaPvRmT3_T4_T5_mT6_P12ihipStream_tbENKUlT_T0_E_clISt17integral_constantIbLb0EESV_IbLb1EEEEDaSR_SS_EUlSR_E_NS1_11comp_targetILNS1_3genE10ELNS1_11target_archE1201ELNS1_3gpuE5ELNS1_3repE0EEENS1_30default_config_static_selectorELNS0_4arch9wavefront6targetE1EEEvT1_, .Lfunc_end75-_ZN7rocprim17ROCPRIM_400000_NS6detail17trampoline_kernelINS0_14default_configENS1_20scan_config_selectorIdEEZZNS1_9scan_implILNS1_25lookback_scan_determinismE0ELb0ELb0ES3_PKdPddZZZN2at6native31launch_logcumsumexp_cuda_kernelERKNSB_10TensorBaseESF_lENKUlvE_clEvENKUlvE_clEvEUlddE_dEEDaPvRmT3_T4_T5_mT6_P12ihipStream_tbENKUlT_T0_E_clISt17integral_constantIbLb0EESV_IbLb1EEEEDaSR_SS_EUlSR_E_NS1_11comp_targetILNS1_3genE10ELNS1_11target_archE1201ELNS1_3gpuE5ELNS1_3repE0EEENS1_30default_config_static_selectorELNS0_4arch9wavefront6targetE1EEEvT1_
                                        ; -- End function
	.section	.AMDGPU.csdata,"",@progbits
; Kernel info:
; codeLenInByte = 0
; NumSgprs: 6
; NumVgprs: 0
; NumAgprs: 0
; TotalNumVgprs: 0
; ScratchSize: 0
; MemoryBound: 0
; FloatMode: 240
; IeeeMode: 1
; LDSByteSize: 0 bytes/workgroup (compile time only)
; SGPRBlocks: 0
; VGPRBlocks: 0
; NumSGPRsForWavesPerEU: 6
; NumVGPRsForWavesPerEU: 1
; AccumOffset: 4
; Occupancy: 8
; WaveLimiterHint : 0
; COMPUTE_PGM_RSRC2:SCRATCH_EN: 0
; COMPUTE_PGM_RSRC2:USER_SGPR: 2
; COMPUTE_PGM_RSRC2:TRAP_HANDLER: 0
; COMPUTE_PGM_RSRC2:TGID_X_EN: 1
; COMPUTE_PGM_RSRC2:TGID_Y_EN: 0
; COMPUTE_PGM_RSRC2:TGID_Z_EN: 0
; COMPUTE_PGM_RSRC2:TIDIG_COMP_CNT: 0
; COMPUTE_PGM_RSRC3_GFX90A:ACCUM_OFFSET: 0
; COMPUTE_PGM_RSRC3_GFX90A:TG_SPLIT: 0
	.section	.text._ZN7rocprim17ROCPRIM_400000_NS6detail17trampoline_kernelINS0_14default_configENS1_20scan_config_selectorIdEEZZNS1_9scan_implILNS1_25lookback_scan_determinismE0ELb0ELb0ES3_PKdPddZZZN2at6native31launch_logcumsumexp_cuda_kernelERKNSB_10TensorBaseESF_lENKUlvE_clEvENKUlvE_clEvEUlddE_dEEDaPvRmT3_T4_T5_mT6_P12ihipStream_tbENKUlT_T0_E_clISt17integral_constantIbLb0EESV_IbLb1EEEEDaSR_SS_EUlSR_E_NS1_11comp_targetILNS1_3genE10ELNS1_11target_archE1200ELNS1_3gpuE4ELNS1_3repE0EEENS1_30default_config_static_selectorELNS0_4arch9wavefront6targetE1EEEvT1_,"axG",@progbits,_ZN7rocprim17ROCPRIM_400000_NS6detail17trampoline_kernelINS0_14default_configENS1_20scan_config_selectorIdEEZZNS1_9scan_implILNS1_25lookback_scan_determinismE0ELb0ELb0ES3_PKdPddZZZN2at6native31launch_logcumsumexp_cuda_kernelERKNSB_10TensorBaseESF_lENKUlvE_clEvENKUlvE_clEvEUlddE_dEEDaPvRmT3_T4_T5_mT6_P12ihipStream_tbENKUlT_T0_E_clISt17integral_constantIbLb0EESV_IbLb1EEEEDaSR_SS_EUlSR_E_NS1_11comp_targetILNS1_3genE10ELNS1_11target_archE1200ELNS1_3gpuE4ELNS1_3repE0EEENS1_30default_config_static_selectorELNS0_4arch9wavefront6targetE1EEEvT1_,comdat
	.globl	_ZN7rocprim17ROCPRIM_400000_NS6detail17trampoline_kernelINS0_14default_configENS1_20scan_config_selectorIdEEZZNS1_9scan_implILNS1_25lookback_scan_determinismE0ELb0ELb0ES3_PKdPddZZZN2at6native31launch_logcumsumexp_cuda_kernelERKNSB_10TensorBaseESF_lENKUlvE_clEvENKUlvE_clEvEUlddE_dEEDaPvRmT3_T4_T5_mT6_P12ihipStream_tbENKUlT_T0_E_clISt17integral_constantIbLb0EESV_IbLb1EEEEDaSR_SS_EUlSR_E_NS1_11comp_targetILNS1_3genE10ELNS1_11target_archE1200ELNS1_3gpuE4ELNS1_3repE0EEENS1_30default_config_static_selectorELNS0_4arch9wavefront6targetE1EEEvT1_ ; -- Begin function _ZN7rocprim17ROCPRIM_400000_NS6detail17trampoline_kernelINS0_14default_configENS1_20scan_config_selectorIdEEZZNS1_9scan_implILNS1_25lookback_scan_determinismE0ELb0ELb0ES3_PKdPddZZZN2at6native31launch_logcumsumexp_cuda_kernelERKNSB_10TensorBaseESF_lENKUlvE_clEvENKUlvE_clEvEUlddE_dEEDaPvRmT3_T4_T5_mT6_P12ihipStream_tbENKUlT_T0_E_clISt17integral_constantIbLb0EESV_IbLb1EEEEDaSR_SS_EUlSR_E_NS1_11comp_targetILNS1_3genE10ELNS1_11target_archE1200ELNS1_3gpuE4ELNS1_3repE0EEENS1_30default_config_static_selectorELNS0_4arch9wavefront6targetE1EEEvT1_
	.p2align	8
	.type	_ZN7rocprim17ROCPRIM_400000_NS6detail17trampoline_kernelINS0_14default_configENS1_20scan_config_selectorIdEEZZNS1_9scan_implILNS1_25lookback_scan_determinismE0ELb0ELb0ES3_PKdPddZZZN2at6native31launch_logcumsumexp_cuda_kernelERKNSB_10TensorBaseESF_lENKUlvE_clEvENKUlvE_clEvEUlddE_dEEDaPvRmT3_T4_T5_mT6_P12ihipStream_tbENKUlT_T0_E_clISt17integral_constantIbLb0EESV_IbLb1EEEEDaSR_SS_EUlSR_E_NS1_11comp_targetILNS1_3genE10ELNS1_11target_archE1200ELNS1_3gpuE4ELNS1_3repE0EEENS1_30default_config_static_selectorELNS0_4arch9wavefront6targetE1EEEvT1_,@function
_ZN7rocprim17ROCPRIM_400000_NS6detail17trampoline_kernelINS0_14default_configENS1_20scan_config_selectorIdEEZZNS1_9scan_implILNS1_25lookback_scan_determinismE0ELb0ELb0ES3_PKdPddZZZN2at6native31launch_logcumsumexp_cuda_kernelERKNSB_10TensorBaseESF_lENKUlvE_clEvENKUlvE_clEvEUlddE_dEEDaPvRmT3_T4_T5_mT6_P12ihipStream_tbENKUlT_T0_E_clISt17integral_constantIbLb0EESV_IbLb1EEEEDaSR_SS_EUlSR_E_NS1_11comp_targetILNS1_3genE10ELNS1_11target_archE1200ELNS1_3gpuE4ELNS1_3repE0EEENS1_30default_config_static_selectorELNS0_4arch9wavefront6targetE1EEEvT1_: ; @_ZN7rocprim17ROCPRIM_400000_NS6detail17trampoline_kernelINS0_14default_configENS1_20scan_config_selectorIdEEZZNS1_9scan_implILNS1_25lookback_scan_determinismE0ELb0ELb0ES3_PKdPddZZZN2at6native31launch_logcumsumexp_cuda_kernelERKNSB_10TensorBaseESF_lENKUlvE_clEvENKUlvE_clEvEUlddE_dEEDaPvRmT3_T4_T5_mT6_P12ihipStream_tbENKUlT_T0_E_clISt17integral_constantIbLb0EESV_IbLb1EEEEDaSR_SS_EUlSR_E_NS1_11comp_targetILNS1_3genE10ELNS1_11target_archE1200ELNS1_3gpuE4ELNS1_3repE0EEENS1_30default_config_static_selectorELNS0_4arch9wavefront6targetE1EEEvT1_
; %bb.0:
	.section	.rodata,"a",@progbits
	.p2align	6, 0x0
	.amdhsa_kernel _ZN7rocprim17ROCPRIM_400000_NS6detail17trampoline_kernelINS0_14default_configENS1_20scan_config_selectorIdEEZZNS1_9scan_implILNS1_25lookback_scan_determinismE0ELb0ELb0ES3_PKdPddZZZN2at6native31launch_logcumsumexp_cuda_kernelERKNSB_10TensorBaseESF_lENKUlvE_clEvENKUlvE_clEvEUlddE_dEEDaPvRmT3_T4_T5_mT6_P12ihipStream_tbENKUlT_T0_E_clISt17integral_constantIbLb0EESV_IbLb1EEEEDaSR_SS_EUlSR_E_NS1_11comp_targetILNS1_3genE10ELNS1_11target_archE1200ELNS1_3gpuE4ELNS1_3repE0EEENS1_30default_config_static_selectorELNS0_4arch9wavefront6targetE1EEEvT1_
		.amdhsa_group_segment_fixed_size 0
		.amdhsa_private_segment_fixed_size 0
		.amdhsa_kernarg_size 104
		.amdhsa_user_sgpr_count 2
		.amdhsa_user_sgpr_dispatch_ptr 0
		.amdhsa_user_sgpr_queue_ptr 0
		.amdhsa_user_sgpr_kernarg_segment_ptr 1
		.amdhsa_user_sgpr_dispatch_id 0
		.amdhsa_user_sgpr_kernarg_preload_length 0
		.amdhsa_user_sgpr_kernarg_preload_offset 0
		.amdhsa_user_sgpr_private_segment_size 0
		.amdhsa_uses_dynamic_stack 0
		.amdhsa_enable_private_segment 0
		.amdhsa_system_sgpr_workgroup_id_x 1
		.amdhsa_system_sgpr_workgroup_id_y 0
		.amdhsa_system_sgpr_workgroup_id_z 0
		.amdhsa_system_sgpr_workgroup_info 0
		.amdhsa_system_vgpr_workitem_id 0
		.amdhsa_next_free_vgpr 1
		.amdhsa_next_free_sgpr 0
		.amdhsa_accum_offset 4
		.amdhsa_reserve_vcc 0
		.amdhsa_float_round_mode_32 0
		.amdhsa_float_round_mode_16_64 0
		.amdhsa_float_denorm_mode_32 3
		.amdhsa_float_denorm_mode_16_64 3
		.amdhsa_dx10_clamp 1
		.amdhsa_ieee_mode 1
		.amdhsa_fp16_overflow 0
		.amdhsa_tg_split 0
		.amdhsa_exception_fp_ieee_invalid_op 0
		.amdhsa_exception_fp_denorm_src 0
		.amdhsa_exception_fp_ieee_div_zero 0
		.amdhsa_exception_fp_ieee_overflow 0
		.amdhsa_exception_fp_ieee_underflow 0
		.amdhsa_exception_fp_ieee_inexact 0
		.amdhsa_exception_int_div_zero 0
	.end_amdhsa_kernel
	.section	.text._ZN7rocprim17ROCPRIM_400000_NS6detail17trampoline_kernelINS0_14default_configENS1_20scan_config_selectorIdEEZZNS1_9scan_implILNS1_25lookback_scan_determinismE0ELb0ELb0ES3_PKdPddZZZN2at6native31launch_logcumsumexp_cuda_kernelERKNSB_10TensorBaseESF_lENKUlvE_clEvENKUlvE_clEvEUlddE_dEEDaPvRmT3_T4_T5_mT6_P12ihipStream_tbENKUlT_T0_E_clISt17integral_constantIbLb0EESV_IbLb1EEEEDaSR_SS_EUlSR_E_NS1_11comp_targetILNS1_3genE10ELNS1_11target_archE1200ELNS1_3gpuE4ELNS1_3repE0EEENS1_30default_config_static_selectorELNS0_4arch9wavefront6targetE1EEEvT1_,"axG",@progbits,_ZN7rocprim17ROCPRIM_400000_NS6detail17trampoline_kernelINS0_14default_configENS1_20scan_config_selectorIdEEZZNS1_9scan_implILNS1_25lookback_scan_determinismE0ELb0ELb0ES3_PKdPddZZZN2at6native31launch_logcumsumexp_cuda_kernelERKNSB_10TensorBaseESF_lENKUlvE_clEvENKUlvE_clEvEUlddE_dEEDaPvRmT3_T4_T5_mT6_P12ihipStream_tbENKUlT_T0_E_clISt17integral_constantIbLb0EESV_IbLb1EEEEDaSR_SS_EUlSR_E_NS1_11comp_targetILNS1_3genE10ELNS1_11target_archE1200ELNS1_3gpuE4ELNS1_3repE0EEENS1_30default_config_static_selectorELNS0_4arch9wavefront6targetE1EEEvT1_,comdat
.Lfunc_end76:
	.size	_ZN7rocprim17ROCPRIM_400000_NS6detail17trampoline_kernelINS0_14default_configENS1_20scan_config_selectorIdEEZZNS1_9scan_implILNS1_25lookback_scan_determinismE0ELb0ELb0ES3_PKdPddZZZN2at6native31launch_logcumsumexp_cuda_kernelERKNSB_10TensorBaseESF_lENKUlvE_clEvENKUlvE_clEvEUlddE_dEEDaPvRmT3_T4_T5_mT6_P12ihipStream_tbENKUlT_T0_E_clISt17integral_constantIbLb0EESV_IbLb1EEEEDaSR_SS_EUlSR_E_NS1_11comp_targetILNS1_3genE10ELNS1_11target_archE1200ELNS1_3gpuE4ELNS1_3repE0EEENS1_30default_config_static_selectorELNS0_4arch9wavefront6targetE1EEEvT1_, .Lfunc_end76-_ZN7rocprim17ROCPRIM_400000_NS6detail17trampoline_kernelINS0_14default_configENS1_20scan_config_selectorIdEEZZNS1_9scan_implILNS1_25lookback_scan_determinismE0ELb0ELb0ES3_PKdPddZZZN2at6native31launch_logcumsumexp_cuda_kernelERKNSB_10TensorBaseESF_lENKUlvE_clEvENKUlvE_clEvEUlddE_dEEDaPvRmT3_T4_T5_mT6_P12ihipStream_tbENKUlT_T0_E_clISt17integral_constantIbLb0EESV_IbLb1EEEEDaSR_SS_EUlSR_E_NS1_11comp_targetILNS1_3genE10ELNS1_11target_archE1200ELNS1_3gpuE4ELNS1_3repE0EEENS1_30default_config_static_selectorELNS0_4arch9wavefront6targetE1EEEvT1_
                                        ; -- End function
	.section	.AMDGPU.csdata,"",@progbits
; Kernel info:
; codeLenInByte = 0
; NumSgprs: 6
; NumVgprs: 0
; NumAgprs: 0
; TotalNumVgprs: 0
; ScratchSize: 0
; MemoryBound: 0
; FloatMode: 240
; IeeeMode: 1
; LDSByteSize: 0 bytes/workgroup (compile time only)
; SGPRBlocks: 0
; VGPRBlocks: 0
; NumSGPRsForWavesPerEU: 6
; NumVGPRsForWavesPerEU: 1
; AccumOffset: 4
; Occupancy: 8
; WaveLimiterHint : 0
; COMPUTE_PGM_RSRC2:SCRATCH_EN: 0
; COMPUTE_PGM_RSRC2:USER_SGPR: 2
; COMPUTE_PGM_RSRC2:TRAP_HANDLER: 0
; COMPUTE_PGM_RSRC2:TGID_X_EN: 1
; COMPUTE_PGM_RSRC2:TGID_Y_EN: 0
; COMPUTE_PGM_RSRC2:TGID_Z_EN: 0
; COMPUTE_PGM_RSRC2:TIDIG_COMP_CNT: 0
; COMPUTE_PGM_RSRC3_GFX90A:ACCUM_OFFSET: 0
; COMPUTE_PGM_RSRC3_GFX90A:TG_SPLIT: 0
	.section	.text._ZN7rocprim17ROCPRIM_400000_NS6detail17trampoline_kernelINS0_14default_configENS1_20scan_config_selectorIdEEZZNS1_9scan_implILNS1_25lookback_scan_determinismE0ELb0ELb0ES3_PKdPddZZZN2at6native31launch_logcumsumexp_cuda_kernelERKNSB_10TensorBaseESF_lENKUlvE_clEvENKUlvE_clEvEUlddE_dEEDaPvRmT3_T4_T5_mT6_P12ihipStream_tbENKUlT_T0_E_clISt17integral_constantIbLb0EESV_IbLb1EEEEDaSR_SS_EUlSR_E_NS1_11comp_targetILNS1_3genE9ELNS1_11target_archE1100ELNS1_3gpuE3ELNS1_3repE0EEENS1_30default_config_static_selectorELNS0_4arch9wavefront6targetE1EEEvT1_,"axG",@progbits,_ZN7rocprim17ROCPRIM_400000_NS6detail17trampoline_kernelINS0_14default_configENS1_20scan_config_selectorIdEEZZNS1_9scan_implILNS1_25lookback_scan_determinismE0ELb0ELb0ES3_PKdPddZZZN2at6native31launch_logcumsumexp_cuda_kernelERKNSB_10TensorBaseESF_lENKUlvE_clEvENKUlvE_clEvEUlddE_dEEDaPvRmT3_T4_T5_mT6_P12ihipStream_tbENKUlT_T0_E_clISt17integral_constantIbLb0EESV_IbLb1EEEEDaSR_SS_EUlSR_E_NS1_11comp_targetILNS1_3genE9ELNS1_11target_archE1100ELNS1_3gpuE3ELNS1_3repE0EEENS1_30default_config_static_selectorELNS0_4arch9wavefront6targetE1EEEvT1_,comdat
	.globl	_ZN7rocprim17ROCPRIM_400000_NS6detail17trampoline_kernelINS0_14default_configENS1_20scan_config_selectorIdEEZZNS1_9scan_implILNS1_25lookback_scan_determinismE0ELb0ELb0ES3_PKdPddZZZN2at6native31launch_logcumsumexp_cuda_kernelERKNSB_10TensorBaseESF_lENKUlvE_clEvENKUlvE_clEvEUlddE_dEEDaPvRmT3_T4_T5_mT6_P12ihipStream_tbENKUlT_T0_E_clISt17integral_constantIbLb0EESV_IbLb1EEEEDaSR_SS_EUlSR_E_NS1_11comp_targetILNS1_3genE9ELNS1_11target_archE1100ELNS1_3gpuE3ELNS1_3repE0EEENS1_30default_config_static_selectorELNS0_4arch9wavefront6targetE1EEEvT1_ ; -- Begin function _ZN7rocprim17ROCPRIM_400000_NS6detail17trampoline_kernelINS0_14default_configENS1_20scan_config_selectorIdEEZZNS1_9scan_implILNS1_25lookback_scan_determinismE0ELb0ELb0ES3_PKdPddZZZN2at6native31launch_logcumsumexp_cuda_kernelERKNSB_10TensorBaseESF_lENKUlvE_clEvENKUlvE_clEvEUlddE_dEEDaPvRmT3_T4_T5_mT6_P12ihipStream_tbENKUlT_T0_E_clISt17integral_constantIbLb0EESV_IbLb1EEEEDaSR_SS_EUlSR_E_NS1_11comp_targetILNS1_3genE9ELNS1_11target_archE1100ELNS1_3gpuE3ELNS1_3repE0EEENS1_30default_config_static_selectorELNS0_4arch9wavefront6targetE1EEEvT1_
	.p2align	8
	.type	_ZN7rocprim17ROCPRIM_400000_NS6detail17trampoline_kernelINS0_14default_configENS1_20scan_config_selectorIdEEZZNS1_9scan_implILNS1_25lookback_scan_determinismE0ELb0ELb0ES3_PKdPddZZZN2at6native31launch_logcumsumexp_cuda_kernelERKNSB_10TensorBaseESF_lENKUlvE_clEvENKUlvE_clEvEUlddE_dEEDaPvRmT3_T4_T5_mT6_P12ihipStream_tbENKUlT_T0_E_clISt17integral_constantIbLb0EESV_IbLb1EEEEDaSR_SS_EUlSR_E_NS1_11comp_targetILNS1_3genE9ELNS1_11target_archE1100ELNS1_3gpuE3ELNS1_3repE0EEENS1_30default_config_static_selectorELNS0_4arch9wavefront6targetE1EEEvT1_,@function
_ZN7rocprim17ROCPRIM_400000_NS6detail17trampoline_kernelINS0_14default_configENS1_20scan_config_selectorIdEEZZNS1_9scan_implILNS1_25lookback_scan_determinismE0ELb0ELb0ES3_PKdPddZZZN2at6native31launch_logcumsumexp_cuda_kernelERKNSB_10TensorBaseESF_lENKUlvE_clEvENKUlvE_clEvEUlddE_dEEDaPvRmT3_T4_T5_mT6_P12ihipStream_tbENKUlT_T0_E_clISt17integral_constantIbLb0EESV_IbLb1EEEEDaSR_SS_EUlSR_E_NS1_11comp_targetILNS1_3genE9ELNS1_11target_archE1100ELNS1_3gpuE3ELNS1_3repE0EEENS1_30default_config_static_selectorELNS0_4arch9wavefront6targetE1EEEvT1_: ; @_ZN7rocprim17ROCPRIM_400000_NS6detail17trampoline_kernelINS0_14default_configENS1_20scan_config_selectorIdEEZZNS1_9scan_implILNS1_25lookback_scan_determinismE0ELb0ELb0ES3_PKdPddZZZN2at6native31launch_logcumsumexp_cuda_kernelERKNSB_10TensorBaseESF_lENKUlvE_clEvENKUlvE_clEvEUlddE_dEEDaPvRmT3_T4_T5_mT6_P12ihipStream_tbENKUlT_T0_E_clISt17integral_constantIbLb0EESV_IbLb1EEEEDaSR_SS_EUlSR_E_NS1_11comp_targetILNS1_3genE9ELNS1_11target_archE1100ELNS1_3gpuE3ELNS1_3repE0EEENS1_30default_config_static_selectorELNS0_4arch9wavefront6targetE1EEEvT1_
; %bb.0:
	.section	.rodata,"a",@progbits
	.p2align	6, 0x0
	.amdhsa_kernel _ZN7rocprim17ROCPRIM_400000_NS6detail17trampoline_kernelINS0_14default_configENS1_20scan_config_selectorIdEEZZNS1_9scan_implILNS1_25lookback_scan_determinismE0ELb0ELb0ES3_PKdPddZZZN2at6native31launch_logcumsumexp_cuda_kernelERKNSB_10TensorBaseESF_lENKUlvE_clEvENKUlvE_clEvEUlddE_dEEDaPvRmT3_T4_T5_mT6_P12ihipStream_tbENKUlT_T0_E_clISt17integral_constantIbLb0EESV_IbLb1EEEEDaSR_SS_EUlSR_E_NS1_11comp_targetILNS1_3genE9ELNS1_11target_archE1100ELNS1_3gpuE3ELNS1_3repE0EEENS1_30default_config_static_selectorELNS0_4arch9wavefront6targetE1EEEvT1_
		.amdhsa_group_segment_fixed_size 0
		.amdhsa_private_segment_fixed_size 0
		.amdhsa_kernarg_size 104
		.amdhsa_user_sgpr_count 2
		.amdhsa_user_sgpr_dispatch_ptr 0
		.amdhsa_user_sgpr_queue_ptr 0
		.amdhsa_user_sgpr_kernarg_segment_ptr 1
		.amdhsa_user_sgpr_dispatch_id 0
		.amdhsa_user_sgpr_kernarg_preload_length 0
		.amdhsa_user_sgpr_kernarg_preload_offset 0
		.amdhsa_user_sgpr_private_segment_size 0
		.amdhsa_uses_dynamic_stack 0
		.amdhsa_enable_private_segment 0
		.amdhsa_system_sgpr_workgroup_id_x 1
		.amdhsa_system_sgpr_workgroup_id_y 0
		.amdhsa_system_sgpr_workgroup_id_z 0
		.amdhsa_system_sgpr_workgroup_info 0
		.amdhsa_system_vgpr_workitem_id 0
		.amdhsa_next_free_vgpr 1
		.amdhsa_next_free_sgpr 0
		.amdhsa_accum_offset 4
		.amdhsa_reserve_vcc 0
		.amdhsa_float_round_mode_32 0
		.amdhsa_float_round_mode_16_64 0
		.amdhsa_float_denorm_mode_32 3
		.amdhsa_float_denorm_mode_16_64 3
		.amdhsa_dx10_clamp 1
		.amdhsa_ieee_mode 1
		.amdhsa_fp16_overflow 0
		.amdhsa_tg_split 0
		.amdhsa_exception_fp_ieee_invalid_op 0
		.amdhsa_exception_fp_denorm_src 0
		.amdhsa_exception_fp_ieee_div_zero 0
		.amdhsa_exception_fp_ieee_overflow 0
		.amdhsa_exception_fp_ieee_underflow 0
		.amdhsa_exception_fp_ieee_inexact 0
		.amdhsa_exception_int_div_zero 0
	.end_amdhsa_kernel
	.section	.text._ZN7rocprim17ROCPRIM_400000_NS6detail17trampoline_kernelINS0_14default_configENS1_20scan_config_selectorIdEEZZNS1_9scan_implILNS1_25lookback_scan_determinismE0ELb0ELb0ES3_PKdPddZZZN2at6native31launch_logcumsumexp_cuda_kernelERKNSB_10TensorBaseESF_lENKUlvE_clEvENKUlvE_clEvEUlddE_dEEDaPvRmT3_T4_T5_mT6_P12ihipStream_tbENKUlT_T0_E_clISt17integral_constantIbLb0EESV_IbLb1EEEEDaSR_SS_EUlSR_E_NS1_11comp_targetILNS1_3genE9ELNS1_11target_archE1100ELNS1_3gpuE3ELNS1_3repE0EEENS1_30default_config_static_selectorELNS0_4arch9wavefront6targetE1EEEvT1_,"axG",@progbits,_ZN7rocprim17ROCPRIM_400000_NS6detail17trampoline_kernelINS0_14default_configENS1_20scan_config_selectorIdEEZZNS1_9scan_implILNS1_25lookback_scan_determinismE0ELb0ELb0ES3_PKdPddZZZN2at6native31launch_logcumsumexp_cuda_kernelERKNSB_10TensorBaseESF_lENKUlvE_clEvENKUlvE_clEvEUlddE_dEEDaPvRmT3_T4_T5_mT6_P12ihipStream_tbENKUlT_T0_E_clISt17integral_constantIbLb0EESV_IbLb1EEEEDaSR_SS_EUlSR_E_NS1_11comp_targetILNS1_3genE9ELNS1_11target_archE1100ELNS1_3gpuE3ELNS1_3repE0EEENS1_30default_config_static_selectorELNS0_4arch9wavefront6targetE1EEEvT1_,comdat
.Lfunc_end77:
	.size	_ZN7rocprim17ROCPRIM_400000_NS6detail17trampoline_kernelINS0_14default_configENS1_20scan_config_selectorIdEEZZNS1_9scan_implILNS1_25lookback_scan_determinismE0ELb0ELb0ES3_PKdPddZZZN2at6native31launch_logcumsumexp_cuda_kernelERKNSB_10TensorBaseESF_lENKUlvE_clEvENKUlvE_clEvEUlddE_dEEDaPvRmT3_T4_T5_mT6_P12ihipStream_tbENKUlT_T0_E_clISt17integral_constantIbLb0EESV_IbLb1EEEEDaSR_SS_EUlSR_E_NS1_11comp_targetILNS1_3genE9ELNS1_11target_archE1100ELNS1_3gpuE3ELNS1_3repE0EEENS1_30default_config_static_selectorELNS0_4arch9wavefront6targetE1EEEvT1_, .Lfunc_end77-_ZN7rocprim17ROCPRIM_400000_NS6detail17trampoline_kernelINS0_14default_configENS1_20scan_config_selectorIdEEZZNS1_9scan_implILNS1_25lookback_scan_determinismE0ELb0ELb0ES3_PKdPddZZZN2at6native31launch_logcumsumexp_cuda_kernelERKNSB_10TensorBaseESF_lENKUlvE_clEvENKUlvE_clEvEUlddE_dEEDaPvRmT3_T4_T5_mT6_P12ihipStream_tbENKUlT_T0_E_clISt17integral_constantIbLb0EESV_IbLb1EEEEDaSR_SS_EUlSR_E_NS1_11comp_targetILNS1_3genE9ELNS1_11target_archE1100ELNS1_3gpuE3ELNS1_3repE0EEENS1_30default_config_static_selectorELNS0_4arch9wavefront6targetE1EEEvT1_
                                        ; -- End function
	.section	.AMDGPU.csdata,"",@progbits
; Kernel info:
; codeLenInByte = 0
; NumSgprs: 6
; NumVgprs: 0
; NumAgprs: 0
; TotalNumVgprs: 0
; ScratchSize: 0
; MemoryBound: 0
; FloatMode: 240
; IeeeMode: 1
; LDSByteSize: 0 bytes/workgroup (compile time only)
; SGPRBlocks: 0
; VGPRBlocks: 0
; NumSGPRsForWavesPerEU: 6
; NumVGPRsForWavesPerEU: 1
; AccumOffset: 4
; Occupancy: 8
; WaveLimiterHint : 0
; COMPUTE_PGM_RSRC2:SCRATCH_EN: 0
; COMPUTE_PGM_RSRC2:USER_SGPR: 2
; COMPUTE_PGM_RSRC2:TRAP_HANDLER: 0
; COMPUTE_PGM_RSRC2:TGID_X_EN: 1
; COMPUTE_PGM_RSRC2:TGID_Y_EN: 0
; COMPUTE_PGM_RSRC2:TGID_Z_EN: 0
; COMPUTE_PGM_RSRC2:TIDIG_COMP_CNT: 0
; COMPUTE_PGM_RSRC3_GFX90A:ACCUM_OFFSET: 0
; COMPUTE_PGM_RSRC3_GFX90A:TG_SPLIT: 0
	.section	.text._ZN7rocprim17ROCPRIM_400000_NS6detail17trampoline_kernelINS0_14default_configENS1_20scan_config_selectorIdEEZZNS1_9scan_implILNS1_25lookback_scan_determinismE0ELb0ELb0ES3_PKdPddZZZN2at6native31launch_logcumsumexp_cuda_kernelERKNSB_10TensorBaseESF_lENKUlvE_clEvENKUlvE_clEvEUlddE_dEEDaPvRmT3_T4_T5_mT6_P12ihipStream_tbENKUlT_T0_E_clISt17integral_constantIbLb0EESV_IbLb1EEEEDaSR_SS_EUlSR_E_NS1_11comp_targetILNS1_3genE8ELNS1_11target_archE1030ELNS1_3gpuE2ELNS1_3repE0EEENS1_30default_config_static_selectorELNS0_4arch9wavefront6targetE1EEEvT1_,"axG",@progbits,_ZN7rocprim17ROCPRIM_400000_NS6detail17trampoline_kernelINS0_14default_configENS1_20scan_config_selectorIdEEZZNS1_9scan_implILNS1_25lookback_scan_determinismE0ELb0ELb0ES3_PKdPddZZZN2at6native31launch_logcumsumexp_cuda_kernelERKNSB_10TensorBaseESF_lENKUlvE_clEvENKUlvE_clEvEUlddE_dEEDaPvRmT3_T4_T5_mT6_P12ihipStream_tbENKUlT_T0_E_clISt17integral_constantIbLb0EESV_IbLb1EEEEDaSR_SS_EUlSR_E_NS1_11comp_targetILNS1_3genE8ELNS1_11target_archE1030ELNS1_3gpuE2ELNS1_3repE0EEENS1_30default_config_static_selectorELNS0_4arch9wavefront6targetE1EEEvT1_,comdat
	.globl	_ZN7rocprim17ROCPRIM_400000_NS6detail17trampoline_kernelINS0_14default_configENS1_20scan_config_selectorIdEEZZNS1_9scan_implILNS1_25lookback_scan_determinismE0ELb0ELb0ES3_PKdPddZZZN2at6native31launch_logcumsumexp_cuda_kernelERKNSB_10TensorBaseESF_lENKUlvE_clEvENKUlvE_clEvEUlddE_dEEDaPvRmT3_T4_T5_mT6_P12ihipStream_tbENKUlT_T0_E_clISt17integral_constantIbLb0EESV_IbLb1EEEEDaSR_SS_EUlSR_E_NS1_11comp_targetILNS1_3genE8ELNS1_11target_archE1030ELNS1_3gpuE2ELNS1_3repE0EEENS1_30default_config_static_selectorELNS0_4arch9wavefront6targetE1EEEvT1_ ; -- Begin function _ZN7rocprim17ROCPRIM_400000_NS6detail17trampoline_kernelINS0_14default_configENS1_20scan_config_selectorIdEEZZNS1_9scan_implILNS1_25lookback_scan_determinismE0ELb0ELb0ES3_PKdPddZZZN2at6native31launch_logcumsumexp_cuda_kernelERKNSB_10TensorBaseESF_lENKUlvE_clEvENKUlvE_clEvEUlddE_dEEDaPvRmT3_T4_T5_mT6_P12ihipStream_tbENKUlT_T0_E_clISt17integral_constantIbLb0EESV_IbLb1EEEEDaSR_SS_EUlSR_E_NS1_11comp_targetILNS1_3genE8ELNS1_11target_archE1030ELNS1_3gpuE2ELNS1_3repE0EEENS1_30default_config_static_selectorELNS0_4arch9wavefront6targetE1EEEvT1_
	.p2align	8
	.type	_ZN7rocprim17ROCPRIM_400000_NS6detail17trampoline_kernelINS0_14default_configENS1_20scan_config_selectorIdEEZZNS1_9scan_implILNS1_25lookback_scan_determinismE0ELb0ELb0ES3_PKdPddZZZN2at6native31launch_logcumsumexp_cuda_kernelERKNSB_10TensorBaseESF_lENKUlvE_clEvENKUlvE_clEvEUlddE_dEEDaPvRmT3_T4_T5_mT6_P12ihipStream_tbENKUlT_T0_E_clISt17integral_constantIbLb0EESV_IbLb1EEEEDaSR_SS_EUlSR_E_NS1_11comp_targetILNS1_3genE8ELNS1_11target_archE1030ELNS1_3gpuE2ELNS1_3repE0EEENS1_30default_config_static_selectorELNS0_4arch9wavefront6targetE1EEEvT1_,@function
_ZN7rocprim17ROCPRIM_400000_NS6detail17trampoline_kernelINS0_14default_configENS1_20scan_config_selectorIdEEZZNS1_9scan_implILNS1_25lookback_scan_determinismE0ELb0ELb0ES3_PKdPddZZZN2at6native31launch_logcumsumexp_cuda_kernelERKNSB_10TensorBaseESF_lENKUlvE_clEvENKUlvE_clEvEUlddE_dEEDaPvRmT3_T4_T5_mT6_P12ihipStream_tbENKUlT_T0_E_clISt17integral_constantIbLb0EESV_IbLb1EEEEDaSR_SS_EUlSR_E_NS1_11comp_targetILNS1_3genE8ELNS1_11target_archE1030ELNS1_3gpuE2ELNS1_3repE0EEENS1_30default_config_static_selectorELNS0_4arch9wavefront6targetE1EEEvT1_: ; @_ZN7rocprim17ROCPRIM_400000_NS6detail17trampoline_kernelINS0_14default_configENS1_20scan_config_selectorIdEEZZNS1_9scan_implILNS1_25lookback_scan_determinismE0ELb0ELb0ES3_PKdPddZZZN2at6native31launch_logcumsumexp_cuda_kernelERKNSB_10TensorBaseESF_lENKUlvE_clEvENKUlvE_clEvEUlddE_dEEDaPvRmT3_T4_T5_mT6_P12ihipStream_tbENKUlT_T0_E_clISt17integral_constantIbLb0EESV_IbLb1EEEEDaSR_SS_EUlSR_E_NS1_11comp_targetILNS1_3genE8ELNS1_11target_archE1030ELNS1_3gpuE2ELNS1_3repE0EEENS1_30default_config_static_selectorELNS0_4arch9wavefront6targetE1EEEvT1_
; %bb.0:
	.section	.rodata,"a",@progbits
	.p2align	6, 0x0
	.amdhsa_kernel _ZN7rocprim17ROCPRIM_400000_NS6detail17trampoline_kernelINS0_14default_configENS1_20scan_config_selectorIdEEZZNS1_9scan_implILNS1_25lookback_scan_determinismE0ELb0ELb0ES3_PKdPddZZZN2at6native31launch_logcumsumexp_cuda_kernelERKNSB_10TensorBaseESF_lENKUlvE_clEvENKUlvE_clEvEUlddE_dEEDaPvRmT3_T4_T5_mT6_P12ihipStream_tbENKUlT_T0_E_clISt17integral_constantIbLb0EESV_IbLb1EEEEDaSR_SS_EUlSR_E_NS1_11comp_targetILNS1_3genE8ELNS1_11target_archE1030ELNS1_3gpuE2ELNS1_3repE0EEENS1_30default_config_static_selectorELNS0_4arch9wavefront6targetE1EEEvT1_
		.amdhsa_group_segment_fixed_size 0
		.amdhsa_private_segment_fixed_size 0
		.amdhsa_kernarg_size 104
		.amdhsa_user_sgpr_count 2
		.amdhsa_user_sgpr_dispatch_ptr 0
		.amdhsa_user_sgpr_queue_ptr 0
		.amdhsa_user_sgpr_kernarg_segment_ptr 1
		.amdhsa_user_sgpr_dispatch_id 0
		.amdhsa_user_sgpr_kernarg_preload_length 0
		.amdhsa_user_sgpr_kernarg_preload_offset 0
		.amdhsa_user_sgpr_private_segment_size 0
		.amdhsa_uses_dynamic_stack 0
		.amdhsa_enable_private_segment 0
		.amdhsa_system_sgpr_workgroup_id_x 1
		.amdhsa_system_sgpr_workgroup_id_y 0
		.amdhsa_system_sgpr_workgroup_id_z 0
		.amdhsa_system_sgpr_workgroup_info 0
		.amdhsa_system_vgpr_workitem_id 0
		.amdhsa_next_free_vgpr 1
		.amdhsa_next_free_sgpr 0
		.amdhsa_accum_offset 4
		.amdhsa_reserve_vcc 0
		.amdhsa_float_round_mode_32 0
		.amdhsa_float_round_mode_16_64 0
		.amdhsa_float_denorm_mode_32 3
		.amdhsa_float_denorm_mode_16_64 3
		.amdhsa_dx10_clamp 1
		.amdhsa_ieee_mode 1
		.amdhsa_fp16_overflow 0
		.amdhsa_tg_split 0
		.amdhsa_exception_fp_ieee_invalid_op 0
		.amdhsa_exception_fp_denorm_src 0
		.amdhsa_exception_fp_ieee_div_zero 0
		.amdhsa_exception_fp_ieee_overflow 0
		.amdhsa_exception_fp_ieee_underflow 0
		.amdhsa_exception_fp_ieee_inexact 0
		.amdhsa_exception_int_div_zero 0
	.end_amdhsa_kernel
	.section	.text._ZN7rocprim17ROCPRIM_400000_NS6detail17trampoline_kernelINS0_14default_configENS1_20scan_config_selectorIdEEZZNS1_9scan_implILNS1_25lookback_scan_determinismE0ELb0ELb0ES3_PKdPddZZZN2at6native31launch_logcumsumexp_cuda_kernelERKNSB_10TensorBaseESF_lENKUlvE_clEvENKUlvE_clEvEUlddE_dEEDaPvRmT3_T4_T5_mT6_P12ihipStream_tbENKUlT_T0_E_clISt17integral_constantIbLb0EESV_IbLb1EEEEDaSR_SS_EUlSR_E_NS1_11comp_targetILNS1_3genE8ELNS1_11target_archE1030ELNS1_3gpuE2ELNS1_3repE0EEENS1_30default_config_static_selectorELNS0_4arch9wavefront6targetE1EEEvT1_,"axG",@progbits,_ZN7rocprim17ROCPRIM_400000_NS6detail17trampoline_kernelINS0_14default_configENS1_20scan_config_selectorIdEEZZNS1_9scan_implILNS1_25lookback_scan_determinismE0ELb0ELb0ES3_PKdPddZZZN2at6native31launch_logcumsumexp_cuda_kernelERKNSB_10TensorBaseESF_lENKUlvE_clEvENKUlvE_clEvEUlddE_dEEDaPvRmT3_T4_T5_mT6_P12ihipStream_tbENKUlT_T0_E_clISt17integral_constantIbLb0EESV_IbLb1EEEEDaSR_SS_EUlSR_E_NS1_11comp_targetILNS1_3genE8ELNS1_11target_archE1030ELNS1_3gpuE2ELNS1_3repE0EEENS1_30default_config_static_selectorELNS0_4arch9wavefront6targetE1EEEvT1_,comdat
.Lfunc_end78:
	.size	_ZN7rocprim17ROCPRIM_400000_NS6detail17trampoline_kernelINS0_14default_configENS1_20scan_config_selectorIdEEZZNS1_9scan_implILNS1_25lookback_scan_determinismE0ELb0ELb0ES3_PKdPddZZZN2at6native31launch_logcumsumexp_cuda_kernelERKNSB_10TensorBaseESF_lENKUlvE_clEvENKUlvE_clEvEUlddE_dEEDaPvRmT3_T4_T5_mT6_P12ihipStream_tbENKUlT_T0_E_clISt17integral_constantIbLb0EESV_IbLb1EEEEDaSR_SS_EUlSR_E_NS1_11comp_targetILNS1_3genE8ELNS1_11target_archE1030ELNS1_3gpuE2ELNS1_3repE0EEENS1_30default_config_static_selectorELNS0_4arch9wavefront6targetE1EEEvT1_, .Lfunc_end78-_ZN7rocprim17ROCPRIM_400000_NS6detail17trampoline_kernelINS0_14default_configENS1_20scan_config_selectorIdEEZZNS1_9scan_implILNS1_25lookback_scan_determinismE0ELb0ELb0ES3_PKdPddZZZN2at6native31launch_logcumsumexp_cuda_kernelERKNSB_10TensorBaseESF_lENKUlvE_clEvENKUlvE_clEvEUlddE_dEEDaPvRmT3_T4_T5_mT6_P12ihipStream_tbENKUlT_T0_E_clISt17integral_constantIbLb0EESV_IbLb1EEEEDaSR_SS_EUlSR_E_NS1_11comp_targetILNS1_3genE8ELNS1_11target_archE1030ELNS1_3gpuE2ELNS1_3repE0EEENS1_30default_config_static_selectorELNS0_4arch9wavefront6targetE1EEEvT1_
                                        ; -- End function
	.section	.AMDGPU.csdata,"",@progbits
; Kernel info:
; codeLenInByte = 0
; NumSgprs: 6
; NumVgprs: 0
; NumAgprs: 0
; TotalNumVgprs: 0
; ScratchSize: 0
; MemoryBound: 0
; FloatMode: 240
; IeeeMode: 1
; LDSByteSize: 0 bytes/workgroup (compile time only)
; SGPRBlocks: 0
; VGPRBlocks: 0
; NumSGPRsForWavesPerEU: 6
; NumVGPRsForWavesPerEU: 1
; AccumOffset: 4
; Occupancy: 8
; WaveLimiterHint : 0
; COMPUTE_PGM_RSRC2:SCRATCH_EN: 0
; COMPUTE_PGM_RSRC2:USER_SGPR: 2
; COMPUTE_PGM_RSRC2:TRAP_HANDLER: 0
; COMPUTE_PGM_RSRC2:TGID_X_EN: 1
; COMPUTE_PGM_RSRC2:TGID_Y_EN: 0
; COMPUTE_PGM_RSRC2:TGID_Z_EN: 0
; COMPUTE_PGM_RSRC2:TIDIG_COMP_CNT: 0
; COMPUTE_PGM_RSRC3_GFX90A:ACCUM_OFFSET: 0
; COMPUTE_PGM_RSRC3_GFX90A:TG_SPLIT: 0
	.section	.text._ZN7rocprim17ROCPRIM_400000_NS6detail17trampoline_kernelINS0_14default_configENS1_20scan_config_selectorIdEEZZNS1_9scan_implILNS1_25lookback_scan_determinismE0ELb0ELb0ES3_PKdPddZZZN2at6native31launch_logcumsumexp_cuda_kernelERKNSB_10TensorBaseESF_lENKUlvE_clEvENKUlvE_clEvEUlddE_dEEDaPvRmT3_T4_T5_mT6_P12ihipStream_tbENKUlT_T0_E_clISt17integral_constantIbLb0EESV_IbLb1EEEEDaSR_SS_EUlSR_E0_NS1_11comp_targetILNS1_3genE0ELNS1_11target_archE4294967295ELNS1_3gpuE0ELNS1_3repE0EEENS1_30default_config_static_selectorELNS0_4arch9wavefront6targetE1EEEvT1_,"axG",@progbits,_ZN7rocprim17ROCPRIM_400000_NS6detail17trampoline_kernelINS0_14default_configENS1_20scan_config_selectorIdEEZZNS1_9scan_implILNS1_25lookback_scan_determinismE0ELb0ELb0ES3_PKdPddZZZN2at6native31launch_logcumsumexp_cuda_kernelERKNSB_10TensorBaseESF_lENKUlvE_clEvENKUlvE_clEvEUlddE_dEEDaPvRmT3_T4_T5_mT6_P12ihipStream_tbENKUlT_T0_E_clISt17integral_constantIbLb0EESV_IbLb1EEEEDaSR_SS_EUlSR_E0_NS1_11comp_targetILNS1_3genE0ELNS1_11target_archE4294967295ELNS1_3gpuE0ELNS1_3repE0EEENS1_30default_config_static_selectorELNS0_4arch9wavefront6targetE1EEEvT1_,comdat
	.globl	_ZN7rocprim17ROCPRIM_400000_NS6detail17trampoline_kernelINS0_14default_configENS1_20scan_config_selectorIdEEZZNS1_9scan_implILNS1_25lookback_scan_determinismE0ELb0ELb0ES3_PKdPddZZZN2at6native31launch_logcumsumexp_cuda_kernelERKNSB_10TensorBaseESF_lENKUlvE_clEvENKUlvE_clEvEUlddE_dEEDaPvRmT3_T4_T5_mT6_P12ihipStream_tbENKUlT_T0_E_clISt17integral_constantIbLb0EESV_IbLb1EEEEDaSR_SS_EUlSR_E0_NS1_11comp_targetILNS1_3genE0ELNS1_11target_archE4294967295ELNS1_3gpuE0ELNS1_3repE0EEENS1_30default_config_static_selectorELNS0_4arch9wavefront6targetE1EEEvT1_ ; -- Begin function _ZN7rocprim17ROCPRIM_400000_NS6detail17trampoline_kernelINS0_14default_configENS1_20scan_config_selectorIdEEZZNS1_9scan_implILNS1_25lookback_scan_determinismE0ELb0ELb0ES3_PKdPddZZZN2at6native31launch_logcumsumexp_cuda_kernelERKNSB_10TensorBaseESF_lENKUlvE_clEvENKUlvE_clEvEUlddE_dEEDaPvRmT3_T4_T5_mT6_P12ihipStream_tbENKUlT_T0_E_clISt17integral_constantIbLb0EESV_IbLb1EEEEDaSR_SS_EUlSR_E0_NS1_11comp_targetILNS1_3genE0ELNS1_11target_archE4294967295ELNS1_3gpuE0ELNS1_3repE0EEENS1_30default_config_static_selectorELNS0_4arch9wavefront6targetE1EEEvT1_
	.p2align	8
	.type	_ZN7rocprim17ROCPRIM_400000_NS6detail17trampoline_kernelINS0_14default_configENS1_20scan_config_selectorIdEEZZNS1_9scan_implILNS1_25lookback_scan_determinismE0ELb0ELb0ES3_PKdPddZZZN2at6native31launch_logcumsumexp_cuda_kernelERKNSB_10TensorBaseESF_lENKUlvE_clEvENKUlvE_clEvEUlddE_dEEDaPvRmT3_T4_T5_mT6_P12ihipStream_tbENKUlT_T0_E_clISt17integral_constantIbLb0EESV_IbLb1EEEEDaSR_SS_EUlSR_E0_NS1_11comp_targetILNS1_3genE0ELNS1_11target_archE4294967295ELNS1_3gpuE0ELNS1_3repE0EEENS1_30default_config_static_selectorELNS0_4arch9wavefront6targetE1EEEvT1_,@function
_ZN7rocprim17ROCPRIM_400000_NS6detail17trampoline_kernelINS0_14default_configENS1_20scan_config_selectorIdEEZZNS1_9scan_implILNS1_25lookback_scan_determinismE0ELb0ELb0ES3_PKdPddZZZN2at6native31launch_logcumsumexp_cuda_kernelERKNSB_10TensorBaseESF_lENKUlvE_clEvENKUlvE_clEvEUlddE_dEEDaPvRmT3_T4_T5_mT6_P12ihipStream_tbENKUlT_T0_E_clISt17integral_constantIbLb0EESV_IbLb1EEEEDaSR_SS_EUlSR_E0_NS1_11comp_targetILNS1_3genE0ELNS1_11target_archE4294967295ELNS1_3gpuE0ELNS1_3repE0EEENS1_30default_config_static_selectorELNS0_4arch9wavefront6targetE1EEEvT1_: ; @_ZN7rocprim17ROCPRIM_400000_NS6detail17trampoline_kernelINS0_14default_configENS1_20scan_config_selectorIdEEZZNS1_9scan_implILNS1_25lookback_scan_determinismE0ELb0ELb0ES3_PKdPddZZZN2at6native31launch_logcumsumexp_cuda_kernelERKNSB_10TensorBaseESF_lENKUlvE_clEvENKUlvE_clEvEUlddE_dEEDaPvRmT3_T4_T5_mT6_P12ihipStream_tbENKUlT_T0_E_clISt17integral_constantIbLb0EESV_IbLb1EEEEDaSR_SS_EUlSR_E0_NS1_11comp_targetILNS1_3genE0ELNS1_11target_archE4294967295ELNS1_3gpuE0ELNS1_3repE0EEENS1_30default_config_static_selectorELNS0_4arch9wavefront6targetE1EEEvT1_
; %bb.0:
	.section	.rodata,"a",@progbits
	.p2align	6, 0x0
	.amdhsa_kernel _ZN7rocprim17ROCPRIM_400000_NS6detail17trampoline_kernelINS0_14default_configENS1_20scan_config_selectorIdEEZZNS1_9scan_implILNS1_25lookback_scan_determinismE0ELb0ELb0ES3_PKdPddZZZN2at6native31launch_logcumsumexp_cuda_kernelERKNSB_10TensorBaseESF_lENKUlvE_clEvENKUlvE_clEvEUlddE_dEEDaPvRmT3_T4_T5_mT6_P12ihipStream_tbENKUlT_T0_E_clISt17integral_constantIbLb0EESV_IbLb1EEEEDaSR_SS_EUlSR_E0_NS1_11comp_targetILNS1_3genE0ELNS1_11target_archE4294967295ELNS1_3gpuE0ELNS1_3repE0EEENS1_30default_config_static_selectorELNS0_4arch9wavefront6targetE1EEEvT1_
		.amdhsa_group_segment_fixed_size 0
		.amdhsa_private_segment_fixed_size 0
		.amdhsa_kernarg_size 40
		.amdhsa_user_sgpr_count 2
		.amdhsa_user_sgpr_dispatch_ptr 0
		.amdhsa_user_sgpr_queue_ptr 0
		.amdhsa_user_sgpr_kernarg_segment_ptr 1
		.amdhsa_user_sgpr_dispatch_id 0
		.amdhsa_user_sgpr_kernarg_preload_length 0
		.amdhsa_user_sgpr_kernarg_preload_offset 0
		.amdhsa_user_sgpr_private_segment_size 0
		.amdhsa_uses_dynamic_stack 0
		.amdhsa_enable_private_segment 0
		.amdhsa_system_sgpr_workgroup_id_x 1
		.amdhsa_system_sgpr_workgroup_id_y 0
		.amdhsa_system_sgpr_workgroup_id_z 0
		.amdhsa_system_sgpr_workgroup_info 0
		.amdhsa_system_vgpr_workitem_id 0
		.amdhsa_next_free_vgpr 1
		.amdhsa_next_free_sgpr 0
		.amdhsa_accum_offset 4
		.amdhsa_reserve_vcc 0
		.amdhsa_float_round_mode_32 0
		.amdhsa_float_round_mode_16_64 0
		.amdhsa_float_denorm_mode_32 3
		.amdhsa_float_denorm_mode_16_64 3
		.amdhsa_dx10_clamp 1
		.amdhsa_ieee_mode 1
		.amdhsa_fp16_overflow 0
		.amdhsa_tg_split 0
		.amdhsa_exception_fp_ieee_invalid_op 0
		.amdhsa_exception_fp_denorm_src 0
		.amdhsa_exception_fp_ieee_div_zero 0
		.amdhsa_exception_fp_ieee_overflow 0
		.amdhsa_exception_fp_ieee_underflow 0
		.amdhsa_exception_fp_ieee_inexact 0
		.amdhsa_exception_int_div_zero 0
	.end_amdhsa_kernel
	.section	.text._ZN7rocprim17ROCPRIM_400000_NS6detail17trampoline_kernelINS0_14default_configENS1_20scan_config_selectorIdEEZZNS1_9scan_implILNS1_25lookback_scan_determinismE0ELb0ELb0ES3_PKdPddZZZN2at6native31launch_logcumsumexp_cuda_kernelERKNSB_10TensorBaseESF_lENKUlvE_clEvENKUlvE_clEvEUlddE_dEEDaPvRmT3_T4_T5_mT6_P12ihipStream_tbENKUlT_T0_E_clISt17integral_constantIbLb0EESV_IbLb1EEEEDaSR_SS_EUlSR_E0_NS1_11comp_targetILNS1_3genE0ELNS1_11target_archE4294967295ELNS1_3gpuE0ELNS1_3repE0EEENS1_30default_config_static_selectorELNS0_4arch9wavefront6targetE1EEEvT1_,"axG",@progbits,_ZN7rocprim17ROCPRIM_400000_NS6detail17trampoline_kernelINS0_14default_configENS1_20scan_config_selectorIdEEZZNS1_9scan_implILNS1_25lookback_scan_determinismE0ELb0ELb0ES3_PKdPddZZZN2at6native31launch_logcumsumexp_cuda_kernelERKNSB_10TensorBaseESF_lENKUlvE_clEvENKUlvE_clEvEUlddE_dEEDaPvRmT3_T4_T5_mT6_P12ihipStream_tbENKUlT_T0_E_clISt17integral_constantIbLb0EESV_IbLb1EEEEDaSR_SS_EUlSR_E0_NS1_11comp_targetILNS1_3genE0ELNS1_11target_archE4294967295ELNS1_3gpuE0ELNS1_3repE0EEENS1_30default_config_static_selectorELNS0_4arch9wavefront6targetE1EEEvT1_,comdat
.Lfunc_end79:
	.size	_ZN7rocprim17ROCPRIM_400000_NS6detail17trampoline_kernelINS0_14default_configENS1_20scan_config_selectorIdEEZZNS1_9scan_implILNS1_25lookback_scan_determinismE0ELb0ELb0ES3_PKdPddZZZN2at6native31launch_logcumsumexp_cuda_kernelERKNSB_10TensorBaseESF_lENKUlvE_clEvENKUlvE_clEvEUlddE_dEEDaPvRmT3_T4_T5_mT6_P12ihipStream_tbENKUlT_T0_E_clISt17integral_constantIbLb0EESV_IbLb1EEEEDaSR_SS_EUlSR_E0_NS1_11comp_targetILNS1_3genE0ELNS1_11target_archE4294967295ELNS1_3gpuE0ELNS1_3repE0EEENS1_30default_config_static_selectorELNS0_4arch9wavefront6targetE1EEEvT1_, .Lfunc_end79-_ZN7rocprim17ROCPRIM_400000_NS6detail17trampoline_kernelINS0_14default_configENS1_20scan_config_selectorIdEEZZNS1_9scan_implILNS1_25lookback_scan_determinismE0ELb0ELb0ES3_PKdPddZZZN2at6native31launch_logcumsumexp_cuda_kernelERKNSB_10TensorBaseESF_lENKUlvE_clEvENKUlvE_clEvEUlddE_dEEDaPvRmT3_T4_T5_mT6_P12ihipStream_tbENKUlT_T0_E_clISt17integral_constantIbLb0EESV_IbLb1EEEEDaSR_SS_EUlSR_E0_NS1_11comp_targetILNS1_3genE0ELNS1_11target_archE4294967295ELNS1_3gpuE0ELNS1_3repE0EEENS1_30default_config_static_selectorELNS0_4arch9wavefront6targetE1EEEvT1_
                                        ; -- End function
	.section	.AMDGPU.csdata,"",@progbits
; Kernel info:
; codeLenInByte = 0
; NumSgprs: 6
; NumVgprs: 0
; NumAgprs: 0
; TotalNumVgprs: 0
; ScratchSize: 0
; MemoryBound: 0
; FloatMode: 240
; IeeeMode: 1
; LDSByteSize: 0 bytes/workgroup (compile time only)
; SGPRBlocks: 0
; VGPRBlocks: 0
; NumSGPRsForWavesPerEU: 6
; NumVGPRsForWavesPerEU: 1
; AccumOffset: 4
; Occupancy: 8
; WaveLimiterHint : 0
; COMPUTE_PGM_RSRC2:SCRATCH_EN: 0
; COMPUTE_PGM_RSRC2:USER_SGPR: 2
; COMPUTE_PGM_RSRC2:TRAP_HANDLER: 0
; COMPUTE_PGM_RSRC2:TGID_X_EN: 1
; COMPUTE_PGM_RSRC2:TGID_Y_EN: 0
; COMPUTE_PGM_RSRC2:TGID_Z_EN: 0
; COMPUTE_PGM_RSRC2:TIDIG_COMP_CNT: 0
; COMPUTE_PGM_RSRC3_GFX90A:ACCUM_OFFSET: 0
; COMPUTE_PGM_RSRC3_GFX90A:TG_SPLIT: 0
	.section	.text._ZN7rocprim17ROCPRIM_400000_NS6detail17trampoline_kernelINS0_14default_configENS1_20scan_config_selectorIdEEZZNS1_9scan_implILNS1_25lookback_scan_determinismE0ELb0ELb0ES3_PKdPddZZZN2at6native31launch_logcumsumexp_cuda_kernelERKNSB_10TensorBaseESF_lENKUlvE_clEvENKUlvE_clEvEUlddE_dEEDaPvRmT3_T4_T5_mT6_P12ihipStream_tbENKUlT_T0_E_clISt17integral_constantIbLb0EESV_IbLb1EEEEDaSR_SS_EUlSR_E0_NS1_11comp_targetILNS1_3genE5ELNS1_11target_archE942ELNS1_3gpuE9ELNS1_3repE0EEENS1_30default_config_static_selectorELNS0_4arch9wavefront6targetE1EEEvT1_,"axG",@progbits,_ZN7rocprim17ROCPRIM_400000_NS6detail17trampoline_kernelINS0_14default_configENS1_20scan_config_selectorIdEEZZNS1_9scan_implILNS1_25lookback_scan_determinismE0ELb0ELb0ES3_PKdPddZZZN2at6native31launch_logcumsumexp_cuda_kernelERKNSB_10TensorBaseESF_lENKUlvE_clEvENKUlvE_clEvEUlddE_dEEDaPvRmT3_T4_T5_mT6_P12ihipStream_tbENKUlT_T0_E_clISt17integral_constantIbLb0EESV_IbLb1EEEEDaSR_SS_EUlSR_E0_NS1_11comp_targetILNS1_3genE5ELNS1_11target_archE942ELNS1_3gpuE9ELNS1_3repE0EEENS1_30default_config_static_selectorELNS0_4arch9wavefront6targetE1EEEvT1_,comdat
	.globl	_ZN7rocprim17ROCPRIM_400000_NS6detail17trampoline_kernelINS0_14default_configENS1_20scan_config_selectorIdEEZZNS1_9scan_implILNS1_25lookback_scan_determinismE0ELb0ELb0ES3_PKdPddZZZN2at6native31launch_logcumsumexp_cuda_kernelERKNSB_10TensorBaseESF_lENKUlvE_clEvENKUlvE_clEvEUlddE_dEEDaPvRmT3_T4_T5_mT6_P12ihipStream_tbENKUlT_T0_E_clISt17integral_constantIbLb0EESV_IbLb1EEEEDaSR_SS_EUlSR_E0_NS1_11comp_targetILNS1_3genE5ELNS1_11target_archE942ELNS1_3gpuE9ELNS1_3repE0EEENS1_30default_config_static_selectorELNS0_4arch9wavefront6targetE1EEEvT1_ ; -- Begin function _ZN7rocprim17ROCPRIM_400000_NS6detail17trampoline_kernelINS0_14default_configENS1_20scan_config_selectorIdEEZZNS1_9scan_implILNS1_25lookback_scan_determinismE0ELb0ELb0ES3_PKdPddZZZN2at6native31launch_logcumsumexp_cuda_kernelERKNSB_10TensorBaseESF_lENKUlvE_clEvENKUlvE_clEvEUlddE_dEEDaPvRmT3_T4_T5_mT6_P12ihipStream_tbENKUlT_T0_E_clISt17integral_constantIbLb0EESV_IbLb1EEEEDaSR_SS_EUlSR_E0_NS1_11comp_targetILNS1_3genE5ELNS1_11target_archE942ELNS1_3gpuE9ELNS1_3repE0EEENS1_30default_config_static_selectorELNS0_4arch9wavefront6targetE1EEEvT1_
	.p2align	8
	.type	_ZN7rocprim17ROCPRIM_400000_NS6detail17trampoline_kernelINS0_14default_configENS1_20scan_config_selectorIdEEZZNS1_9scan_implILNS1_25lookback_scan_determinismE0ELb0ELb0ES3_PKdPddZZZN2at6native31launch_logcumsumexp_cuda_kernelERKNSB_10TensorBaseESF_lENKUlvE_clEvENKUlvE_clEvEUlddE_dEEDaPvRmT3_T4_T5_mT6_P12ihipStream_tbENKUlT_T0_E_clISt17integral_constantIbLb0EESV_IbLb1EEEEDaSR_SS_EUlSR_E0_NS1_11comp_targetILNS1_3genE5ELNS1_11target_archE942ELNS1_3gpuE9ELNS1_3repE0EEENS1_30default_config_static_selectorELNS0_4arch9wavefront6targetE1EEEvT1_,@function
_ZN7rocprim17ROCPRIM_400000_NS6detail17trampoline_kernelINS0_14default_configENS1_20scan_config_selectorIdEEZZNS1_9scan_implILNS1_25lookback_scan_determinismE0ELb0ELb0ES3_PKdPddZZZN2at6native31launch_logcumsumexp_cuda_kernelERKNSB_10TensorBaseESF_lENKUlvE_clEvENKUlvE_clEvEUlddE_dEEDaPvRmT3_T4_T5_mT6_P12ihipStream_tbENKUlT_T0_E_clISt17integral_constantIbLb0EESV_IbLb1EEEEDaSR_SS_EUlSR_E0_NS1_11comp_targetILNS1_3genE5ELNS1_11target_archE942ELNS1_3gpuE9ELNS1_3repE0EEENS1_30default_config_static_selectorELNS0_4arch9wavefront6targetE1EEEvT1_: ; @_ZN7rocprim17ROCPRIM_400000_NS6detail17trampoline_kernelINS0_14default_configENS1_20scan_config_selectorIdEEZZNS1_9scan_implILNS1_25lookback_scan_determinismE0ELb0ELb0ES3_PKdPddZZZN2at6native31launch_logcumsumexp_cuda_kernelERKNSB_10TensorBaseESF_lENKUlvE_clEvENKUlvE_clEvEUlddE_dEEDaPvRmT3_T4_T5_mT6_P12ihipStream_tbENKUlT_T0_E_clISt17integral_constantIbLb0EESV_IbLb1EEEEDaSR_SS_EUlSR_E0_NS1_11comp_targetILNS1_3genE5ELNS1_11target_archE942ELNS1_3gpuE9ELNS1_3repE0EEENS1_30default_config_static_selectorELNS0_4arch9wavefront6targetE1EEEvT1_
; %bb.0:
	s_load_dwordx4 s[28:31], s[0:1], 0x0
	v_lshlrev_b32_e32 v34, 3, v0
	s_waitcnt lgkmcnt(0)
	s_load_dwordx2 s[34:35], s[28:29], 0x0
	v_cmp_gt_u32_e32 vcc, s30, v0
	s_waitcnt lgkmcnt(0)
	v_mov_b64_e32 v[2:3], s[34:35]
	s_and_saveexec_b64 s[2:3], vcc
	s_cbranch_execz .LBB80_2
; %bb.1:
	global_load_dwordx2 v[2:3], v34, s[28:29]
.LBB80_2:
	s_or_b64 exec, exec, s[2:3]
	v_or_b32_e32 v1, 0x100, v0
	v_cmp_gt_u32_e64 s[58:59], s30, v1
	v_mov_b64_e32 v[4:5], s[34:35]
	s_and_saveexec_b64 s[2:3], s[58:59]
	s_cbranch_execz .LBB80_4
; %bb.3:
	global_load_dwordx2 v[4:5], v34, s[28:29] offset:2048
.LBB80_4:
	s_or_b64 exec, exec, s[2:3]
	v_or_b32_e32 v1, 0x200, v0
	v_cmp_gt_u32_e64 s[2:3], s30, v1
	v_mov_b64_e32 v[6:7], s[34:35]
	s_and_saveexec_b64 s[4:5], s[2:3]
	s_cbranch_execz .LBB80_6
; %bb.5:
	v_lshlrev_b32_e32 v1, 3, v1
	global_load_dwordx2 v[6:7], v1, s[28:29]
.LBB80_6:
	s_or_b64 exec, exec, s[4:5]
	v_or_b32_e32 v1, 0x300, v0
	v_cmp_gt_u32_e64 s[4:5], s30, v1
	v_mov_b64_e32 v[8:9], s[34:35]
	s_and_saveexec_b64 s[6:7], s[4:5]
	s_cbranch_execz .LBB80_8
; %bb.7:
	v_lshlrev_b32_e32 v1, 3, v1
	global_load_dwordx2 v[8:9], v1, s[28:29]
.LBB80_8:
	;; [unrolled: 10-line block ×13, first 2 shown]
	s_or_b64 exec, exec, s[30:31]
	s_movk_i32 s28, 0x70
	v_mad_u32_u24 v1, v0, s28, v34
	s_waitcnt vmcnt(0)
	ds_write2st64_b64 v34, v[2:3], v[4:5] offset1:4
	ds_write2st64_b64 v34, v[6:7], v[8:9] offset0:8 offset1:12
	ds_write2st64_b64 v34, v[10:11], v[12:13] offset0:16 offset1:20
	ds_write2st64_b64 v34, v[14:15], v[16:17] offset0:24 offset1:28
	ds_write2st64_b64 v34, v[18:19], v[20:21] offset0:32 offset1:36
	ds_write2st64_b64 v34, v[22:23], v[24:25] offset0:40 offset1:44
	ds_write2st64_b64 v34, v[26:27], v[28:29] offset0:48 offset1:52
	ds_write_b64 v34, v[30:31] offset:28672
	s_waitcnt lgkmcnt(0)
	s_barrier
	ds_read2_b64 v[2:5], v1 offset1:1
	ds_read2_b64 v[26:29], v1 offset0:2 offset1:3
	ds_read2_b64 v[22:25], v1 offset0:4 offset1:5
	;; [unrolled: 1-line block ×6, first 2 shown]
	ds_read_b64 v[36:37], v1 offset:112
	s_waitcnt lgkmcnt(7)
	v_max_f64 v[42:43], v[4:5], v[4:5]
	v_max_f64 v[68:69], v[2:3], v[2:3]
	v_min_f64 v[66:67], v[68:69], v[42:43]
	v_cmp_u_f64_e64 s[60:61], v[2:3], v[2:3]
	v_cmp_u_f64_e64 s[28:29], v[4:5], v[4:5]
	v_max_f64 v[70:71], v[68:69], v[42:43]
	v_cndmask_b32_e64 v1, v66, v2, s[60:61]
	v_cndmask_b32_e64 v30, v67, v3, s[60:61]
	;; [unrolled: 1-line block ×8, first 2 shown]
	s_movk_i32 s33, 0x1f8
	v_cmp_neq_f64_e64 s[30:31], v[32:33], v[30:31]
	v_cmp_class_f64_e64 s[34:35], v[32:33], s33
	s_or_b64 s[30:31], s[30:31], s[34:35]
	v_mov_b64_e32 v[72:73], v[2:3]
	s_waitcnt lgkmcnt(0)
	s_barrier
	s_and_saveexec_b64 s[36:37], s[30:31]
	s_cbranch_execz .LBB80_32
; %bb.31:
	s_mov_b32 s30, 0x652b82fe
	v_add_f64 v[32:33], v[32:33], -v[30:31]
	s_mov_b32 s31, 0x3ff71547
	v_mul_f64 v[38:39], v[32:33], s[30:31]
	v_rndne_f64_e32 v[38:39], v[38:39]
	s_mov_b32 s39, 0xbfe62e42
	s_mov_b32 s38, 0xfefa39ef
	v_fma_f64 v[40:41], s[38:39], v[38:39], v[32:33]
	s_mov_b32 s41, 0xbc7abc9e
	s_mov_b32 s40, 0x3b39803f
	;; [unrolled: 1-line block ×3, first 2 shown]
	v_fmac_f64_e32 v[40:41], s[40:41], v[38:39]
	v_mov_b32_e32 v44, 0xfca7ab0c
	v_mov_b32_e32 v45, 0x3e928af3
	s_mov_b32 s31, 0x3e5ade15
	v_fmac_f64_e32 v[44:45], s[30:31], v[40:41]
	v_mov_b32_e32 v46, 0x623fde64
	v_mov_b32_e32 v47, 0x3ec71dee
	v_fmac_f64_e32 v[46:47], v[40:41], v[44:45]
	v_mov_b32_e32 v44, 0x7c89e6b0
	v_mov_b32_e32 v45, 0x3efa0199
	;; [unrolled: 3-line block ×8, first 2 shown]
	v_fmac_f64_e32 v[44:45], v[40:41], v[46:47]
	v_fma_f64 v[44:45], v[40:41], v[44:45], 1.0
	s_mov_b32 s30, 0
	s_mov_b32 s34, 0
	v_fma_f64 v[40:41], v[40:41], v[44:45], 1.0
	v_cvt_i32_f64_e32 v1, v[38:39]
	s_mov_b32 s31, 0x40900000
	s_mov_b32 s35, 0xc090cc00
	v_ldexp_f64 v[38:39], v[40:41], v1
	v_mov_b32_e32 v1, 0x7ff00000
	v_cmp_nlt_f64_e64 s[30:31], s[30:31], v[32:33]
	v_cmp_ngt_f64_e64 s[34:35], s[34:35], v[32:33]
	s_mov_b32 s39, 0x3fe62e42
	v_cndmask_b32_e64 v1, v1, v39, s[30:31]
	s_and_b64 s[30:31], s[34:35], s[30:31]
	v_cndmask_b32_e64 v33, 0, v1, s[34:35]
	v_cndmask_b32_e64 v32, 0, v38, s[30:31]
	v_add_f64 v[38:39], v[32:33], 1.0
	v_add_f64 v[40:41], v[38:39], -1.0
	v_add_f64 v[44:45], v[40:41], -v[38:39]
	v_add_f64 v[44:45], v[44:45], 1.0
	v_add_f64 v[40:41], v[32:33], -v[40:41]
	s_mov_b32 s30, 0x55555555
	v_add_f64 v[40:41], v[40:41], v[44:45]
	v_frexp_mant_f64_e32 v[44:45], v[38:39]
	s_mov_b32 s31, 0x3fe55555
	v_frexp_exp_i32_f64_e32 v1, v[38:39]
	v_cmp_gt_f64_e64 s[30:31], s[30:31], v[44:45]
	s_mov_b32 s41, 0x3c7abc9e
	s_nop 0
	v_subbrev_co_u32_e64 v1, s[30:31], 0, v1, s[30:31]
	v_sub_u32_e32 v35, 0, v1
	v_ldexp_f64 v[38:39], v[38:39], v35
	v_add_f64 v[44:45], v[38:39], -1.0
	v_add_f64 v[50:51], v[38:39], 1.0
	v_add_f64 v[46:47], v[44:45], 1.0
	v_add_f64 v[52:53], v[50:51], -1.0
	v_ldexp_f64 v[40:41], v[40:41], v35
	v_add_f64 v[46:47], v[38:39], -v[46:47]
	v_add_f64 v[38:39], v[38:39], -v[52:53]
	v_add_f64 v[38:39], v[40:41], v[38:39]
	v_add_f64 v[46:47], v[40:41], v[46:47]
	;; [unrolled: 1-line block ×3, first 2 shown]
	v_rcp_f64_e32 v[52:53], v[40:41]
	v_add_f64 v[48:49], v[44:45], v[46:47]
	v_add_f64 v[44:45], v[48:49], -v[44:45]
	v_add_f64 v[44:45], v[46:47], -v[44:45]
	;; [unrolled: 1-line block ×4, first 2 shown]
	v_fma_f64 v[46:47], -v[40:41], v[52:53], 1.0
	v_fmac_f64_e32 v[52:53], v[46:47], v[52:53]
	v_fma_f64 v[46:47], -v[40:41], v[52:53], 1.0
	v_fmac_f64_e32 v[52:53], v[46:47], v[52:53]
	v_mul_f64 v[46:47], v[48:49], v[52:53]
	v_mul_f64 v[50:51], v[40:41], v[46:47]
	v_fma_f64 v[54:55], v[46:47], v[40:41], -v[50:51]
	v_fmac_f64_e32 v[54:55], v[46:47], v[38:39]
	v_add_f64 v[56:57], v[50:51], v[54:55]
	v_add_f64 v[58:59], v[48:49], -v[56:57]
	v_add_f64 v[48:49], v[48:49], -v[58:59]
	;; [unrolled: 1-line block ×4, first 2 shown]
	v_add_f64 v[44:45], v[44:45], v[48:49]
	v_add_f64 v[48:49], v[50:51], -v[54:55]
	v_add_f64 v[44:45], v[48:49], v[44:45]
	v_add_f64 v[48:49], v[58:59], v[44:45]
	v_add_f64 v[50:51], v[58:59], -v[48:49]
	v_add_f64 v[44:45], v[44:45], v[50:51]
	v_mul_f64 v[50:51], v[52:53], v[48:49]
	v_mul_f64 v[54:55], v[40:41], v[50:51]
	v_fma_f64 v[40:41], v[50:51], v[40:41], -v[54:55]
	v_fmac_f64_e32 v[40:41], v[50:51], v[38:39]
	v_add_f64 v[38:39], v[54:55], v[40:41]
	v_add_f64 v[56:57], v[48:49], -v[38:39]
	v_add_f64 v[48:49], v[48:49], -v[56:57]
	;; [unrolled: 1-line block ×4, first 2 shown]
	v_add_f64 v[38:39], v[44:45], v[38:39]
	v_add_f64 v[40:41], v[54:55], -v[40:41]
	v_add_f64 v[38:39], v[40:41], v[38:39]
	v_add_f64 v[40:41], v[46:47], v[50:51]
	;; [unrolled: 1-line block ×3, first 2 shown]
	v_add_f64 v[44:45], v[40:41], -v[46:47]
	v_mul_f64 v[38:39], v[52:53], v[38:39]
	v_add_f64 v[44:45], v[50:51], -v[44:45]
	v_add_f64 v[38:39], v[44:45], v[38:39]
	v_add_f64 v[44:45], v[40:41], v[38:39]
	v_add_f64 v[40:41], v[44:45], -v[40:41]
	s_mov_b32 s30, 0xbf559e2b
	v_add_f64 v[38:39], v[38:39], -v[40:41]
	v_mul_f64 v[40:41], v[44:45], v[44:45]
	v_mov_b32_e32 v46, 0x6b47b09a
	v_mov_b32_e32 v47, 0x3fc38538
	s_mov_b32 s31, 0x3fc3ab76
	v_fmac_f64_e32 v[46:47], s[30:31], v[40:41]
	v_mov_b32_e32 v48, 0xd7f4df2e
	v_mov_b32_e32 v49, 0x3fc7474d
	v_fmac_f64_e32 v[48:49], v[40:41], v[46:47]
	v_mov_b32_e32 v46, 0x16291751
	v_mov_b32_e32 v47, 0x3fcc71c0
	;; [unrolled: 3-line block ×5, first 2 shown]
	v_fmac_f64_e32 v[48:49], v[40:41], v[46:47]
	v_cvt_f64_i32_e32 v[46:47], v1
	v_mul_f64 v[50:51], v[46:47], s[38:39]
	v_fma_f64 v[52:53], v[46:47], s[38:39], -v[50:51]
	v_fmac_f64_e32 v[52:53], s[40:41], v[46:47]
	v_add_f64 v[46:47], v[50:51], v[52:53]
	v_add_f64 v[50:51], v[46:47], -v[50:51]
	v_mul_f64 v[40:41], v[44:45], v[40:41]
	v_add_f64 v[50:51], v[52:53], -v[50:51]
	v_ldexp_f64 v[52:53], v[44:45], 1
	v_mul_f64 v[40:41], v[40:41], v[48:49]
	v_add_f64 v[44:45], v[52:53], v[40:41]
	v_add_f64 v[48:49], v[44:45], -v[52:53]
	v_ldexp_f64 v[38:39], v[38:39], 1
	v_add_f64 v[40:41], v[40:41], -v[48:49]
	v_add_f64 v[38:39], v[38:39], v[40:41]
	v_add_f64 v[40:41], v[44:45], v[38:39]
	v_add_f64 v[44:45], v[40:41], -v[44:45]
	v_add_f64 v[38:39], v[38:39], -v[44:45]
	v_add_f64 v[44:45], v[46:47], v[40:41]
	v_add_f64 v[48:49], v[44:45], -v[46:47]
	v_add_f64 v[52:53], v[44:45], -v[48:49]
	;; [unrolled: 1-line block ×4, first 2 shown]
	v_add_f64 v[40:41], v[40:41], v[46:47]
	v_add_f64 v[46:47], v[50:51], v[38:39]
	v_add_f64 v[48:49], v[46:47], -v[50:51]
	v_add_f64 v[40:41], v[46:47], v[40:41]
	v_add_f64 v[52:53], v[46:47], -v[48:49]
	v_add_f64 v[46:47], v[44:45], v[40:41]
	v_add_f64 v[50:51], v[50:51], -v[52:53]
	v_add_f64 v[38:39], v[38:39], -v[48:49]
	v_add_f64 v[44:45], v[46:47], -v[44:45]
	v_add_f64 v[38:39], v[38:39], v[50:51]
	v_add_f64 v[40:41], v[40:41], -v[44:45]
	s_mov_b32 s30, 0
	v_add_f64 v[38:39], v[38:39], v[40:41]
	s_mov_b32 s31, 0x7ff00000
	v_add_f64 v[38:39], v[46:47], v[38:39]
	v_cmp_eq_f64_e64 s[30:31], s[30:31], v[32:33]
	s_nop 1
	v_cndmask_b32_e64 v1, v38, v32, s[30:31]
	v_cndmask_b32_e64 v35, v39, v33, s[30:31]
	v_mov_b32_e32 v38, 0x7ff80000
	v_cmp_ngt_f64_e64 s[30:31], -1.0, v[32:33]
	s_nop 1
	v_cndmask_b32_e64 v35, v38, v35, s[30:31]
	v_cmp_nge_f64_e64 s[30:31], -1.0, v[32:33]
	s_nop 1
	v_cndmask_b32_e64 v38, 0, v1, s[30:31]
	v_mov_b32_e32 v1, 0xfff00000
	v_cmp_neq_f64_e64 s[30:31], -1.0, v[32:33]
	s_nop 1
	v_cndmask_b32_e64 v39, v1, v35, s[30:31]
	v_add_f64 v[72:73], v[30:31], v[38:39]
.LBB80_32:
	s_or_b64 exec, exec, s[36:37]
	v_max_f64 v[38:39], v[26:27], v[26:27]
	v_max_f64 v[30:31], v[72:73], v[72:73]
	v_min_f64 v[32:33], v[30:31], v[38:39]
	v_cmp_u_f64_e64 s[34:35], v[72:73], v[72:73]
	v_cmp_u_f64_e64 s[30:31], v[26:27], v[26:27]
	v_max_f64 v[30:31], v[30:31], v[38:39]
	v_cndmask_b32_e64 v1, v32, v72, s[34:35]
	v_cndmask_b32_e64 v32, v33, v73, s[34:35]
	;; [unrolled: 1-line block ×8, first 2 shown]
	v_cmp_neq_f64_e64 s[34:35], v[32:33], v[30:31]
	v_cmp_class_f64_e64 s[36:37], v[32:33], s33
	s_or_b64 s[34:35], s[34:35], s[36:37]
	s_and_saveexec_b64 s[38:39], s[34:35]
	s_cbranch_execz .LBB80_34
; %bb.33:
	s_mov_b32 s34, 0x652b82fe
	v_add_f64 v[32:33], v[32:33], -v[30:31]
	s_mov_b32 s35, 0x3ff71547
	v_mul_f64 v[40:41], v[32:33], s[34:35]
	v_rndne_f64_e32 v[40:41], v[40:41]
	s_mov_b32 s41, 0xbfe62e42
	s_mov_b32 s40, 0xfefa39ef
	v_fma_f64 v[44:45], s[40:41], v[40:41], v[32:33]
	s_mov_b32 s43, 0xbc7abc9e
	s_mov_b32 s42, 0x3b39803f
	;; [unrolled: 1-line block ×3, first 2 shown]
	v_fmac_f64_e32 v[44:45], s[42:43], v[40:41]
	v_mov_b32_e32 v46, 0xfca7ab0c
	v_mov_b32_e32 v47, 0x3e928af3
	s_mov_b32 s35, 0x3e5ade15
	v_fmac_f64_e32 v[46:47], s[34:35], v[44:45]
	v_mov_b32_e32 v48, 0x623fde64
	v_mov_b32_e32 v49, 0x3ec71dee
	v_fmac_f64_e32 v[48:49], v[44:45], v[46:47]
	v_mov_b32_e32 v46, 0x7c89e6b0
	v_mov_b32_e32 v47, 0x3efa0199
	;; [unrolled: 3-line block ×8, first 2 shown]
	v_fmac_f64_e32 v[46:47], v[44:45], v[48:49]
	v_fma_f64 v[46:47], v[44:45], v[46:47], 1.0
	s_mov_b32 s34, 0
	s_mov_b32 s36, 0
	v_fma_f64 v[44:45], v[44:45], v[46:47], 1.0
	v_cvt_i32_f64_e32 v1, v[40:41]
	s_mov_b32 s35, 0x40900000
	s_mov_b32 s37, 0xc090cc00
	v_ldexp_f64 v[40:41], v[44:45], v1
	v_mov_b32_e32 v1, 0x7ff00000
	v_cmp_nlt_f64_e64 s[34:35], s[34:35], v[32:33]
	v_cmp_ngt_f64_e64 s[36:37], s[36:37], v[32:33]
	s_mov_b32 s41, 0x3fe62e42
	v_cndmask_b32_e64 v1, v1, v41, s[34:35]
	s_and_b64 s[34:35], s[36:37], s[34:35]
	v_cndmask_b32_e64 v33, 0, v1, s[36:37]
	v_cndmask_b32_e64 v32, 0, v40, s[34:35]
	v_add_f64 v[40:41], v[32:33], 1.0
	v_add_f64 v[44:45], v[40:41], -1.0
	v_add_f64 v[46:47], v[44:45], -v[40:41]
	v_add_f64 v[46:47], v[46:47], 1.0
	v_add_f64 v[44:45], v[32:33], -v[44:45]
	s_mov_b32 s34, 0x55555555
	v_add_f64 v[44:45], v[44:45], v[46:47]
	v_frexp_mant_f64_e32 v[46:47], v[40:41]
	s_mov_b32 s35, 0x3fe55555
	v_frexp_exp_i32_f64_e32 v1, v[40:41]
	v_cmp_gt_f64_e64 s[34:35], s[34:35], v[46:47]
	s_mov_b32 s43, 0x3c7abc9e
	s_nop 0
	v_subbrev_co_u32_e64 v1, s[34:35], 0, v1, s[34:35]
	v_sub_u32_e32 v35, 0, v1
	v_ldexp_f64 v[40:41], v[40:41], v35
	v_add_f64 v[46:47], v[40:41], -1.0
	v_add_f64 v[52:53], v[40:41], 1.0
	v_add_f64 v[48:49], v[46:47], 1.0
	v_add_f64 v[54:55], v[52:53], -1.0
	v_ldexp_f64 v[44:45], v[44:45], v35
	v_add_f64 v[48:49], v[40:41], -v[48:49]
	v_add_f64 v[40:41], v[40:41], -v[54:55]
	v_add_f64 v[40:41], v[44:45], v[40:41]
	v_add_f64 v[48:49], v[44:45], v[48:49]
	;; [unrolled: 1-line block ×3, first 2 shown]
	v_rcp_f64_e32 v[54:55], v[44:45]
	v_add_f64 v[50:51], v[46:47], v[48:49]
	v_add_f64 v[46:47], v[50:51], -v[46:47]
	v_add_f64 v[46:47], v[48:49], -v[46:47]
	;; [unrolled: 1-line block ×4, first 2 shown]
	v_fma_f64 v[48:49], -v[44:45], v[54:55], 1.0
	v_fmac_f64_e32 v[54:55], v[48:49], v[54:55]
	v_fma_f64 v[48:49], -v[44:45], v[54:55], 1.0
	v_fmac_f64_e32 v[54:55], v[48:49], v[54:55]
	v_mul_f64 v[48:49], v[50:51], v[54:55]
	v_mul_f64 v[52:53], v[44:45], v[48:49]
	v_fma_f64 v[56:57], v[48:49], v[44:45], -v[52:53]
	v_fmac_f64_e32 v[56:57], v[48:49], v[40:41]
	v_add_f64 v[58:59], v[52:53], v[56:57]
	v_add_f64 v[60:61], v[50:51], -v[58:59]
	v_add_f64 v[50:51], v[50:51], -v[60:61]
	;; [unrolled: 1-line block ×4, first 2 shown]
	v_add_f64 v[46:47], v[46:47], v[50:51]
	v_add_f64 v[50:51], v[52:53], -v[56:57]
	v_add_f64 v[46:47], v[50:51], v[46:47]
	v_add_f64 v[50:51], v[60:61], v[46:47]
	v_add_f64 v[52:53], v[60:61], -v[50:51]
	v_add_f64 v[46:47], v[46:47], v[52:53]
	v_mul_f64 v[52:53], v[54:55], v[50:51]
	v_mul_f64 v[56:57], v[44:45], v[52:53]
	v_fma_f64 v[44:45], v[52:53], v[44:45], -v[56:57]
	v_fmac_f64_e32 v[44:45], v[52:53], v[40:41]
	v_add_f64 v[40:41], v[56:57], v[44:45]
	v_add_f64 v[58:59], v[50:51], -v[40:41]
	v_add_f64 v[50:51], v[50:51], -v[58:59]
	;; [unrolled: 1-line block ×4, first 2 shown]
	v_add_f64 v[40:41], v[46:47], v[40:41]
	v_add_f64 v[44:45], v[56:57], -v[44:45]
	v_add_f64 v[40:41], v[44:45], v[40:41]
	v_add_f64 v[44:45], v[48:49], v[52:53]
	;; [unrolled: 1-line block ×3, first 2 shown]
	v_add_f64 v[46:47], v[44:45], -v[48:49]
	v_mul_f64 v[40:41], v[54:55], v[40:41]
	v_add_f64 v[46:47], v[52:53], -v[46:47]
	v_add_f64 v[40:41], v[46:47], v[40:41]
	v_add_f64 v[46:47], v[44:45], v[40:41]
	v_add_f64 v[44:45], v[46:47], -v[44:45]
	s_mov_b32 s34, 0xbf559e2b
	v_add_f64 v[40:41], v[40:41], -v[44:45]
	v_mul_f64 v[44:45], v[46:47], v[46:47]
	v_mov_b32_e32 v48, 0x6b47b09a
	v_mov_b32_e32 v49, 0x3fc38538
	s_mov_b32 s35, 0x3fc3ab76
	v_fmac_f64_e32 v[48:49], s[34:35], v[44:45]
	v_mov_b32_e32 v50, 0xd7f4df2e
	v_mov_b32_e32 v51, 0x3fc7474d
	v_fmac_f64_e32 v[50:51], v[44:45], v[48:49]
	v_mov_b32_e32 v48, 0x16291751
	v_mov_b32_e32 v49, 0x3fcc71c0
	;; [unrolled: 3-line block ×5, first 2 shown]
	v_fmac_f64_e32 v[50:51], v[44:45], v[48:49]
	v_cvt_f64_i32_e32 v[48:49], v1
	v_mul_f64 v[52:53], v[48:49], s[40:41]
	v_fma_f64 v[54:55], v[48:49], s[40:41], -v[52:53]
	v_fmac_f64_e32 v[54:55], s[42:43], v[48:49]
	v_add_f64 v[48:49], v[52:53], v[54:55]
	v_add_f64 v[52:53], v[48:49], -v[52:53]
	v_mul_f64 v[44:45], v[46:47], v[44:45]
	v_add_f64 v[52:53], v[54:55], -v[52:53]
	v_ldexp_f64 v[54:55], v[46:47], 1
	v_mul_f64 v[44:45], v[44:45], v[50:51]
	v_add_f64 v[46:47], v[54:55], v[44:45]
	v_add_f64 v[50:51], v[46:47], -v[54:55]
	v_ldexp_f64 v[40:41], v[40:41], 1
	v_add_f64 v[44:45], v[44:45], -v[50:51]
	v_add_f64 v[40:41], v[40:41], v[44:45]
	v_add_f64 v[44:45], v[46:47], v[40:41]
	v_add_f64 v[46:47], v[44:45], -v[46:47]
	v_add_f64 v[40:41], v[40:41], -v[46:47]
	v_add_f64 v[46:47], v[48:49], v[44:45]
	v_add_f64 v[50:51], v[46:47], -v[48:49]
	v_add_f64 v[54:55], v[46:47], -v[50:51]
	;; [unrolled: 1-line block ×4, first 2 shown]
	v_add_f64 v[44:45], v[44:45], v[48:49]
	v_add_f64 v[48:49], v[52:53], v[40:41]
	v_add_f64 v[50:51], v[48:49], -v[52:53]
	v_add_f64 v[44:45], v[48:49], v[44:45]
	v_add_f64 v[54:55], v[48:49], -v[50:51]
	;; [unrolled: 2-line block ×3, first 2 shown]
	v_add_f64 v[40:41], v[40:41], -v[50:51]
	v_add_f64 v[46:47], v[48:49], -v[46:47]
	v_add_f64 v[40:41], v[40:41], v[52:53]
	v_add_f64 v[44:45], v[44:45], -v[46:47]
	s_mov_b32 s34, 0
	v_add_f64 v[40:41], v[40:41], v[44:45]
	s_mov_b32 s35, 0x7ff00000
	v_add_f64 v[40:41], v[48:49], v[40:41]
	v_cmp_eq_f64_e64 s[34:35], s[34:35], v[32:33]
	s_nop 1
	v_cndmask_b32_e64 v1, v40, v32, s[34:35]
	v_cndmask_b32_e64 v35, v41, v33, s[34:35]
	v_mov_b32_e32 v40, 0x7ff80000
	v_cmp_ngt_f64_e64 s[34:35], -1.0, v[32:33]
	s_nop 1
	v_cndmask_b32_e64 v35, v40, v35, s[34:35]
	v_cmp_nge_f64_e64 s[34:35], -1.0, v[32:33]
	s_nop 1
	v_cndmask_b32_e64 v40, 0, v1, s[34:35]
	v_mov_b32_e32 v1, 0xfff00000
	v_cmp_neq_f64_e64 s[34:35], -1.0, v[32:33]
	s_nop 1
	v_cndmask_b32_e64 v41, v1, v35, s[34:35]
	v_add_f64 v[72:73], v[30:31], v[40:41]
.LBB80_34:
	s_or_b64 exec, exec, s[38:39]
	v_max_f64 v[40:41], v[28:29], v[28:29]
	v_max_f64 v[30:31], v[72:73], v[72:73]
	v_min_f64 v[32:33], v[30:31], v[40:41]
	v_cmp_u_f64_e64 s[36:37], v[72:73], v[72:73]
	v_cmp_u_f64_e64 s[34:35], v[28:29], v[28:29]
	v_max_f64 v[30:31], v[30:31], v[40:41]
	v_cndmask_b32_e64 v1, v32, v72, s[36:37]
	v_cndmask_b32_e64 v32, v33, v73, s[36:37]
	;; [unrolled: 1-line block ×8, first 2 shown]
	v_cmp_neq_f64_e64 s[36:37], v[32:33], v[30:31]
	v_cmp_class_f64_e64 s[38:39], v[32:33], s33
	s_or_b64 s[36:37], s[36:37], s[38:39]
	s_and_saveexec_b64 s[40:41], s[36:37]
	s_cbranch_execz .LBB80_36
; %bb.35:
	s_mov_b32 s36, 0x652b82fe
	v_add_f64 v[32:33], v[32:33], -v[30:31]
	s_mov_b32 s37, 0x3ff71547
	v_mul_f64 v[44:45], v[32:33], s[36:37]
	v_rndne_f64_e32 v[44:45], v[44:45]
	s_mov_b32 s43, 0xbfe62e42
	s_mov_b32 s42, 0xfefa39ef
	v_fma_f64 v[46:47], s[42:43], v[44:45], v[32:33]
	s_mov_b32 s45, 0xbc7abc9e
	s_mov_b32 s44, 0x3b39803f
	;; [unrolled: 1-line block ×3, first 2 shown]
	v_fmac_f64_e32 v[46:47], s[44:45], v[44:45]
	v_mov_b32_e32 v48, 0xfca7ab0c
	v_mov_b32_e32 v49, 0x3e928af3
	s_mov_b32 s37, 0x3e5ade15
	v_fmac_f64_e32 v[48:49], s[36:37], v[46:47]
	v_mov_b32_e32 v50, 0x623fde64
	v_mov_b32_e32 v51, 0x3ec71dee
	v_fmac_f64_e32 v[50:51], v[46:47], v[48:49]
	v_mov_b32_e32 v48, 0x7c89e6b0
	v_mov_b32_e32 v49, 0x3efa0199
	;; [unrolled: 3-line block ×8, first 2 shown]
	v_fmac_f64_e32 v[48:49], v[46:47], v[50:51]
	v_fma_f64 v[48:49], v[46:47], v[48:49], 1.0
	s_mov_b32 s36, 0
	s_mov_b32 s38, 0
	v_fma_f64 v[46:47], v[46:47], v[48:49], 1.0
	v_cvt_i32_f64_e32 v1, v[44:45]
	s_mov_b32 s37, 0x40900000
	s_mov_b32 s39, 0xc090cc00
	v_ldexp_f64 v[44:45], v[46:47], v1
	v_mov_b32_e32 v1, 0x7ff00000
	v_cmp_nlt_f64_e64 s[36:37], s[36:37], v[32:33]
	v_cmp_ngt_f64_e64 s[38:39], s[38:39], v[32:33]
	s_mov_b32 s43, 0x3fe62e42
	v_cndmask_b32_e64 v1, v1, v45, s[36:37]
	s_and_b64 s[36:37], s[38:39], s[36:37]
	v_cndmask_b32_e64 v33, 0, v1, s[38:39]
	v_cndmask_b32_e64 v32, 0, v44, s[36:37]
	v_add_f64 v[44:45], v[32:33], 1.0
	v_add_f64 v[46:47], v[44:45], -1.0
	v_add_f64 v[48:49], v[46:47], -v[44:45]
	v_add_f64 v[48:49], v[48:49], 1.0
	v_add_f64 v[46:47], v[32:33], -v[46:47]
	s_mov_b32 s36, 0x55555555
	v_add_f64 v[46:47], v[46:47], v[48:49]
	v_frexp_mant_f64_e32 v[48:49], v[44:45]
	s_mov_b32 s37, 0x3fe55555
	v_frexp_exp_i32_f64_e32 v1, v[44:45]
	v_cmp_gt_f64_e64 s[36:37], s[36:37], v[48:49]
	s_mov_b32 s45, 0x3c7abc9e
	s_nop 0
	v_subbrev_co_u32_e64 v1, s[36:37], 0, v1, s[36:37]
	v_sub_u32_e32 v35, 0, v1
	v_ldexp_f64 v[44:45], v[44:45], v35
	v_add_f64 v[48:49], v[44:45], -1.0
	v_add_f64 v[54:55], v[44:45], 1.0
	v_add_f64 v[50:51], v[48:49], 1.0
	v_add_f64 v[56:57], v[54:55], -1.0
	v_ldexp_f64 v[46:47], v[46:47], v35
	v_add_f64 v[50:51], v[44:45], -v[50:51]
	v_add_f64 v[44:45], v[44:45], -v[56:57]
	v_add_f64 v[44:45], v[46:47], v[44:45]
	v_add_f64 v[50:51], v[46:47], v[50:51]
	;; [unrolled: 1-line block ×3, first 2 shown]
	v_rcp_f64_e32 v[56:57], v[46:47]
	v_add_f64 v[52:53], v[48:49], v[50:51]
	v_add_f64 v[48:49], v[52:53], -v[48:49]
	v_add_f64 v[48:49], v[50:51], -v[48:49]
	;; [unrolled: 1-line block ×4, first 2 shown]
	v_fma_f64 v[50:51], -v[46:47], v[56:57], 1.0
	v_fmac_f64_e32 v[56:57], v[50:51], v[56:57]
	v_fma_f64 v[50:51], -v[46:47], v[56:57], 1.0
	v_fmac_f64_e32 v[56:57], v[50:51], v[56:57]
	v_mul_f64 v[50:51], v[52:53], v[56:57]
	v_mul_f64 v[54:55], v[46:47], v[50:51]
	v_fma_f64 v[58:59], v[50:51], v[46:47], -v[54:55]
	v_fmac_f64_e32 v[58:59], v[50:51], v[44:45]
	v_add_f64 v[60:61], v[54:55], v[58:59]
	v_add_f64 v[62:63], v[52:53], -v[60:61]
	v_add_f64 v[52:53], v[52:53], -v[62:63]
	;; [unrolled: 1-line block ×4, first 2 shown]
	v_add_f64 v[48:49], v[48:49], v[52:53]
	v_add_f64 v[52:53], v[54:55], -v[58:59]
	v_add_f64 v[48:49], v[52:53], v[48:49]
	v_add_f64 v[52:53], v[62:63], v[48:49]
	v_add_f64 v[54:55], v[62:63], -v[52:53]
	v_add_f64 v[48:49], v[48:49], v[54:55]
	v_mul_f64 v[54:55], v[56:57], v[52:53]
	v_mul_f64 v[58:59], v[46:47], v[54:55]
	v_fma_f64 v[46:47], v[54:55], v[46:47], -v[58:59]
	v_fmac_f64_e32 v[46:47], v[54:55], v[44:45]
	v_add_f64 v[44:45], v[58:59], v[46:47]
	v_add_f64 v[60:61], v[52:53], -v[44:45]
	v_add_f64 v[52:53], v[52:53], -v[60:61]
	;; [unrolled: 1-line block ×4, first 2 shown]
	v_add_f64 v[44:45], v[48:49], v[44:45]
	v_add_f64 v[46:47], v[58:59], -v[46:47]
	v_add_f64 v[44:45], v[46:47], v[44:45]
	v_add_f64 v[46:47], v[50:51], v[54:55]
	v_add_f64 v[44:45], v[60:61], v[44:45]
	v_add_f64 v[48:49], v[46:47], -v[50:51]
	v_mul_f64 v[44:45], v[56:57], v[44:45]
	v_add_f64 v[48:49], v[54:55], -v[48:49]
	v_add_f64 v[44:45], v[48:49], v[44:45]
	v_add_f64 v[48:49], v[46:47], v[44:45]
	v_add_f64 v[46:47], v[48:49], -v[46:47]
	s_mov_b32 s36, 0xbf559e2b
	v_add_f64 v[44:45], v[44:45], -v[46:47]
	v_mul_f64 v[46:47], v[48:49], v[48:49]
	v_mov_b32_e32 v50, 0x6b47b09a
	v_mov_b32_e32 v51, 0x3fc38538
	s_mov_b32 s37, 0x3fc3ab76
	v_fmac_f64_e32 v[50:51], s[36:37], v[46:47]
	v_mov_b32_e32 v52, 0xd7f4df2e
	v_mov_b32_e32 v53, 0x3fc7474d
	v_fmac_f64_e32 v[52:53], v[46:47], v[50:51]
	v_mov_b32_e32 v50, 0x16291751
	v_mov_b32_e32 v51, 0x3fcc71c0
	;; [unrolled: 3-line block ×5, first 2 shown]
	v_fmac_f64_e32 v[52:53], v[46:47], v[50:51]
	v_cvt_f64_i32_e32 v[50:51], v1
	v_mul_f64 v[54:55], v[50:51], s[42:43]
	v_fma_f64 v[56:57], v[50:51], s[42:43], -v[54:55]
	v_fmac_f64_e32 v[56:57], s[44:45], v[50:51]
	v_add_f64 v[50:51], v[54:55], v[56:57]
	v_add_f64 v[54:55], v[50:51], -v[54:55]
	v_mul_f64 v[46:47], v[48:49], v[46:47]
	v_add_f64 v[54:55], v[56:57], -v[54:55]
	v_ldexp_f64 v[56:57], v[48:49], 1
	v_mul_f64 v[46:47], v[46:47], v[52:53]
	v_add_f64 v[48:49], v[56:57], v[46:47]
	v_add_f64 v[52:53], v[48:49], -v[56:57]
	v_ldexp_f64 v[44:45], v[44:45], 1
	v_add_f64 v[46:47], v[46:47], -v[52:53]
	v_add_f64 v[44:45], v[44:45], v[46:47]
	v_add_f64 v[46:47], v[48:49], v[44:45]
	v_add_f64 v[48:49], v[46:47], -v[48:49]
	v_add_f64 v[44:45], v[44:45], -v[48:49]
	v_add_f64 v[48:49], v[50:51], v[46:47]
	v_add_f64 v[52:53], v[48:49], -v[50:51]
	v_add_f64 v[56:57], v[48:49], -v[52:53]
	;; [unrolled: 1-line block ×4, first 2 shown]
	v_add_f64 v[46:47], v[46:47], v[50:51]
	v_add_f64 v[50:51], v[54:55], v[44:45]
	v_add_f64 v[52:53], v[50:51], -v[54:55]
	v_add_f64 v[46:47], v[50:51], v[46:47]
	v_add_f64 v[56:57], v[50:51], -v[52:53]
	;; [unrolled: 2-line block ×3, first 2 shown]
	v_add_f64 v[44:45], v[44:45], -v[52:53]
	v_add_f64 v[48:49], v[50:51], -v[48:49]
	v_add_f64 v[44:45], v[44:45], v[54:55]
	v_add_f64 v[46:47], v[46:47], -v[48:49]
	s_mov_b32 s36, 0
	v_add_f64 v[44:45], v[44:45], v[46:47]
	s_mov_b32 s37, 0x7ff00000
	v_add_f64 v[44:45], v[50:51], v[44:45]
	v_cmp_eq_f64_e64 s[36:37], s[36:37], v[32:33]
	s_nop 1
	v_cndmask_b32_e64 v1, v44, v32, s[36:37]
	v_cndmask_b32_e64 v35, v45, v33, s[36:37]
	v_mov_b32_e32 v44, 0x7ff80000
	v_cmp_ngt_f64_e64 s[36:37], -1.0, v[32:33]
	s_nop 1
	v_cndmask_b32_e64 v35, v44, v35, s[36:37]
	v_cmp_nge_f64_e64 s[36:37], -1.0, v[32:33]
	s_nop 1
	v_cndmask_b32_e64 v44, 0, v1, s[36:37]
	v_mov_b32_e32 v1, 0xfff00000
	v_cmp_neq_f64_e64 s[36:37], -1.0, v[32:33]
	s_nop 1
	v_cndmask_b32_e64 v45, v1, v35, s[36:37]
	v_add_f64 v[72:73], v[30:31], v[44:45]
.LBB80_36:
	s_or_b64 exec, exec, s[40:41]
	v_max_f64 v[44:45], v[22:23], v[22:23]
	v_max_f64 v[30:31], v[72:73], v[72:73]
	v_min_f64 v[32:33], v[30:31], v[44:45]
	v_cmp_u_f64_e64 s[38:39], v[72:73], v[72:73]
	v_cmp_u_f64_e64 s[36:37], v[22:23], v[22:23]
	v_max_f64 v[30:31], v[30:31], v[44:45]
	v_cndmask_b32_e64 v1, v32, v72, s[38:39]
	v_cndmask_b32_e64 v32, v33, v73, s[38:39]
	;; [unrolled: 1-line block ×8, first 2 shown]
	v_cmp_neq_f64_e64 s[38:39], v[32:33], v[30:31]
	v_cmp_class_f64_e64 s[40:41], v[32:33], s33
	s_or_b64 s[38:39], s[38:39], s[40:41]
	s_and_saveexec_b64 s[42:43], s[38:39]
	s_cbranch_execz .LBB80_38
; %bb.37:
	s_mov_b32 s38, 0x652b82fe
	v_add_f64 v[32:33], v[32:33], -v[30:31]
	s_mov_b32 s39, 0x3ff71547
	v_mul_f64 v[46:47], v[32:33], s[38:39]
	v_rndne_f64_e32 v[46:47], v[46:47]
	s_mov_b32 s45, 0xbfe62e42
	s_mov_b32 s44, 0xfefa39ef
	v_fma_f64 v[48:49], s[44:45], v[46:47], v[32:33]
	s_mov_b32 s47, 0xbc7abc9e
	s_mov_b32 s46, 0x3b39803f
	;; [unrolled: 1-line block ×3, first 2 shown]
	v_fmac_f64_e32 v[48:49], s[46:47], v[46:47]
	v_mov_b32_e32 v50, 0xfca7ab0c
	v_mov_b32_e32 v51, 0x3e928af3
	s_mov_b32 s39, 0x3e5ade15
	v_fmac_f64_e32 v[50:51], s[38:39], v[48:49]
	v_mov_b32_e32 v52, 0x623fde64
	v_mov_b32_e32 v53, 0x3ec71dee
	v_fmac_f64_e32 v[52:53], v[48:49], v[50:51]
	v_mov_b32_e32 v50, 0x7c89e6b0
	v_mov_b32_e32 v51, 0x3efa0199
	;; [unrolled: 3-line block ×8, first 2 shown]
	v_fmac_f64_e32 v[50:51], v[48:49], v[52:53]
	v_fma_f64 v[50:51], v[48:49], v[50:51], 1.0
	s_mov_b32 s38, 0
	s_mov_b32 s40, 0
	v_fma_f64 v[48:49], v[48:49], v[50:51], 1.0
	v_cvt_i32_f64_e32 v1, v[46:47]
	s_mov_b32 s39, 0x40900000
	s_mov_b32 s41, 0xc090cc00
	v_ldexp_f64 v[46:47], v[48:49], v1
	v_mov_b32_e32 v1, 0x7ff00000
	v_cmp_nlt_f64_e64 s[38:39], s[38:39], v[32:33]
	v_cmp_ngt_f64_e64 s[40:41], s[40:41], v[32:33]
	s_mov_b32 s45, 0x3fe62e42
	v_cndmask_b32_e64 v1, v1, v47, s[38:39]
	s_and_b64 s[38:39], s[40:41], s[38:39]
	v_cndmask_b32_e64 v33, 0, v1, s[40:41]
	v_cndmask_b32_e64 v32, 0, v46, s[38:39]
	v_add_f64 v[46:47], v[32:33], 1.0
	v_add_f64 v[48:49], v[46:47], -1.0
	v_add_f64 v[50:51], v[48:49], -v[46:47]
	v_add_f64 v[50:51], v[50:51], 1.0
	v_add_f64 v[48:49], v[32:33], -v[48:49]
	s_mov_b32 s38, 0x55555555
	v_add_f64 v[48:49], v[48:49], v[50:51]
	v_frexp_mant_f64_e32 v[50:51], v[46:47]
	s_mov_b32 s39, 0x3fe55555
	v_frexp_exp_i32_f64_e32 v1, v[46:47]
	v_cmp_gt_f64_e64 s[38:39], s[38:39], v[50:51]
	s_mov_b32 s47, 0x3c7abc9e
	s_nop 0
	v_subbrev_co_u32_e64 v1, s[38:39], 0, v1, s[38:39]
	v_sub_u32_e32 v35, 0, v1
	v_ldexp_f64 v[46:47], v[46:47], v35
	v_add_f64 v[50:51], v[46:47], -1.0
	v_add_f64 v[56:57], v[46:47], 1.0
	v_add_f64 v[52:53], v[50:51], 1.0
	v_add_f64 v[58:59], v[56:57], -1.0
	v_ldexp_f64 v[48:49], v[48:49], v35
	v_add_f64 v[52:53], v[46:47], -v[52:53]
	v_add_f64 v[46:47], v[46:47], -v[58:59]
	v_add_f64 v[46:47], v[48:49], v[46:47]
	v_add_f64 v[52:53], v[48:49], v[52:53]
	;; [unrolled: 1-line block ×3, first 2 shown]
	v_rcp_f64_e32 v[58:59], v[48:49]
	v_add_f64 v[54:55], v[50:51], v[52:53]
	v_add_f64 v[50:51], v[54:55], -v[50:51]
	v_add_f64 v[50:51], v[52:53], -v[50:51]
	;; [unrolled: 1-line block ×4, first 2 shown]
	v_fma_f64 v[52:53], -v[48:49], v[58:59], 1.0
	v_fmac_f64_e32 v[58:59], v[52:53], v[58:59]
	v_fma_f64 v[52:53], -v[48:49], v[58:59], 1.0
	v_fmac_f64_e32 v[58:59], v[52:53], v[58:59]
	v_mul_f64 v[52:53], v[54:55], v[58:59]
	v_mul_f64 v[56:57], v[48:49], v[52:53]
	v_fma_f64 v[60:61], v[52:53], v[48:49], -v[56:57]
	v_fmac_f64_e32 v[60:61], v[52:53], v[46:47]
	v_add_f64 v[62:63], v[56:57], v[60:61]
	v_add_f64 v[64:65], v[54:55], -v[62:63]
	v_add_f64 v[54:55], v[54:55], -v[64:65]
	;; [unrolled: 1-line block ×4, first 2 shown]
	v_add_f64 v[50:51], v[50:51], v[54:55]
	v_add_f64 v[54:55], v[56:57], -v[60:61]
	v_add_f64 v[50:51], v[54:55], v[50:51]
	v_add_f64 v[54:55], v[64:65], v[50:51]
	v_add_f64 v[56:57], v[64:65], -v[54:55]
	v_add_f64 v[50:51], v[50:51], v[56:57]
	v_mul_f64 v[56:57], v[58:59], v[54:55]
	v_mul_f64 v[60:61], v[48:49], v[56:57]
	v_fma_f64 v[48:49], v[56:57], v[48:49], -v[60:61]
	v_fmac_f64_e32 v[48:49], v[56:57], v[46:47]
	v_add_f64 v[46:47], v[60:61], v[48:49]
	v_add_f64 v[62:63], v[54:55], -v[46:47]
	v_add_f64 v[54:55], v[54:55], -v[62:63]
	;; [unrolled: 1-line block ×4, first 2 shown]
	v_add_f64 v[46:47], v[50:51], v[46:47]
	v_add_f64 v[48:49], v[60:61], -v[48:49]
	v_add_f64 v[46:47], v[48:49], v[46:47]
	v_add_f64 v[48:49], v[52:53], v[56:57]
	;; [unrolled: 1-line block ×3, first 2 shown]
	v_add_f64 v[50:51], v[48:49], -v[52:53]
	v_mul_f64 v[46:47], v[58:59], v[46:47]
	v_add_f64 v[50:51], v[56:57], -v[50:51]
	v_add_f64 v[46:47], v[50:51], v[46:47]
	v_add_f64 v[50:51], v[48:49], v[46:47]
	v_add_f64 v[48:49], v[50:51], -v[48:49]
	s_mov_b32 s38, 0xbf559e2b
	v_add_f64 v[46:47], v[46:47], -v[48:49]
	v_mul_f64 v[48:49], v[50:51], v[50:51]
	v_mov_b32_e32 v52, 0x6b47b09a
	v_mov_b32_e32 v53, 0x3fc38538
	s_mov_b32 s39, 0x3fc3ab76
	v_fmac_f64_e32 v[52:53], s[38:39], v[48:49]
	v_mov_b32_e32 v54, 0xd7f4df2e
	v_mov_b32_e32 v55, 0x3fc7474d
	v_fmac_f64_e32 v[54:55], v[48:49], v[52:53]
	v_mov_b32_e32 v52, 0x16291751
	v_mov_b32_e32 v53, 0x3fcc71c0
	;; [unrolled: 3-line block ×5, first 2 shown]
	v_fmac_f64_e32 v[54:55], v[48:49], v[52:53]
	v_cvt_f64_i32_e32 v[52:53], v1
	v_mul_f64 v[56:57], v[52:53], s[44:45]
	v_fma_f64 v[58:59], v[52:53], s[44:45], -v[56:57]
	v_fmac_f64_e32 v[58:59], s[46:47], v[52:53]
	v_add_f64 v[52:53], v[56:57], v[58:59]
	v_add_f64 v[56:57], v[52:53], -v[56:57]
	v_mul_f64 v[48:49], v[50:51], v[48:49]
	v_add_f64 v[56:57], v[58:59], -v[56:57]
	v_ldexp_f64 v[58:59], v[50:51], 1
	v_mul_f64 v[48:49], v[48:49], v[54:55]
	v_add_f64 v[50:51], v[58:59], v[48:49]
	v_add_f64 v[54:55], v[50:51], -v[58:59]
	v_ldexp_f64 v[46:47], v[46:47], 1
	v_add_f64 v[48:49], v[48:49], -v[54:55]
	v_add_f64 v[46:47], v[46:47], v[48:49]
	v_add_f64 v[48:49], v[50:51], v[46:47]
	v_add_f64 v[50:51], v[48:49], -v[50:51]
	v_add_f64 v[46:47], v[46:47], -v[50:51]
	v_add_f64 v[50:51], v[52:53], v[48:49]
	v_add_f64 v[54:55], v[50:51], -v[52:53]
	v_add_f64 v[58:59], v[50:51], -v[54:55]
	;; [unrolled: 1-line block ×4, first 2 shown]
	v_add_f64 v[48:49], v[48:49], v[52:53]
	v_add_f64 v[52:53], v[56:57], v[46:47]
	v_add_f64 v[54:55], v[52:53], -v[56:57]
	v_add_f64 v[48:49], v[52:53], v[48:49]
	v_add_f64 v[58:59], v[52:53], -v[54:55]
	;; [unrolled: 2-line block ×3, first 2 shown]
	v_add_f64 v[46:47], v[46:47], -v[54:55]
	v_add_f64 v[50:51], v[52:53], -v[50:51]
	v_add_f64 v[46:47], v[46:47], v[56:57]
	v_add_f64 v[48:49], v[48:49], -v[50:51]
	s_mov_b32 s38, 0
	v_add_f64 v[46:47], v[46:47], v[48:49]
	s_mov_b32 s39, 0x7ff00000
	v_add_f64 v[46:47], v[52:53], v[46:47]
	v_cmp_eq_f64_e64 s[38:39], s[38:39], v[32:33]
	s_nop 1
	v_cndmask_b32_e64 v1, v46, v32, s[38:39]
	v_cndmask_b32_e64 v35, v47, v33, s[38:39]
	v_mov_b32_e32 v46, 0x7ff80000
	v_cmp_ngt_f64_e64 s[38:39], -1.0, v[32:33]
	s_nop 1
	v_cndmask_b32_e64 v35, v46, v35, s[38:39]
	v_cmp_nge_f64_e64 s[38:39], -1.0, v[32:33]
	s_nop 1
	v_cndmask_b32_e64 v46, 0, v1, s[38:39]
	v_mov_b32_e32 v1, 0xfff00000
	v_cmp_neq_f64_e64 s[38:39], -1.0, v[32:33]
	s_nop 1
	v_cndmask_b32_e64 v47, v1, v35, s[38:39]
	v_add_f64 v[72:73], v[30:31], v[46:47]
.LBB80_38:
	s_or_b64 exec, exec, s[42:43]
	v_max_f64 v[46:47], v[24:25], v[24:25]
	v_max_f64 v[30:31], v[72:73], v[72:73]
	v_min_f64 v[32:33], v[30:31], v[46:47]
	v_cmp_u_f64_e64 s[40:41], v[72:73], v[72:73]
	v_cmp_u_f64_e64 s[38:39], v[24:25], v[24:25]
	v_max_f64 v[30:31], v[30:31], v[46:47]
	v_cndmask_b32_e64 v1, v32, v72, s[40:41]
	v_cndmask_b32_e64 v32, v33, v73, s[40:41]
	;; [unrolled: 1-line block ×8, first 2 shown]
	v_cmp_neq_f64_e64 s[40:41], v[32:33], v[30:31]
	v_cmp_class_f64_e64 s[42:43], v[32:33], s33
	s_or_b64 s[40:41], s[40:41], s[42:43]
	s_and_saveexec_b64 s[44:45], s[40:41]
	s_cbranch_execz .LBB80_40
; %bb.39:
	s_mov_b32 s40, 0x652b82fe
	v_add_f64 v[32:33], v[32:33], -v[30:31]
	s_mov_b32 s41, 0x3ff71547
	v_mul_f64 v[48:49], v[32:33], s[40:41]
	v_rndne_f64_e32 v[48:49], v[48:49]
	s_mov_b32 s47, 0xbfe62e42
	s_mov_b32 s46, 0xfefa39ef
	v_fma_f64 v[50:51], s[46:47], v[48:49], v[32:33]
	s_mov_b32 s49, 0xbc7abc9e
	s_mov_b32 s48, 0x3b39803f
	;; [unrolled: 1-line block ×3, first 2 shown]
	v_fmac_f64_e32 v[50:51], s[48:49], v[48:49]
	v_mov_b32_e32 v52, 0xfca7ab0c
	v_mov_b32_e32 v53, 0x3e928af3
	s_mov_b32 s41, 0x3e5ade15
	v_fmac_f64_e32 v[52:53], s[40:41], v[50:51]
	v_mov_b32_e32 v54, 0x623fde64
	v_mov_b32_e32 v55, 0x3ec71dee
	v_fmac_f64_e32 v[54:55], v[50:51], v[52:53]
	v_mov_b32_e32 v52, 0x7c89e6b0
	v_mov_b32_e32 v53, 0x3efa0199
	;; [unrolled: 3-line block ×8, first 2 shown]
	v_fmac_f64_e32 v[52:53], v[50:51], v[54:55]
	v_fma_f64 v[52:53], v[50:51], v[52:53], 1.0
	s_mov_b32 s40, 0
	s_mov_b32 s42, 0
	v_fma_f64 v[50:51], v[50:51], v[52:53], 1.0
	v_cvt_i32_f64_e32 v1, v[48:49]
	s_mov_b32 s41, 0x40900000
	s_mov_b32 s43, 0xc090cc00
	v_ldexp_f64 v[48:49], v[50:51], v1
	v_mov_b32_e32 v1, 0x7ff00000
	v_cmp_nlt_f64_e64 s[40:41], s[40:41], v[32:33]
	v_cmp_ngt_f64_e64 s[42:43], s[42:43], v[32:33]
	s_mov_b32 s47, 0x3fe62e42
	v_cndmask_b32_e64 v1, v1, v49, s[40:41]
	s_and_b64 s[40:41], s[42:43], s[40:41]
	v_cndmask_b32_e64 v33, 0, v1, s[42:43]
	v_cndmask_b32_e64 v32, 0, v48, s[40:41]
	v_add_f64 v[48:49], v[32:33], 1.0
	v_add_f64 v[50:51], v[48:49], -1.0
	v_add_f64 v[52:53], v[50:51], -v[48:49]
	v_add_f64 v[52:53], v[52:53], 1.0
	v_add_f64 v[50:51], v[32:33], -v[50:51]
	s_mov_b32 s40, 0x55555555
	v_add_f64 v[50:51], v[50:51], v[52:53]
	v_frexp_mant_f64_e32 v[52:53], v[48:49]
	s_mov_b32 s41, 0x3fe55555
	v_frexp_exp_i32_f64_e32 v1, v[48:49]
	v_cmp_gt_f64_e64 s[40:41], s[40:41], v[52:53]
	s_mov_b32 s49, 0x3c7abc9e
	s_nop 0
	v_subbrev_co_u32_e64 v1, s[40:41], 0, v1, s[40:41]
	v_sub_u32_e32 v35, 0, v1
	v_ldexp_f64 v[48:49], v[48:49], v35
	v_add_f64 v[52:53], v[48:49], -1.0
	v_add_f64 v[58:59], v[48:49], 1.0
	v_add_f64 v[54:55], v[52:53], 1.0
	v_add_f64 v[60:61], v[58:59], -1.0
	v_ldexp_f64 v[50:51], v[50:51], v35
	v_add_f64 v[54:55], v[48:49], -v[54:55]
	v_add_f64 v[48:49], v[48:49], -v[60:61]
	v_add_f64 v[48:49], v[50:51], v[48:49]
	v_add_f64 v[54:55], v[50:51], v[54:55]
	;; [unrolled: 1-line block ×3, first 2 shown]
	v_rcp_f64_e32 v[60:61], v[50:51]
	v_add_f64 v[56:57], v[52:53], v[54:55]
	v_add_f64 v[52:53], v[56:57], -v[52:53]
	v_add_f64 v[52:53], v[54:55], -v[52:53]
	;; [unrolled: 1-line block ×4, first 2 shown]
	v_fma_f64 v[54:55], -v[50:51], v[60:61], 1.0
	v_fmac_f64_e32 v[60:61], v[54:55], v[60:61]
	v_fma_f64 v[54:55], -v[50:51], v[60:61], 1.0
	v_fmac_f64_e32 v[60:61], v[54:55], v[60:61]
	v_mul_f64 v[54:55], v[56:57], v[60:61]
	v_mul_f64 v[58:59], v[50:51], v[54:55]
	v_fma_f64 v[62:63], v[54:55], v[50:51], -v[58:59]
	v_fmac_f64_e32 v[62:63], v[54:55], v[48:49]
	v_add_f64 v[64:65], v[58:59], v[62:63]
	v_add_f64 v[72:73], v[56:57], -v[64:65]
	v_add_f64 v[56:57], v[56:57], -v[72:73]
	;; [unrolled: 1-line block ×4, first 2 shown]
	v_add_f64 v[52:53], v[52:53], v[56:57]
	v_add_f64 v[56:57], v[58:59], -v[62:63]
	v_add_f64 v[52:53], v[56:57], v[52:53]
	v_add_f64 v[56:57], v[72:73], v[52:53]
	v_add_f64 v[58:59], v[72:73], -v[56:57]
	v_add_f64 v[52:53], v[52:53], v[58:59]
	v_mul_f64 v[58:59], v[60:61], v[56:57]
	v_mul_f64 v[62:63], v[50:51], v[58:59]
	v_fma_f64 v[50:51], v[58:59], v[50:51], -v[62:63]
	v_fmac_f64_e32 v[50:51], v[58:59], v[48:49]
	v_add_f64 v[48:49], v[62:63], v[50:51]
	v_add_f64 v[64:65], v[56:57], -v[48:49]
	v_add_f64 v[56:57], v[56:57], -v[64:65]
	v_add_f64 v[62:63], v[48:49], -v[62:63]
	v_add_f64 v[48:49], v[56:57], -v[48:49]
	v_add_f64 v[48:49], v[52:53], v[48:49]
	v_add_f64 v[50:51], v[62:63], -v[50:51]
	v_add_f64 v[48:49], v[50:51], v[48:49]
	v_add_f64 v[50:51], v[54:55], v[58:59]
	;; [unrolled: 1-line block ×3, first 2 shown]
	v_add_f64 v[52:53], v[50:51], -v[54:55]
	v_mul_f64 v[48:49], v[60:61], v[48:49]
	v_add_f64 v[52:53], v[58:59], -v[52:53]
	v_add_f64 v[48:49], v[52:53], v[48:49]
	v_add_f64 v[52:53], v[50:51], v[48:49]
	v_add_f64 v[50:51], v[52:53], -v[50:51]
	s_mov_b32 s40, 0xbf559e2b
	v_add_f64 v[48:49], v[48:49], -v[50:51]
	v_mul_f64 v[50:51], v[52:53], v[52:53]
	v_mov_b32_e32 v54, 0x6b47b09a
	v_mov_b32_e32 v55, 0x3fc38538
	s_mov_b32 s41, 0x3fc3ab76
	v_fmac_f64_e32 v[54:55], s[40:41], v[50:51]
	v_mov_b32_e32 v56, 0xd7f4df2e
	v_mov_b32_e32 v57, 0x3fc7474d
	v_fmac_f64_e32 v[56:57], v[50:51], v[54:55]
	v_mov_b32_e32 v54, 0x16291751
	v_mov_b32_e32 v55, 0x3fcc71c0
	;; [unrolled: 3-line block ×5, first 2 shown]
	v_fmac_f64_e32 v[56:57], v[50:51], v[54:55]
	v_cvt_f64_i32_e32 v[54:55], v1
	v_mul_f64 v[58:59], v[54:55], s[46:47]
	v_fma_f64 v[60:61], v[54:55], s[46:47], -v[58:59]
	v_fmac_f64_e32 v[60:61], s[48:49], v[54:55]
	v_add_f64 v[54:55], v[58:59], v[60:61]
	v_add_f64 v[58:59], v[54:55], -v[58:59]
	v_mul_f64 v[50:51], v[52:53], v[50:51]
	v_add_f64 v[58:59], v[60:61], -v[58:59]
	v_ldexp_f64 v[60:61], v[52:53], 1
	v_mul_f64 v[50:51], v[50:51], v[56:57]
	v_add_f64 v[52:53], v[60:61], v[50:51]
	v_add_f64 v[56:57], v[52:53], -v[60:61]
	v_ldexp_f64 v[48:49], v[48:49], 1
	v_add_f64 v[50:51], v[50:51], -v[56:57]
	v_add_f64 v[48:49], v[48:49], v[50:51]
	v_add_f64 v[50:51], v[52:53], v[48:49]
	v_add_f64 v[52:53], v[50:51], -v[52:53]
	v_add_f64 v[48:49], v[48:49], -v[52:53]
	v_add_f64 v[52:53], v[54:55], v[50:51]
	v_add_f64 v[56:57], v[52:53], -v[54:55]
	v_add_f64 v[60:61], v[52:53], -v[56:57]
	;; [unrolled: 1-line block ×4, first 2 shown]
	v_add_f64 v[50:51], v[50:51], v[54:55]
	v_add_f64 v[54:55], v[58:59], v[48:49]
	v_add_f64 v[56:57], v[54:55], -v[58:59]
	v_add_f64 v[50:51], v[54:55], v[50:51]
	v_add_f64 v[60:61], v[54:55], -v[56:57]
	v_add_f64 v[54:55], v[52:53], v[50:51]
	v_add_f64 v[58:59], v[58:59], -v[60:61]
	v_add_f64 v[48:49], v[48:49], -v[56:57]
	v_add_f64 v[52:53], v[54:55], -v[52:53]
	v_add_f64 v[48:49], v[48:49], v[58:59]
	v_add_f64 v[50:51], v[50:51], -v[52:53]
	s_mov_b32 s40, 0
	v_add_f64 v[48:49], v[48:49], v[50:51]
	s_mov_b32 s41, 0x7ff00000
	v_add_f64 v[48:49], v[54:55], v[48:49]
	v_cmp_eq_f64_e64 s[40:41], s[40:41], v[32:33]
	s_nop 1
	v_cndmask_b32_e64 v1, v48, v32, s[40:41]
	v_cndmask_b32_e64 v35, v49, v33, s[40:41]
	v_mov_b32_e32 v48, 0x7ff80000
	v_cmp_ngt_f64_e64 s[40:41], -1.0, v[32:33]
	s_nop 1
	v_cndmask_b32_e64 v35, v48, v35, s[40:41]
	v_cmp_nge_f64_e64 s[40:41], -1.0, v[32:33]
	s_nop 1
	v_cndmask_b32_e64 v48, 0, v1, s[40:41]
	v_mov_b32_e32 v1, 0xfff00000
	v_cmp_neq_f64_e64 s[40:41], -1.0, v[32:33]
	s_nop 1
	v_cndmask_b32_e64 v49, v1, v35, s[40:41]
	v_add_f64 v[72:73], v[30:31], v[48:49]
.LBB80_40:
	s_or_b64 exec, exec, s[44:45]
	v_max_f64 v[48:49], v[18:19], v[18:19]
	v_max_f64 v[30:31], v[72:73], v[72:73]
	v_min_f64 v[32:33], v[30:31], v[48:49]
	v_cmp_u_f64_e64 s[42:43], v[72:73], v[72:73]
	v_cmp_u_f64_e64 s[40:41], v[18:19], v[18:19]
	v_max_f64 v[30:31], v[30:31], v[48:49]
	v_cndmask_b32_e64 v1, v32, v72, s[42:43]
	v_cndmask_b32_e64 v32, v33, v73, s[42:43]
	;; [unrolled: 1-line block ×8, first 2 shown]
	v_cmp_neq_f64_e64 s[42:43], v[32:33], v[30:31]
	v_cmp_class_f64_e64 s[44:45], v[32:33], s33
	s_or_b64 s[42:43], s[42:43], s[44:45]
	s_and_saveexec_b64 s[46:47], s[42:43]
	s_cbranch_execz .LBB80_42
; %bb.41:
	s_mov_b32 s42, 0x652b82fe
	v_add_f64 v[32:33], v[32:33], -v[30:31]
	s_mov_b32 s43, 0x3ff71547
	v_mul_f64 v[50:51], v[32:33], s[42:43]
	v_rndne_f64_e32 v[50:51], v[50:51]
	s_mov_b32 s49, 0xbfe62e42
	s_mov_b32 s48, 0xfefa39ef
	v_fma_f64 v[52:53], s[48:49], v[50:51], v[32:33]
	s_mov_b32 s51, 0xbc7abc9e
	s_mov_b32 s50, 0x3b39803f
	;; [unrolled: 1-line block ×3, first 2 shown]
	v_fmac_f64_e32 v[52:53], s[50:51], v[50:51]
	v_mov_b32_e32 v54, 0xfca7ab0c
	v_mov_b32_e32 v55, 0x3e928af3
	s_mov_b32 s43, 0x3e5ade15
	v_fmac_f64_e32 v[54:55], s[42:43], v[52:53]
	v_mov_b32_e32 v56, 0x623fde64
	v_mov_b32_e32 v57, 0x3ec71dee
	v_fmac_f64_e32 v[56:57], v[52:53], v[54:55]
	v_mov_b32_e32 v54, 0x7c89e6b0
	v_mov_b32_e32 v55, 0x3efa0199
	;; [unrolled: 3-line block ×8, first 2 shown]
	v_fmac_f64_e32 v[54:55], v[52:53], v[56:57]
	v_fma_f64 v[54:55], v[52:53], v[54:55], 1.0
	s_mov_b32 s42, 0
	s_mov_b32 s44, 0
	v_fma_f64 v[52:53], v[52:53], v[54:55], 1.0
	v_cvt_i32_f64_e32 v1, v[50:51]
	s_mov_b32 s43, 0x40900000
	s_mov_b32 s45, 0xc090cc00
	v_ldexp_f64 v[50:51], v[52:53], v1
	v_mov_b32_e32 v1, 0x7ff00000
	v_cmp_nlt_f64_e64 s[42:43], s[42:43], v[32:33]
	v_cmp_ngt_f64_e64 s[44:45], s[44:45], v[32:33]
	s_mov_b32 s49, 0x3fe62e42
	v_cndmask_b32_e64 v1, v1, v51, s[42:43]
	s_and_b64 s[42:43], s[44:45], s[42:43]
	v_cndmask_b32_e64 v33, 0, v1, s[44:45]
	v_cndmask_b32_e64 v32, 0, v50, s[42:43]
	v_add_f64 v[50:51], v[32:33], 1.0
	v_add_f64 v[52:53], v[50:51], -1.0
	v_add_f64 v[54:55], v[52:53], -v[50:51]
	v_add_f64 v[54:55], v[54:55], 1.0
	v_add_f64 v[52:53], v[32:33], -v[52:53]
	s_mov_b32 s42, 0x55555555
	v_add_f64 v[52:53], v[52:53], v[54:55]
	v_frexp_mant_f64_e32 v[54:55], v[50:51]
	s_mov_b32 s43, 0x3fe55555
	v_frexp_exp_i32_f64_e32 v1, v[50:51]
	v_cmp_gt_f64_e64 s[42:43], s[42:43], v[54:55]
	s_mov_b32 s51, 0x3c7abc9e
	s_nop 0
	v_subbrev_co_u32_e64 v1, s[42:43], 0, v1, s[42:43]
	v_sub_u32_e32 v35, 0, v1
	v_ldexp_f64 v[50:51], v[50:51], v35
	v_add_f64 v[54:55], v[50:51], -1.0
	v_add_f64 v[60:61], v[50:51], 1.0
	v_add_f64 v[56:57], v[54:55], 1.0
	v_add_f64 v[62:63], v[60:61], -1.0
	v_ldexp_f64 v[52:53], v[52:53], v35
	v_add_f64 v[56:57], v[50:51], -v[56:57]
	v_add_f64 v[50:51], v[50:51], -v[62:63]
	v_add_f64 v[50:51], v[52:53], v[50:51]
	v_add_f64 v[56:57], v[52:53], v[56:57]
	;; [unrolled: 1-line block ×3, first 2 shown]
	v_rcp_f64_e32 v[62:63], v[52:53]
	v_add_f64 v[58:59], v[54:55], v[56:57]
	v_add_f64 v[54:55], v[58:59], -v[54:55]
	v_add_f64 v[54:55], v[56:57], -v[54:55]
	;; [unrolled: 1-line block ×4, first 2 shown]
	v_fma_f64 v[56:57], -v[52:53], v[62:63], 1.0
	v_fmac_f64_e32 v[62:63], v[56:57], v[62:63]
	v_fma_f64 v[56:57], -v[52:53], v[62:63], 1.0
	v_fmac_f64_e32 v[62:63], v[56:57], v[62:63]
	v_mul_f64 v[56:57], v[58:59], v[62:63]
	v_mul_f64 v[60:61], v[52:53], v[56:57]
	v_fma_f64 v[64:65], v[56:57], v[52:53], -v[60:61]
	v_fmac_f64_e32 v[64:65], v[56:57], v[50:51]
	v_add_f64 v[72:73], v[60:61], v[64:65]
	v_add_f64 v[74:75], v[58:59], -v[72:73]
	v_add_f64 v[58:59], v[58:59], -v[74:75]
	;; [unrolled: 1-line block ×4, first 2 shown]
	v_add_f64 v[54:55], v[54:55], v[58:59]
	v_add_f64 v[58:59], v[60:61], -v[64:65]
	v_add_f64 v[54:55], v[58:59], v[54:55]
	v_add_f64 v[58:59], v[74:75], v[54:55]
	v_add_f64 v[60:61], v[74:75], -v[58:59]
	v_add_f64 v[54:55], v[54:55], v[60:61]
	v_mul_f64 v[60:61], v[62:63], v[58:59]
	v_mul_f64 v[64:65], v[52:53], v[60:61]
	v_fma_f64 v[52:53], v[60:61], v[52:53], -v[64:65]
	v_fmac_f64_e32 v[52:53], v[60:61], v[50:51]
	v_add_f64 v[50:51], v[64:65], v[52:53]
	v_add_f64 v[72:73], v[58:59], -v[50:51]
	v_add_f64 v[58:59], v[58:59], -v[72:73]
	;; [unrolled: 1-line block ×4, first 2 shown]
	v_add_f64 v[50:51], v[54:55], v[50:51]
	v_add_f64 v[52:53], v[64:65], -v[52:53]
	v_add_f64 v[50:51], v[52:53], v[50:51]
	v_add_f64 v[52:53], v[56:57], v[60:61]
	;; [unrolled: 1-line block ×3, first 2 shown]
	v_add_f64 v[54:55], v[52:53], -v[56:57]
	v_mul_f64 v[50:51], v[62:63], v[50:51]
	v_add_f64 v[54:55], v[60:61], -v[54:55]
	v_add_f64 v[50:51], v[54:55], v[50:51]
	v_add_f64 v[54:55], v[52:53], v[50:51]
	v_add_f64 v[52:53], v[54:55], -v[52:53]
	s_mov_b32 s42, 0xbf559e2b
	v_add_f64 v[50:51], v[50:51], -v[52:53]
	v_mul_f64 v[52:53], v[54:55], v[54:55]
	v_mov_b32_e32 v56, 0x6b47b09a
	v_mov_b32_e32 v57, 0x3fc38538
	s_mov_b32 s43, 0x3fc3ab76
	v_fmac_f64_e32 v[56:57], s[42:43], v[52:53]
	v_mov_b32_e32 v58, 0xd7f4df2e
	v_mov_b32_e32 v59, 0x3fc7474d
	v_fmac_f64_e32 v[58:59], v[52:53], v[56:57]
	v_mov_b32_e32 v56, 0x16291751
	v_mov_b32_e32 v57, 0x3fcc71c0
	;; [unrolled: 3-line block ×5, first 2 shown]
	v_fmac_f64_e32 v[58:59], v[52:53], v[56:57]
	v_cvt_f64_i32_e32 v[56:57], v1
	v_mul_f64 v[60:61], v[56:57], s[48:49]
	v_fma_f64 v[62:63], v[56:57], s[48:49], -v[60:61]
	v_fmac_f64_e32 v[62:63], s[50:51], v[56:57]
	v_add_f64 v[56:57], v[60:61], v[62:63]
	v_add_f64 v[60:61], v[56:57], -v[60:61]
	v_mul_f64 v[52:53], v[54:55], v[52:53]
	v_add_f64 v[60:61], v[62:63], -v[60:61]
	v_ldexp_f64 v[62:63], v[54:55], 1
	v_mul_f64 v[52:53], v[52:53], v[58:59]
	v_add_f64 v[54:55], v[62:63], v[52:53]
	v_add_f64 v[58:59], v[54:55], -v[62:63]
	v_ldexp_f64 v[50:51], v[50:51], 1
	v_add_f64 v[52:53], v[52:53], -v[58:59]
	v_add_f64 v[50:51], v[50:51], v[52:53]
	v_add_f64 v[52:53], v[54:55], v[50:51]
	v_add_f64 v[54:55], v[52:53], -v[54:55]
	v_add_f64 v[50:51], v[50:51], -v[54:55]
	v_add_f64 v[54:55], v[56:57], v[52:53]
	v_add_f64 v[58:59], v[54:55], -v[56:57]
	v_add_f64 v[62:63], v[54:55], -v[58:59]
	v_add_f64 v[56:57], v[56:57], -v[62:63]
	v_add_f64 v[52:53], v[52:53], -v[58:59]
	v_add_f64 v[52:53], v[52:53], v[56:57]
	v_add_f64 v[56:57], v[60:61], v[50:51]
	v_add_f64 v[58:59], v[56:57], -v[60:61]
	v_add_f64 v[52:53], v[56:57], v[52:53]
	v_add_f64 v[62:63], v[56:57], -v[58:59]
	;; [unrolled: 2-line block ×3, first 2 shown]
	v_add_f64 v[50:51], v[50:51], -v[58:59]
	v_add_f64 v[54:55], v[56:57], -v[54:55]
	v_add_f64 v[50:51], v[50:51], v[60:61]
	v_add_f64 v[52:53], v[52:53], -v[54:55]
	s_mov_b32 s42, 0
	v_add_f64 v[50:51], v[50:51], v[52:53]
	s_mov_b32 s43, 0x7ff00000
	v_add_f64 v[50:51], v[56:57], v[50:51]
	v_cmp_eq_f64_e64 s[42:43], s[42:43], v[32:33]
	s_nop 1
	v_cndmask_b32_e64 v1, v50, v32, s[42:43]
	v_cndmask_b32_e64 v35, v51, v33, s[42:43]
	v_mov_b32_e32 v50, 0x7ff80000
	v_cmp_ngt_f64_e64 s[42:43], -1.0, v[32:33]
	s_nop 1
	v_cndmask_b32_e64 v35, v50, v35, s[42:43]
	v_cmp_nge_f64_e64 s[42:43], -1.0, v[32:33]
	s_nop 1
	v_cndmask_b32_e64 v50, 0, v1, s[42:43]
	v_mov_b32_e32 v1, 0xfff00000
	v_cmp_neq_f64_e64 s[42:43], -1.0, v[32:33]
	s_nop 1
	v_cndmask_b32_e64 v51, v1, v35, s[42:43]
	v_add_f64 v[72:73], v[30:31], v[50:51]
.LBB80_42:
	s_or_b64 exec, exec, s[46:47]
	v_max_f64 v[50:51], v[20:21], v[20:21]
	v_max_f64 v[30:31], v[72:73], v[72:73]
	v_min_f64 v[32:33], v[30:31], v[50:51]
	v_cmp_u_f64_e64 s[44:45], v[72:73], v[72:73]
	v_cmp_u_f64_e64 s[42:43], v[20:21], v[20:21]
	v_max_f64 v[30:31], v[30:31], v[50:51]
	v_cndmask_b32_e64 v1, v32, v72, s[44:45]
	v_cndmask_b32_e64 v32, v33, v73, s[44:45]
	;; [unrolled: 1-line block ×8, first 2 shown]
	v_cmp_neq_f64_e64 s[44:45], v[32:33], v[30:31]
	v_cmp_class_f64_e64 s[46:47], v[32:33], s33
	s_or_b64 s[44:45], s[44:45], s[46:47]
	s_and_saveexec_b64 s[48:49], s[44:45]
	s_cbranch_execz .LBB80_44
; %bb.43:
	s_mov_b32 s44, 0x652b82fe
	v_add_f64 v[32:33], v[32:33], -v[30:31]
	s_mov_b32 s45, 0x3ff71547
	v_mul_f64 v[52:53], v[32:33], s[44:45]
	v_rndne_f64_e32 v[52:53], v[52:53]
	s_mov_b32 s51, 0xbfe62e42
	s_mov_b32 s50, 0xfefa39ef
	v_fma_f64 v[54:55], s[50:51], v[52:53], v[32:33]
	s_mov_b32 s53, 0xbc7abc9e
	s_mov_b32 s52, 0x3b39803f
	;; [unrolled: 1-line block ×3, first 2 shown]
	v_fmac_f64_e32 v[54:55], s[52:53], v[52:53]
	v_mov_b32_e32 v56, 0xfca7ab0c
	v_mov_b32_e32 v57, 0x3e928af3
	s_mov_b32 s45, 0x3e5ade15
	v_fmac_f64_e32 v[56:57], s[44:45], v[54:55]
	v_mov_b32_e32 v58, 0x623fde64
	v_mov_b32_e32 v59, 0x3ec71dee
	v_fmac_f64_e32 v[58:59], v[54:55], v[56:57]
	v_mov_b32_e32 v56, 0x7c89e6b0
	v_mov_b32_e32 v57, 0x3efa0199
	;; [unrolled: 3-line block ×8, first 2 shown]
	v_fmac_f64_e32 v[56:57], v[54:55], v[58:59]
	v_fma_f64 v[56:57], v[54:55], v[56:57], 1.0
	s_mov_b32 s44, 0
	s_mov_b32 s46, 0
	v_fma_f64 v[54:55], v[54:55], v[56:57], 1.0
	v_cvt_i32_f64_e32 v1, v[52:53]
	s_mov_b32 s45, 0x40900000
	s_mov_b32 s47, 0xc090cc00
	v_ldexp_f64 v[52:53], v[54:55], v1
	v_mov_b32_e32 v1, 0x7ff00000
	v_cmp_nlt_f64_e64 s[44:45], s[44:45], v[32:33]
	v_cmp_ngt_f64_e64 s[46:47], s[46:47], v[32:33]
	s_mov_b32 s51, 0x3fe62e42
	v_cndmask_b32_e64 v1, v1, v53, s[44:45]
	s_and_b64 s[44:45], s[46:47], s[44:45]
	v_cndmask_b32_e64 v33, 0, v1, s[46:47]
	v_cndmask_b32_e64 v32, 0, v52, s[44:45]
	v_add_f64 v[52:53], v[32:33], 1.0
	v_add_f64 v[54:55], v[52:53], -1.0
	v_add_f64 v[56:57], v[54:55], -v[52:53]
	v_add_f64 v[56:57], v[56:57], 1.0
	v_add_f64 v[54:55], v[32:33], -v[54:55]
	s_mov_b32 s44, 0x55555555
	v_add_f64 v[54:55], v[54:55], v[56:57]
	v_frexp_mant_f64_e32 v[56:57], v[52:53]
	s_mov_b32 s45, 0x3fe55555
	v_frexp_exp_i32_f64_e32 v1, v[52:53]
	v_cmp_gt_f64_e64 s[44:45], s[44:45], v[56:57]
	s_mov_b32 s53, 0x3c7abc9e
	s_nop 0
	v_subbrev_co_u32_e64 v1, s[44:45], 0, v1, s[44:45]
	v_sub_u32_e32 v35, 0, v1
	v_ldexp_f64 v[52:53], v[52:53], v35
	v_add_f64 v[56:57], v[52:53], -1.0
	v_add_f64 v[62:63], v[52:53], 1.0
	v_add_f64 v[58:59], v[56:57], 1.0
	v_add_f64 v[64:65], v[62:63], -1.0
	v_ldexp_f64 v[54:55], v[54:55], v35
	v_add_f64 v[58:59], v[52:53], -v[58:59]
	v_add_f64 v[52:53], v[52:53], -v[64:65]
	v_add_f64 v[52:53], v[54:55], v[52:53]
	v_add_f64 v[58:59], v[54:55], v[58:59]
	;; [unrolled: 1-line block ×3, first 2 shown]
	v_rcp_f64_e32 v[64:65], v[54:55]
	v_add_f64 v[60:61], v[56:57], v[58:59]
	v_add_f64 v[56:57], v[60:61], -v[56:57]
	v_add_f64 v[56:57], v[58:59], -v[56:57]
	;; [unrolled: 1-line block ×4, first 2 shown]
	v_fma_f64 v[58:59], -v[54:55], v[64:65], 1.0
	v_fmac_f64_e32 v[64:65], v[58:59], v[64:65]
	v_fma_f64 v[58:59], -v[54:55], v[64:65], 1.0
	v_fmac_f64_e32 v[64:65], v[58:59], v[64:65]
	v_mul_f64 v[58:59], v[60:61], v[64:65]
	v_mul_f64 v[62:63], v[54:55], v[58:59]
	v_fma_f64 v[72:73], v[58:59], v[54:55], -v[62:63]
	v_fmac_f64_e32 v[72:73], v[58:59], v[52:53]
	v_add_f64 v[74:75], v[62:63], v[72:73]
	v_add_f64 v[76:77], v[60:61], -v[74:75]
	v_add_f64 v[60:61], v[60:61], -v[76:77]
	;; [unrolled: 1-line block ×4, first 2 shown]
	v_add_f64 v[56:57], v[56:57], v[60:61]
	v_add_f64 v[60:61], v[62:63], -v[72:73]
	v_add_f64 v[56:57], v[60:61], v[56:57]
	v_add_f64 v[60:61], v[76:77], v[56:57]
	v_add_f64 v[62:63], v[76:77], -v[60:61]
	v_add_f64 v[56:57], v[56:57], v[62:63]
	v_mul_f64 v[62:63], v[64:65], v[60:61]
	v_mul_f64 v[72:73], v[54:55], v[62:63]
	v_fma_f64 v[54:55], v[62:63], v[54:55], -v[72:73]
	v_fmac_f64_e32 v[54:55], v[62:63], v[52:53]
	v_add_f64 v[52:53], v[72:73], v[54:55]
	v_add_f64 v[74:75], v[60:61], -v[52:53]
	v_add_f64 v[60:61], v[60:61], -v[74:75]
	;; [unrolled: 1-line block ×4, first 2 shown]
	v_add_f64 v[52:53], v[56:57], v[52:53]
	v_add_f64 v[54:55], v[72:73], -v[54:55]
	v_add_f64 v[52:53], v[54:55], v[52:53]
	v_add_f64 v[54:55], v[58:59], v[62:63]
	;; [unrolled: 1-line block ×3, first 2 shown]
	v_add_f64 v[56:57], v[54:55], -v[58:59]
	v_mul_f64 v[52:53], v[64:65], v[52:53]
	v_add_f64 v[56:57], v[62:63], -v[56:57]
	v_add_f64 v[52:53], v[56:57], v[52:53]
	v_add_f64 v[56:57], v[54:55], v[52:53]
	v_add_f64 v[54:55], v[56:57], -v[54:55]
	s_mov_b32 s44, 0xbf559e2b
	v_add_f64 v[52:53], v[52:53], -v[54:55]
	v_mul_f64 v[54:55], v[56:57], v[56:57]
	v_mov_b32_e32 v58, 0x6b47b09a
	v_mov_b32_e32 v59, 0x3fc38538
	s_mov_b32 s45, 0x3fc3ab76
	v_fmac_f64_e32 v[58:59], s[44:45], v[54:55]
	v_mov_b32_e32 v60, 0xd7f4df2e
	v_mov_b32_e32 v61, 0x3fc7474d
	v_fmac_f64_e32 v[60:61], v[54:55], v[58:59]
	v_mov_b32_e32 v58, 0x16291751
	v_mov_b32_e32 v59, 0x3fcc71c0
	;; [unrolled: 3-line block ×5, first 2 shown]
	v_fmac_f64_e32 v[60:61], v[54:55], v[58:59]
	v_cvt_f64_i32_e32 v[58:59], v1
	v_mul_f64 v[62:63], v[58:59], s[50:51]
	v_fma_f64 v[64:65], v[58:59], s[50:51], -v[62:63]
	v_fmac_f64_e32 v[64:65], s[52:53], v[58:59]
	v_add_f64 v[58:59], v[62:63], v[64:65]
	v_add_f64 v[62:63], v[58:59], -v[62:63]
	v_mul_f64 v[54:55], v[56:57], v[54:55]
	v_add_f64 v[62:63], v[64:65], -v[62:63]
	v_ldexp_f64 v[64:65], v[56:57], 1
	v_mul_f64 v[54:55], v[54:55], v[60:61]
	v_add_f64 v[56:57], v[64:65], v[54:55]
	v_add_f64 v[60:61], v[56:57], -v[64:65]
	v_ldexp_f64 v[52:53], v[52:53], 1
	v_add_f64 v[54:55], v[54:55], -v[60:61]
	v_add_f64 v[52:53], v[52:53], v[54:55]
	v_add_f64 v[54:55], v[56:57], v[52:53]
	v_add_f64 v[56:57], v[54:55], -v[56:57]
	v_add_f64 v[52:53], v[52:53], -v[56:57]
	v_add_f64 v[56:57], v[58:59], v[54:55]
	v_add_f64 v[60:61], v[56:57], -v[58:59]
	v_add_f64 v[64:65], v[56:57], -v[60:61]
	;; [unrolled: 1-line block ×4, first 2 shown]
	v_add_f64 v[54:55], v[54:55], v[58:59]
	v_add_f64 v[58:59], v[62:63], v[52:53]
	v_add_f64 v[60:61], v[58:59], -v[62:63]
	v_add_f64 v[54:55], v[58:59], v[54:55]
	v_add_f64 v[64:65], v[58:59], -v[60:61]
	;; [unrolled: 2-line block ×3, first 2 shown]
	v_add_f64 v[52:53], v[52:53], -v[60:61]
	v_add_f64 v[56:57], v[58:59], -v[56:57]
	v_add_f64 v[52:53], v[52:53], v[62:63]
	v_add_f64 v[54:55], v[54:55], -v[56:57]
	s_mov_b32 s44, 0
	v_add_f64 v[52:53], v[52:53], v[54:55]
	s_mov_b32 s45, 0x7ff00000
	v_add_f64 v[52:53], v[58:59], v[52:53]
	v_cmp_eq_f64_e64 s[44:45], s[44:45], v[32:33]
	s_nop 1
	v_cndmask_b32_e64 v1, v52, v32, s[44:45]
	v_cndmask_b32_e64 v35, v53, v33, s[44:45]
	v_mov_b32_e32 v52, 0x7ff80000
	v_cmp_ngt_f64_e64 s[44:45], -1.0, v[32:33]
	s_nop 1
	v_cndmask_b32_e64 v35, v52, v35, s[44:45]
	v_cmp_nge_f64_e64 s[44:45], -1.0, v[32:33]
	s_nop 1
	v_cndmask_b32_e64 v52, 0, v1, s[44:45]
	v_mov_b32_e32 v1, 0xfff00000
	v_cmp_neq_f64_e64 s[44:45], -1.0, v[32:33]
	s_nop 1
	v_cndmask_b32_e64 v53, v1, v35, s[44:45]
	v_add_f64 v[72:73], v[30:31], v[52:53]
.LBB80_44:
	s_or_b64 exec, exec, s[48:49]
	v_max_f64 v[52:53], v[14:15], v[14:15]
	v_max_f64 v[30:31], v[72:73], v[72:73]
	v_min_f64 v[32:33], v[30:31], v[52:53]
	v_cmp_u_f64_e64 s[46:47], v[72:73], v[72:73]
	v_cmp_u_f64_e64 s[44:45], v[14:15], v[14:15]
	v_max_f64 v[30:31], v[30:31], v[52:53]
	v_cndmask_b32_e64 v1, v32, v72, s[46:47]
	v_cndmask_b32_e64 v32, v33, v73, s[46:47]
	;; [unrolled: 1-line block ×8, first 2 shown]
	v_cmp_neq_f64_e64 s[46:47], v[32:33], v[30:31]
	v_cmp_class_f64_e64 s[48:49], v[32:33], s33
	s_or_b64 s[46:47], s[46:47], s[48:49]
	s_and_saveexec_b64 s[50:51], s[46:47]
	s_cbranch_execz .LBB80_46
; %bb.45:
	s_mov_b32 s46, 0x652b82fe
	v_add_f64 v[32:33], v[32:33], -v[30:31]
	s_mov_b32 s47, 0x3ff71547
	v_mul_f64 v[54:55], v[32:33], s[46:47]
	v_rndne_f64_e32 v[54:55], v[54:55]
	s_mov_b32 s53, 0xbfe62e42
	s_mov_b32 s52, 0xfefa39ef
	v_fma_f64 v[56:57], s[52:53], v[54:55], v[32:33]
	s_mov_b32 s55, 0xbc7abc9e
	s_mov_b32 s54, 0x3b39803f
	;; [unrolled: 1-line block ×3, first 2 shown]
	v_fmac_f64_e32 v[56:57], s[54:55], v[54:55]
	v_mov_b32_e32 v58, 0xfca7ab0c
	v_mov_b32_e32 v59, 0x3e928af3
	s_mov_b32 s47, 0x3e5ade15
	v_fmac_f64_e32 v[58:59], s[46:47], v[56:57]
	v_mov_b32_e32 v60, 0x623fde64
	v_mov_b32_e32 v61, 0x3ec71dee
	v_fmac_f64_e32 v[60:61], v[56:57], v[58:59]
	v_mov_b32_e32 v58, 0x7c89e6b0
	v_mov_b32_e32 v59, 0x3efa0199
	;; [unrolled: 3-line block ×8, first 2 shown]
	v_fmac_f64_e32 v[58:59], v[56:57], v[60:61]
	v_fma_f64 v[58:59], v[56:57], v[58:59], 1.0
	s_mov_b32 s46, 0
	s_mov_b32 s48, 0
	v_fma_f64 v[56:57], v[56:57], v[58:59], 1.0
	v_cvt_i32_f64_e32 v1, v[54:55]
	s_mov_b32 s47, 0x40900000
	s_mov_b32 s49, 0xc090cc00
	v_ldexp_f64 v[54:55], v[56:57], v1
	v_mov_b32_e32 v1, 0x7ff00000
	v_cmp_nlt_f64_e64 s[46:47], s[46:47], v[32:33]
	v_cmp_ngt_f64_e64 s[48:49], s[48:49], v[32:33]
	s_mov_b32 s53, 0x3fe62e42
	v_cndmask_b32_e64 v1, v1, v55, s[46:47]
	s_and_b64 s[46:47], s[48:49], s[46:47]
	v_cndmask_b32_e64 v33, 0, v1, s[48:49]
	v_cndmask_b32_e64 v32, 0, v54, s[46:47]
	v_add_f64 v[54:55], v[32:33], 1.0
	v_add_f64 v[56:57], v[54:55], -1.0
	v_add_f64 v[58:59], v[56:57], -v[54:55]
	v_add_f64 v[58:59], v[58:59], 1.0
	v_add_f64 v[56:57], v[32:33], -v[56:57]
	s_mov_b32 s46, 0x55555555
	v_add_f64 v[56:57], v[56:57], v[58:59]
	v_frexp_mant_f64_e32 v[58:59], v[54:55]
	s_mov_b32 s47, 0x3fe55555
	v_frexp_exp_i32_f64_e32 v1, v[54:55]
	v_cmp_gt_f64_e64 s[46:47], s[46:47], v[58:59]
	s_mov_b32 s55, 0x3c7abc9e
	s_nop 0
	v_subbrev_co_u32_e64 v1, s[46:47], 0, v1, s[46:47]
	v_sub_u32_e32 v35, 0, v1
	v_ldexp_f64 v[54:55], v[54:55], v35
	v_add_f64 v[58:59], v[54:55], -1.0
	v_add_f64 v[64:65], v[54:55], 1.0
	v_add_f64 v[60:61], v[58:59], 1.0
	v_add_f64 v[72:73], v[64:65], -1.0
	v_ldexp_f64 v[56:57], v[56:57], v35
	v_add_f64 v[60:61], v[54:55], -v[60:61]
	v_add_f64 v[54:55], v[54:55], -v[72:73]
	v_add_f64 v[54:55], v[56:57], v[54:55]
	v_add_f64 v[60:61], v[56:57], v[60:61]
	v_add_f64 v[56:57], v[64:65], v[54:55]
	v_rcp_f64_e32 v[72:73], v[56:57]
	v_add_f64 v[62:63], v[58:59], v[60:61]
	v_add_f64 v[58:59], v[62:63], -v[58:59]
	v_add_f64 v[58:59], v[60:61], -v[58:59]
	;; [unrolled: 1-line block ×4, first 2 shown]
	v_fma_f64 v[60:61], -v[56:57], v[72:73], 1.0
	v_fmac_f64_e32 v[72:73], v[60:61], v[72:73]
	v_fma_f64 v[60:61], -v[56:57], v[72:73], 1.0
	v_fmac_f64_e32 v[72:73], v[60:61], v[72:73]
	v_mul_f64 v[60:61], v[62:63], v[72:73]
	v_mul_f64 v[64:65], v[56:57], v[60:61]
	v_fma_f64 v[74:75], v[60:61], v[56:57], -v[64:65]
	v_fmac_f64_e32 v[74:75], v[60:61], v[54:55]
	v_add_f64 v[76:77], v[64:65], v[74:75]
	v_add_f64 v[78:79], v[62:63], -v[76:77]
	v_add_f64 v[62:63], v[62:63], -v[78:79]
	;; [unrolled: 1-line block ×4, first 2 shown]
	v_add_f64 v[58:59], v[58:59], v[62:63]
	v_add_f64 v[62:63], v[64:65], -v[74:75]
	v_add_f64 v[58:59], v[62:63], v[58:59]
	v_add_f64 v[62:63], v[78:79], v[58:59]
	v_add_f64 v[64:65], v[78:79], -v[62:63]
	v_add_f64 v[58:59], v[58:59], v[64:65]
	v_mul_f64 v[64:65], v[72:73], v[62:63]
	v_mul_f64 v[74:75], v[56:57], v[64:65]
	v_fma_f64 v[56:57], v[64:65], v[56:57], -v[74:75]
	v_fmac_f64_e32 v[56:57], v[64:65], v[54:55]
	v_add_f64 v[54:55], v[74:75], v[56:57]
	v_add_f64 v[76:77], v[62:63], -v[54:55]
	v_add_f64 v[62:63], v[62:63], -v[76:77]
	;; [unrolled: 1-line block ×4, first 2 shown]
	v_add_f64 v[54:55], v[58:59], v[54:55]
	v_add_f64 v[56:57], v[74:75], -v[56:57]
	v_add_f64 v[54:55], v[56:57], v[54:55]
	v_add_f64 v[56:57], v[60:61], v[64:65]
	;; [unrolled: 1-line block ×3, first 2 shown]
	v_add_f64 v[58:59], v[56:57], -v[60:61]
	v_mul_f64 v[54:55], v[72:73], v[54:55]
	v_add_f64 v[58:59], v[64:65], -v[58:59]
	v_add_f64 v[54:55], v[58:59], v[54:55]
	v_add_f64 v[58:59], v[56:57], v[54:55]
	v_add_f64 v[56:57], v[58:59], -v[56:57]
	s_mov_b32 s46, 0xbf559e2b
	v_add_f64 v[54:55], v[54:55], -v[56:57]
	v_mul_f64 v[56:57], v[58:59], v[58:59]
	v_mov_b32_e32 v60, 0x6b47b09a
	v_mov_b32_e32 v61, 0x3fc38538
	s_mov_b32 s47, 0x3fc3ab76
	v_fmac_f64_e32 v[60:61], s[46:47], v[56:57]
	v_mov_b32_e32 v62, 0xd7f4df2e
	v_mov_b32_e32 v63, 0x3fc7474d
	v_fmac_f64_e32 v[62:63], v[56:57], v[60:61]
	v_mov_b32_e32 v60, 0x16291751
	v_mov_b32_e32 v61, 0x3fcc71c0
	;; [unrolled: 3-line block ×5, first 2 shown]
	v_fmac_f64_e32 v[62:63], v[56:57], v[60:61]
	v_cvt_f64_i32_e32 v[60:61], v1
	v_mul_f64 v[64:65], v[60:61], s[52:53]
	v_fma_f64 v[72:73], v[60:61], s[52:53], -v[64:65]
	v_fmac_f64_e32 v[72:73], s[54:55], v[60:61]
	v_add_f64 v[60:61], v[64:65], v[72:73]
	v_add_f64 v[64:65], v[60:61], -v[64:65]
	v_mul_f64 v[56:57], v[58:59], v[56:57]
	v_add_f64 v[64:65], v[72:73], -v[64:65]
	v_ldexp_f64 v[72:73], v[58:59], 1
	v_mul_f64 v[56:57], v[56:57], v[62:63]
	v_add_f64 v[58:59], v[72:73], v[56:57]
	v_add_f64 v[62:63], v[58:59], -v[72:73]
	v_ldexp_f64 v[54:55], v[54:55], 1
	v_add_f64 v[56:57], v[56:57], -v[62:63]
	v_add_f64 v[54:55], v[54:55], v[56:57]
	v_add_f64 v[56:57], v[58:59], v[54:55]
	v_add_f64 v[58:59], v[56:57], -v[58:59]
	v_add_f64 v[54:55], v[54:55], -v[58:59]
	v_add_f64 v[58:59], v[60:61], v[56:57]
	v_add_f64 v[62:63], v[58:59], -v[60:61]
	v_add_f64 v[72:73], v[58:59], -v[62:63]
	;; [unrolled: 1-line block ×4, first 2 shown]
	v_add_f64 v[56:57], v[56:57], v[60:61]
	v_add_f64 v[60:61], v[64:65], v[54:55]
	v_add_f64 v[62:63], v[60:61], -v[64:65]
	v_add_f64 v[56:57], v[60:61], v[56:57]
	v_add_f64 v[72:73], v[60:61], -v[62:63]
	;; [unrolled: 2-line block ×3, first 2 shown]
	v_add_f64 v[54:55], v[54:55], -v[62:63]
	v_add_f64 v[58:59], v[60:61], -v[58:59]
	v_add_f64 v[54:55], v[54:55], v[64:65]
	v_add_f64 v[56:57], v[56:57], -v[58:59]
	s_mov_b32 s46, 0
	v_add_f64 v[54:55], v[54:55], v[56:57]
	s_mov_b32 s47, 0x7ff00000
	v_add_f64 v[54:55], v[60:61], v[54:55]
	v_cmp_eq_f64_e64 s[46:47], s[46:47], v[32:33]
	s_nop 1
	v_cndmask_b32_e64 v1, v54, v32, s[46:47]
	v_cndmask_b32_e64 v35, v55, v33, s[46:47]
	v_mov_b32_e32 v54, 0x7ff80000
	v_cmp_ngt_f64_e64 s[46:47], -1.0, v[32:33]
	s_nop 1
	v_cndmask_b32_e64 v35, v54, v35, s[46:47]
	v_cmp_nge_f64_e64 s[46:47], -1.0, v[32:33]
	s_nop 1
	v_cndmask_b32_e64 v54, 0, v1, s[46:47]
	v_mov_b32_e32 v1, 0xfff00000
	v_cmp_neq_f64_e64 s[46:47], -1.0, v[32:33]
	s_nop 1
	v_cndmask_b32_e64 v55, v1, v35, s[46:47]
	v_add_f64 v[72:73], v[30:31], v[54:55]
.LBB80_46:
	s_or_b64 exec, exec, s[50:51]
	v_max_f64 v[54:55], v[16:17], v[16:17]
	v_max_f64 v[30:31], v[72:73], v[72:73]
	v_min_f64 v[32:33], v[30:31], v[54:55]
	v_cmp_u_f64_e64 s[48:49], v[72:73], v[72:73]
	v_cmp_u_f64_e64 s[46:47], v[16:17], v[16:17]
	v_max_f64 v[30:31], v[30:31], v[54:55]
	v_cndmask_b32_e64 v1, v32, v72, s[48:49]
	v_cndmask_b32_e64 v32, v33, v73, s[48:49]
	;; [unrolled: 1-line block ×8, first 2 shown]
	v_cmp_neq_f64_e64 s[48:49], v[32:33], v[30:31]
	v_cmp_class_f64_e64 s[50:51], v[32:33], s33
	s_or_b64 s[48:49], s[48:49], s[50:51]
	s_and_saveexec_b64 s[52:53], s[48:49]
	s_cbranch_execz .LBB80_48
; %bb.47:
	s_mov_b32 s48, 0x652b82fe
	v_add_f64 v[32:33], v[32:33], -v[30:31]
	s_mov_b32 s49, 0x3ff71547
	v_mul_f64 v[56:57], v[32:33], s[48:49]
	v_rndne_f64_e32 v[56:57], v[56:57]
	s_mov_b32 s55, 0xbfe62e42
	s_mov_b32 s54, 0xfefa39ef
	v_fma_f64 v[58:59], s[54:55], v[56:57], v[32:33]
	s_mov_b32 s57, 0xbc7abc9e
	s_mov_b32 s56, 0x3b39803f
	;; [unrolled: 1-line block ×3, first 2 shown]
	v_fmac_f64_e32 v[58:59], s[56:57], v[56:57]
	v_mov_b32_e32 v60, 0xfca7ab0c
	v_mov_b32_e32 v61, 0x3e928af3
	s_mov_b32 s49, 0x3e5ade15
	v_fmac_f64_e32 v[60:61], s[48:49], v[58:59]
	v_mov_b32_e32 v62, 0x623fde64
	v_mov_b32_e32 v63, 0x3ec71dee
	v_fmac_f64_e32 v[62:63], v[58:59], v[60:61]
	v_mov_b32_e32 v60, 0x7c89e6b0
	v_mov_b32_e32 v61, 0x3efa0199
	;; [unrolled: 3-line block ×8, first 2 shown]
	v_fmac_f64_e32 v[60:61], v[58:59], v[62:63]
	v_fma_f64 v[60:61], v[58:59], v[60:61], 1.0
	s_mov_b32 s48, 0
	s_mov_b32 s50, 0
	v_fma_f64 v[58:59], v[58:59], v[60:61], 1.0
	v_cvt_i32_f64_e32 v1, v[56:57]
	s_mov_b32 s49, 0x40900000
	s_mov_b32 s51, 0xc090cc00
	v_ldexp_f64 v[56:57], v[58:59], v1
	v_mov_b32_e32 v1, 0x7ff00000
	v_cmp_nlt_f64_e64 s[48:49], s[48:49], v[32:33]
	v_cmp_ngt_f64_e64 s[50:51], s[50:51], v[32:33]
	s_mov_b32 s55, 0x3fe62e42
	v_cndmask_b32_e64 v1, v1, v57, s[48:49]
	s_and_b64 s[48:49], s[50:51], s[48:49]
	v_cndmask_b32_e64 v33, 0, v1, s[50:51]
	v_cndmask_b32_e64 v32, 0, v56, s[48:49]
	v_add_f64 v[56:57], v[32:33], 1.0
	v_add_f64 v[58:59], v[56:57], -1.0
	v_add_f64 v[60:61], v[58:59], -v[56:57]
	v_add_f64 v[60:61], v[60:61], 1.0
	v_add_f64 v[58:59], v[32:33], -v[58:59]
	s_mov_b32 s48, 0x55555555
	v_add_f64 v[58:59], v[58:59], v[60:61]
	v_frexp_mant_f64_e32 v[60:61], v[56:57]
	s_mov_b32 s49, 0x3fe55555
	v_frexp_exp_i32_f64_e32 v1, v[56:57]
	v_cmp_gt_f64_e64 s[48:49], s[48:49], v[60:61]
	s_mov_b32 s57, 0x3c7abc9e
	s_nop 0
	v_subbrev_co_u32_e64 v1, s[48:49], 0, v1, s[48:49]
	v_sub_u32_e32 v35, 0, v1
	v_ldexp_f64 v[56:57], v[56:57], v35
	v_add_f64 v[60:61], v[56:57], -1.0
	v_add_f64 v[72:73], v[56:57], 1.0
	v_add_f64 v[62:63], v[60:61], 1.0
	v_add_f64 v[74:75], v[72:73], -1.0
	v_ldexp_f64 v[58:59], v[58:59], v35
	v_add_f64 v[62:63], v[56:57], -v[62:63]
	v_add_f64 v[56:57], v[56:57], -v[74:75]
	v_add_f64 v[56:57], v[58:59], v[56:57]
	v_add_f64 v[62:63], v[58:59], v[62:63]
	;; [unrolled: 1-line block ×3, first 2 shown]
	v_rcp_f64_e32 v[74:75], v[58:59]
	v_add_f64 v[64:65], v[60:61], v[62:63]
	v_add_f64 v[60:61], v[64:65], -v[60:61]
	v_add_f64 v[60:61], v[62:63], -v[60:61]
	v_add_f64 v[62:63], v[58:59], -v[72:73]
	v_add_f64 v[56:57], v[56:57], -v[62:63]
	v_fma_f64 v[62:63], -v[58:59], v[74:75], 1.0
	v_fmac_f64_e32 v[74:75], v[62:63], v[74:75]
	v_fma_f64 v[62:63], -v[58:59], v[74:75], 1.0
	v_fmac_f64_e32 v[74:75], v[62:63], v[74:75]
	v_mul_f64 v[62:63], v[64:65], v[74:75]
	v_mul_f64 v[72:73], v[58:59], v[62:63]
	v_fma_f64 v[76:77], v[62:63], v[58:59], -v[72:73]
	v_fmac_f64_e32 v[76:77], v[62:63], v[56:57]
	v_add_f64 v[78:79], v[72:73], v[76:77]
	v_add_f64 v[80:81], v[64:65], -v[78:79]
	v_add_f64 v[64:65], v[64:65], -v[80:81]
	;; [unrolled: 1-line block ×4, first 2 shown]
	v_add_f64 v[60:61], v[60:61], v[64:65]
	v_add_f64 v[64:65], v[72:73], -v[76:77]
	v_add_f64 v[60:61], v[64:65], v[60:61]
	v_add_f64 v[64:65], v[80:81], v[60:61]
	v_add_f64 v[72:73], v[80:81], -v[64:65]
	v_add_f64 v[60:61], v[60:61], v[72:73]
	v_mul_f64 v[72:73], v[74:75], v[64:65]
	v_mul_f64 v[76:77], v[58:59], v[72:73]
	v_fma_f64 v[58:59], v[72:73], v[58:59], -v[76:77]
	v_fmac_f64_e32 v[58:59], v[72:73], v[56:57]
	v_add_f64 v[56:57], v[76:77], v[58:59]
	v_add_f64 v[78:79], v[64:65], -v[56:57]
	v_add_f64 v[64:65], v[64:65], -v[78:79]
	;; [unrolled: 1-line block ×4, first 2 shown]
	v_add_f64 v[56:57], v[60:61], v[56:57]
	v_add_f64 v[58:59], v[76:77], -v[58:59]
	v_add_f64 v[56:57], v[58:59], v[56:57]
	v_add_f64 v[58:59], v[62:63], v[72:73]
	;; [unrolled: 1-line block ×3, first 2 shown]
	v_add_f64 v[60:61], v[58:59], -v[62:63]
	v_mul_f64 v[56:57], v[74:75], v[56:57]
	v_add_f64 v[60:61], v[72:73], -v[60:61]
	v_add_f64 v[56:57], v[60:61], v[56:57]
	v_add_f64 v[60:61], v[58:59], v[56:57]
	v_add_f64 v[58:59], v[60:61], -v[58:59]
	s_mov_b32 s48, 0xbf559e2b
	v_add_f64 v[56:57], v[56:57], -v[58:59]
	v_mul_f64 v[58:59], v[60:61], v[60:61]
	v_mov_b32_e32 v62, 0x6b47b09a
	v_mov_b32_e32 v63, 0x3fc38538
	s_mov_b32 s49, 0x3fc3ab76
	v_fmac_f64_e32 v[62:63], s[48:49], v[58:59]
	v_mov_b32_e32 v64, 0xd7f4df2e
	v_mov_b32_e32 v65, 0x3fc7474d
	v_fmac_f64_e32 v[64:65], v[58:59], v[62:63]
	v_mov_b32_e32 v62, 0x16291751
	v_mov_b32_e32 v63, 0x3fcc71c0
	;; [unrolled: 3-line block ×5, first 2 shown]
	v_fmac_f64_e32 v[64:65], v[58:59], v[62:63]
	v_cvt_f64_i32_e32 v[62:63], v1
	v_mul_f64 v[72:73], v[62:63], s[54:55]
	v_fma_f64 v[74:75], v[62:63], s[54:55], -v[72:73]
	v_fmac_f64_e32 v[74:75], s[56:57], v[62:63]
	v_add_f64 v[62:63], v[72:73], v[74:75]
	v_add_f64 v[72:73], v[62:63], -v[72:73]
	v_mul_f64 v[58:59], v[60:61], v[58:59]
	v_add_f64 v[72:73], v[74:75], -v[72:73]
	v_ldexp_f64 v[74:75], v[60:61], 1
	v_mul_f64 v[58:59], v[58:59], v[64:65]
	v_add_f64 v[60:61], v[74:75], v[58:59]
	v_add_f64 v[64:65], v[60:61], -v[74:75]
	v_ldexp_f64 v[56:57], v[56:57], 1
	v_add_f64 v[58:59], v[58:59], -v[64:65]
	v_add_f64 v[56:57], v[56:57], v[58:59]
	v_add_f64 v[58:59], v[60:61], v[56:57]
	v_add_f64 v[60:61], v[58:59], -v[60:61]
	v_add_f64 v[56:57], v[56:57], -v[60:61]
	v_add_f64 v[60:61], v[62:63], v[58:59]
	v_add_f64 v[64:65], v[60:61], -v[62:63]
	v_add_f64 v[74:75], v[60:61], -v[64:65]
	;; [unrolled: 1-line block ×4, first 2 shown]
	v_add_f64 v[58:59], v[58:59], v[62:63]
	v_add_f64 v[62:63], v[72:73], v[56:57]
	v_add_f64 v[64:65], v[62:63], -v[72:73]
	v_add_f64 v[58:59], v[62:63], v[58:59]
	v_add_f64 v[74:75], v[62:63], -v[64:65]
	;; [unrolled: 2-line block ×3, first 2 shown]
	v_add_f64 v[56:57], v[56:57], -v[64:65]
	v_add_f64 v[60:61], v[62:63], -v[60:61]
	v_add_f64 v[56:57], v[56:57], v[72:73]
	v_add_f64 v[58:59], v[58:59], -v[60:61]
	s_mov_b32 s48, 0
	v_add_f64 v[56:57], v[56:57], v[58:59]
	s_mov_b32 s49, 0x7ff00000
	v_add_f64 v[56:57], v[62:63], v[56:57]
	v_cmp_eq_f64_e64 s[48:49], s[48:49], v[32:33]
	s_nop 1
	v_cndmask_b32_e64 v1, v56, v32, s[48:49]
	v_cndmask_b32_e64 v35, v57, v33, s[48:49]
	v_mov_b32_e32 v56, 0x7ff80000
	v_cmp_ngt_f64_e64 s[48:49], -1.0, v[32:33]
	s_nop 1
	v_cndmask_b32_e64 v35, v56, v35, s[48:49]
	v_cmp_nge_f64_e64 s[48:49], -1.0, v[32:33]
	s_nop 1
	v_cndmask_b32_e64 v56, 0, v1, s[48:49]
	v_mov_b32_e32 v1, 0xfff00000
	v_cmp_neq_f64_e64 s[48:49], -1.0, v[32:33]
	s_nop 1
	v_cndmask_b32_e64 v57, v1, v35, s[48:49]
	v_add_f64 v[72:73], v[30:31], v[56:57]
.LBB80_48:
	s_or_b64 exec, exec, s[52:53]
	v_max_f64 v[56:57], v[10:11], v[10:11]
	v_max_f64 v[30:31], v[72:73], v[72:73]
	v_min_f64 v[32:33], v[30:31], v[56:57]
	v_cmp_u_f64_e64 s[50:51], v[72:73], v[72:73]
	v_cmp_u_f64_e64 s[48:49], v[10:11], v[10:11]
	v_max_f64 v[30:31], v[30:31], v[56:57]
	v_cndmask_b32_e64 v1, v32, v72, s[50:51]
	v_cndmask_b32_e64 v32, v33, v73, s[50:51]
	;; [unrolled: 1-line block ×8, first 2 shown]
	v_cmp_neq_f64_e64 s[50:51], v[32:33], v[30:31]
	v_cmp_class_f64_e64 s[52:53], v[32:33], s33
	s_or_b64 s[50:51], s[50:51], s[52:53]
	s_and_saveexec_b64 s[54:55], s[50:51]
	s_cbranch_execz .LBB80_50
; %bb.49:
	s_mov_b32 s50, 0x652b82fe
	v_add_f64 v[32:33], v[32:33], -v[30:31]
	s_mov_b32 s51, 0x3ff71547
	v_mul_f64 v[58:59], v[32:33], s[50:51]
	v_rndne_f64_e32 v[58:59], v[58:59]
	s_mov_b32 s57, 0xbfe62e42
	s_mov_b32 s56, 0xfefa39ef
	v_fma_f64 v[60:61], s[56:57], v[58:59], v[32:33]
	s_mov_b32 s63, 0xbc7abc9e
	s_mov_b32 s62, 0x3b39803f
	;; [unrolled: 1-line block ×3, first 2 shown]
	v_fmac_f64_e32 v[60:61], s[62:63], v[58:59]
	v_mov_b32_e32 v62, 0xfca7ab0c
	v_mov_b32_e32 v63, 0x3e928af3
	s_mov_b32 s51, 0x3e5ade15
	v_fmac_f64_e32 v[62:63], s[50:51], v[60:61]
	v_mov_b32_e32 v64, 0x623fde64
	v_mov_b32_e32 v65, 0x3ec71dee
	v_fmac_f64_e32 v[64:65], v[60:61], v[62:63]
	v_mov_b32_e32 v62, 0x7c89e6b0
	v_mov_b32_e32 v63, 0x3efa0199
	;; [unrolled: 3-line block ×8, first 2 shown]
	v_fmac_f64_e32 v[62:63], v[60:61], v[64:65]
	v_fma_f64 v[62:63], v[60:61], v[62:63], 1.0
	s_mov_b32 s50, 0
	s_mov_b32 s52, 0
	v_fma_f64 v[60:61], v[60:61], v[62:63], 1.0
	v_cvt_i32_f64_e32 v1, v[58:59]
	s_mov_b32 s51, 0x40900000
	s_mov_b32 s53, 0xc090cc00
	v_ldexp_f64 v[58:59], v[60:61], v1
	v_mov_b32_e32 v1, 0x7ff00000
	v_cmp_nlt_f64_e64 s[50:51], s[50:51], v[32:33]
	v_cmp_ngt_f64_e64 s[52:53], s[52:53], v[32:33]
	s_mov_b32 s57, 0x3fe62e42
	v_cndmask_b32_e64 v1, v1, v59, s[50:51]
	s_and_b64 s[50:51], s[52:53], s[50:51]
	v_cndmask_b32_e64 v33, 0, v1, s[52:53]
	v_cndmask_b32_e64 v32, 0, v58, s[50:51]
	v_add_f64 v[58:59], v[32:33], 1.0
	v_add_f64 v[60:61], v[58:59], -1.0
	v_add_f64 v[62:63], v[60:61], -v[58:59]
	v_add_f64 v[62:63], v[62:63], 1.0
	v_add_f64 v[60:61], v[32:33], -v[60:61]
	s_mov_b32 s50, 0x55555555
	v_add_f64 v[60:61], v[60:61], v[62:63]
	v_frexp_mant_f64_e32 v[62:63], v[58:59]
	s_mov_b32 s51, 0x3fe55555
	v_frexp_exp_i32_f64_e32 v1, v[58:59]
	v_cmp_gt_f64_e64 s[50:51], s[50:51], v[62:63]
	s_mov_b32 s63, 0x3c7abc9e
	s_nop 0
	v_subbrev_co_u32_e64 v1, s[50:51], 0, v1, s[50:51]
	v_sub_u32_e32 v35, 0, v1
	v_ldexp_f64 v[58:59], v[58:59], v35
	v_add_f64 v[62:63], v[58:59], -1.0
	v_add_f64 v[74:75], v[58:59], 1.0
	v_add_f64 v[64:65], v[62:63], 1.0
	v_add_f64 v[76:77], v[74:75], -1.0
	v_ldexp_f64 v[60:61], v[60:61], v35
	v_add_f64 v[64:65], v[58:59], -v[64:65]
	v_add_f64 v[58:59], v[58:59], -v[76:77]
	v_add_f64 v[58:59], v[60:61], v[58:59]
	v_add_f64 v[64:65], v[60:61], v[64:65]
	;; [unrolled: 1-line block ×3, first 2 shown]
	v_rcp_f64_e32 v[76:77], v[60:61]
	v_add_f64 v[72:73], v[62:63], v[64:65]
	v_add_f64 v[62:63], v[72:73], -v[62:63]
	v_add_f64 v[62:63], v[64:65], -v[62:63]
	v_add_f64 v[64:65], v[60:61], -v[74:75]
	v_add_f64 v[58:59], v[58:59], -v[64:65]
	v_fma_f64 v[64:65], -v[60:61], v[76:77], 1.0
	v_fmac_f64_e32 v[76:77], v[64:65], v[76:77]
	v_fma_f64 v[64:65], -v[60:61], v[76:77], 1.0
	v_fmac_f64_e32 v[76:77], v[64:65], v[76:77]
	v_mul_f64 v[64:65], v[72:73], v[76:77]
	v_mul_f64 v[74:75], v[60:61], v[64:65]
	v_fma_f64 v[78:79], v[64:65], v[60:61], -v[74:75]
	v_fmac_f64_e32 v[78:79], v[64:65], v[58:59]
	v_add_f64 v[80:81], v[74:75], v[78:79]
	v_add_f64 v[82:83], v[72:73], -v[80:81]
	v_add_f64 v[72:73], v[72:73], -v[82:83]
	;; [unrolled: 1-line block ×4, first 2 shown]
	v_add_f64 v[62:63], v[62:63], v[72:73]
	v_add_f64 v[72:73], v[74:75], -v[78:79]
	v_add_f64 v[62:63], v[72:73], v[62:63]
	v_add_f64 v[72:73], v[82:83], v[62:63]
	v_add_f64 v[74:75], v[82:83], -v[72:73]
	v_add_f64 v[62:63], v[62:63], v[74:75]
	v_mul_f64 v[74:75], v[76:77], v[72:73]
	v_mul_f64 v[78:79], v[60:61], v[74:75]
	v_fma_f64 v[60:61], v[74:75], v[60:61], -v[78:79]
	v_fmac_f64_e32 v[60:61], v[74:75], v[58:59]
	v_add_f64 v[58:59], v[78:79], v[60:61]
	v_add_f64 v[80:81], v[72:73], -v[58:59]
	v_add_f64 v[72:73], v[72:73], -v[80:81]
	;; [unrolled: 1-line block ×4, first 2 shown]
	v_add_f64 v[58:59], v[62:63], v[58:59]
	v_add_f64 v[60:61], v[78:79], -v[60:61]
	v_add_f64 v[58:59], v[60:61], v[58:59]
	v_add_f64 v[60:61], v[64:65], v[74:75]
	;; [unrolled: 1-line block ×3, first 2 shown]
	v_add_f64 v[62:63], v[60:61], -v[64:65]
	v_mul_f64 v[58:59], v[76:77], v[58:59]
	v_add_f64 v[62:63], v[74:75], -v[62:63]
	v_add_f64 v[58:59], v[62:63], v[58:59]
	v_add_f64 v[62:63], v[60:61], v[58:59]
	v_add_f64 v[60:61], v[62:63], -v[60:61]
	s_mov_b32 s50, 0xbf559e2b
	v_add_f64 v[58:59], v[58:59], -v[60:61]
	v_mul_f64 v[60:61], v[62:63], v[62:63]
	v_mov_b32_e32 v64, 0x6b47b09a
	v_mov_b32_e32 v65, 0x3fc38538
	s_mov_b32 s51, 0x3fc3ab76
	v_fmac_f64_e32 v[64:65], s[50:51], v[60:61]
	v_mov_b32_e32 v72, 0xd7f4df2e
	v_mov_b32_e32 v73, 0x3fc7474d
	v_fmac_f64_e32 v[72:73], v[60:61], v[64:65]
	v_mov_b32_e32 v64, 0x16291751
	v_mov_b32_e32 v65, 0x3fcc71c0
	;; [unrolled: 3-line block ×5, first 2 shown]
	v_fmac_f64_e32 v[72:73], v[60:61], v[64:65]
	v_cvt_f64_i32_e32 v[64:65], v1
	v_mul_f64 v[74:75], v[64:65], s[56:57]
	v_fma_f64 v[76:77], v[64:65], s[56:57], -v[74:75]
	v_fmac_f64_e32 v[76:77], s[62:63], v[64:65]
	v_add_f64 v[64:65], v[74:75], v[76:77]
	v_add_f64 v[74:75], v[64:65], -v[74:75]
	v_mul_f64 v[60:61], v[62:63], v[60:61]
	v_add_f64 v[74:75], v[76:77], -v[74:75]
	v_ldexp_f64 v[76:77], v[62:63], 1
	v_mul_f64 v[60:61], v[60:61], v[72:73]
	v_add_f64 v[62:63], v[76:77], v[60:61]
	v_add_f64 v[72:73], v[62:63], -v[76:77]
	v_ldexp_f64 v[58:59], v[58:59], 1
	v_add_f64 v[60:61], v[60:61], -v[72:73]
	v_add_f64 v[58:59], v[58:59], v[60:61]
	v_add_f64 v[60:61], v[62:63], v[58:59]
	v_add_f64 v[62:63], v[60:61], -v[62:63]
	v_add_f64 v[58:59], v[58:59], -v[62:63]
	v_add_f64 v[62:63], v[64:65], v[60:61]
	v_add_f64 v[72:73], v[62:63], -v[64:65]
	v_add_f64 v[76:77], v[62:63], -v[72:73]
	;; [unrolled: 1-line block ×4, first 2 shown]
	v_add_f64 v[60:61], v[60:61], v[64:65]
	v_add_f64 v[64:65], v[74:75], v[58:59]
	v_add_f64 v[72:73], v[64:65], -v[74:75]
	v_add_f64 v[60:61], v[64:65], v[60:61]
	v_add_f64 v[76:77], v[64:65], -v[72:73]
	;; [unrolled: 2-line block ×3, first 2 shown]
	v_add_f64 v[58:59], v[58:59], -v[72:73]
	v_add_f64 v[62:63], v[64:65], -v[62:63]
	v_add_f64 v[58:59], v[58:59], v[74:75]
	v_add_f64 v[60:61], v[60:61], -v[62:63]
	s_mov_b32 s50, 0
	v_add_f64 v[58:59], v[58:59], v[60:61]
	s_mov_b32 s51, 0x7ff00000
	v_add_f64 v[58:59], v[64:65], v[58:59]
	v_cmp_eq_f64_e64 s[50:51], s[50:51], v[32:33]
	s_nop 1
	v_cndmask_b32_e64 v1, v58, v32, s[50:51]
	v_cndmask_b32_e64 v35, v59, v33, s[50:51]
	v_mov_b32_e32 v58, 0x7ff80000
	v_cmp_ngt_f64_e64 s[50:51], -1.0, v[32:33]
	s_nop 1
	v_cndmask_b32_e64 v35, v58, v35, s[50:51]
	v_cmp_nge_f64_e64 s[50:51], -1.0, v[32:33]
	s_nop 1
	v_cndmask_b32_e64 v58, 0, v1, s[50:51]
	v_mov_b32_e32 v1, 0xfff00000
	v_cmp_neq_f64_e64 s[50:51], -1.0, v[32:33]
	s_nop 1
	v_cndmask_b32_e64 v59, v1, v35, s[50:51]
	v_add_f64 v[72:73], v[30:31], v[58:59]
.LBB80_50:
	s_or_b64 exec, exec, s[54:55]
	v_max_f64 v[58:59], v[12:13], v[12:13]
	v_max_f64 v[30:31], v[72:73], v[72:73]
	v_min_f64 v[32:33], v[30:31], v[58:59]
	v_cmp_u_f64_e64 s[52:53], v[72:73], v[72:73]
	v_cmp_u_f64_e64 s[50:51], v[12:13], v[12:13]
	v_max_f64 v[30:31], v[30:31], v[58:59]
	v_cndmask_b32_e64 v1, v32, v72, s[52:53]
	v_cndmask_b32_e64 v32, v33, v73, s[52:53]
	;; [unrolled: 1-line block ×8, first 2 shown]
	v_cmp_neq_f64_e64 s[52:53], v[32:33], v[30:31]
	v_cmp_class_f64_e64 s[54:55], v[32:33], s33
	s_or_b64 s[52:53], s[52:53], s[54:55]
	s_and_saveexec_b64 s[56:57], s[52:53]
	s_cbranch_execz .LBB80_52
; %bb.51:
	s_mov_b32 s52, 0x652b82fe
	v_add_f64 v[32:33], v[32:33], -v[30:31]
	s_mov_b32 s53, 0x3ff71547
	v_mul_f64 v[60:61], v[32:33], s[52:53]
	v_rndne_f64_e32 v[60:61], v[60:61]
	s_mov_b32 s63, 0xbfe62e42
	s_mov_b32 s62, 0xfefa39ef
	v_fma_f64 v[62:63], s[62:63], v[60:61], v[32:33]
	s_mov_b32 s65, 0xbc7abc9e
	s_mov_b32 s64, 0x3b39803f
	s_mov_b32 s52, 0x6a5dcb37
	v_fmac_f64_e32 v[62:63], s[64:65], v[60:61]
	v_mov_b32_e32 v64, 0xfca7ab0c
	v_mov_b32_e32 v65, 0x3e928af3
	s_mov_b32 s53, 0x3e5ade15
	v_fmac_f64_e32 v[64:65], s[52:53], v[62:63]
	v_mov_b32_e32 v72, 0x623fde64
	v_mov_b32_e32 v73, 0x3ec71dee
	v_fmac_f64_e32 v[72:73], v[62:63], v[64:65]
	v_mov_b32_e32 v64, 0x7c89e6b0
	v_mov_b32_e32 v65, 0x3efa0199
	;; [unrolled: 3-line block ×8, first 2 shown]
	v_fmac_f64_e32 v[64:65], v[62:63], v[72:73]
	v_fma_f64 v[64:65], v[62:63], v[64:65], 1.0
	s_mov_b32 s52, 0
	s_mov_b32 s54, 0
	v_fma_f64 v[62:63], v[62:63], v[64:65], 1.0
	v_cvt_i32_f64_e32 v1, v[60:61]
	s_mov_b32 s53, 0x40900000
	s_mov_b32 s55, 0xc090cc00
	v_ldexp_f64 v[60:61], v[62:63], v1
	v_mov_b32_e32 v1, 0x7ff00000
	v_cmp_nlt_f64_e64 s[52:53], s[52:53], v[32:33]
	v_cmp_ngt_f64_e64 s[54:55], s[54:55], v[32:33]
	s_mov_b32 s63, 0x3fe62e42
	v_cndmask_b32_e64 v1, v1, v61, s[52:53]
	s_and_b64 s[52:53], s[54:55], s[52:53]
	v_cndmask_b32_e64 v33, 0, v1, s[54:55]
	v_cndmask_b32_e64 v32, 0, v60, s[52:53]
	v_add_f64 v[60:61], v[32:33], 1.0
	v_add_f64 v[62:63], v[60:61], -1.0
	v_add_f64 v[64:65], v[62:63], -v[60:61]
	v_add_f64 v[64:65], v[64:65], 1.0
	v_add_f64 v[62:63], v[32:33], -v[62:63]
	s_mov_b32 s52, 0x55555555
	v_add_f64 v[62:63], v[62:63], v[64:65]
	v_frexp_mant_f64_e32 v[64:65], v[60:61]
	s_mov_b32 s53, 0x3fe55555
	v_frexp_exp_i32_f64_e32 v1, v[60:61]
	v_cmp_gt_f64_e64 s[52:53], s[52:53], v[64:65]
	s_mov_b32 s65, 0x3c7abc9e
	s_nop 0
	v_subbrev_co_u32_e64 v1, s[52:53], 0, v1, s[52:53]
	v_sub_u32_e32 v35, 0, v1
	v_ldexp_f64 v[60:61], v[60:61], v35
	v_add_f64 v[64:65], v[60:61], -1.0
	v_add_f64 v[76:77], v[60:61], 1.0
	v_add_f64 v[72:73], v[64:65], 1.0
	v_add_f64 v[78:79], v[76:77], -1.0
	v_ldexp_f64 v[62:63], v[62:63], v35
	v_add_f64 v[72:73], v[60:61], -v[72:73]
	v_add_f64 v[60:61], v[60:61], -v[78:79]
	v_add_f64 v[60:61], v[62:63], v[60:61]
	v_add_f64 v[72:73], v[62:63], v[72:73]
	;; [unrolled: 1-line block ×3, first 2 shown]
	v_rcp_f64_e32 v[78:79], v[62:63]
	v_add_f64 v[74:75], v[64:65], v[72:73]
	v_add_f64 v[64:65], v[74:75], -v[64:65]
	v_add_f64 v[64:65], v[72:73], -v[64:65]
	;; [unrolled: 1-line block ×4, first 2 shown]
	v_fma_f64 v[72:73], -v[62:63], v[78:79], 1.0
	v_fmac_f64_e32 v[78:79], v[72:73], v[78:79]
	v_fma_f64 v[72:73], -v[62:63], v[78:79], 1.0
	v_fmac_f64_e32 v[78:79], v[72:73], v[78:79]
	v_mul_f64 v[72:73], v[74:75], v[78:79]
	v_mul_f64 v[76:77], v[62:63], v[72:73]
	v_fma_f64 v[80:81], v[72:73], v[62:63], -v[76:77]
	v_fmac_f64_e32 v[80:81], v[72:73], v[60:61]
	v_add_f64 v[82:83], v[76:77], v[80:81]
	v_add_f64 v[84:85], v[74:75], -v[82:83]
	v_add_f64 v[74:75], v[74:75], -v[84:85]
	;; [unrolled: 1-line block ×4, first 2 shown]
	v_add_f64 v[64:65], v[64:65], v[74:75]
	v_add_f64 v[74:75], v[76:77], -v[80:81]
	v_add_f64 v[64:65], v[74:75], v[64:65]
	v_add_f64 v[74:75], v[84:85], v[64:65]
	v_add_f64 v[76:77], v[84:85], -v[74:75]
	v_add_f64 v[64:65], v[64:65], v[76:77]
	v_mul_f64 v[76:77], v[78:79], v[74:75]
	v_mul_f64 v[80:81], v[62:63], v[76:77]
	v_fma_f64 v[62:63], v[76:77], v[62:63], -v[80:81]
	v_fmac_f64_e32 v[62:63], v[76:77], v[60:61]
	v_add_f64 v[60:61], v[80:81], v[62:63]
	v_add_f64 v[82:83], v[74:75], -v[60:61]
	v_add_f64 v[74:75], v[74:75], -v[82:83]
	;; [unrolled: 1-line block ×4, first 2 shown]
	v_add_f64 v[60:61], v[64:65], v[60:61]
	v_add_f64 v[62:63], v[80:81], -v[62:63]
	v_add_f64 v[60:61], v[62:63], v[60:61]
	v_add_f64 v[62:63], v[72:73], v[76:77]
	;; [unrolled: 1-line block ×3, first 2 shown]
	v_add_f64 v[64:65], v[62:63], -v[72:73]
	v_mul_f64 v[60:61], v[78:79], v[60:61]
	v_add_f64 v[64:65], v[76:77], -v[64:65]
	v_add_f64 v[60:61], v[64:65], v[60:61]
	v_add_f64 v[64:65], v[62:63], v[60:61]
	v_add_f64 v[62:63], v[64:65], -v[62:63]
	s_mov_b32 s52, 0xbf559e2b
	v_add_f64 v[60:61], v[60:61], -v[62:63]
	v_mul_f64 v[62:63], v[64:65], v[64:65]
	v_mov_b32_e32 v72, 0x6b47b09a
	v_mov_b32_e32 v73, 0x3fc38538
	s_mov_b32 s53, 0x3fc3ab76
	v_fmac_f64_e32 v[72:73], s[52:53], v[62:63]
	v_mov_b32_e32 v74, 0xd7f4df2e
	v_mov_b32_e32 v75, 0x3fc7474d
	v_fmac_f64_e32 v[74:75], v[62:63], v[72:73]
	v_mov_b32_e32 v72, 0x16291751
	v_mov_b32_e32 v73, 0x3fcc71c0
	v_fmac_f64_e32 v[72:73], v[62:63], v[74:75]
	v_mov_b32_e32 v74, 0x9b27acf1
	v_mov_b32_e32 v75, 0x3fd24924
	v_fmac_f64_e32 v[74:75], v[62:63], v[72:73]
	v_mov_b32_e32 v72, 0x998ef7b6
	v_mov_b32_e32 v73, 0x3fd99999
	v_fmac_f64_e32 v[72:73], v[62:63], v[74:75]
	v_mov_b32_e32 v74, 0x55555780
	v_mov_b32_e32 v75, 0x3fe55555
	v_fmac_f64_e32 v[74:75], v[62:63], v[72:73]
	v_cvt_f64_i32_e32 v[72:73], v1
	v_mul_f64 v[76:77], v[72:73], s[62:63]
	v_fma_f64 v[78:79], v[72:73], s[62:63], -v[76:77]
	v_fmac_f64_e32 v[78:79], s[64:65], v[72:73]
	v_add_f64 v[72:73], v[76:77], v[78:79]
	v_add_f64 v[76:77], v[72:73], -v[76:77]
	v_mul_f64 v[62:63], v[64:65], v[62:63]
	v_add_f64 v[76:77], v[78:79], -v[76:77]
	v_ldexp_f64 v[78:79], v[64:65], 1
	v_mul_f64 v[62:63], v[62:63], v[74:75]
	v_add_f64 v[64:65], v[78:79], v[62:63]
	v_add_f64 v[74:75], v[64:65], -v[78:79]
	v_ldexp_f64 v[60:61], v[60:61], 1
	v_add_f64 v[62:63], v[62:63], -v[74:75]
	v_add_f64 v[60:61], v[60:61], v[62:63]
	v_add_f64 v[62:63], v[64:65], v[60:61]
	v_add_f64 v[64:65], v[62:63], -v[64:65]
	v_add_f64 v[60:61], v[60:61], -v[64:65]
	v_add_f64 v[64:65], v[72:73], v[62:63]
	v_add_f64 v[74:75], v[64:65], -v[72:73]
	v_add_f64 v[78:79], v[64:65], -v[74:75]
	;; [unrolled: 1-line block ×4, first 2 shown]
	v_add_f64 v[62:63], v[62:63], v[72:73]
	v_add_f64 v[72:73], v[76:77], v[60:61]
	v_add_f64 v[74:75], v[72:73], -v[76:77]
	v_add_f64 v[62:63], v[72:73], v[62:63]
	v_add_f64 v[78:79], v[72:73], -v[74:75]
	;; [unrolled: 2-line block ×3, first 2 shown]
	v_add_f64 v[60:61], v[60:61], -v[74:75]
	v_add_f64 v[64:65], v[72:73], -v[64:65]
	v_add_f64 v[60:61], v[60:61], v[76:77]
	v_add_f64 v[62:63], v[62:63], -v[64:65]
	s_mov_b32 s52, 0
	v_add_f64 v[60:61], v[60:61], v[62:63]
	s_mov_b32 s53, 0x7ff00000
	v_add_f64 v[60:61], v[72:73], v[60:61]
	v_cmp_eq_f64_e64 s[52:53], s[52:53], v[32:33]
	s_nop 1
	v_cndmask_b32_e64 v1, v60, v32, s[52:53]
	v_cndmask_b32_e64 v35, v61, v33, s[52:53]
	v_mov_b32_e32 v60, 0x7ff80000
	v_cmp_ngt_f64_e64 s[52:53], -1.0, v[32:33]
	s_nop 1
	v_cndmask_b32_e64 v35, v60, v35, s[52:53]
	v_cmp_nge_f64_e64 s[52:53], -1.0, v[32:33]
	s_nop 1
	v_cndmask_b32_e64 v60, 0, v1, s[52:53]
	v_mov_b32_e32 v1, 0xfff00000
	v_cmp_neq_f64_e64 s[52:53], -1.0, v[32:33]
	s_nop 1
	v_cndmask_b32_e64 v61, v1, v35, s[52:53]
	v_add_f64 v[72:73], v[30:31], v[60:61]
.LBB80_52:
	s_or_b64 exec, exec, s[56:57]
	v_max_f64 v[60:61], v[6:7], v[6:7]
	v_max_f64 v[30:31], v[72:73], v[72:73]
	v_min_f64 v[32:33], v[30:31], v[60:61]
	v_cmp_u_f64_e64 s[54:55], v[72:73], v[72:73]
	v_cmp_u_f64_e64 s[52:53], v[6:7], v[6:7]
	v_max_f64 v[30:31], v[30:31], v[60:61]
	v_cndmask_b32_e64 v1, v32, v72, s[54:55]
	v_cndmask_b32_e64 v32, v33, v73, s[54:55]
	;; [unrolled: 1-line block ×8, first 2 shown]
	v_cmp_neq_f64_e64 s[54:55], v[32:33], v[30:31]
	v_cmp_class_f64_e64 s[56:57], v[32:33], s33
	s_or_b64 s[54:55], s[54:55], s[56:57]
	s_and_saveexec_b64 s[62:63], s[54:55]
	s_cbranch_execz .LBB80_54
; %bb.53:
	s_mov_b32 s54, 0x652b82fe
	v_add_f64 v[32:33], v[32:33], -v[30:31]
	s_mov_b32 s55, 0x3ff71547
	v_mul_f64 v[62:63], v[32:33], s[54:55]
	v_rndne_f64_e32 v[62:63], v[62:63]
	s_mov_b32 s65, 0xbfe62e42
	s_mov_b32 s64, 0xfefa39ef
	v_fma_f64 v[64:65], s[64:65], v[62:63], v[32:33]
	s_mov_b32 s67, 0xbc7abc9e
	s_mov_b32 s66, 0x3b39803f
	s_mov_b32 s54, 0x6a5dcb37
	v_fmac_f64_e32 v[64:65], s[66:67], v[62:63]
	v_mov_b32_e32 v72, 0xfca7ab0c
	v_mov_b32_e32 v73, 0x3e928af3
	s_mov_b32 s55, 0x3e5ade15
	v_fmac_f64_e32 v[72:73], s[54:55], v[64:65]
	v_mov_b32_e32 v74, 0x623fde64
	v_mov_b32_e32 v75, 0x3ec71dee
	v_fmac_f64_e32 v[74:75], v[64:65], v[72:73]
	v_mov_b32_e32 v72, 0x7c89e6b0
	v_mov_b32_e32 v73, 0x3efa0199
	v_fmac_f64_e32 v[72:73], v[64:65], v[74:75]
	v_mov_b32_e32 v74, 0x14761f6e
	v_mov_b32_e32 v75, 0x3f2a01a0
	v_fmac_f64_e32 v[74:75], v[64:65], v[72:73]
	v_mov_b32_e32 v72, 0x1852b7b0
	v_mov_b32_e32 v73, 0x3f56c16c
	v_fmac_f64_e32 v[72:73], v[64:65], v[74:75]
	v_mov_b32_e32 v74, 0x11122322
	v_mov_b32_e32 v75, 0x3f811111
	v_fmac_f64_e32 v[74:75], v[64:65], v[72:73]
	v_mov_b32_e32 v72, 0x555502a1
	v_mov_b32_e32 v73, 0x3fa55555
	v_fmac_f64_e32 v[72:73], v[64:65], v[74:75]
	v_mov_b32_e32 v74, 0x55555511
	v_mov_b32_e32 v75, 0x3fc55555
	v_fmac_f64_e32 v[74:75], v[64:65], v[72:73]
	v_mov_b32_e32 v72, 11
	v_mov_b32_e32 v73, 0x3fe00000
	v_fmac_f64_e32 v[72:73], v[64:65], v[74:75]
	v_fma_f64 v[72:73], v[64:65], v[72:73], 1.0
	s_mov_b32 s54, 0
	s_mov_b32 s56, 0
	v_fma_f64 v[64:65], v[64:65], v[72:73], 1.0
	v_cvt_i32_f64_e32 v1, v[62:63]
	s_mov_b32 s55, 0x40900000
	s_mov_b32 s57, 0xc090cc00
	v_ldexp_f64 v[62:63], v[64:65], v1
	v_mov_b32_e32 v1, 0x7ff00000
	v_cmp_nlt_f64_e64 s[54:55], s[54:55], v[32:33]
	v_cmp_ngt_f64_e64 s[56:57], s[56:57], v[32:33]
	s_mov_b32 s65, 0x3fe62e42
	v_cndmask_b32_e64 v1, v1, v63, s[54:55]
	s_and_b64 s[54:55], s[56:57], s[54:55]
	v_cndmask_b32_e64 v33, 0, v1, s[56:57]
	v_cndmask_b32_e64 v32, 0, v62, s[54:55]
	v_add_f64 v[62:63], v[32:33], 1.0
	v_add_f64 v[64:65], v[62:63], -1.0
	v_add_f64 v[72:73], v[64:65], -v[62:63]
	v_add_f64 v[72:73], v[72:73], 1.0
	v_add_f64 v[64:65], v[32:33], -v[64:65]
	s_mov_b32 s54, 0x55555555
	v_add_f64 v[64:65], v[64:65], v[72:73]
	v_frexp_mant_f64_e32 v[72:73], v[62:63]
	s_mov_b32 s55, 0x3fe55555
	v_frexp_exp_i32_f64_e32 v1, v[62:63]
	v_cmp_gt_f64_e64 s[54:55], s[54:55], v[72:73]
	s_mov_b32 s67, 0x3c7abc9e
	s_nop 0
	v_subbrev_co_u32_e64 v1, s[54:55], 0, v1, s[54:55]
	v_sub_u32_e32 v35, 0, v1
	v_ldexp_f64 v[62:63], v[62:63], v35
	v_add_f64 v[72:73], v[62:63], -1.0
	v_add_f64 v[78:79], v[62:63], 1.0
	v_add_f64 v[74:75], v[72:73], 1.0
	v_add_f64 v[80:81], v[78:79], -1.0
	v_ldexp_f64 v[64:65], v[64:65], v35
	v_add_f64 v[74:75], v[62:63], -v[74:75]
	v_add_f64 v[62:63], v[62:63], -v[80:81]
	v_add_f64 v[62:63], v[64:65], v[62:63]
	v_add_f64 v[74:75], v[64:65], v[74:75]
	;; [unrolled: 1-line block ×3, first 2 shown]
	v_rcp_f64_e32 v[80:81], v[64:65]
	v_add_f64 v[76:77], v[72:73], v[74:75]
	v_add_f64 v[72:73], v[76:77], -v[72:73]
	v_add_f64 v[72:73], v[74:75], -v[72:73]
	;; [unrolled: 1-line block ×4, first 2 shown]
	v_fma_f64 v[74:75], -v[64:65], v[80:81], 1.0
	v_fmac_f64_e32 v[80:81], v[74:75], v[80:81]
	v_fma_f64 v[74:75], -v[64:65], v[80:81], 1.0
	v_fmac_f64_e32 v[80:81], v[74:75], v[80:81]
	v_mul_f64 v[74:75], v[76:77], v[80:81]
	v_mul_f64 v[78:79], v[64:65], v[74:75]
	v_fma_f64 v[82:83], v[74:75], v[64:65], -v[78:79]
	v_fmac_f64_e32 v[82:83], v[74:75], v[62:63]
	v_add_f64 v[84:85], v[78:79], v[82:83]
	v_add_f64 v[86:87], v[76:77], -v[84:85]
	v_add_f64 v[76:77], v[76:77], -v[86:87]
	;; [unrolled: 1-line block ×4, first 2 shown]
	v_add_f64 v[72:73], v[72:73], v[76:77]
	v_add_f64 v[76:77], v[78:79], -v[82:83]
	v_add_f64 v[72:73], v[76:77], v[72:73]
	v_add_f64 v[76:77], v[86:87], v[72:73]
	v_add_f64 v[78:79], v[86:87], -v[76:77]
	v_add_f64 v[72:73], v[72:73], v[78:79]
	v_mul_f64 v[78:79], v[80:81], v[76:77]
	v_mul_f64 v[82:83], v[64:65], v[78:79]
	v_fma_f64 v[64:65], v[78:79], v[64:65], -v[82:83]
	v_fmac_f64_e32 v[64:65], v[78:79], v[62:63]
	v_add_f64 v[62:63], v[82:83], v[64:65]
	v_add_f64 v[84:85], v[76:77], -v[62:63]
	v_add_f64 v[76:77], v[76:77], -v[84:85]
	;; [unrolled: 1-line block ×4, first 2 shown]
	v_add_f64 v[62:63], v[72:73], v[62:63]
	v_add_f64 v[64:65], v[82:83], -v[64:65]
	v_add_f64 v[62:63], v[64:65], v[62:63]
	v_add_f64 v[64:65], v[74:75], v[78:79]
	;; [unrolled: 1-line block ×3, first 2 shown]
	v_add_f64 v[72:73], v[64:65], -v[74:75]
	v_mul_f64 v[62:63], v[80:81], v[62:63]
	v_add_f64 v[72:73], v[78:79], -v[72:73]
	v_add_f64 v[62:63], v[72:73], v[62:63]
	v_add_f64 v[72:73], v[64:65], v[62:63]
	v_add_f64 v[64:65], v[72:73], -v[64:65]
	s_mov_b32 s54, 0xbf559e2b
	v_add_f64 v[62:63], v[62:63], -v[64:65]
	v_mul_f64 v[64:65], v[72:73], v[72:73]
	v_mov_b32_e32 v74, 0x6b47b09a
	v_mov_b32_e32 v75, 0x3fc38538
	s_mov_b32 s55, 0x3fc3ab76
	v_fmac_f64_e32 v[74:75], s[54:55], v[64:65]
	v_mov_b32_e32 v76, 0xd7f4df2e
	v_mov_b32_e32 v77, 0x3fc7474d
	v_fmac_f64_e32 v[76:77], v[64:65], v[74:75]
	v_mov_b32_e32 v74, 0x16291751
	v_mov_b32_e32 v75, 0x3fcc71c0
	;; [unrolled: 3-line block ×5, first 2 shown]
	v_fmac_f64_e32 v[76:77], v[64:65], v[74:75]
	v_cvt_f64_i32_e32 v[74:75], v1
	v_mul_f64 v[78:79], v[74:75], s[64:65]
	v_fma_f64 v[80:81], v[74:75], s[64:65], -v[78:79]
	v_fmac_f64_e32 v[80:81], s[66:67], v[74:75]
	v_add_f64 v[74:75], v[78:79], v[80:81]
	v_add_f64 v[78:79], v[74:75], -v[78:79]
	v_mul_f64 v[64:65], v[72:73], v[64:65]
	v_add_f64 v[78:79], v[80:81], -v[78:79]
	v_ldexp_f64 v[80:81], v[72:73], 1
	v_mul_f64 v[64:65], v[64:65], v[76:77]
	v_add_f64 v[72:73], v[80:81], v[64:65]
	v_add_f64 v[76:77], v[72:73], -v[80:81]
	v_ldexp_f64 v[62:63], v[62:63], 1
	v_add_f64 v[64:65], v[64:65], -v[76:77]
	v_add_f64 v[62:63], v[62:63], v[64:65]
	v_add_f64 v[64:65], v[72:73], v[62:63]
	v_add_f64 v[72:73], v[64:65], -v[72:73]
	v_add_f64 v[62:63], v[62:63], -v[72:73]
	v_add_f64 v[72:73], v[74:75], v[64:65]
	v_add_f64 v[76:77], v[72:73], -v[74:75]
	v_add_f64 v[80:81], v[72:73], -v[76:77]
	;; [unrolled: 1-line block ×4, first 2 shown]
	v_add_f64 v[64:65], v[64:65], v[74:75]
	v_add_f64 v[74:75], v[78:79], v[62:63]
	v_add_f64 v[76:77], v[74:75], -v[78:79]
	v_add_f64 v[64:65], v[74:75], v[64:65]
	v_add_f64 v[80:81], v[74:75], -v[76:77]
	;; [unrolled: 2-line block ×3, first 2 shown]
	v_add_f64 v[62:63], v[62:63], -v[76:77]
	v_add_f64 v[72:73], v[74:75], -v[72:73]
	v_add_f64 v[62:63], v[62:63], v[78:79]
	v_add_f64 v[64:65], v[64:65], -v[72:73]
	s_mov_b32 s54, 0
	v_add_f64 v[62:63], v[62:63], v[64:65]
	s_mov_b32 s55, 0x7ff00000
	v_add_f64 v[62:63], v[74:75], v[62:63]
	v_cmp_eq_f64_e64 s[54:55], s[54:55], v[32:33]
	s_nop 1
	v_cndmask_b32_e64 v1, v62, v32, s[54:55]
	v_cndmask_b32_e64 v35, v63, v33, s[54:55]
	v_mov_b32_e32 v62, 0x7ff80000
	v_cmp_ngt_f64_e64 s[54:55], -1.0, v[32:33]
	s_nop 1
	v_cndmask_b32_e64 v35, v62, v35, s[54:55]
	v_cmp_nge_f64_e64 s[54:55], -1.0, v[32:33]
	s_nop 1
	v_cndmask_b32_e64 v62, 0, v1, s[54:55]
	v_mov_b32_e32 v1, 0xfff00000
	v_cmp_neq_f64_e64 s[54:55], -1.0, v[32:33]
	s_nop 1
	v_cndmask_b32_e64 v63, v1, v35, s[54:55]
	v_add_f64 v[72:73], v[30:31], v[62:63]
.LBB80_54:
	s_or_b64 exec, exec, s[62:63]
	v_max_f64 v[62:63], v[8:9], v[8:9]
	v_max_f64 v[30:31], v[72:73], v[72:73]
	v_min_f64 v[32:33], v[30:31], v[62:63]
	v_cmp_u_f64_e64 s[56:57], v[72:73], v[72:73]
	v_cmp_u_f64_e64 s[54:55], v[8:9], v[8:9]
	v_max_f64 v[30:31], v[30:31], v[62:63]
	v_cndmask_b32_e64 v1, v32, v72, s[56:57]
	v_cndmask_b32_e64 v32, v33, v73, s[56:57]
	;; [unrolled: 1-line block ×8, first 2 shown]
	v_cmp_neq_f64_e64 s[56:57], v[32:33], v[30:31]
	v_cmp_class_f64_e64 s[62:63], v[32:33], s33
	s_or_b64 s[56:57], s[56:57], s[62:63]
	s_and_saveexec_b64 s[64:65], s[56:57]
	s_cbranch_execz .LBB80_56
; %bb.55:
	s_mov_b32 s56, 0x652b82fe
	v_add_f64 v[32:33], v[32:33], -v[30:31]
	s_mov_b32 s57, 0x3ff71547
	v_mul_f64 v[64:65], v[32:33], s[56:57]
	v_rndne_f64_e32 v[64:65], v[64:65]
	s_mov_b32 s67, 0xbfe62e42
	s_mov_b32 s66, 0xfefa39ef
	v_fma_f64 v[72:73], s[66:67], v[64:65], v[32:33]
	s_mov_b32 s69, 0xbc7abc9e
	s_mov_b32 s68, 0x3b39803f
	;; [unrolled: 1-line block ×3, first 2 shown]
	v_fmac_f64_e32 v[72:73], s[68:69], v[64:65]
	v_mov_b32_e32 v74, 0xfca7ab0c
	v_mov_b32_e32 v75, 0x3e928af3
	s_mov_b32 s57, 0x3e5ade15
	v_fmac_f64_e32 v[74:75], s[56:57], v[72:73]
	v_mov_b32_e32 v76, 0x623fde64
	v_mov_b32_e32 v77, 0x3ec71dee
	v_fmac_f64_e32 v[76:77], v[72:73], v[74:75]
	v_mov_b32_e32 v74, 0x7c89e6b0
	v_mov_b32_e32 v75, 0x3efa0199
	;; [unrolled: 3-line block ×8, first 2 shown]
	v_fmac_f64_e32 v[74:75], v[72:73], v[76:77]
	v_fma_f64 v[74:75], v[72:73], v[74:75], 1.0
	s_mov_b32 s56, 0
	s_mov_b32 s62, 0
	v_fma_f64 v[72:73], v[72:73], v[74:75], 1.0
	v_cvt_i32_f64_e32 v1, v[64:65]
	s_mov_b32 s57, 0x40900000
	s_mov_b32 s63, 0xc090cc00
	v_ldexp_f64 v[64:65], v[72:73], v1
	v_mov_b32_e32 v1, 0x7ff00000
	v_cmp_nlt_f64_e64 s[56:57], s[56:57], v[32:33]
	v_cmp_ngt_f64_e64 s[62:63], s[62:63], v[32:33]
	s_mov_b32 s67, 0x3fe62e42
	v_cndmask_b32_e64 v1, v1, v65, s[56:57]
	s_and_b64 s[56:57], s[62:63], s[56:57]
	v_cndmask_b32_e64 v33, 0, v1, s[62:63]
	v_cndmask_b32_e64 v32, 0, v64, s[56:57]
	v_add_f64 v[64:65], v[32:33], 1.0
	v_add_f64 v[72:73], v[64:65], -1.0
	v_add_f64 v[74:75], v[72:73], -v[64:65]
	v_add_f64 v[74:75], v[74:75], 1.0
	v_add_f64 v[72:73], v[32:33], -v[72:73]
	s_mov_b32 s56, 0x55555555
	v_add_f64 v[72:73], v[72:73], v[74:75]
	v_frexp_mant_f64_e32 v[74:75], v[64:65]
	s_mov_b32 s57, 0x3fe55555
	v_frexp_exp_i32_f64_e32 v1, v[64:65]
	v_cmp_gt_f64_e64 s[56:57], s[56:57], v[74:75]
	s_mov_b32 s69, 0x3c7abc9e
	s_nop 0
	v_subbrev_co_u32_e64 v1, s[56:57], 0, v1, s[56:57]
	v_sub_u32_e32 v35, 0, v1
	v_ldexp_f64 v[64:65], v[64:65], v35
	v_add_f64 v[74:75], v[64:65], -1.0
	v_add_f64 v[80:81], v[64:65], 1.0
	v_add_f64 v[76:77], v[74:75], 1.0
	v_add_f64 v[82:83], v[80:81], -1.0
	v_ldexp_f64 v[72:73], v[72:73], v35
	v_add_f64 v[76:77], v[64:65], -v[76:77]
	v_add_f64 v[64:65], v[64:65], -v[82:83]
	v_add_f64 v[64:65], v[72:73], v[64:65]
	v_add_f64 v[76:77], v[72:73], v[76:77]
	;; [unrolled: 1-line block ×3, first 2 shown]
	v_rcp_f64_e32 v[82:83], v[72:73]
	v_add_f64 v[78:79], v[74:75], v[76:77]
	v_add_f64 v[74:75], v[78:79], -v[74:75]
	v_add_f64 v[74:75], v[76:77], -v[74:75]
	;; [unrolled: 1-line block ×4, first 2 shown]
	v_fma_f64 v[76:77], -v[72:73], v[82:83], 1.0
	v_fmac_f64_e32 v[82:83], v[76:77], v[82:83]
	v_fma_f64 v[76:77], -v[72:73], v[82:83], 1.0
	v_fmac_f64_e32 v[82:83], v[76:77], v[82:83]
	v_mul_f64 v[76:77], v[78:79], v[82:83]
	v_mul_f64 v[80:81], v[72:73], v[76:77]
	v_fma_f64 v[84:85], v[76:77], v[72:73], -v[80:81]
	v_fmac_f64_e32 v[84:85], v[76:77], v[64:65]
	v_add_f64 v[86:87], v[80:81], v[84:85]
	v_add_f64 v[88:89], v[78:79], -v[86:87]
	v_add_f64 v[78:79], v[78:79], -v[88:89]
	;; [unrolled: 1-line block ×4, first 2 shown]
	v_add_f64 v[74:75], v[74:75], v[78:79]
	v_add_f64 v[78:79], v[80:81], -v[84:85]
	v_add_f64 v[74:75], v[78:79], v[74:75]
	v_add_f64 v[78:79], v[88:89], v[74:75]
	v_add_f64 v[80:81], v[88:89], -v[78:79]
	v_add_f64 v[74:75], v[74:75], v[80:81]
	v_mul_f64 v[80:81], v[82:83], v[78:79]
	v_mul_f64 v[84:85], v[72:73], v[80:81]
	v_fma_f64 v[72:73], v[80:81], v[72:73], -v[84:85]
	v_fmac_f64_e32 v[72:73], v[80:81], v[64:65]
	v_add_f64 v[64:65], v[84:85], v[72:73]
	v_add_f64 v[86:87], v[78:79], -v[64:65]
	v_add_f64 v[78:79], v[78:79], -v[86:87]
	;; [unrolled: 1-line block ×4, first 2 shown]
	v_add_f64 v[64:65], v[74:75], v[64:65]
	v_add_f64 v[72:73], v[84:85], -v[72:73]
	v_add_f64 v[64:65], v[72:73], v[64:65]
	v_add_f64 v[72:73], v[76:77], v[80:81]
	;; [unrolled: 1-line block ×3, first 2 shown]
	v_add_f64 v[74:75], v[72:73], -v[76:77]
	v_mul_f64 v[64:65], v[82:83], v[64:65]
	v_add_f64 v[74:75], v[80:81], -v[74:75]
	v_add_f64 v[64:65], v[74:75], v[64:65]
	v_add_f64 v[74:75], v[72:73], v[64:65]
	v_add_f64 v[72:73], v[74:75], -v[72:73]
	s_mov_b32 s56, 0xbf559e2b
	v_add_f64 v[64:65], v[64:65], -v[72:73]
	v_mul_f64 v[72:73], v[74:75], v[74:75]
	v_mov_b32_e32 v76, 0x6b47b09a
	v_mov_b32_e32 v77, 0x3fc38538
	s_mov_b32 s57, 0x3fc3ab76
	v_fmac_f64_e32 v[76:77], s[56:57], v[72:73]
	v_mov_b32_e32 v78, 0xd7f4df2e
	v_mov_b32_e32 v79, 0x3fc7474d
	v_fmac_f64_e32 v[78:79], v[72:73], v[76:77]
	v_mov_b32_e32 v76, 0x16291751
	v_mov_b32_e32 v77, 0x3fcc71c0
	v_fmac_f64_e32 v[76:77], v[72:73], v[78:79]
	v_mov_b32_e32 v78, 0x9b27acf1
	v_mov_b32_e32 v79, 0x3fd24924
	v_fmac_f64_e32 v[78:79], v[72:73], v[76:77]
	v_mov_b32_e32 v76, 0x998ef7b6
	v_mov_b32_e32 v77, 0x3fd99999
	v_fmac_f64_e32 v[76:77], v[72:73], v[78:79]
	v_mov_b32_e32 v78, 0x55555780
	v_mov_b32_e32 v79, 0x3fe55555
	v_fmac_f64_e32 v[78:79], v[72:73], v[76:77]
	v_cvt_f64_i32_e32 v[76:77], v1
	v_mul_f64 v[80:81], v[76:77], s[66:67]
	v_fma_f64 v[82:83], v[76:77], s[66:67], -v[80:81]
	v_fmac_f64_e32 v[82:83], s[68:69], v[76:77]
	v_add_f64 v[76:77], v[80:81], v[82:83]
	v_add_f64 v[80:81], v[76:77], -v[80:81]
	v_mul_f64 v[72:73], v[74:75], v[72:73]
	v_add_f64 v[80:81], v[82:83], -v[80:81]
	v_ldexp_f64 v[82:83], v[74:75], 1
	v_mul_f64 v[72:73], v[72:73], v[78:79]
	v_add_f64 v[74:75], v[82:83], v[72:73]
	v_add_f64 v[78:79], v[74:75], -v[82:83]
	v_ldexp_f64 v[64:65], v[64:65], 1
	v_add_f64 v[72:73], v[72:73], -v[78:79]
	v_add_f64 v[64:65], v[64:65], v[72:73]
	v_add_f64 v[72:73], v[74:75], v[64:65]
	v_add_f64 v[74:75], v[72:73], -v[74:75]
	v_add_f64 v[64:65], v[64:65], -v[74:75]
	v_add_f64 v[74:75], v[76:77], v[72:73]
	v_add_f64 v[78:79], v[74:75], -v[76:77]
	v_add_f64 v[82:83], v[74:75], -v[78:79]
	;; [unrolled: 1-line block ×4, first 2 shown]
	v_add_f64 v[72:73], v[72:73], v[76:77]
	v_add_f64 v[76:77], v[80:81], v[64:65]
	v_add_f64 v[78:79], v[76:77], -v[80:81]
	v_add_f64 v[72:73], v[76:77], v[72:73]
	v_add_f64 v[82:83], v[76:77], -v[78:79]
	;; [unrolled: 2-line block ×3, first 2 shown]
	v_add_f64 v[64:65], v[64:65], -v[78:79]
	v_add_f64 v[74:75], v[76:77], -v[74:75]
	v_add_f64 v[64:65], v[64:65], v[80:81]
	v_add_f64 v[72:73], v[72:73], -v[74:75]
	s_mov_b32 s56, 0
	v_add_f64 v[64:65], v[64:65], v[72:73]
	s_mov_b32 s57, 0x7ff00000
	v_add_f64 v[64:65], v[76:77], v[64:65]
	v_cmp_eq_f64_e64 s[56:57], s[56:57], v[32:33]
	s_nop 1
	v_cndmask_b32_e64 v1, v64, v32, s[56:57]
	v_cndmask_b32_e64 v35, v65, v33, s[56:57]
	v_mov_b32_e32 v64, 0x7ff80000
	v_cmp_ngt_f64_e64 s[56:57], -1.0, v[32:33]
	s_nop 1
	v_cndmask_b32_e64 v35, v64, v35, s[56:57]
	v_cmp_nge_f64_e64 s[56:57], -1.0, v[32:33]
	s_nop 1
	v_cndmask_b32_e64 v64, 0, v1, s[56:57]
	v_mov_b32_e32 v1, 0xfff00000
	v_cmp_neq_f64_e64 s[56:57], -1.0, v[32:33]
	s_nop 1
	v_cndmask_b32_e64 v65, v1, v35, s[56:57]
	v_add_f64 v[72:73], v[30:31], v[64:65]
.LBB80_56:
	s_or_b64 exec, exec, s[64:65]
	v_max_f64 v[64:65], v[36:37], v[36:37]
	v_max_f64 v[30:31], v[72:73], v[72:73]
	v_min_f64 v[32:33], v[30:31], v[64:65]
	v_cmp_u_f64_e64 s[62:63], v[72:73], v[72:73]
	v_cmp_u_f64_e64 s[56:57], v[36:37], v[36:37]
	v_max_f64 v[30:31], v[30:31], v[64:65]
	v_cndmask_b32_e64 v1, v32, v72, s[62:63]
	v_cndmask_b32_e64 v32, v33, v73, s[62:63]
	;; [unrolled: 1-line block ×8, first 2 shown]
	v_cmp_neq_f64_e64 s[62:63], v[32:33], v[30:31]
	v_cmp_class_f64_e64 s[64:65], v[32:33], s33
	s_or_b64 s[62:63], s[62:63], s[64:65]
	s_and_saveexec_b64 s[66:67], s[62:63]
	s_cbranch_execz .LBB80_58
; %bb.57:
	s_mov_b32 s62, 0x652b82fe
	v_add_f64 v[32:33], v[32:33], -v[30:31]
	s_mov_b32 s63, 0x3ff71547
	v_mul_f64 v[72:73], v[32:33], s[62:63]
	v_rndne_f64_e32 v[72:73], v[72:73]
	s_mov_b32 s69, 0xbfe62e42
	s_mov_b32 s68, 0xfefa39ef
	v_fma_f64 v[74:75], s[68:69], v[72:73], v[32:33]
	s_mov_b32 s71, 0xbc7abc9e
	s_mov_b32 s70, 0x3b39803f
	;; [unrolled: 1-line block ×3, first 2 shown]
	v_fmac_f64_e32 v[74:75], s[70:71], v[72:73]
	v_mov_b32_e32 v76, 0xfca7ab0c
	v_mov_b32_e32 v77, 0x3e928af3
	s_mov_b32 s63, 0x3e5ade15
	v_fmac_f64_e32 v[76:77], s[62:63], v[74:75]
	v_mov_b32_e32 v78, 0x623fde64
	v_mov_b32_e32 v79, 0x3ec71dee
	v_fmac_f64_e32 v[78:79], v[74:75], v[76:77]
	v_mov_b32_e32 v76, 0x7c89e6b0
	v_mov_b32_e32 v77, 0x3efa0199
	;; [unrolled: 3-line block ×8, first 2 shown]
	v_fmac_f64_e32 v[76:77], v[74:75], v[78:79]
	v_fma_f64 v[76:77], v[74:75], v[76:77], 1.0
	s_mov_b32 s62, 0
	s_mov_b32 s64, 0
	v_fma_f64 v[74:75], v[74:75], v[76:77], 1.0
	v_cvt_i32_f64_e32 v1, v[72:73]
	s_mov_b32 s63, 0x40900000
	s_mov_b32 s65, 0xc090cc00
	v_ldexp_f64 v[72:73], v[74:75], v1
	v_mov_b32_e32 v1, 0x7ff00000
	v_cmp_nlt_f64_e64 s[62:63], s[62:63], v[32:33]
	v_cmp_ngt_f64_e64 s[64:65], s[64:65], v[32:33]
	s_mov_b32 s69, 0x3fe62e42
	v_cndmask_b32_e64 v1, v1, v73, s[62:63]
	s_and_b64 s[62:63], s[64:65], s[62:63]
	v_cndmask_b32_e64 v33, 0, v1, s[64:65]
	v_cndmask_b32_e64 v32, 0, v72, s[62:63]
	v_add_f64 v[72:73], v[32:33], 1.0
	v_add_f64 v[74:75], v[72:73], -1.0
	v_add_f64 v[76:77], v[74:75], -v[72:73]
	v_add_f64 v[76:77], v[76:77], 1.0
	v_add_f64 v[74:75], v[32:33], -v[74:75]
	s_mov_b32 s62, 0x55555555
	v_add_f64 v[74:75], v[74:75], v[76:77]
	v_frexp_mant_f64_e32 v[76:77], v[72:73]
	s_mov_b32 s63, 0x3fe55555
	v_frexp_exp_i32_f64_e32 v1, v[72:73]
	v_cmp_gt_f64_e64 s[62:63], s[62:63], v[76:77]
	s_mov_b32 s71, 0x3c7abc9e
	s_nop 0
	v_subbrev_co_u32_e64 v1, s[62:63], 0, v1, s[62:63]
	v_sub_u32_e32 v35, 0, v1
	v_ldexp_f64 v[72:73], v[72:73], v35
	v_add_f64 v[76:77], v[72:73], -1.0
	v_add_f64 v[82:83], v[72:73], 1.0
	v_add_f64 v[78:79], v[76:77], 1.0
	v_add_f64 v[84:85], v[82:83], -1.0
	v_ldexp_f64 v[74:75], v[74:75], v35
	v_add_f64 v[78:79], v[72:73], -v[78:79]
	v_add_f64 v[72:73], v[72:73], -v[84:85]
	v_add_f64 v[72:73], v[74:75], v[72:73]
	v_add_f64 v[78:79], v[74:75], v[78:79]
	;; [unrolled: 1-line block ×3, first 2 shown]
	v_rcp_f64_e32 v[84:85], v[74:75]
	v_add_f64 v[80:81], v[76:77], v[78:79]
	v_add_f64 v[76:77], v[80:81], -v[76:77]
	v_add_f64 v[76:77], v[78:79], -v[76:77]
	;; [unrolled: 1-line block ×4, first 2 shown]
	v_fma_f64 v[78:79], -v[74:75], v[84:85], 1.0
	v_fmac_f64_e32 v[84:85], v[78:79], v[84:85]
	v_fma_f64 v[78:79], -v[74:75], v[84:85], 1.0
	v_fmac_f64_e32 v[84:85], v[78:79], v[84:85]
	v_mul_f64 v[78:79], v[80:81], v[84:85]
	v_mul_f64 v[82:83], v[74:75], v[78:79]
	v_fma_f64 v[86:87], v[78:79], v[74:75], -v[82:83]
	v_fmac_f64_e32 v[86:87], v[78:79], v[72:73]
	v_add_f64 v[88:89], v[82:83], v[86:87]
	v_add_f64 v[90:91], v[80:81], -v[88:89]
	v_add_f64 v[80:81], v[80:81], -v[90:91]
	;; [unrolled: 1-line block ×4, first 2 shown]
	v_add_f64 v[76:77], v[76:77], v[80:81]
	v_add_f64 v[80:81], v[82:83], -v[86:87]
	v_add_f64 v[76:77], v[80:81], v[76:77]
	v_add_f64 v[80:81], v[90:91], v[76:77]
	v_add_f64 v[82:83], v[90:91], -v[80:81]
	v_add_f64 v[76:77], v[76:77], v[82:83]
	v_mul_f64 v[82:83], v[84:85], v[80:81]
	v_mul_f64 v[86:87], v[74:75], v[82:83]
	v_fma_f64 v[74:75], v[82:83], v[74:75], -v[86:87]
	v_fmac_f64_e32 v[74:75], v[82:83], v[72:73]
	v_add_f64 v[72:73], v[86:87], v[74:75]
	v_add_f64 v[88:89], v[80:81], -v[72:73]
	v_add_f64 v[80:81], v[80:81], -v[88:89]
	;; [unrolled: 1-line block ×4, first 2 shown]
	v_add_f64 v[72:73], v[76:77], v[72:73]
	v_add_f64 v[74:75], v[86:87], -v[74:75]
	v_add_f64 v[72:73], v[74:75], v[72:73]
	v_add_f64 v[74:75], v[78:79], v[82:83]
	;; [unrolled: 1-line block ×3, first 2 shown]
	v_add_f64 v[76:77], v[74:75], -v[78:79]
	v_mul_f64 v[72:73], v[84:85], v[72:73]
	v_add_f64 v[76:77], v[82:83], -v[76:77]
	v_add_f64 v[72:73], v[76:77], v[72:73]
	v_add_f64 v[76:77], v[74:75], v[72:73]
	v_add_f64 v[74:75], v[76:77], -v[74:75]
	s_mov_b32 s62, 0xbf559e2b
	v_add_f64 v[72:73], v[72:73], -v[74:75]
	v_mul_f64 v[74:75], v[76:77], v[76:77]
	v_mov_b32_e32 v78, 0x6b47b09a
	v_mov_b32_e32 v79, 0x3fc38538
	s_mov_b32 s63, 0x3fc3ab76
	v_fmac_f64_e32 v[78:79], s[62:63], v[74:75]
	v_mov_b32_e32 v80, 0xd7f4df2e
	v_mov_b32_e32 v81, 0x3fc7474d
	v_fmac_f64_e32 v[80:81], v[74:75], v[78:79]
	v_mov_b32_e32 v78, 0x16291751
	v_mov_b32_e32 v79, 0x3fcc71c0
	;; [unrolled: 3-line block ×5, first 2 shown]
	v_fmac_f64_e32 v[80:81], v[74:75], v[78:79]
	v_cvt_f64_i32_e32 v[78:79], v1
	v_mul_f64 v[82:83], v[78:79], s[68:69]
	v_fma_f64 v[84:85], v[78:79], s[68:69], -v[82:83]
	v_fmac_f64_e32 v[84:85], s[70:71], v[78:79]
	v_add_f64 v[78:79], v[82:83], v[84:85]
	v_add_f64 v[82:83], v[78:79], -v[82:83]
	v_mul_f64 v[74:75], v[76:77], v[74:75]
	v_add_f64 v[82:83], v[84:85], -v[82:83]
	v_ldexp_f64 v[84:85], v[76:77], 1
	v_mul_f64 v[74:75], v[74:75], v[80:81]
	v_add_f64 v[76:77], v[84:85], v[74:75]
	v_add_f64 v[80:81], v[76:77], -v[84:85]
	v_ldexp_f64 v[72:73], v[72:73], 1
	v_add_f64 v[74:75], v[74:75], -v[80:81]
	v_add_f64 v[72:73], v[72:73], v[74:75]
	v_add_f64 v[74:75], v[76:77], v[72:73]
	v_add_f64 v[76:77], v[74:75], -v[76:77]
	v_add_f64 v[72:73], v[72:73], -v[76:77]
	v_add_f64 v[76:77], v[78:79], v[74:75]
	v_add_f64 v[80:81], v[76:77], -v[78:79]
	v_add_f64 v[84:85], v[76:77], -v[80:81]
	v_add_f64 v[78:79], v[78:79], -v[84:85]
	v_add_f64 v[74:75], v[74:75], -v[80:81]
	v_add_f64 v[74:75], v[74:75], v[78:79]
	v_add_f64 v[78:79], v[82:83], v[72:73]
	v_add_f64 v[80:81], v[78:79], -v[82:83]
	v_add_f64 v[74:75], v[78:79], v[74:75]
	v_add_f64 v[84:85], v[78:79], -v[80:81]
	;; [unrolled: 2-line block ×3, first 2 shown]
	v_add_f64 v[72:73], v[72:73], -v[80:81]
	v_add_f64 v[76:77], v[78:79], -v[76:77]
	v_add_f64 v[72:73], v[72:73], v[82:83]
	v_add_f64 v[74:75], v[74:75], -v[76:77]
	s_mov_b32 s62, 0
	v_add_f64 v[72:73], v[72:73], v[74:75]
	s_mov_b32 s63, 0x7ff00000
	v_add_f64 v[72:73], v[78:79], v[72:73]
	v_cmp_eq_f64_e64 s[62:63], s[62:63], v[32:33]
	s_nop 1
	v_cndmask_b32_e64 v1, v72, v32, s[62:63]
	v_cndmask_b32_e64 v35, v73, v33, s[62:63]
	v_mov_b32_e32 v72, 0x7ff80000
	v_cmp_ngt_f64_e64 s[62:63], -1.0, v[32:33]
	s_nop 1
	v_cndmask_b32_e64 v35, v72, v35, s[62:63]
	v_cmp_nge_f64_e64 s[62:63], -1.0, v[32:33]
	s_nop 1
	v_cndmask_b32_e64 v72, 0, v1, s[62:63]
	v_mov_b32_e32 v1, 0xfff00000
	v_cmp_neq_f64_e64 s[62:63], -1.0, v[32:33]
	s_nop 1
	v_cndmask_b32_e64 v73, v1, v35, s[62:63]
	v_add_f64 v[72:73], v[30:31], v[72:73]
.LBB80_58:
	s_or_b64 exec, exec, s[66:67]
	v_lshrrev_b32_e32 v1, 2, v0
	v_and_b32_e32 v1, 56, v1
	v_add_u32_e32 v1, v34, v1
	v_cmp_gt_u32_e64 s[62:63], 64, v0
	ds_write_b64 v1, v[72:73]
	s_waitcnt lgkmcnt(0)
	s_barrier
	s_and_saveexec_b64 s[68:69], s[62:63]
	s_cbranch_execz .LBB80_98
; %bb.59:
	v_lshlrev_b32_e32 v1, 2, v0
	v_lshrrev_b32_e32 v30, 3, v0
	v_add_lshl_u32 v1, v30, v1, 3
	ds_read2_b64 v[30:33], v1 offset1:1
	s_waitcnt lgkmcnt(0)
	v_max_f64 v[76:77], v[32:33], v[32:33]
	v_max_f64 v[74:75], v[30:31], v[30:31]
	v_min_f64 v[78:79], v[74:75], v[76:77]
	v_cmp_u_f64_e64 s[62:63], v[30:31], v[30:31]
	v_cmp_u_f64_e64 s[64:65], v[32:33], v[32:33]
	v_max_f64 v[76:77], v[74:75], v[76:77]
	v_cndmask_b32_e64 v35, v78, v30, s[62:63]
	v_cndmask_b32_e64 v78, v79, v31, s[62:63]
	;; [unrolled: 1-line block ×8, first 2 shown]
	v_cmp_neq_f64_e64 s[64:65], v[78:79], v[76:77]
	v_cmp_class_f64_e64 s[66:67], v[78:79], s33
	s_or_b64 s[64:65], s[64:65], s[66:67]
	v_mov_b64_e32 v[32:33], v[30:31]
	s_and_saveexec_b64 s[70:71], s[64:65]
	s_cbranch_execz .LBB80_61
; %bb.60:
	s_mov_b32 s64, 0x652b82fe
	v_add_f64 v[32:33], v[78:79], -v[76:77]
	s_mov_b32 s65, 0x3ff71547
	v_mul_f64 v[78:79], v[32:33], s[64:65]
	v_rndne_f64_e32 v[78:79], v[78:79]
	s_mov_b32 s73, 0xbfe62e42
	s_mov_b32 s72, 0xfefa39ef
	v_fma_f64 v[80:81], s[72:73], v[78:79], v[32:33]
	s_mov_b32 s75, 0xbc7abc9e
	s_mov_b32 s74, 0x3b39803f
	;; [unrolled: 1-line block ×3, first 2 shown]
	v_fmac_f64_e32 v[80:81], s[74:75], v[78:79]
	v_mov_b32_e32 v82, 0xfca7ab0c
	v_mov_b32_e32 v83, 0x3e928af3
	s_mov_b32 s65, 0x3e5ade15
	v_fmac_f64_e32 v[82:83], s[64:65], v[80:81]
	v_mov_b32_e32 v84, 0x623fde64
	v_mov_b32_e32 v85, 0x3ec71dee
	v_fmac_f64_e32 v[84:85], v[80:81], v[82:83]
	v_mov_b32_e32 v82, 0x7c89e6b0
	v_mov_b32_e32 v83, 0x3efa0199
	;; [unrolled: 3-line block ×8, first 2 shown]
	v_fmac_f64_e32 v[82:83], v[80:81], v[84:85]
	v_fma_f64 v[82:83], v[80:81], v[82:83], 1.0
	s_mov_b32 s64, 0
	s_mov_b32 s66, 0
	v_fma_f64 v[80:81], v[80:81], v[82:83], 1.0
	v_cvt_i32_f64_e32 v35, v[78:79]
	s_mov_b32 s65, 0x40900000
	s_mov_b32 s67, 0xc090cc00
	v_ldexp_f64 v[78:79], v[80:81], v35
	v_mov_b32_e32 v35, 0x7ff00000
	v_cmp_nlt_f64_e64 s[64:65], s[64:65], v[32:33]
	v_cmp_ngt_f64_e64 s[66:67], s[66:67], v[32:33]
	s_mov_b32 s73, 0x3fe62e42
	v_cndmask_b32_e64 v35, v35, v79, s[64:65]
	s_and_b64 s[64:65], s[66:67], s[64:65]
	v_cndmask_b32_e64 v33, 0, v35, s[66:67]
	v_cndmask_b32_e64 v32, 0, v78, s[64:65]
	v_add_f64 v[78:79], v[32:33], 1.0
	v_add_f64 v[80:81], v[78:79], -1.0
	v_add_f64 v[82:83], v[80:81], -v[78:79]
	v_add_f64 v[82:83], v[82:83], 1.0
	v_add_f64 v[80:81], v[32:33], -v[80:81]
	s_mov_b32 s64, 0x55555555
	v_add_f64 v[80:81], v[80:81], v[82:83]
	v_frexp_mant_f64_e32 v[82:83], v[78:79]
	s_mov_b32 s65, 0x3fe55555
	v_frexp_exp_i32_f64_e32 v35, v[78:79]
	v_cmp_gt_f64_e64 s[64:65], s[64:65], v[82:83]
	s_mov_b32 s75, 0x3c7abc9e
	s_nop 0
	v_subbrev_co_u32_e64 v35, s[64:65], 0, v35, s[64:65]
	v_sub_u32_e32 v82, 0, v35
	v_ldexp_f64 v[78:79], v[78:79], v82
	v_ldexp_f64 v[80:81], v[80:81], v82
	v_add_f64 v[82:83], v[78:79], -1.0
	v_add_f64 v[88:89], v[78:79], 1.0
	v_add_f64 v[84:85], v[82:83], 1.0
	v_add_f64 v[90:91], v[88:89], -1.0
	v_add_f64 v[84:85], v[78:79], -v[84:85]
	v_add_f64 v[78:79], v[78:79], -v[90:91]
	v_add_f64 v[78:79], v[80:81], v[78:79]
	v_add_f64 v[84:85], v[80:81], v[84:85]
	;; [unrolled: 1-line block ×3, first 2 shown]
	v_rcp_f64_e32 v[90:91], v[80:81]
	v_add_f64 v[86:87], v[82:83], v[84:85]
	v_add_f64 v[82:83], v[86:87], -v[82:83]
	v_add_f64 v[82:83], v[84:85], -v[82:83]
	v_add_f64 v[84:85], v[80:81], -v[88:89]
	v_add_f64 v[78:79], v[78:79], -v[84:85]
	v_fma_f64 v[84:85], -v[80:81], v[90:91], 1.0
	v_fmac_f64_e32 v[90:91], v[84:85], v[90:91]
	v_fma_f64 v[84:85], -v[80:81], v[90:91], 1.0
	v_fmac_f64_e32 v[90:91], v[84:85], v[90:91]
	v_mul_f64 v[84:85], v[86:87], v[90:91]
	v_mul_f64 v[88:89], v[80:81], v[84:85]
	v_fma_f64 v[92:93], v[84:85], v[80:81], -v[88:89]
	v_fmac_f64_e32 v[92:93], v[84:85], v[78:79]
	v_add_f64 v[94:95], v[88:89], v[92:93]
	v_add_f64 v[96:97], v[86:87], -v[94:95]
	v_add_f64 v[86:87], v[86:87], -v[96:97]
	;; [unrolled: 1-line block ×4, first 2 shown]
	v_add_f64 v[82:83], v[82:83], v[86:87]
	v_add_f64 v[86:87], v[88:89], -v[92:93]
	v_add_f64 v[82:83], v[86:87], v[82:83]
	v_add_f64 v[86:87], v[96:97], v[82:83]
	v_add_f64 v[88:89], v[96:97], -v[86:87]
	v_add_f64 v[82:83], v[82:83], v[88:89]
	v_mul_f64 v[88:89], v[90:91], v[86:87]
	v_mul_f64 v[92:93], v[80:81], v[88:89]
	v_fma_f64 v[80:81], v[88:89], v[80:81], -v[92:93]
	v_fmac_f64_e32 v[80:81], v[88:89], v[78:79]
	v_add_f64 v[78:79], v[92:93], v[80:81]
	v_add_f64 v[94:95], v[86:87], -v[78:79]
	v_add_f64 v[86:87], v[86:87], -v[94:95]
	;; [unrolled: 1-line block ×4, first 2 shown]
	v_add_f64 v[78:79], v[82:83], v[78:79]
	v_add_f64 v[80:81], v[92:93], -v[80:81]
	v_add_f64 v[78:79], v[80:81], v[78:79]
	v_add_f64 v[80:81], v[84:85], v[88:89]
	;; [unrolled: 1-line block ×3, first 2 shown]
	v_add_f64 v[82:83], v[80:81], -v[84:85]
	v_mul_f64 v[78:79], v[90:91], v[78:79]
	v_add_f64 v[82:83], v[88:89], -v[82:83]
	v_add_f64 v[78:79], v[82:83], v[78:79]
	v_add_f64 v[82:83], v[80:81], v[78:79]
	v_add_f64 v[80:81], v[82:83], -v[80:81]
	s_mov_b32 s64, 0xbf559e2b
	v_add_f64 v[78:79], v[78:79], -v[80:81]
	v_mul_f64 v[80:81], v[82:83], v[82:83]
	v_mov_b32_e32 v84, 0x6b47b09a
	v_mov_b32_e32 v85, 0x3fc38538
	s_mov_b32 s65, 0x3fc3ab76
	v_fmac_f64_e32 v[84:85], s[64:65], v[80:81]
	v_mov_b32_e32 v86, 0xd7f4df2e
	v_mov_b32_e32 v87, 0x3fc7474d
	v_fmac_f64_e32 v[86:87], v[80:81], v[84:85]
	v_mov_b32_e32 v84, 0x16291751
	v_mov_b32_e32 v85, 0x3fcc71c0
	;; [unrolled: 3-line block ×5, first 2 shown]
	v_fmac_f64_e32 v[86:87], v[80:81], v[84:85]
	v_cvt_f64_i32_e32 v[84:85], v35
	v_mul_f64 v[88:89], v[84:85], s[72:73]
	v_fma_f64 v[90:91], v[84:85], s[72:73], -v[88:89]
	v_fmac_f64_e32 v[90:91], s[74:75], v[84:85]
	v_add_f64 v[84:85], v[88:89], v[90:91]
	v_add_f64 v[88:89], v[84:85], -v[88:89]
	v_mul_f64 v[80:81], v[82:83], v[80:81]
	v_add_f64 v[88:89], v[90:91], -v[88:89]
	v_ldexp_f64 v[90:91], v[82:83], 1
	v_mul_f64 v[80:81], v[80:81], v[86:87]
	v_add_f64 v[82:83], v[90:91], v[80:81]
	v_add_f64 v[86:87], v[82:83], -v[90:91]
	v_ldexp_f64 v[78:79], v[78:79], 1
	v_add_f64 v[80:81], v[80:81], -v[86:87]
	v_add_f64 v[78:79], v[78:79], v[80:81]
	v_add_f64 v[80:81], v[82:83], v[78:79]
	v_add_f64 v[82:83], v[80:81], -v[82:83]
	v_add_f64 v[78:79], v[78:79], -v[82:83]
	v_add_f64 v[82:83], v[84:85], v[80:81]
	v_add_f64 v[86:87], v[82:83], -v[84:85]
	v_add_f64 v[90:91], v[82:83], -v[86:87]
	;; [unrolled: 1-line block ×4, first 2 shown]
	v_add_f64 v[80:81], v[80:81], v[84:85]
	v_add_f64 v[84:85], v[88:89], v[78:79]
	v_add_f64 v[86:87], v[84:85], -v[88:89]
	v_add_f64 v[80:81], v[84:85], v[80:81]
	v_add_f64 v[90:91], v[84:85], -v[86:87]
	;; [unrolled: 2-line block ×3, first 2 shown]
	v_add_f64 v[78:79], v[78:79], -v[86:87]
	v_add_f64 v[82:83], v[84:85], -v[82:83]
	v_add_f64 v[78:79], v[78:79], v[88:89]
	v_add_f64 v[80:81], v[80:81], -v[82:83]
	s_mov_b32 s64, 0
	v_add_f64 v[78:79], v[78:79], v[80:81]
	s_mov_b32 s65, 0x7ff00000
	v_add_f64 v[78:79], v[84:85], v[78:79]
	v_cmp_eq_f64_e64 s[64:65], s[64:65], v[32:33]
	s_nop 1
	v_cndmask_b32_e64 v35, v78, v32, s[64:65]
	v_cndmask_b32_e64 v78, v79, v33, s[64:65]
	v_mov_b32_e32 v79, 0x7ff80000
	v_cmp_ngt_f64_e64 s[64:65], -1.0, v[32:33]
	s_nop 1
	v_cndmask_b32_e64 v79, v79, v78, s[64:65]
	v_cmp_nge_f64_e64 s[64:65], -1.0, v[32:33]
	s_nop 1
	v_cndmask_b32_e64 v78, 0, v35, s[64:65]
	v_mov_b32_e32 v35, 0xfff00000
	v_cmp_neq_f64_e64 s[64:65], -1.0, v[32:33]
	s_nop 1
	v_cndmask_b32_e64 v79, v35, v79, s[64:65]
	v_add_f64 v[32:33], v[76:77], v[78:79]
.LBB80_61:
	s_or_b64 exec, exec, s[70:71]
	ds_read_b64 v[76:77], v1 offset:16
	v_max_f64 v[80:81], v[32:33], v[32:33]
	v_cmp_u_f64_e64 s[64:65], v[32:33], v[32:33]
	s_waitcnt lgkmcnt(0)
	v_max_f64 v[82:83], v[76:77], v[76:77]
	v_min_f64 v[78:79], v[80:81], v[82:83]
	v_cndmask_b32_e64 v35, v78, v32, s[64:65]
	v_cndmask_b32_e64 v78, v79, v33, s[64:65]
	v_cmp_u_f64_e64 s[66:67], v[76:77], v[76:77]
	v_max_f64 v[80:81], v[80:81], v[82:83]
	s_nop 0
	v_cndmask_b32_e64 v79, v78, v77, s[66:67]
	v_cndmask_b32_e64 v78, v35, v76, s[66:67]
	;; [unrolled: 1-line block ×6, first 2 shown]
	v_cmp_neq_f64_e64 s[64:65], v[78:79], v[76:77]
	v_cmp_class_f64_e64 s[66:67], v[78:79], s33
	s_or_b64 s[64:65], s[64:65], s[66:67]
	s_and_saveexec_b64 s[70:71], s[64:65]
	s_cbranch_execz .LBB80_63
; %bb.62:
	s_mov_b32 s64, 0x652b82fe
	v_add_f64 v[32:33], v[78:79], -v[76:77]
	s_mov_b32 s65, 0x3ff71547
	v_mul_f64 v[78:79], v[32:33], s[64:65]
	v_rndne_f64_e32 v[78:79], v[78:79]
	s_mov_b32 s73, 0xbfe62e42
	s_mov_b32 s72, 0xfefa39ef
	v_fma_f64 v[80:81], s[72:73], v[78:79], v[32:33]
	s_mov_b32 s75, 0xbc7abc9e
	s_mov_b32 s74, 0x3b39803f
	;; [unrolled: 1-line block ×3, first 2 shown]
	v_fmac_f64_e32 v[80:81], s[74:75], v[78:79]
	v_mov_b32_e32 v82, 0xfca7ab0c
	v_mov_b32_e32 v83, 0x3e928af3
	s_mov_b32 s65, 0x3e5ade15
	v_fmac_f64_e32 v[82:83], s[64:65], v[80:81]
	v_mov_b32_e32 v84, 0x623fde64
	v_mov_b32_e32 v85, 0x3ec71dee
	v_fmac_f64_e32 v[84:85], v[80:81], v[82:83]
	v_mov_b32_e32 v82, 0x7c89e6b0
	v_mov_b32_e32 v83, 0x3efa0199
	;; [unrolled: 3-line block ×8, first 2 shown]
	v_fmac_f64_e32 v[82:83], v[80:81], v[84:85]
	v_fma_f64 v[82:83], v[80:81], v[82:83], 1.0
	s_mov_b32 s64, 0
	s_mov_b32 s66, 0
	v_fma_f64 v[80:81], v[80:81], v[82:83], 1.0
	v_cvt_i32_f64_e32 v35, v[78:79]
	s_mov_b32 s65, 0x40900000
	s_mov_b32 s67, 0xc090cc00
	v_ldexp_f64 v[78:79], v[80:81], v35
	v_mov_b32_e32 v35, 0x7ff00000
	v_cmp_nlt_f64_e64 s[64:65], s[64:65], v[32:33]
	v_cmp_ngt_f64_e64 s[66:67], s[66:67], v[32:33]
	s_mov_b32 s73, 0x3fe62e42
	v_cndmask_b32_e64 v35, v35, v79, s[64:65]
	s_and_b64 s[64:65], s[66:67], s[64:65]
	v_cndmask_b32_e64 v33, 0, v35, s[66:67]
	v_cndmask_b32_e64 v32, 0, v78, s[64:65]
	v_add_f64 v[78:79], v[32:33], 1.0
	v_add_f64 v[80:81], v[78:79], -1.0
	v_add_f64 v[82:83], v[80:81], -v[78:79]
	v_add_f64 v[82:83], v[82:83], 1.0
	v_add_f64 v[80:81], v[32:33], -v[80:81]
	s_mov_b32 s64, 0x55555555
	v_add_f64 v[80:81], v[80:81], v[82:83]
	v_frexp_mant_f64_e32 v[82:83], v[78:79]
	s_mov_b32 s65, 0x3fe55555
	v_frexp_exp_i32_f64_e32 v35, v[78:79]
	v_cmp_gt_f64_e64 s[64:65], s[64:65], v[82:83]
	s_mov_b32 s75, 0x3c7abc9e
	s_nop 0
	v_subbrev_co_u32_e64 v35, s[64:65], 0, v35, s[64:65]
	v_sub_u32_e32 v82, 0, v35
	v_ldexp_f64 v[78:79], v[78:79], v82
	v_ldexp_f64 v[80:81], v[80:81], v82
	v_add_f64 v[82:83], v[78:79], -1.0
	v_add_f64 v[88:89], v[78:79], 1.0
	v_add_f64 v[84:85], v[82:83], 1.0
	v_add_f64 v[90:91], v[88:89], -1.0
	v_add_f64 v[84:85], v[78:79], -v[84:85]
	v_add_f64 v[78:79], v[78:79], -v[90:91]
	v_add_f64 v[78:79], v[80:81], v[78:79]
	v_add_f64 v[84:85], v[80:81], v[84:85]
	;; [unrolled: 1-line block ×3, first 2 shown]
	v_rcp_f64_e32 v[90:91], v[80:81]
	v_add_f64 v[86:87], v[82:83], v[84:85]
	v_add_f64 v[82:83], v[86:87], -v[82:83]
	v_add_f64 v[82:83], v[84:85], -v[82:83]
	v_add_f64 v[84:85], v[80:81], -v[88:89]
	v_add_f64 v[78:79], v[78:79], -v[84:85]
	v_fma_f64 v[84:85], -v[80:81], v[90:91], 1.0
	v_fmac_f64_e32 v[90:91], v[84:85], v[90:91]
	v_fma_f64 v[84:85], -v[80:81], v[90:91], 1.0
	v_fmac_f64_e32 v[90:91], v[84:85], v[90:91]
	v_mul_f64 v[84:85], v[86:87], v[90:91]
	v_mul_f64 v[88:89], v[80:81], v[84:85]
	v_fma_f64 v[92:93], v[84:85], v[80:81], -v[88:89]
	v_fmac_f64_e32 v[92:93], v[84:85], v[78:79]
	v_add_f64 v[94:95], v[88:89], v[92:93]
	v_add_f64 v[96:97], v[86:87], -v[94:95]
	v_add_f64 v[86:87], v[86:87], -v[96:97]
	;; [unrolled: 1-line block ×4, first 2 shown]
	v_add_f64 v[82:83], v[82:83], v[86:87]
	v_add_f64 v[86:87], v[88:89], -v[92:93]
	v_add_f64 v[82:83], v[86:87], v[82:83]
	v_add_f64 v[86:87], v[96:97], v[82:83]
	v_add_f64 v[88:89], v[96:97], -v[86:87]
	v_add_f64 v[82:83], v[82:83], v[88:89]
	v_mul_f64 v[88:89], v[90:91], v[86:87]
	v_mul_f64 v[92:93], v[80:81], v[88:89]
	v_fma_f64 v[80:81], v[88:89], v[80:81], -v[92:93]
	v_fmac_f64_e32 v[80:81], v[88:89], v[78:79]
	v_add_f64 v[78:79], v[92:93], v[80:81]
	v_add_f64 v[94:95], v[86:87], -v[78:79]
	v_add_f64 v[86:87], v[86:87], -v[94:95]
	;; [unrolled: 1-line block ×4, first 2 shown]
	v_add_f64 v[78:79], v[82:83], v[78:79]
	v_add_f64 v[80:81], v[92:93], -v[80:81]
	v_add_f64 v[78:79], v[80:81], v[78:79]
	v_add_f64 v[80:81], v[84:85], v[88:89]
	;; [unrolled: 1-line block ×3, first 2 shown]
	v_add_f64 v[82:83], v[80:81], -v[84:85]
	v_mul_f64 v[78:79], v[90:91], v[78:79]
	v_add_f64 v[82:83], v[88:89], -v[82:83]
	v_add_f64 v[78:79], v[82:83], v[78:79]
	v_add_f64 v[82:83], v[80:81], v[78:79]
	v_add_f64 v[80:81], v[82:83], -v[80:81]
	s_mov_b32 s64, 0xbf559e2b
	v_add_f64 v[78:79], v[78:79], -v[80:81]
	v_mul_f64 v[80:81], v[82:83], v[82:83]
	v_mov_b32_e32 v84, 0x6b47b09a
	v_mov_b32_e32 v85, 0x3fc38538
	s_mov_b32 s65, 0x3fc3ab76
	v_fmac_f64_e32 v[84:85], s[64:65], v[80:81]
	v_mov_b32_e32 v86, 0xd7f4df2e
	v_mov_b32_e32 v87, 0x3fc7474d
	v_fmac_f64_e32 v[86:87], v[80:81], v[84:85]
	v_mov_b32_e32 v84, 0x16291751
	v_mov_b32_e32 v85, 0x3fcc71c0
	;; [unrolled: 3-line block ×5, first 2 shown]
	v_fmac_f64_e32 v[86:87], v[80:81], v[84:85]
	v_cvt_f64_i32_e32 v[84:85], v35
	v_mul_f64 v[88:89], v[84:85], s[72:73]
	v_fma_f64 v[90:91], v[84:85], s[72:73], -v[88:89]
	v_fmac_f64_e32 v[90:91], s[74:75], v[84:85]
	v_add_f64 v[84:85], v[88:89], v[90:91]
	v_add_f64 v[88:89], v[84:85], -v[88:89]
	v_mul_f64 v[80:81], v[82:83], v[80:81]
	v_add_f64 v[88:89], v[90:91], -v[88:89]
	v_ldexp_f64 v[90:91], v[82:83], 1
	v_mul_f64 v[80:81], v[80:81], v[86:87]
	v_add_f64 v[82:83], v[90:91], v[80:81]
	v_add_f64 v[86:87], v[82:83], -v[90:91]
	v_ldexp_f64 v[78:79], v[78:79], 1
	v_add_f64 v[80:81], v[80:81], -v[86:87]
	v_add_f64 v[78:79], v[78:79], v[80:81]
	v_add_f64 v[80:81], v[82:83], v[78:79]
	v_add_f64 v[82:83], v[80:81], -v[82:83]
	v_add_f64 v[78:79], v[78:79], -v[82:83]
	v_add_f64 v[82:83], v[84:85], v[80:81]
	v_add_f64 v[86:87], v[82:83], -v[84:85]
	v_add_f64 v[90:91], v[82:83], -v[86:87]
	v_add_f64 v[84:85], v[84:85], -v[90:91]
	v_add_f64 v[80:81], v[80:81], -v[86:87]
	v_add_f64 v[80:81], v[80:81], v[84:85]
	v_add_f64 v[84:85], v[88:89], v[78:79]
	v_add_f64 v[86:87], v[84:85], -v[88:89]
	v_add_f64 v[80:81], v[84:85], v[80:81]
	v_add_f64 v[90:91], v[84:85], -v[86:87]
	;; [unrolled: 2-line block ×3, first 2 shown]
	v_add_f64 v[78:79], v[78:79], -v[86:87]
	v_add_f64 v[82:83], v[84:85], -v[82:83]
	v_add_f64 v[78:79], v[78:79], v[88:89]
	v_add_f64 v[80:81], v[80:81], -v[82:83]
	s_mov_b32 s64, 0
	v_add_f64 v[78:79], v[78:79], v[80:81]
	s_mov_b32 s65, 0x7ff00000
	v_add_f64 v[78:79], v[84:85], v[78:79]
	v_cmp_eq_f64_e64 s[64:65], s[64:65], v[32:33]
	s_nop 1
	v_cndmask_b32_e64 v35, v78, v32, s[64:65]
	v_cndmask_b32_e64 v78, v79, v33, s[64:65]
	v_mov_b32_e32 v79, 0x7ff80000
	v_cmp_ngt_f64_e64 s[64:65], -1.0, v[32:33]
	s_nop 1
	v_cndmask_b32_e64 v79, v79, v78, s[64:65]
	v_cmp_nge_f64_e64 s[64:65], -1.0, v[32:33]
	s_nop 1
	v_cndmask_b32_e64 v78, 0, v35, s[64:65]
	v_mov_b32_e32 v35, 0xfff00000
	v_cmp_neq_f64_e64 s[64:65], -1.0, v[32:33]
	s_nop 1
	v_cndmask_b32_e64 v79, v35, v79, s[64:65]
	v_add_f64 v[32:33], v[76:77], v[78:79]
.LBB80_63:
	s_or_b64 exec, exec, s[70:71]
	ds_read_b64 v[76:77], v1 offset:24
	v_max_f64 v[80:81], v[32:33], v[32:33]
	v_cmp_u_f64_e64 s[64:65], v[32:33], v[32:33]
	s_waitcnt lgkmcnt(0)
	v_max_f64 v[82:83], v[76:77], v[76:77]
	v_min_f64 v[78:79], v[80:81], v[82:83]
	v_cndmask_b32_e64 v35, v78, v32, s[64:65]
	v_cndmask_b32_e64 v78, v79, v33, s[64:65]
	v_cmp_u_f64_e64 s[66:67], v[76:77], v[76:77]
	v_max_f64 v[80:81], v[80:81], v[82:83]
	s_nop 0
	v_cndmask_b32_e64 v79, v78, v77, s[66:67]
	v_cndmask_b32_e64 v78, v35, v76, s[66:67]
	;; [unrolled: 1-line block ×6, first 2 shown]
	v_cmp_neq_f64_e64 s[64:65], v[78:79], v[76:77]
	v_cmp_class_f64_e64 s[66:67], v[78:79], s33
	s_or_b64 s[64:65], s[64:65], s[66:67]
	s_and_saveexec_b64 s[70:71], s[64:65]
	s_cbranch_execz .LBB80_65
; %bb.64:
	s_mov_b32 s64, 0x652b82fe
	v_add_f64 v[32:33], v[78:79], -v[76:77]
	s_mov_b32 s65, 0x3ff71547
	v_mul_f64 v[78:79], v[32:33], s[64:65]
	v_rndne_f64_e32 v[78:79], v[78:79]
	s_mov_b32 s73, 0xbfe62e42
	s_mov_b32 s72, 0xfefa39ef
	v_fma_f64 v[80:81], s[72:73], v[78:79], v[32:33]
	s_mov_b32 s75, 0xbc7abc9e
	s_mov_b32 s74, 0x3b39803f
	;; [unrolled: 1-line block ×3, first 2 shown]
	v_fmac_f64_e32 v[80:81], s[74:75], v[78:79]
	v_mov_b32_e32 v82, 0xfca7ab0c
	v_mov_b32_e32 v83, 0x3e928af3
	s_mov_b32 s65, 0x3e5ade15
	v_fmac_f64_e32 v[82:83], s[64:65], v[80:81]
	v_mov_b32_e32 v84, 0x623fde64
	v_mov_b32_e32 v85, 0x3ec71dee
	v_fmac_f64_e32 v[84:85], v[80:81], v[82:83]
	v_mov_b32_e32 v82, 0x7c89e6b0
	v_mov_b32_e32 v83, 0x3efa0199
	;; [unrolled: 3-line block ×8, first 2 shown]
	v_fmac_f64_e32 v[82:83], v[80:81], v[84:85]
	v_fma_f64 v[82:83], v[80:81], v[82:83], 1.0
	s_mov_b32 s64, 0
	s_mov_b32 s66, 0
	v_fma_f64 v[80:81], v[80:81], v[82:83], 1.0
	v_cvt_i32_f64_e32 v35, v[78:79]
	s_mov_b32 s65, 0x40900000
	s_mov_b32 s67, 0xc090cc00
	v_ldexp_f64 v[78:79], v[80:81], v35
	v_mov_b32_e32 v35, 0x7ff00000
	v_cmp_nlt_f64_e64 s[64:65], s[64:65], v[32:33]
	v_cmp_ngt_f64_e64 s[66:67], s[66:67], v[32:33]
	s_mov_b32 s73, 0x3fe62e42
	v_cndmask_b32_e64 v35, v35, v79, s[64:65]
	s_and_b64 s[64:65], s[66:67], s[64:65]
	v_cndmask_b32_e64 v33, 0, v35, s[66:67]
	v_cndmask_b32_e64 v32, 0, v78, s[64:65]
	v_add_f64 v[78:79], v[32:33], 1.0
	v_add_f64 v[80:81], v[78:79], -1.0
	v_add_f64 v[82:83], v[80:81], -v[78:79]
	v_add_f64 v[82:83], v[82:83], 1.0
	v_add_f64 v[80:81], v[32:33], -v[80:81]
	s_mov_b32 s64, 0x55555555
	v_add_f64 v[80:81], v[80:81], v[82:83]
	v_frexp_mant_f64_e32 v[82:83], v[78:79]
	s_mov_b32 s65, 0x3fe55555
	v_frexp_exp_i32_f64_e32 v35, v[78:79]
	v_cmp_gt_f64_e64 s[64:65], s[64:65], v[82:83]
	s_mov_b32 s75, 0x3c7abc9e
	s_nop 0
	v_subbrev_co_u32_e64 v35, s[64:65], 0, v35, s[64:65]
	v_sub_u32_e32 v82, 0, v35
	v_ldexp_f64 v[78:79], v[78:79], v82
	v_ldexp_f64 v[80:81], v[80:81], v82
	v_add_f64 v[82:83], v[78:79], -1.0
	v_add_f64 v[88:89], v[78:79], 1.0
	v_add_f64 v[84:85], v[82:83], 1.0
	v_add_f64 v[90:91], v[88:89], -1.0
	v_add_f64 v[84:85], v[78:79], -v[84:85]
	v_add_f64 v[78:79], v[78:79], -v[90:91]
	v_add_f64 v[78:79], v[80:81], v[78:79]
	v_add_f64 v[84:85], v[80:81], v[84:85]
	v_add_f64 v[80:81], v[88:89], v[78:79]
	v_rcp_f64_e32 v[90:91], v[80:81]
	v_add_f64 v[86:87], v[82:83], v[84:85]
	v_add_f64 v[82:83], v[86:87], -v[82:83]
	v_add_f64 v[82:83], v[84:85], -v[82:83]
	;; [unrolled: 1-line block ×4, first 2 shown]
	v_fma_f64 v[84:85], -v[80:81], v[90:91], 1.0
	v_fmac_f64_e32 v[90:91], v[84:85], v[90:91]
	v_fma_f64 v[84:85], -v[80:81], v[90:91], 1.0
	v_fmac_f64_e32 v[90:91], v[84:85], v[90:91]
	v_mul_f64 v[84:85], v[86:87], v[90:91]
	v_mul_f64 v[88:89], v[80:81], v[84:85]
	v_fma_f64 v[92:93], v[84:85], v[80:81], -v[88:89]
	v_fmac_f64_e32 v[92:93], v[84:85], v[78:79]
	v_add_f64 v[94:95], v[88:89], v[92:93]
	v_add_f64 v[96:97], v[86:87], -v[94:95]
	v_add_f64 v[86:87], v[86:87], -v[96:97]
	;; [unrolled: 1-line block ×4, first 2 shown]
	v_add_f64 v[82:83], v[82:83], v[86:87]
	v_add_f64 v[86:87], v[88:89], -v[92:93]
	v_add_f64 v[82:83], v[86:87], v[82:83]
	v_add_f64 v[86:87], v[96:97], v[82:83]
	v_add_f64 v[88:89], v[96:97], -v[86:87]
	v_add_f64 v[82:83], v[82:83], v[88:89]
	v_mul_f64 v[88:89], v[90:91], v[86:87]
	v_mul_f64 v[92:93], v[80:81], v[88:89]
	v_fma_f64 v[80:81], v[88:89], v[80:81], -v[92:93]
	v_fmac_f64_e32 v[80:81], v[88:89], v[78:79]
	v_add_f64 v[78:79], v[92:93], v[80:81]
	v_add_f64 v[94:95], v[86:87], -v[78:79]
	v_add_f64 v[86:87], v[86:87], -v[94:95]
	;; [unrolled: 1-line block ×4, first 2 shown]
	v_add_f64 v[78:79], v[82:83], v[78:79]
	v_add_f64 v[80:81], v[92:93], -v[80:81]
	v_add_f64 v[78:79], v[80:81], v[78:79]
	v_add_f64 v[80:81], v[84:85], v[88:89]
	;; [unrolled: 1-line block ×3, first 2 shown]
	v_add_f64 v[82:83], v[80:81], -v[84:85]
	v_mul_f64 v[78:79], v[90:91], v[78:79]
	v_add_f64 v[82:83], v[88:89], -v[82:83]
	v_add_f64 v[78:79], v[82:83], v[78:79]
	v_add_f64 v[82:83], v[80:81], v[78:79]
	v_add_f64 v[80:81], v[82:83], -v[80:81]
	s_mov_b32 s64, 0xbf559e2b
	v_add_f64 v[78:79], v[78:79], -v[80:81]
	v_mul_f64 v[80:81], v[82:83], v[82:83]
	v_mov_b32_e32 v84, 0x6b47b09a
	v_mov_b32_e32 v85, 0x3fc38538
	s_mov_b32 s65, 0x3fc3ab76
	v_fmac_f64_e32 v[84:85], s[64:65], v[80:81]
	v_mov_b32_e32 v86, 0xd7f4df2e
	v_mov_b32_e32 v87, 0x3fc7474d
	v_fmac_f64_e32 v[86:87], v[80:81], v[84:85]
	v_mov_b32_e32 v84, 0x16291751
	v_mov_b32_e32 v85, 0x3fcc71c0
	;; [unrolled: 3-line block ×5, first 2 shown]
	v_fmac_f64_e32 v[86:87], v[80:81], v[84:85]
	v_cvt_f64_i32_e32 v[84:85], v35
	v_mul_f64 v[88:89], v[84:85], s[72:73]
	v_fma_f64 v[90:91], v[84:85], s[72:73], -v[88:89]
	v_fmac_f64_e32 v[90:91], s[74:75], v[84:85]
	v_add_f64 v[84:85], v[88:89], v[90:91]
	v_add_f64 v[88:89], v[84:85], -v[88:89]
	v_mul_f64 v[80:81], v[82:83], v[80:81]
	v_add_f64 v[88:89], v[90:91], -v[88:89]
	v_ldexp_f64 v[90:91], v[82:83], 1
	v_mul_f64 v[80:81], v[80:81], v[86:87]
	v_add_f64 v[82:83], v[90:91], v[80:81]
	v_add_f64 v[86:87], v[82:83], -v[90:91]
	v_ldexp_f64 v[78:79], v[78:79], 1
	v_add_f64 v[80:81], v[80:81], -v[86:87]
	v_add_f64 v[78:79], v[78:79], v[80:81]
	v_add_f64 v[80:81], v[82:83], v[78:79]
	v_add_f64 v[82:83], v[80:81], -v[82:83]
	v_add_f64 v[78:79], v[78:79], -v[82:83]
	v_add_f64 v[82:83], v[84:85], v[80:81]
	v_add_f64 v[86:87], v[82:83], -v[84:85]
	v_add_f64 v[90:91], v[82:83], -v[86:87]
	;; [unrolled: 1-line block ×4, first 2 shown]
	v_add_f64 v[80:81], v[80:81], v[84:85]
	v_add_f64 v[84:85], v[88:89], v[78:79]
	v_add_f64 v[86:87], v[84:85], -v[88:89]
	v_add_f64 v[80:81], v[84:85], v[80:81]
	v_add_f64 v[90:91], v[84:85], -v[86:87]
	;; [unrolled: 2-line block ×3, first 2 shown]
	v_add_f64 v[78:79], v[78:79], -v[86:87]
	v_add_f64 v[82:83], v[84:85], -v[82:83]
	v_add_f64 v[78:79], v[78:79], v[88:89]
	v_add_f64 v[80:81], v[80:81], -v[82:83]
	s_mov_b32 s64, 0
	v_add_f64 v[78:79], v[78:79], v[80:81]
	s_mov_b32 s65, 0x7ff00000
	v_add_f64 v[78:79], v[84:85], v[78:79]
	v_cmp_eq_f64_e64 s[64:65], s[64:65], v[32:33]
	s_nop 1
	v_cndmask_b32_e64 v35, v78, v32, s[64:65]
	v_cndmask_b32_e64 v78, v79, v33, s[64:65]
	v_mov_b32_e32 v79, 0x7ff80000
	v_cmp_ngt_f64_e64 s[64:65], -1.0, v[32:33]
	s_nop 1
	v_cndmask_b32_e64 v79, v79, v78, s[64:65]
	v_cmp_nge_f64_e64 s[64:65], -1.0, v[32:33]
	s_nop 1
	v_cndmask_b32_e64 v78, 0, v35, s[64:65]
	v_mov_b32_e32 v35, 0xfff00000
	v_cmp_neq_f64_e64 s[64:65], -1.0, v[32:33]
	s_nop 1
	v_cndmask_b32_e64 v79, v35, v79, s[64:65]
	v_add_f64 v[32:33], v[76:77], v[78:79]
.LBB80_65:
	s_or_b64 exec, exec, s[70:71]
	v_mbcnt_lo_u32_b32 v35, -1, 0
	v_mbcnt_hi_u32_b32 v35, -1, v35
	v_and_b32_e32 v80, 15, v35
	v_mov_b32_dpp v76, v32 row_shr:1 row_mask:0xf bank_mask:0xf
	v_mov_b32_dpp v77, v33 row_shr:1 row_mask:0xf bank_mask:0xf
	v_cmp_ne_u32_e64 s[64:65], 0, v80
	v_mov_b32_e32 v78, v32
	v_mov_b32_e32 v79, v33
	s_and_saveexec_b64 s[66:67], s[64:65]
	s_xor_b64 s[70:71], exec, s[66:67]
	s_cbranch_execz .LBB80_69
; %bb.66:
	v_max_f64 v[82:83], v[76:77], v[76:77]
	v_max_f64 v[84:85], v[32:33], v[32:33]
	v_min_f64 v[78:79], v[82:83], v[84:85]
	v_cmp_u_f64_e64 s[64:65], v[76:77], v[76:77]
	v_max_f64 v[82:83], v[82:83], v[84:85]
	v_cmp_u_f64_e64 s[66:67], v[32:33], v[32:33]
	v_cndmask_b32_e64 v78, v78, v76, s[64:65]
	v_cndmask_b32_e64 v79, v79, v77, s[64:65]
	;; [unrolled: 1-line block ×8, first 2 shown]
	v_cmp_neq_f64_e64 s[64:65], v[78:79], v[32:33]
	v_cmp_class_f64_e64 s[66:67], v[78:79], s33
	s_or_b64 s[64:65], s[64:65], s[66:67]
	s_and_saveexec_b64 s[72:73], s[64:65]
	s_cbranch_execz .LBB80_68
; %bb.67:
	s_mov_b32 s64, 0x652b82fe
	v_add_f64 v[76:77], v[78:79], -v[32:33]
	s_mov_b32 s65, 0x3ff71547
	v_mul_f64 v[78:79], v[76:77], s[64:65]
	v_rndne_f64_e32 v[78:79], v[78:79]
	s_mov_b32 s75, 0xbfe62e42
	s_mov_b32 s74, 0xfefa39ef
	v_fma_f64 v[82:83], s[74:75], v[78:79], v[76:77]
	s_mov_b32 s77, 0xbc7abc9e
	s_mov_b32 s76, 0x3b39803f
	;; [unrolled: 1-line block ×3, first 2 shown]
	v_fmac_f64_e32 v[82:83], s[76:77], v[78:79]
	v_mov_b32_e32 v84, 0xfca7ab0c
	v_mov_b32_e32 v85, 0x3e928af3
	s_mov_b32 s65, 0x3e5ade15
	v_fmac_f64_e32 v[84:85], s[64:65], v[82:83]
	v_mov_b32_e32 v86, 0x623fde64
	v_mov_b32_e32 v87, 0x3ec71dee
	v_fmac_f64_e32 v[86:87], v[82:83], v[84:85]
	v_mov_b32_e32 v84, 0x7c89e6b0
	v_mov_b32_e32 v85, 0x3efa0199
	;; [unrolled: 3-line block ×8, first 2 shown]
	v_fmac_f64_e32 v[84:85], v[82:83], v[86:87]
	v_fma_f64 v[84:85], v[82:83], v[84:85], 1.0
	s_mov_b32 s64, 0
	s_mov_b32 s66, 0
	v_fma_f64 v[82:83], v[82:83], v[84:85], 1.0
	v_cvt_i32_f64_e32 v78, v[78:79]
	s_mov_b32 s65, 0x40900000
	s_mov_b32 s67, 0xc090cc00
	v_ldexp_f64 v[78:79], v[82:83], v78
	v_mov_b32_e32 v81, 0x7ff00000
	v_cmp_nlt_f64_e64 s[64:65], s[64:65], v[76:77]
	v_cmp_ngt_f64_e64 s[66:67], s[66:67], v[76:77]
	s_mov_b32 s75, 0x3fe62e42
	v_cndmask_b32_e64 v79, v81, v79, s[64:65]
	s_and_b64 s[64:65], s[66:67], s[64:65]
	v_cndmask_b32_e64 v77, 0, v79, s[66:67]
	v_cndmask_b32_e64 v76, 0, v78, s[64:65]
	v_add_f64 v[78:79], v[76:77], 1.0
	v_add_f64 v[82:83], v[78:79], -1.0
	v_add_f64 v[84:85], v[82:83], -v[78:79]
	v_add_f64 v[84:85], v[84:85], 1.0
	v_add_f64 v[82:83], v[76:77], -v[82:83]
	s_mov_b32 s64, 0x55555555
	v_add_f64 v[82:83], v[82:83], v[84:85]
	v_frexp_mant_f64_e32 v[84:85], v[78:79]
	s_mov_b32 s65, 0x3fe55555
	v_frexp_exp_i32_f64_e32 v81, v[78:79]
	v_cmp_gt_f64_e64 s[64:65], s[64:65], v[84:85]
	s_mov_b32 s77, 0x3c7abc9e
	s_nop 0
	v_subbrev_co_u32_e64 v81, s[64:65], 0, v81, s[64:65]
	v_sub_u32_e32 v84, 0, v81
	v_ldexp_f64 v[78:79], v[78:79], v84
	v_ldexp_f64 v[82:83], v[82:83], v84
	v_add_f64 v[84:85], v[78:79], -1.0
	v_add_f64 v[90:91], v[78:79], 1.0
	v_add_f64 v[86:87], v[84:85], 1.0
	v_add_f64 v[92:93], v[90:91], -1.0
	v_add_f64 v[86:87], v[78:79], -v[86:87]
	v_add_f64 v[78:79], v[78:79], -v[92:93]
	v_add_f64 v[78:79], v[82:83], v[78:79]
	v_add_f64 v[86:87], v[82:83], v[86:87]
	;; [unrolled: 1-line block ×3, first 2 shown]
	v_rcp_f64_e32 v[92:93], v[82:83]
	v_add_f64 v[88:89], v[84:85], v[86:87]
	v_add_f64 v[84:85], v[88:89], -v[84:85]
	v_add_f64 v[84:85], v[86:87], -v[84:85]
	;; [unrolled: 1-line block ×4, first 2 shown]
	v_fma_f64 v[86:87], -v[82:83], v[92:93], 1.0
	v_fmac_f64_e32 v[92:93], v[86:87], v[92:93]
	v_fma_f64 v[86:87], -v[82:83], v[92:93], 1.0
	v_fmac_f64_e32 v[92:93], v[86:87], v[92:93]
	v_mul_f64 v[86:87], v[88:89], v[92:93]
	v_mul_f64 v[90:91], v[82:83], v[86:87]
	v_fma_f64 v[94:95], v[86:87], v[82:83], -v[90:91]
	v_fmac_f64_e32 v[94:95], v[86:87], v[78:79]
	v_add_f64 v[96:97], v[90:91], v[94:95]
	v_add_f64 v[98:99], v[88:89], -v[96:97]
	v_add_f64 v[88:89], v[88:89], -v[98:99]
	;; [unrolled: 1-line block ×4, first 2 shown]
	v_add_f64 v[84:85], v[84:85], v[88:89]
	v_add_f64 v[88:89], v[90:91], -v[94:95]
	v_add_f64 v[84:85], v[88:89], v[84:85]
	v_add_f64 v[88:89], v[98:99], v[84:85]
	v_add_f64 v[90:91], v[98:99], -v[88:89]
	v_add_f64 v[84:85], v[84:85], v[90:91]
	v_mul_f64 v[90:91], v[92:93], v[88:89]
	v_mul_f64 v[94:95], v[82:83], v[90:91]
	v_fma_f64 v[82:83], v[90:91], v[82:83], -v[94:95]
	v_fmac_f64_e32 v[82:83], v[90:91], v[78:79]
	v_add_f64 v[78:79], v[94:95], v[82:83]
	v_add_f64 v[96:97], v[88:89], -v[78:79]
	v_add_f64 v[88:89], v[88:89], -v[96:97]
	;; [unrolled: 1-line block ×4, first 2 shown]
	v_add_f64 v[78:79], v[84:85], v[78:79]
	v_add_f64 v[82:83], v[94:95], -v[82:83]
	v_add_f64 v[78:79], v[82:83], v[78:79]
	v_add_f64 v[82:83], v[86:87], v[90:91]
	;; [unrolled: 1-line block ×3, first 2 shown]
	v_add_f64 v[84:85], v[82:83], -v[86:87]
	v_mul_f64 v[78:79], v[92:93], v[78:79]
	v_add_f64 v[84:85], v[90:91], -v[84:85]
	v_add_f64 v[78:79], v[84:85], v[78:79]
	v_add_f64 v[84:85], v[82:83], v[78:79]
	v_add_f64 v[82:83], v[84:85], -v[82:83]
	s_mov_b32 s64, 0xbf559e2b
	v_add_f64 v[78:79], v[78:79], -v[82:83]
	v_mul_f64 v[82:83], v[84:85], v[84:85]
	v_mov_b32_e32 v86, 0x6b47b09a
	v_mov_b32_e32 v87, 0x3fc38538
	s_mov_b32 s65, 0x3fc3ab76
	v_fmac_f64_e32 v[86:87], s[64:65], v[82:83]
	v_mov_b32_e32 v88, 0xd7f4df2e
	v_mov_b32_e32 v89, 0x3fc7474d
	v_fmac_f64_e32 v[88:89], v[82:83], v[86:87]
	v_mov_b32_e32 v86, 0x16291751
	v_mov_b32_e32 v87, 0x3fcc71c0
	;; [unrolled: 3-line block ×5, first 2 shown]
	v_fmac_f64_e32 v[88:89], v[82:83], v[86:87]
	v_cvt_f64_i32_e32 v[86:87], v81
	v_mul_f64 v[90:91], v[86:87], s[74:75]
	v_fma_f64 v[92:93], v[86:87], s[74:75], -v[90:91]
	v_fmac_f64_e32 v[92:93], s[76:77], v[86:87]
	v_add_f64 v[86:87], v[90:91], v[92:93]
	v_add_f64 v[90:91], v[86:87], -v[90:91]
	v_mul_f64 v[82:83], v[84:85], v[82:83]
	v_add_f64 v[90:91], v[92:93], -v[90:91]
	v_ldexp_f64 v[92:93], v[84:85], 1
	v_mul_f64 v[82:83], v[82:83], v[88:89]
	v_add_f64 v[84:85], v[92:93], v[82:83]
	v_add_f64 v[88:89], v[84:85], -v[92:93]
	v_ldexp_f64 v[78:79], v[78:79], 1
	v_add_f64 v[82:83], v[82:83], -v[88:89]
	v_add_f64 v[78:79], v[78:79], v[82:83]
	v_add_f64 v[82:83], v[84:85], v[78:79]
	v_add_f64 v[84:85], v[82:83], -v[84:85]
	v_add_f64 v[78:79], v[78:79], -v[84:85]
	v_add_f64 v[84:85], v[86:87], v[82:83]
	v_add_f64 v[88:89], v[84:85], -v[86:87]
	v_add_f64 v[92:93], v[84:85], -v[88:89]
	;; [unrolled: 1-line block ×4, first 2 shown]
	v_add_f64 v[82:83], v[82:83], v[86:87]
	v_add_f64 v[86:87], v[90:91], v[78:79]
	v_add_f64 v[88:89], v[86:87], -v[90:91]
	v_add_f64 v[82:83], v[86:87], v[82:83]
	v_add_f64 v[92:93], v[86:87], -v[88:89]
	;; [unrolled: 2-line block ×3, first 2 shown]
	v_add_f64 v[78:79], v[78:79], -v[88:89]
	v_add_f64 v[84:85], v[86:87], -v[84:85]
	v_add_f64 v[78:79], v[78:79], v[90:91]
	v_add_f64 v[82:83], v[82:83], -v[84:85]
	s_mov_b32 s64, 0
	v_add_f64 v[78:79], v[78:79], v[82:83]
	s_mov_b32 s65, 0x7ff00000
	v_add_f64 v[78:79], v[86:87], v[78:79]
	v_cmp_eq_f64_e64 s[64:65], s[64:65], v[76:77]
	v_mov_b32_e32 v81, 0x7ff80000
	s_nop 0
	v_cndmask_b32_e64 v78, v78, v76, s[64:65]
	v_cndmask_b32_e64 v79, v79, v77, s[64:65]
	v_cmp_ngt_f64_e64 s[64:65], -1.0, v[76:77]
	s_nop 1
	v_cndmask_b32_e64 v79, v81, v79, s[64:65]
	v_cmp_nge_f64_e64 s[64:65], -1.0, v[76:77]
	v_mov_b32_e32 v81, 0xfff00000
	s_nop 0
	v_cndmask_b32_e64 v78, 0, v78, s[64:65]
	v_cmp_neq_f64_e64 s[64:65], -1.0, v[76:77]
	s_nop 1
	v_cndmask_b32_e64 v79, v81, v79, s[64:65]
	v_add_f64 v[76:77], v[32:33], v[78:79]
.LBB80_68:
	s_or_b64 exec, exec, s[72:73]
	v_mov_b32_e32 v78, v76
	v_mov_b32_e32 v79, v77
	v_mov_b64_e32 v[32:33], v[76:77]
.LBB80_69:
	s_or_b64 exec, exec, s[70:71]
	v_mov_b32_dpp v76, v78 row_shr:2 row_mask:0xf bank_mask:0xf
	v_mov_b32_dpp v77, v79 row_shr:2 row_mask:0xf bank_mask:0xf
	v_cmp_lt_u32_e64 s[64:65], 1, v80
	s_and_saveexec_b64 s[70:71], s[64:65]
	s_cbranch_execz .LBB80_73
; %bb.70:
	v_max_f64 v[82:83], v[76:77], v[76:77]
	v_max_f64 v[84:85], v[32:33], v[32:33]
	v_min_f64 v[78:79], v[82:83], v[84:85]
	v_cmp_u_f64_e64 s[64:65], v[76:77], v[76:77]
	v_max_f64 v[82:83], v[82:83], v[84:85]
	v_cmp_u_f64_e64 s[66:67], v[32:33], v[32:33]
	v_cndmask_b32_e64 v78, v78, v76, s[64:65]
	v_cndmask_b32_e64 v79, v79, v77, s[64:65]
	v_cndmask_b32_e64 v81, v82, v76, s[64:65]
	v_cndmask_b32_e64 v82, v83, v77, s[64:65]
	v_cndmask_b32_e64 v79, v79, v33, s[66:67]
	v_cndmask_b32_e64 v78, v78, v32, s[66:67]
	v_cndmask_b32_e64 v33, v82, v33, s[66:67]
	v_cndmask_b32_e64 v32, v81, v32, s[66:67]
	v_cmp_neq_f64_e64 s[64:65], v[78:79], v[32:33]
	v_cmp_class_f64_e64 s[66:67], v[78:79], s33
	s_or_b64 s[64:65], s[64:65], s[66:67]
	s_and_saveexec_b64 s[72:73], s[64:65]
	s_cbranch_execz .LBB80_72
; %bb.71:
	s_mov_b32 s64, 0x652b82fe
	v_add_f64 v[76:77], v[78:79], -v[32:33]
	s_mov_b32 s65, 0x3ff71547
	v_mul_f64 v[78:79], v[76:77], s[64:65]
	v_rndne_f64_e32 v[78:79], v[78:79]
	s_mov_b32 s75, 0xbfe62e42
	s_mov_b32 s74, 0xfefa39ef
	v_fma_f64 v[82:83], s[74:75], v[78:79], v[76:77]
	s_mov_b32 s77, 0xbc7abc9e
	s_mov_b32 s76, 0x3b39803f
	;; [unrolled: 1-line block ×3, first 2 shown]
	v_fmac_f64_e32 v[82:83], s[76:77], v[78:79]
	v_mov_b32_e32 v84, 0xfca7ab0c
	v_mov_b32_e32 v85, 0x3e928af3
	s_mov_b32 s65, 0x3e5ade15
	v_fmac_f64_e32 v[84:85], s[64:65], v[82:83]
	v_mov_b32_e32 v86, 0x623fde64
	v_mov_b32_e32 v87, 0x3ec71dee
	v_fmac_f64_e32 v[86:87], v[82:83], v[84:85]
	v_mov_b32_e32 v84, 0x7c89e6b0
	v_mov_b32_e32 v85, 0x3efa0199
	;; [unrolled: 3-line block ×8, first 2 shown]
	v_fmac_f64_e32 v[84:85], v[82:83], v[86:87]
	v_fma_f64 v[84:85], v[82:83], v[84:85], 1.0
	s_mov_b32 s64, 0
	s_mov_b32 s66, 0
	v_fma_f64 v[82:83], v[82:83], v[84:85], 1.0
	v_cvt_i32_f64_e32 v78, v[78:79]
	s_mov_b32 s65, 0x40900000
	s_mov_b32 s67, 0xc090cc00
	v_ldexp_f64 v[78:79], v[82:83], v78
	v_mov_b32_e32 v81, 0x7ff00000
	v_cmp_nlt_f64_e64 s[64:65], s[64:65], v[76:77]
	v_cmp_ngt_f64_e64 s[66:67], s[66:67], v[76:77]
	s_mov_b32 s75, 0x3fe62e42
	v_cndmask_b32_e64 v79, v81, v79, s[64:65]
	s_and_b64 s[64:65], s[66:67], s[64:65]
	v_cndmask_b32_e64 v77, 0, v79, s[66:67]
	v_cndmask_b32_e64 v76, 0, v78, s[64:65]
	v_add_f64 v[78:79], v[76:77], 1.0
	v_add_f64 v[82:83], v[78:79], -1.0
	v_add_f64 v[84:85], v[82:83], -v[78:79]
	v_add_f64 v[84:85], v[84:85], 1.0
	v_add_f64 v[82:83], v[76:77], -v[82:83]
	s_mov_b32 s64, 0x55555555
	v_add_f64 v[82:83], v[82:83], v[84:85]
	v_frexp_mant_f64_e32 v[84:85], v[78:79]
	s_mov_b32 s65, 0x3fe55555
	v_frexp_exp_i32_f64_e32 v81, v[78:79]
	v_cmp_gt_f64_e64 s[64:65], s[64:65], v[84:85]
	s_mov_b32 s77, 0x3c7abc9e
	s_nop 0
	v_subbrev_co_u32_e64 v81, s[64:65], 0, v81, s[64:65]
	v_sub_u32_e32 v84, 0, v81
	v_ldexp_f64 v[78:79], v[78:79], v84
	v_ldexp_f64 v[82:83], v[82:83], v84
	v_add_f64 v[84:85], v[78:79], -1.0
	v_add_f64 v[90:91], v[78:79], 1.0
	v_add_f64 v[86:87], v[84:85], 1.0
	v_add_f64 v[92:93], v[90:91], -1.0
	v_add_f64 v[86:87], v[78:79], -v[86:87]
	v_add_f64 v[78:79], v[78:79], -v[92:93]
	v_add_f64 v[78:79], v[82:83], v[78:79]
	v_add_f64 v[86:87], v[82:83], v[86:87]
	;; [unrolled: 1-line block ×3, first 2 shown]
	v_rcp_f64_e32 v[92:93], v[82:83]
	v_add_f64 v[88:89], v[84:85], v[86:87]
	v_add_f64 v[84:85], v[88:89], -v[84:85]
	v_add_f64 v[84:85], v[86:87], -v[84:85]
	;; [unrolled: 1-line block ×4, first 2 shown]
	v_fma_f64 v[86:87], -v[82:83], v[92:93], 1.0
	v_fmac_f64_e32 v[92:93], v[86:87], v[92:93]
	v_fma_f64 v[86:87], -v[82:83], v[92:93], 1.0
	v_fmac_f64_e32 v[92:93], v[86:87], v[92:93]
	v_mul_f64 v[86:87], v[88:89], v[92:93]
	v_mul_f64 v[90:91], v[82:83], v[86:87]
	v_fma_f64 v[94:95], v[86:87], v[82:83], -v[90:91]
	v_fmac_f64_e32 v[94:95], v[86:87], v[78:79]
	v_add_f64 v[96:97], v[90:91], v[94:95]
	v_add_f64 v[98:99], v[88:89], -v[96:97]
	v_add_f64 v[88:89], v[88:89], -v[98:99]
	;; [unrolled: 1-line block ×4, first 2 shown]
	v_add_f64 v[84:85], v[84:85], v[88:89]
	v_add_f64 v[88:89], v[90:91], -v[94:95]
	v_add_f64 v[84:85], v[88:89], v[84:85]
	v_add_f64 v[88:89], v[98:99], v[84:85]
	v_add_f64 v[90:91], v[98:99], -v[88:89]
	v_add_f64 v[84:85], v[84:85], v[90:91]
	v_mul_f64 v[90:91], v[92:93], v[88:89]
	v_mul_f64 v[94:95], v[82:83], v[90:91]
	v_fma_f64 v[82:83], v[90:91], v[82:83], -v[94:95]
	v_fmac_f64_e32 v[82:83], v[90:91], v[78:79]
	v_add_f64 v[78:79], v[94:95], v[82:83]
	v_add_f64 v[96:97], v[88:89], -v[78:79]
	v_add_f64 v[88:89], v[88:89], -v[96:97]
	;; [unrolled: 1-line block ×4, first 2 shown]
	v_add_f64 v[78:79], v[84:85], v[78:79]
	v_add_f64 v[82:83], v[94:95], -v[82:83]
	v_add_f64 v[78:79], v[82:83], v[78:79]
	v_add_f64 v[82:83], v[86:87], v[90:91]
	;; [unrolled: 1-line block ×3, first 2 shown]
	v_add_f64 v[84:85], v[82:83], -v[86:87]
	v_mul_f64 v[78:79], v[92:93], v[78:79]
	v_add_f64 v[84:85], v[90:91], -v[84:85]
	v_add_f64 v[78:79], v[84:85], v[78:79]
	v_add_f64 v[84:85], v[82:83], v[78:79]
	v_add_f64 v[82:83], v[84:85], -v[82:83]
	s_mov_b32 s64, 0xbf559e2b
	v_add_f64 v[78:79], v[78:79], -v[82:83]
	v_mul_f64 v[82:83], v[84:85], v[84:85]
	v_mov_b32_e32 v86, 0x6b47b09a
	v_mov_b32_e32 v87, 0x3fc38538
	s_mov_b32 s65, 0x3fc3ab76
	v_fmac_f64_e32 v[86:87], s[64:65], v[82:83]
	v_mov_b32_e32 v88, 0xd7f4df2e
	v_mov_b32_e32 v89, 0x3fc7474d
	v_fmac_f64_e32 v[88:89], v[82:83], v[86:87]
	v_mov_b32_e32 v86, 0x16291751
	v_mov_b32_e32 v87, 0x3fcc71c0
	;; [unrolled: 3-line block ×5, first 2 shown]
	v_fmac_f64_e32 v[88:89], v[82:83], v[86:87]
	v_cvt_f64_i32_e32 v[86:87], v81
	v_mul_f64 v[90:91], v[86:87], s[74:75]
	v_fma_f64 v[92:93], v[86:87], s[74:75], -v[90:91]
	v_fmac_f64_e32 v[92:93], s[76:77], v[86:87]
	v_add_f64 v[86:87], v[90:91], v[92:93]
	v_add_f64 v[90:91], v[86:87], -v[90:91]
	v_mul_f64 v[82:83], v[84:85], v[82:83]
	v_add_f64 v[90:91], v[92:93], -v[90:91]
	v_ldexp_f64 v[92:93], v[84:85], 1
	v_mul_f64 v[82:83], v[82:83], v[88:89]
	v_add_f64 v[84:85], v[92:93], v[82:83]
	v_add_f64 v[88:89], v[84:85], -v[92:93]
	v_ldexp_f64 v[78:79], v[78:79], 1
	v_add_f64 v[82:83], v[82:83], -v[88:89]
	v_add_f64 v[78:79], v[78:79], v[82:83]
	v_add_f64 v[82:83], v[84:85], v[78:79]
	v_add_f64 v[84:85], v[82:83], -v[84:85]
	v_add_f64 v[78:79], v[78:79], -v[84:85]
	v_add_f64 v[84:85], v[86:87], v[82:83]
	v_add_f64 v[88:89], v[84:85], -v[86:87]
	v_add_f64 v[92:93], v[84:85], -v[88:89]
	v_add_f64 v[86:87], v[86:87], -v[92:93]
	v_add_f64 v[82:83], v[82:83], -v[88:89]
	v_add_f64 v[82:83], v[82:83], v[86:87]
	v_add_f64 v[86:87], v[90:91], v[78:79]
	v_add_f64 v[88:89], v[86:87], -v[90:91]
	v_add_f64 v[82:83], v[86:87], v[82:83]
	v_add_f64 v[92:93], v[86:87], -v[88:89]
	;; [unrolled: 2-line block ×3, first 2 shown]
	v_add_f64 v[78:79], v[78:79], -v[88:89]
	v_add_f64 v[84:85], v[86:87], -v[84:85]
	v_add_f64 v[78:79], v[78:79], v[90:91]
	v_add_f64 v[82:83], v[82:83], -v[84:85]
	s_mov_b32 s64, 0
	v_add_f64 v[78:79], v[78:79], v[82:83]
	s_mov_b32 s65, 0x7ff00000
	v_add_f64 v[78:79], v[86:87], v[78:79]
	v_cmp_eq_f64_e64 s[64:65], s[64:65], v[76:77]
	v_mov_b32_e32 v81, 0x7ff80000
	s_nop 0
	v_cndmask_b32_e64 v78, v78, v76, s[64:65]
	v_cndmask_b32_e64 v79, v79, v77, s[64:65]
	v_cmp_ngt_f64_e64 s[64:65], -1.0, v[76:77]
	s_nop 1
	v_cndmask_b32_e64 v79, v81, v79, s[64:65]
	v_cmp_nge_f64_e64 s[64:65], -1.0, v[76:77]
	v_mov_b32_e32 v81, 0xfff00000
	s_nop 0
	v_cndmask_b32_e64 v78, 0, v78, s[64:65]
	v_cmp_neq_f64_e64 s[64:65], -1.0, v[76:77]
	s_nop 1
	v_cndmask_b32_e64 v79, v81, v79, s[64:65]
	v_add_f64 v[76:77], v[32:33], v[78:79]
.LBB80_72:
	s_or_b64 exec, exec, s[72:73]
	v_mov_b64_e32 v[32:33], v[76:77]
	v_mov_b32_e32 v78, v76
	v_mov_b32_e32 v79, v77
.LBB80_73:
	s_or_b64 exec, exec, s[70:71]
	v_mov_b32_dpp v76, v78 row_shr:4 row_mask:0xf bank_mask:0xf
	v_mov_b32_dpp v77, v79 row_shr:4 row_mask:0xf bank_mask:0xf
	v_cmp_lt_u32_e64 s[64:65], 3, v80
	s_and_saveexec_b64 s[70:71], s[64:65]
	s_cbranch_execz .LBB80_77
; %bb.74:
	v_max_f64 v[82:83], v[76:77], v[76:77]
	v_max_f64 v[84:85], v[32:33], v[32:33]
	v_min_f64 v[78:79], v[82:83], v[84:85]
	v_cmp_u_f64_e64 s[64:65], v[76:77], v[76:77]
	v_max_f64 v[82:83], v[82:83], v[84:85]
	v_cmp_u_f64_e64 s[66:67], v[32:33], v[32:33]
	v_cndmask_b32_e64 v78, v78, v76, s[64:65]
	v_cndmask_b32_e64 v79, v79, v77, s[64:65]
	;; [unrolled: 1-line block ×8, first 2 shown]
	v_cmp_neq_f64_e64 s[64:65], v[78:79], v[32:33]
	v_cmp_class_f64_e64 s[66:67], v[78:79], s33
	s_or_b64 s[64:65], s[64:65], s[66:67]
	s_and_saveexec_b64 s[72:73], s[64:65]
	s_cbranch_execz .LBB80_76
; %bb.75:
	s_mov_b32 s64, 0x652b82fe
	v_add_f64 v[76:77], v[78:79], -v[32:33]
	s_mov_b32 s65, 0x3ff71547
	v_mul_f64 v[78:79], v[76:77], s[64:65]
	v_rndne_f64_e32 v[78:79], v[78:79]
	s_mov_b32 s75, 0xbfe62e42
	s_mov_b32 s74, 0xfefa39ef
	v_fma_f64 v[82:83], s[74:75], v[78:79], v[76:77]
	s_mov_b32 s77, 0xbc7abc9e
	s_mov_b32 s76, 0x3b39803f
	;; [unrolled: 1-line block ×3, first 2 shown]
	v_fmac_f64_e32 v[82:83], s[76:77], v[78:79]
	v_mov_b32_e32 v84, 0xfca7ab0c
	v_mov_b32_e32 v85, 0x3e928af3
	s_mov_b32 s65, 0x3e5ade15
	v_fmac_f64_e32 v[84:85], s[64:65], v[82:83]
	v_mov_b32_e32 v86, 0x623fde64
	v_mov_b32_e32 v87, 0x3ec71dee
	v_fmac_f64_e32 v[86:87], v[82:83], v[84:85]
	v_mov_b32_e32 v84, 0x7c89e6b0
	v_mov_b32_e32 v85, 0x3efa0199
	;; [unrolled: 3-line block ×8, first 2 shown]
	v_fmac_f64_e32 v[84:85], v[82:83], v[86:87]
	v_fma_f64 v[84:85], v[82:83], v[84:85], 1.0
	s_mov_b32 s64, 0
	s_mov_b32 s66, 0
	v_fma_f64 v[82:83], v[82:83], v[84:85], 1.0
	v_cvt_i32_f64_e32 v78, v[78:79]
	s_mov_b32 s65, 0x40900000
	s_mov_b32 s67, 0xc090cc00
	v_ldexp_f64 v[78:79], v[82:83], v78
	v_mov_b32_e32 v81, 0x7ff00000
	v_cmp_nlt_f64_e64 s[64:65], s[64:65], v[76:77]
	v_cmp_ngt_f64_e64 s[66:67], s[66:67], v[76:77]
	s_mov_b32 s75, 0x3fe62e42
	v_cndmask_b32_e64 v79, v81, v79, s[64:65]
	s_and_b64 s[64:65], s[66:67], s[64:65]
	v_cndmask_b32_e64 v77, 0, v79, s[66:67]
	v_cndmask_b32_e64 v76, 0, v78, s[64:65]
	v_add_f64 v[78:79], v[76:77], 1.0
	v_add_f64 v[82:83], v[78:79], -1.0
	v_add_f64 v[84:85], v[82:83], -v[78:79]
	v_add_f64 v[84:85], v[84:85], 1.0
	v_add_f64 v[82:83], v[76:77], -v[82:83]
	s_mov_b32 s64, 0x55555555
	v_add_f64 v[82:83], v[82:83], v[84:85]
	v_frexp_mant_f64_e32 v[84:85], v[78:79]
	s_mov_b32 s65, 0x3fe55555
	v_frexp_exp_i32_f64_e32 v81, v[78:79]
	v_cmp_gt_f64_e64 s[64:65], s[64:65], v[84:85]
	s_mov_b32 s77, 0x3c7abc9e
	s_nop 0
	v_subbrev_co_u32_e64 v81, s[64:65], 0, v81, s[64:65]
	v_sub_u32_e32 v84, 0, v81
	v_ldexp_f64 v[78:79], v[78:79], v84
	v_ldexp_f64 v[82:83], v[82:83], v84
	v_add_f64 v[84:85], v[78:79], -1.0
	v_add_f64 v[90:91], v[78:79], 1.0
	v_add_f64 v[86:87], v[84:85], 1.0
	v_add_f64 v[92:93], v[90:91], -1.0
	v_add_f64 v[86:87], v[78:79], -v[86:87]
	v_add_f64 v[78:79], v[78:79], -v[92:93]
	v_add_f64 v[78:79], v[82:83], v[78:79]
	v_add_f64 v[86:87], v[82:83], v[86:87]
	v_add_f64 v[82:83], v[90:91], v[78:79]
	v_rcp_f64_e32 v[92:93], v[82:83]
	v_add_f64 v[88:89], v[84:85], v[86:87]
	v_add_f64 v[84:85], v[88:89], -v[84:85]
	v_add_f64 v[84:85], v[86:87], -v[84:85]
	;; [unrolled: 1-line block ×4, first 2 shown]
	v_fma_f64 v[86:87], -v[82:83], v[92:93], 1.0
	v_fmac_f64_e32 v[92:93], v[86:87], v[92:93]
	v_fma_f64 v[86:87], -v[82:83], v[92:93], 1.0
	v_fmac_f64_e32 v[92:93], v[86:87], v[92:93]
	v_mul_f64 v[86:87], v[88:89], v[92:93]
	v_mul_f64 v[90:91], v[82:83], v[86:87]
	v_fma_f64 v[94:95], v[86:87], v[82:83], -v[90:91]
	v_fmac_f64_e32 v[94:95], v[86:87], v[78:79]
	v_add_f64 v[96:97], v[90:91], v[94:95]
	v_add_f64 v[98:99], v[88:89], -v[96:97]
	v_add_f64 v[88:89], v[88:89], -v[98:99]
	;; [unrolled: 1-line block ×4, first 2 shown]
	v_add_f64 v[84:85], v[84:85], v[88:89]
	v_add_f64 v[88:89], v[90:91], -v[94:95]
	v_add_f64 v[84:85], v[88:89], v[84:85]
	v_add_f64 v[88:89], v[98:99], v[84:85]
	v_add_f64 v[90:91], v[98:99], -v[88:89]
	v_add_f64 v[84:85], v[84:85], v[90:91]
	v_mul_f64 v[90:91], v[92:93], v[88:89]
	v_mul_f64 v[94:95], v[82:83], v[90:91]
	v_fma_f64 v[82:83], v[90:91], v[82:83], -v[94:95]
	v_fmac_f64_e32 v[82:83], v[90:91], v[78:79]
	v_add_f64 v[78:79], v[94:95], v[82:83]
	v_add_f64 v[96:97], v[88:89], -v[78:79]
	v_add_f64 v[88:89], v[88:89], -v[96:97]
	;; [unrolled: 1-line block ×4, first 2 shown]
	v_add_f64 v[78:79], v[84:85], v[78:79]
	v_add_f64 v[82:83], v[94:95], -v[82:83]
	v_add_f64 v[78:79], v[82:83], v[78:79]
	v_add_f64 v[82:83], v[86:87], v[90:91]
	;; [unrolled: 1-line block ×3, first 2 shown]
	v_add_f64 v[84:85], v[82:83], -v[86:87]
	v_mul_f64 v[78:79], v[92:93], v[78:79]
	v_add_f64 v[84:85], v[90:91], -v[84:85]
	v_add_f64 v[78:79], v[84:85], v[78:79]
	v_add_f64 v[84:85], v[82:83], v[78:79]
	v_add_f64 v[82:83], v[84:85], -v[82:83]
	s_mov_b32 s64, 0xbf559e2b
	v_add_f64 v[78:79], v[78:79], -v[82:83]
	v_mul_f64 v[82:83], v[84:85], v[84:85]
	v_mov_b32_e32 v86, 0x6b47b09a
	v_mov_b32_e32 v87, 0x3fc38538
	s_mov_b32 s65, 0x3fc3ab76
	v_fmac_f64_e32 v[86:87], s[64:65], v[82:83]
	v_mov_b32_e32 v88, 0xd7f4df2e
	v_mov_b32_e32 v89, 0x3fc7474d
	v_fmac_f64_e32 v[88:89], v[82:83], v[86:87]
	v_mov_b32_e32 v86, 0x16291751
	v_mov_b32_e32 v87, 0x3fcc71c0
	;; [unrolled: 3-line block ×5, first 2 shown]
	v_fmac_f64_e32 v[88:89], v[82:83], v[86:87]
	v_cvt_f64_i32_e32 v[86:87], v81
	v_mul_f64 v[90:91], v[86:87], s[74:75]
	v_fma_f64 v[92:93], v[86:87], s[74:75], -v[90:91]
	v_fmac_f64_e32 v[92:93], s[76:77], v[86:87]
	v_add_f64 v[86:87], v[90:91], v[92:93]
	v_add_f64 v[90:91], v[86:87], -v[90:91]
	v_mul_f64 v[82:83], v[84:85], v[82:83]
	v_add_f64 v[90:91], v[92:93], -v[90:91]
	v_ldexp_f64 v[92:93], v[84:85], 1
	v_mul_f64 v[82:83], v[82:83], v[88:89]
	v_add_f64 v[84:85], v[92:93], v[82:83]
	v_add_f64 v[88:89], v[84:85], -v[92:93]
	v_ldexp_f64 v[78:79], v[78:79], 1
	v_add_f64 v[82:83], v[82:83], -v[88:89]
	v_add_f64 v[78:79], v[78:79], v[82:83]
	v_add_f64 v[82:83], v[84:85], v[78:79]
	v_add_f64 v[84:85], v[82:83], -v[84:85]
	v_add_f64 v[78:79], v[78:79], -v[84:85]
	v_add_f64 v[84:85], v[86:87], v[82:83]
	v_add_f64 v[88:89], v[84:85], -v[86:87]
	v_add_f64 v[92:93], v[84:85], -v[88:89]
	;; [unrolled: 1-line block ×4, first 2 shown]
	v_add_f64 v[82:83], v[82:83], v[86:87]
	v_add_f64 v[86:87], v[90:91], v[78:79]
	v_add_f64 v[88:89], v[86:87], -v[90:91]
	v_add_f64 v[82:83], v[86:87], v[82:83]
	v_add_f64 v[92:93], v[86:87], -v[88:89]
	;; [unrolled: 2-line block ×3, first 2 shown]
	v_add_f64 v[78:79], v[78:79], -v[88:89]
	v_add_f64 v[84:85], v[86:87], -v[84:85]
	v_add_f64 v[78:79], v[78:79], v[90:91]
	v_add_f64 v[82:83], v[82:83], -v[84:85]
	s_mov_b32 s64, 0
	v_add_f64 v[78:79], v[78:79], v[82:83]
	s_mov_b32 s65, 0x7ff00000
	v_add_f64 v[78:79], v[86:87], v[78:79]
	v_cmp_eq_f64_e64 s[64:65], s[64:65], v[76:77]
	v_mov_b32_e32 v81, 0x7ff80000
	s_nop 0
	v_cndmask_b32_e64 v78, v78, v76, s[64:65]
	v_cndmask_b32_e64 v79, v79, v77, s[64:65]
	v_cmp_ngt_f64_e64 s[64:65], -1.0, v[76:77]
	s_nop 1
	v_cndmask_b32_e64 v79, v81, v79, s[64:65]
	v_cmp_nge_f64_e64 s[64:65], -1.0, v[76:77]
	v_mov_b32_e32 v81, 0xfff00000
	s_nop 0
	v_cndmask_b32_e64 v78, 0, v78, s[64:65]
	v_cmp_neq_f64_e64 s[64:65], -1.0, v[76:77]
	s_nop 1
	v_cndmask_b32_e64 v79, v81, v79, s[64:65]
	v_add_f64 v[76:77], v[32:33], v[78:79]
.LBB80_76:
	s_or_b64 exec, exec, s[72:73]
	v_mov_b64_e32 v[32:33], v[76:77]
	v_mov_b32_e32 v78, v76
	v_mov_b32_e32 v79, v77
.LBB80_77:
	s_or_b64 exec, exec, s[70:71]
	v_mov_b32_dpp v76, v78 row_shr:8 row_mask:0xf bank_mask:0xf
	v_mov_b32_dpp v77, v79 row_shr:8 row_mask:0xf bank_mask:0xf
	v_cmp_lt_u32_e64 s[64:65], 7, v80
	s_and_saveexec_b64 s[70:71], s[64:65]
	s_cbranch_execz .LBB80_81
; %bb.78:
	v_max_f64 v[80:81], v[76:77], v[76:77]
	v_max_f64 v[82:83], v[32:33], v[32:33]
	v_min_f64 v[78:79], v[80:81], v[82:83]
	v_cmp_u_f64_e64 s[64:65], v[76:77], v[76:77]
	v_max_f64 v[80:81], v[80:81], v[82:83]
	v_cmp_u_f64_e64 s[66:67], v[32:33], v[32:33]
	v_cndmask_b32_e64 v78, v78, v76, s[64:65]
	v_cndmask_b32_e64 v79, v79, v77, s[64:65]
	;; [unrolled: 1-line block ×8, first 2 shown]
	v_cmp_neq_f64_e64 s[64:65], v[78:79], v[32:33]
	v_cmp_class_f64_e64 s[66:67], v[78:79], s33
	s_or_b64 s[64:65], s[64:65], s[66:67]
	s_and_saveexec_b64 s[72:73], s[64:65]
	s_cbranch_execz .LBB80_80
; %bb.79:
	s_mov_b32 s64, 0x652b82fe
	v_add_f64 v[76:77], v[78:79], -v[32:33]
	s_mov_b32 s65, 0x3ff71547
	v_mul_f64 v[78:79], v[76:77], s[64:65]
	v_rndne_f64_e32 v[78:79], v[78:79]
	s_mov_b32 s75, 0xbfe62e42
	s_mov_b32 s74, 0xfefa39ef
	v_fma_f64 v[80:81], s[74:75], v[78:79], v[76:77]
	s_mov_b32 s77, 0xbc7abc9e
	s_mov_b32 s76, 0x3b39803f
	;; [unrolled: 1-line block ×3, first 2 shown]
	v_fmac_f64_e32 v[80:81], s[76:77], v[78:79]
	v_mov_b32_e32 v82, 0xfca7ab0c
	v_mov_b32_e32 v83, 0x3e928af3
	s_mov_b32 s65, 0x3e5ade15
	v_fmac_f64_e32 v[82:83], s[64:65], v[80:81]
	v_mov_b32_e32 v84, 0x623fde64
	v_mov_b32_e32 v85, 0x3ec71dee
	v_fmac_f64_e32 v[84:85], v[80:81], v[82:83]
	v_mov_b32_e32 v82, 0x7c89e6b0
	v_mov_b32_e32 v83, 0x3efa0199
	;; [unrolled: 3-line block ×8, first 2 shown]
	v_fmac_f64_e32 v[82:83], v[80:81], v[84:85]
	v_fma_f64 v[82:83], v[80:81], v[82:83], 1.0
	s_mov_b32 s64, 0
	s_mov_b32 s66, 0
	v_fma_f64 v[80:81], v[80:81], v[82:83], 1.0
	v_cvt_i32_f64_e32 v78, v[78:79]
	s_mov_b32 s65, 0x40900000
	s_mov_b32 s67, 0xc090cc00
	v_ldexp_f64 v[78:79], v[80:81], v78
	v_mov_b32_e32 v80, 0x7ff00000
	v_cmp_nlt_f64_e64 s[64:65], s[64:65], v[76:77]
	v_cmp_ngt_f64_e64 s[66:67], s[66:67], v[76:77]
	s_mov_b32 s75, 0x3fe62e42
	v_cndmask_b32_e64 v79, v80, v79, s[64:65]
	s_and_b64 s[64:65], s[66:67], s[64:65]
	v_cndmask_b32_e64 v77, 0, v79, s[66:67]
	v_cndmask_b32_e64 v76, 0, v78, s[64:65]
	v_add_f64 v[78:79], v[76:77], 1.0
	v_add_f64 v[80:81], v[78:79], -1.0
	v_add_f64 v[82:83], v[80:81], -v[78:79]
	v_add_f64 v[82:83], v[82:83], 1.0
	v_add_f64 v[80:81], v[76:77], -v[80:81]
	s_mov_b32 s64, 0x55555555
	v_add_f64 v[80:81], v[80:81], v[82:83]
	v_frexp_mant_f64_e32 v[82:83], v[78:79]
	s_mov_b32 s65, 0x3fe55555
	v_frexp_exp_i32_f64_e32 v84, v[78:79]
	v_cmp_gt_f64_e64 s[64:65], s[64:65], v[82:83]
	s_mov_b32 s77, 0x3c7abc9e
	s_nop 0
	v_subbrev_co_u32_e64 v98, s[64:65], 0, v84, s[64:65]
	v_sub_u32_e32 v82, 0, v98
	v_ldexp_f64 v[78:79], v[78:79], v82
	v_ldexp_f64 v[80:81], v[80:81], v82
	v_add_f64 v[82:83], v[78:79], -1.0
	v_add_f64 v[88:89], v[78:79], 1.0
	v_add_f64 v[84:85], v[82:83], 1.0
	v_add_f64 v[90:91], v[88:89], -1.0
	v_add_f64 v[84:85], v[78:79], -v[84:85]
	v_add_f64 v[78:79], v[78:79], -v[90:91]
	v_add_f64 v[78:79], v[80:81], v[78:79]
	v_add_f64 v[84:85], v[80:81], v[84:85]
	v_add_f64 v[80:81], v[88:89], v[78:79]
	v_rcp_f64_e32 v[90:91], v[80:81]
	v_add_f64 v[86:87], v[82:83], v[84:85]
	v_add_f64 v[82:83], v[86:87], -v[82:83]
	v_add_f64 v[82:83], v[84:85], -v[82:83]
	;; [unrolled: 1-line block ×4, first 2 shown]
	v_fma_f64 v[84:85], -v[80:81], v[90:91], 1.0
	v_fmac_f64_e32 v[90:91], v[84:85], v[90:91]
	v_fma_f64 v[84:85], -v[80:81], v[90:91], 1.0
	v_fmac_f64_e32 v[90:91], v[84:85], v[90:91]
	v_mul_f64 v[84:85], v[86:87], v[90:91]
	v_mul_f64 v[88:89], v[80:81], v[84:85]
	v_fma_f64 v[92:93], v[84:85], v[80:81], -v[88:89]
	v_fmac_f64_e32 v[92:93], v[84:85], v[78:79]
	v_add_f64 v[94:95], v[88:89], v[92:93]
	v_add_f64 v[96:97], v[86:87], -v[94:95]
	v_add_f64 v[86:87], v[86:87], -v[96:97]
	;; [unrolled: 1-line block ×4, first 2 shown]
	v_add_f64 v[82:83], v[82:83], v[86:87]
	v_add_f64 v[86:87], v[88:89], -v[92:93]
	v_add_f64 v[82:83], v[86:87], v[82:83]
	v_add_f64 v[86:87], v[96:97], v[82:83]
	v_add_f64 v[88:89], v[96:97], -v[86:87]
	v_add_f64 v[82:83], v[82:83], v[88:89]
	v_mul_f64 v[88:89], v[90:91], v[86:87]
	v_mul_f64 v[92:93], v[80:81], v[88:89]
	v_fma_f64 v[80:81], v[88:89], v[80:81], -v[92:93]
	v_fmac_f64_e32 v[80:81], v[88:89], v[78:79]
	v_add_f64 v[78:79], v[92:93], v[80:81]
	v_add_f64 v[94:95], v[86:87], -v[78:79]
	v_add_f64 v[86:87], v[86:87], -v[94:95]
	v_add_f64 v[92:93], v[78:79], -v[92:93]
	v_add_f64 v[78:79], v[86:87], -v[78:79]
	v_add_f64 v[78:79], v[82:83], v[78:79]
	v_add_f64 v[80:81], v[92:93], -v[80:81]
	v_add_f64 v[78:79], v[80:81], v[78:79]
	v_add_f64 v[80:81], v[84:85], v[88:89]
	;; [unrolled: 1-line block ×3, first 2 shown]
	v_add_f64 v[82:83], v[80:81], -v[84:85]
	v_mul_f64 v[78:79], v[90:91], v[78:79]
	v_add_f64 v[82:83], v[88:89], -v[82:83]
	v_add_f64 v[78:79], v[82:83], v[78:79]
	v_add_f64 v[82:83], v[80:81], v[78:79]
	v_add_f64 v[80:81], v[82:83], -v[80:81]
	s_mov_b32 s64, 0xbf559e2b
	v_add_f64 v[78:79], v[78:79], -v[80:81]
	v_mul_f64 v[80:81], v[82:83], v[82:83]
	v_mov_b32_e32 v84, 0x6b47b09a
	v_mov_b32_e32 v85, 0x3fc38538
	s_mov_b32 s65, 0x3fc3ab76
	v_fmac_f64_e32 v[84:85], s[64:65], v[80:81]
	v_mov_b32_e32 v86, 0xd7f4df2e
	v_mov_b32_e32 v87, 0x3fc7474d
	v_fmac_f64_e32 v[86:87], v[80:81], v[84:85]
	v_mov_b32_e32 v84, 0x16291751
	v_mov_b32_e32 v85, 0x3fcc71c0
	;; [unrolled: 3-line block ×5, first 2 shown]
	v_fmac_f64_e32 v[86:87], v[80:81], v[84:85]
	v_cvt_f64_i32_e32 v[84:85], v98
	v_mul_f64 v[88:89], v[84:85], s[74:75]
	v_fma_f64 v[90:91], v[84:85], s[74:75], -v[88:89]
	v_fmac_f64_e32 v[90:91], s[76:77], v[84:85]
	v_add_f64 v[84:85], v[88:89], v[90:91]
	v_add_f64 v[88:89], v[84:85], -v[88:89]
	v_mul_f64 v[80:81], v[82:83], v[80:81]
	v_add_f64 v[88:89], v[90:91], -v[88:89]
	v_ldexp_f64 v[90:91], v[82:83], 1
	v_mul_f64 v[80:81], v[80:81], v[86:87]
	v_add_f64 v[82:83], v[90:91], v[80:81]
	v_add_f64 v[86:87], v[82:83], -v[90:91]
	v_ldexp_f64 v[78:79], v[78:79], 1
	v_add_f64 v[80:81], v[80:81], -v[86:87]
	v_add_f64 v[78:79], v[78:79], v[80:81]
	v_add_f64 v[80:81], v[82:83], v[78:79]
	v_add_f64 v[82:83], v[80:81], -v[82:83]
	v_add_f64 v[78:79], v[78:79], -v[82:83]
	v_add_f64 v[82:83], v[84:85], v[80:81]
	v_add_f64 v[86:87], v[82:83], -v[84:85]
	v_add_f64 v[90:91], v[82:83], -v[86:87]
	;; [unrolled: 1-line block ×4, first 2 shown]
	v_add_f64 v[80:81], v[80:81], v[84:85]
	v_add_f64 v[84:85], v[88:89], v[78:79]
	v_add_f64 v[86:87], v[84:85], -v[88:89]
	v_add_f64 v[80:81], v[84:85], v[80:81]
	v_add_f64 v[90:91], v[84:85], -v[86:87]
	;; [unrolled: 2-line block ×3, first 2 shown]
	v_add_f64 v[78:79], v[78:79], -v[86:87]
	v_add_f64 v[82:83], v[84:85], -v[82:83]
	v_add_f64 v[78:79], v[78:79], v[88:89]
	v_add_f64 v[80:81], v[80:81], -v[82:83]
	s_mov_b32 s64, 0
	v_add_f64 v[78:79], v[78:79], v[80:81]
	s_mov_b32 s65, 0x7ff00000
	v_add_f64 v[78:79], v[84:85], v[78:79]
	v_cmp_eq_f64_e64 s[64:65], s[64:65], v[76:77]
	v_mov_b32_e32 v80, 0x7ff80000
	s_nop 0
	v_cndmask_b32_e64 v78, v78, v76, s[64:65]
	v_cndmask_b32_e64 v79, v79, v77, s[64:65]
	v_cmp_ngt_f64_e64 s[64:65], -1.0, v[76:77]
	s_nop 1
	v_cndmask_b32_e64 v79, v80, v79, s[64:65]
	v_cmp_nge_f64_e64 s[64:65], -1.0, v[76:77]
	v_mov_b32_e32 v80, 0xfff00000
	s_nop 0
	v_cndmask_b32_e64 v78, 0, v78, s[64:65]
	v_cmp_neq_f64_e64 s[64:65], -1.0, v[76:77]
	s_nop 1
	v_cndmask_b32_e64 v79, v80, v79, s[64:65]
	v_add_f64 v[76:77], v[32:33], v[78:79]
.LBB80_80:
	s_or_b64 exec, exec, s[72:73]
	v_mov_b64_e32 v[32:33], v[76:77]
	v_mov_b32_e32 v78, v76
	v_mov_b32_e32 v79, v77
.LBB80_81:
	s_or_b64 exec, exec, s[70:71]
	v_and_b32_e32 v80, 16, v35
	v_mov_b32_dpp v76, v78 row_bcast:15 row_mask:0xf bank_mask:0xf
	v_mov_b32_dpp v77, v79 row_bcast:15 row_mask:0xf bank_mask:0xf
	v_cmp_ne_u32_e64 s[64:65], 0, v80
	s_and_saveexec_b64 s[70:71], s[64:65]
	s_cbranch_execz .LBB80_85
; %bb.82:
	v_max_f64 v[80:81], v[76:77], v[76:77]
	v_max_f64 v[82:83], v[32:33], v[32:33]
	v_min_f64 v[78:79], v[80:81], v[82:83]
	v_cmp_u_f64_e64 s[64:65], v[76:77], v[76:77]
	v_max_f64 v[80:81], v[80:81], v[82:83]
	v_cmp_u_f64_e64 s[66:67], v[32:33], v[32:33]
	v_cndmask_b32_e64 v78, v78, v76, s[64:65]
	v_cndmask_b32_e64 v79, v79, v77, s[64:65]
	;; [unrolled: 1-line block ×8, first 2 shown]
	v_cmp_neq_f64_e64 s[64:65], v[78:79], v[32:33]
	v_cmp_class_f64_e64 s[66:67], v[78:79], s33
	s_or_b64 s[64:65], s[64:65], s[66:67]
	s_and_saveexec_b64 s[72:73], s[64:65]
	s_cbranch_execz .LBB80_84
; %bb.83:
	s_mov_b32 s64, 0x652b82fe
	v_add_f64 v[76:77], v[78:79], -v[32:33]
	s_mov_b32 s65, 0x3ff71547
	v_mul_f64 v[78:79], v[76:77], s[64:65]
	v_rndne_f64_e32 v[78:79], v[78:79]
	s_mov_b32 s75, 0xbfe62e42
	s_mov_b32 s74, 0xfefa39ef
	v_fma_f64 v[80:81], s[74:75], v[78:79], v[76:77]
	s_mov_b32 s77, 0xbc7abc9e
	s_mov_b32 s76, 0x3b39803f
	s_mov_b32 s64, 0x6a5dcb37
	v_fmac_f64_e32 v[80:81], s[76:77], v[78:79]
	v_mov_b32_e32 v82, 0xfca7ab0c
	v_mov_b32_e32 v83, 0x3e928af3
	s_mov_b32 s65, 0x3e5ade15
	v_fmac_f64_e32 v[82:83], s[64:65], v[80:81]
	v_mov_b32_e32 v84, 0x623fde64
	v_mov_b32_e32 v85, 0x3ec71dee
	v_fmac_f64_e32 v[84:85], v[80:81], v[82:83]
	v_mov_b32_e32 v82, 0x7c89e6b0
	v_mov_b32_e32 v83, 0x3efa0199
	;; [unrolled: 3-line block ×8, first 2 shown]
	v_fmac_f64_e32 v[82:83], v[80:81], v[84:85]
	v_fma_f64 v[82:83], v[80:81], v[82:83], 1.0
	s_mov_b32 s64, 0
	s_mov_b32 s66, 0
	v_fma_f64 v[80:81], v[80:81], v[82:83], 1.0
	v_cvt_i32_f64_e32 v78, v[78:79]
	s_mov_b32 s65, 0x40900000
	s_mov_b32 s67, 0xc090cc00
	v_ldexp_f64 v[78:79], v[80:81], v78
	v_mov_b32_e32 v80, 0x7ff00000
	v_cmp_nlt_f64_e64 s[64:65], s[64:65], v[76:77]
	v_cmp_ngt_f64_e64 s[66:67], s[66:67], v[76:77]
	s_mov_b32 s75, 0x3fe62e42
	v_cndmask_b32_e64 v79, v80, v79, s[64:65]
	s_and_b64 s[64:65], s[66:67], s[64:65]
	v_cndmask_b32_e64 v77, 0, v79, s[66:67]
	v_cndmask_b32_e64 v76, 0, v78, s[64:65]
	v_add_f64 v[78:79], v[76:77], 1.0
	v_add_f64 v[80:81], v[78:79], -1.0
	v_add_f64 v[82:83], v[80:81], -v[78:79]
	v_add_f64 v[82:83], v[82:83], 1.0
	v_add_f64 v[80:81], v[76:77], -v[80:81]
	s_mov_b32 s64, 0x55555555
	v_add_f64 v[80:81], v[80:81], v[82:83]
	v_frexp_mant_f64_e32 v[82:83], v[78:79]
	s_mov_b32 s65, 0x3fe55555
	v_frexp_exp_i32_f64_e32 v84, v[78:79]
	v_cmp_gt_f64_e64 s[64:65], s[64:65], v[82:83]
	s_mov_b32 s77, 0x3c7abc9e
	s_nop 0
	v_subbrev_co_u32_e64 v98, s[64:65], 0, v84, s[64:65]
	v_sub_u32_e32 v82, 0, v98
	v_ldexp_f64 v[78:79], v[78:79], v82
	v_ldexp_f64 v[80:81], v[80:81], v82
	v_add_f64 v[82:83], v[78:79], -1.0
	v_add_f64 v[88:89], v[78:79], 1.0
	v_add_f64 v[84:85], v[82:83], 1.0
	v_add_f64 v[90:91], v[88:89], -1.0
	v_add_f64 v[84:85], v[78:79], -v[84:85]
	v_add_f64 v[78:79], v[78:79], -v[90:91]
	v_add_f64 v[78:79], v[80:81], v[78:79]
	v_add_f64 v[84:85], v[80:81], v[84:85]
	;; [unrolled: 1-line block ×3, first 2 shown]
	v_rcp_f64_e32 v[90:91], v[80:81]
	v_add_f64 v[86:87], v[82:83], v[84:85]
	v_add_f64 v[82:83], v[86:87], -v[82:83]
	v_add_f64 v[82:83], v[84:85], -v[82:83]
	v_add_f64 v[84:85], v[80:81], -v[88:89]
	v_add_f64 v[78:79], v[78:79], -v[84:85]
	v_fma_f64 v[84:85], -v[80:81], v[90:91], 1.0
	v_fmac_f64_e32 v[90:91], v[84:85], v[90:91]
	v_fma_f64 v[84:85], -v[80:81], v[90:91], 1.0
	v_fmac_f64_e32 v[90:91], v[84:85], v[90:91]
	v_mul_f64 v[84:85], v[86:87], v[90:91]
	v_mul_f64 v[88:89], v[80:81], v[84:85]
	v_fma_f64 v[92:93], v[84:85], v[80:81], -v[88:89]
	v_fmac_f64_e32 v[92:93], v[84:85], v[78:79]
	v_add_f64 v[94:95], v[88:89], v[92:93]
	v_add_f64 v[96:97], v[86:87], -v[94:95]
	v_add_f64 v[86:87], v[86:87], -v[96:97]
	;; [unrolled: 1-line block ×4, first 2 shown]
	v_add_f64 v[82:83], v[82:83], v[86:87]
	v_add_f64 v[86:87], v[88:89], -v[92:93]
	v_add_f64 v[82:83], v[86:87], v[82:83]
	v_add_f64 v[86:87], v[96:97], v[82:83]
	v_add_f64 v[88:89], v[96:97], -v[86:87]
	v_add_f64 v[82:83], v[82:83], v[88:89]
	v_mul_f64 v[88:89], v[90:91], v[86:87]
	v_mul_f64 v[92:93], v[80:81], v[88:89]
	v_fma_f64 v[80:81], v[88:89], v[80:81], -v[92:93]
	v_fmac_f64_e32 v[80:81], v[88:89], v[78:79]
	v_add_f64 v[78:79], v[92:93], v[80:81]
	v_add_f64 v[94:95], v[86:87], -v[78:79]
	v_add_f64 v[86:87], v[86:87], -v[94:95]
	;; [unrolled: 1-line block ×4, first 2 shown]
	v_add_f64 v[78:79], v[82:83], v[78:79]
	v_add_f64 v[80:81], v[92:93], -v[80:81]
	v_add_f64 v[78:79], v[80:81], v[78:79]
	v_add_f64 v[80:81], v[84:85], v[88:89]
	v_add_f64 v[78:79], v[94:95], v[78:79]
	v_add_f64 v[82:83], v[80:81], -v[84:85]
	v_mul_f64 v[78:79], v[90:91], v[78:79]
	v_add_f64 v[82:83], v[88:89], -v[82:83]
	v_add_f64 v[78:79], v[82:83], v[78:79]
	v_add_f64 v[82:83], v[80:81], v[78:79]
	v_add_f64 v[80:81], v[82:83], -v[80:81]
	s_mov_b32 s64, 0xbf559e2b
	v_add_f64 v[78:79], v[78:79], -v[80:81]
	v_mul_f64 v[80:81], v[82:83], v[82:83]
	v_mov_b32_e32 v84, 0x6b47b09a
	v_mov_b32_e32 v85, 0x3fc38538
	s_mov_b32 s65, 0x3fc3ab76
	v_fmac_f64_e32 v[84:85], s[64:65], v[80:81]
	v_mov_b32_e32 v86, 0xd7f4df2e
	v_mov_b32_e32 v87, 0x3fc7474d
	v_fmac_f64_e32 v[86:87], v[80:81], v[84:85]
	v_mov_b32_e32 v84, 0x16291751
	v_mov_b32_e32 v85, 0x3fcc71c0
	;; [unrolled: 3-line block ×5, first 2 shown]
	v_fmac_f64_e32 v[86:87], v[80:81], v[84:85]
	v_cvt_f64_i32_e32 v[84:85], v98
	v_mul_f64 v[88:89], v[84:85], s[74:75]
	v_fma_f64 v[90:91], v[84:85], s[74:75], -v[88:89]
	v_fmac_f64_e32 v[90:91], s[76:77], v[84:85]
	v_add_f64 v[84:85], v[88:89], v[90:91]
	v_add_f64 v[88:89], v[84:85], -v[88:89]
	v_mul_f64 v[80:81], v[82:83], v[80:81]
	v_add_f64 v[88:89], v[90:91], -v[88:89]
	v_ldexp_f64 v[90:91], v[82:83], 1
	v_mul_f64 v[80:81], v[80:81], v[86:87]
	v_add_f64 v[82:83], v[90:91], v[80:81]
	v_add_f64 v[86:87], v[82:83], -v[90:91]
	v_ldexp_f64 v[78:79], v[78:79], 1
	v_add_f64 v[80:81], v[80:81], -v[86:87]
	v_add_f64 v[78:79], v[78:79], v[80:81]
	v_add_f64 v[80:81], v[82:83], v[78:79]
	v_add_f64 v[82:83], v[80:81], -v[82:83]
	v_add_f64 v[78:79], v[78:79], -v[82:83]
	v_add_f64 v[82:83], v[84:85], v[80:81]
	v_add_f64 v[86:87], v[82:83], -v[84:85]
	v_add_f64 v[90:91], v[82:83], -v[86:87]
	;; [unrolled: 1-line block ×4, first 2 shown]
	v_add_f64 v[80:81], v[80:81], v[84:85]
	v_add_f64 v[84:85], v[88:89], v[78:79]
	v_add_f64 v[86:87], v[84:85], -v[88:89]
	v_add_f64 v[80:81], v[84:85], v[80:81]
	v_add_f64 v[90:91], v[84:85], -v[86:87]
	;; [unrolled: 2-line block ×3, first 2 shown]
	v_add_f64 v[78:79], v[78:79], -v[86:87]
	v_add_f64 v[82:83], v[84:85], -v[82:83]
	v_add_f64 v[78:79], v[78:79], v[88:89]
	v_add_f64 v[80:81], v[80:81], -v[82:83]
	s_mov_b32 s64, 0
	v_add_f64 v[78:79], v[78:79], v[80:81]
	s_mov_b32 s65, 0x7ff00000
	v_add_f64 v[78:79], v[84:85], v[78:79]
	v_cmp_eq_f64_e64 s[64:65], s[64:65], v[76:77]
	v_mov_b32_e32 v80, 0x7ff80000
	s_nop 0
	v_cndmask_b32_e64 v78, v78, v76, s[64:65]
	v_cndmask_b32_e64 v79, v79, v77, s[64:65]
	v_cmp_ngt_f64_e64 s[64:65], -1.0, v[76:77]
	s_nop 1
	v_cndmask_b32_e64 v79, v80, v79, s[64:65]
	v_cmp_nge_f64_e64 s[64:65], -1.0, v[76:77]
	v_mov_b32_e32 v80, 0xfff00000
	s_nop 0
	v_cndmask_b32_e64 v78, 0, v78, s[64:65]
	v_cmp_neq_f64_e64 s[64:65], -1.0, v[76:77]
	s_nop 1
	v_cndmask_b32_e64 v79, v80, v79, s[64:65]
	v_add_f64 v[76:77], v[32:33], v[78:79]
.LBB80_84:
	s_or_b64 exec, exec, s[72:73]
	v_mov_b32_e32 v78, v76
	v_mov_b32_e32 v79, v77
	v_mov_b64_e32 v[32:33], v[76:77]
.LBB80_85:
	s_or_b64 exec, exec, s[70:71]
	v_mov_b32_dpp v76, v78 row_bcast:31 row_mask:0xf bank_mask:0xf
	v_mov_b32_dpp v77, v79 row_bcast:31 row_mask:0xf bank_mask:0xf
	v_cmp_lt_u32_e64 s[64:65], 31, v35
	s_and_saveexec_b64 s[70:71], s[64:65]
	s_cbranch_execz .LBB80_89
; %bb.86:
	v_max_f64 v[80:81], v[76:77], v[76:77]
	v_max_f64 v[82:83], v[32:33], v[32:33]
	v_min_f64 v[78:79], v[80:81], v[82:83]
	v_cmp_u_f64_e64 s[64:65], v[76:77], v[76:77]
	v_max_f64 v[80:81], v[80:81], v[82:83]
	v_cmp_u_f64_e64 s[66:67], v[32:33], v[32:33]
	v_cndmask_b32_e64 v78, v78, v76, s[64:65]
	v_cndmask_b32_e64 v79, v79, v77, s[64:65]
	;; [unrolled: 1-line block ×8, first 2 shown]
	v_cmp_neq_f64_e64 s[64:65], v[78:79], v[32:33]
	v_cmp_class_f64_e64 s[66:67], v[78:79], s33
	s_or_b64 s[64:65], s[64:65], s[66:67]
	s_and_saveexec_b64 s[72:73], s[64:65]
	s_cbranch_execz .LBB80_88
; %bb.87:
	s_mov_b32 s64, 0x652b82fe
	v_add_f64 v[76:77], v[78:79], -v[32:33]
	s_mov_b32 s65, 0x3ff71547
	v_mul_f64 v[78:79], v[76:77], s[64:65]
	v_rndne_f64_e32 v[78:79], v[78:79]
	s_mov_b32 s75, 0xbfe62e42
	s_mov_b32 s74, 0xfefa39ef
	v_fma_f64 v[80:81], s[74:75], v[78:79], v[76:77]
	s_mov_b32 s77, 0xbc7abc9e
	s_mov_b32 s76, 0x3b39803f
	;; [unrolled: 1-line block ×3, first 2 shown]
	v_fmac_f64_e32 v[80:81], s[76:77], v[78:79]
	v_mov_b32_e32 v82, 0xfca7ab0c
	v_mov_b32_e32 v83, 0x3e928af3
	s_mov_b32 s65, 0x3e5ade15
	v_fmac_f64_e32 v[82:83], s[64:65], v[80:81]
	v_mov_b32_e32 v84, 0x623fde64
	v_mov_b32_e32 v85, 0x3ec71dee
	v_fmac_f64_e32 v[84:85], v[80:81], v[82:83]
	v_mov_b32_e32 v82, 0x7c89e6b0
	v_mov_b32_e32 v83, 0x3efa0199
	;; [unrolled: 3-line block ×8, first 2 shown]
	v_fmac_f64_e32 v[82:83], v[80:81], v[84:85]
	v_fma_f64 v[82:83], v[80:81], v[82:83], 1.0
	s_mov_b32 s64, 0
	s_mov_b32 s66, 0
	v_fma_f64 v[80:81], v[80:81], v[82:83], 1.0
	v_cvt_i32_f64_e32 v78, v[78:79]
	s_mov_b32 s65, 0x40900000
	s_mov_b32 s67, 0xc090cc00
	v_ldexp_f64 v[78:79], v[80:81], v78
	v_mov_b32_e32 v80, 0x7ff00000
	v_cmp_nlt_f64_e64 s[64:65], s[64:65], v[76:77]
	v_cmp_ngt_f64_e64 s[66:67], s[66:67], v[76:77]
	s_mov_b32 s75, 0x3fe62e42
	v_cndmask_b32_e64 v79, v80, v79, s[64:65]
	s_and_b64 s[64:65], s[66:67], s[64:65]
	v_cndmask_b32_e64 v77, 0, v79, s[66:67]
	v_cndmask_b32_e64 v76, 0, v78, s[64:65]
	v_add_f64 v[78:79], v[76:77], 1.0
	v_add_f64 v[80:81], v[78:79], -1.0
	v_add_f64 v[82:83], v[80:81], -v[78:79]
	v_add_f64 v[82:83], v[82:83], 1.0
	v_add_f64 v[80:81], v[76:77], -v[80:81]
	s_mov_b32 s64, 0x55555555
	v_add_f64 v[80:81], v[80:81], v[82:83]
	v_frexp_mant_f64_e32 v[82:83], v[78:79]
	s_mov_b32 s65, 0x3fe55555
	v_frexp_exp_i32_f64_e32 v84, v[78:79]
	v_cmp_gt_f64_e64 s[64:65], s[64:65], v[82:83]
	s_mov_b32 s77, 0x3c7abc9e
	s_nop 0
	v_subbrev_co_u32_e64 v98, s[64:65], 0, v84, s[64:65]
	v_sub_u32_e32 v82, 0, v98
	v_ldexp_f64 v[78:79], v[78:79], v82
	v_ldexp_f64 v[80:81], v[80:81], v82
	v_add_f64 v[82:83], v[78:79], -1.0
	v_add_f64 v[88:89], v[78:79], 1.0
	v_add_f64 v[84:85], v[82:83], 1.0
	v_add_f64 v[90:91], v[88:89], -1.0
	v_add_f64 v[84:85], v[78:79], -v[84:85]
	v_add_f64 v[78:79], v[78:79], -v[90:91]
	v_add_f64 v[78:79], v[80:81], v[78:79]
	v_add_f64 v[84:85], v[80:81], v[84:85]
	;; [unrolled: 1-line block ×3, first 2 shown]
	v_rcp_f64_e32 v[90:91], v[80:81]
	v_add_f64 v[86:87], v[82:83], v[84:85]
	v_add_f64 v[82:83], v[86:87], -v[82:83]
	v_add_f64 v[82:83], v[84:85], -v[82:83]
	v_add_f64 v[84:85], v[80:81], -v[88:89]
	v_add_f64 v[78:79], v[78:79], -v[84:85]
	v_fma_f64 v[84:85], -v[80:81], v[90:91], 1.0
	v_fmac_f64_e32 v[90:91], v[84:85], v[90:91]
	v_fma_f64 v[84:85], -v[80:81], v[90:91], 1.0
	v_fmac_f64_e32 v[90:91], v[84:85], v[90:91]
	v_mul_f64 v[84:85], v[86:87], v[90:91]
	v_mul_f64 v[88:89], v[80:81], v[84:85]
	v_fma_f64 v[92:93], v[84:85], v[80:81], -v[88:89]
	v_fmac_f64_e32 v[92:93], v[84:85], v[78:79]
	v_add_f64 v[94:95], v[88:89], v[92:93]
	v_add_f64 v[96:97], v[86:87], -v[94:95]
	v_add_f64 v[86:87], v[86:87], -v[96:97]
	v_add_f64 v[88:89], v[94:95], -v[88:89]
	v_add_f64 v[86:87], v[86:87], -v[94:95]
	v_add_f64 v[82:83], v[82:83], v[86:87]
	v_add_f64 v[86:87], v[88:89], -v[92:93]
	v_add_f64 v[82:83], v[86:87], v[82:83]
	v_add_f64 v[86:87], v[96:97], v[82:83]
	v_add_f64 v[88:89], v[96:97], -v[86:87]
	v_add_f64 v[82:83], v[82:83], v[88:89]
	v_mul_f64 v[88:89], v[90:91], v[86:87]
	v_mul_f64 v[92:93], v[80:81], v[88:89]
	v_fma_f64 v[80:81], v[88:89], v[80:81], -v[92:93]
	v_fmac_f64_e32 v[80:81], v[88:89], v[78:79]
	v_add_f64 v[78:79], v[92:93], v[80:81]
	v_add_f64 v[94:95], v[86:87], -v[78:79]
	v_add_f64 v[86:87], v[86:87], -v[94:95]
	;; [unrolled: 1-line block ×4, first 2 shown]
	v_add_f64 v[78:79], v[82:83], v[78:79]
	v_add_f64 v[80:81], v[92:93], -v[80:81]
	v_add_f64 v[78:79], v[80:81], v[78:79]
	v_add_f64 v[80:81], v[84:85], v[88:89]
	;; [unrolled: 1-line block ×3, first 2 shown]
	v_add_f64 v[82:83], v[80:81], -v[84:85]
	v_mul_f64 v[78:79], v[90:91], v[78:79]
	v_add_f64 v[82:83], v[88:89], -v[82:83]
	v_add_f64 v[78:79], v[82:83], v[78:79]
	v_add_f64 v[82:83], v[80:81], v[78:79]
	v_add_f64 v[80:81], v[82:83], -v[80:81]
	s_mov_b32 s64, 0xbf559e2b
	v_add_f64 v[78:79], v[78:79], -v[80:81]
	v_mul_f64 v[80:81], v[82:83], v[82:83]
	v_mov_b32_e32 v84, 0x6b47b09a
	v_mov_b32_e32 v85, 0x3fc38538
	s_mov_b32 s65, 0x3fc3ab76
	v_fmac_f64_e32 v[84:85], s[64:65], v[80:81]
	v_mov_b32_e32 v86, 0xd7f4df2e
	v_mov_b32_e32 v87, 0x3fc7474d
	v_fmac_f64_e32 v[86:87], v[80:81], v[84:85]
	v_mov_b32_e32 v84, 0x16291751
	v_mov_b32_e32 v85, 0x3fcc71c0
	;; [unrolled: 3-line block ×5, first 2 shown]
	v_fmac_f64_e32 v[86:87], v[80:81], v[84:85]
	v_cvt_f64_i32_e32 v[84:85], v98
	v_mul_f64 v[88:89], v[84:85], s[74:75]
	v_fma_f64 v[90:91], v[84:85], s[74:75], -v[88:89]
	v_fmac_f64_e32 v[90:91], s[76:77], v[84:85]
	v_add_f64 v[84:85], v[88:89], v[90:91]
	v_add_f64 v[88:89], v[84:85], -v[88:89]
	v_mul_f64 v[80:81], v[82:83], v[80:81]
	v_add_f64 v[88:89], v[90:91], -v[88:89]
	v_ldexp_f64 v[90:91], v[82:83], 1
	v_mul_f64 v[80:81], v[80:81], v[86:87]
	v_add_f64 v[82:83], v[90:91], v[80:81]
	v_add_f64 v[86:87], v[82:83], -v[90:91]
	v_ldexp_f64 v[78:79], v[78:79], 1
	v_add_f64 v[80:81], v[80:81], -v[86:87]
	v_add_f64 v[78:79], v[78:79], v[80:81]
	v_add_f64 v[80:81], v[82:83], v[78:79]
	v_add_f64 v[82:83], v[80:81], -v[82:83]
	v_add_f64 v[78:79], v[78:79], -v[82:83]
	v_add_f64 v[82:83], v[84:85], v[80:81]
	v_add_f64 v[86:87], v[82:83], -v[84:85]
	v_add_f64 v[90:91], v[82:83], -v[86:87]
	;; [unrolled: 1-line block ×4, first 2 shown]
	v_add_f64 v[80:81], v[80:81], v[84:85]
	v_add_f64 v[84:85], v[88:89], v[78:79]
	v_add_f64 v[86:87], v[84:85], -v[88:89]
	v_add_f64 v[80:81], v[84:85], v[80:81]
	v_add_f64 v[90:91], v[84:85], -v[86:87]
	;; [unrolled: 2-line block ×3, first 2 shown]
	v_add_f64 v[78:79], v[78:79], -v[86:87]
	v_add_f64 v[82:83], v[84:85], -v[82:83]
	v_add_f64 v[78:79], v[78:79], v[88:89]
	v_add_f64 v[80:81], v[80:81], -v[82:83]
	s_mov_b32 s64, 0
	v_add_f64 v[78:79], v[78:79], v[80:81]
	s_mov_b32 s65, 0x7ff00000
	v_add_f64 v[78:79], v[84:85], v[78:79]
	v_cmp_eq_f64_e64 s[64:65], s[64:65], v[76:77]
	v_mov_b32_e32 v80, 0x7ff80000
	s_nop 0
	v_cndmask_b32_e64 v78, v78, v76, s[64:65]
	v_cndmask_b32_e64 v79, v79, v77, s[64:65]
	v_cmp_ngt_f64_e64 s[64:65], -1.0, v[76:77]
	s_nop 1
	v_cndmask_b32_e64 v79, v80, v79, s[64:65]
	v_cmp_nge_f64_e64 s[64:65], -1.0, v[76:77]
	v_mov_b32_e32 v80, 0xfff00000
	s_nop 0
	v_cndmask_b32_e64 v78, 0, v78, s[64:65]
	v_cmp_neq_f64_e64 s[64:65], -1.0, v[76:77]
	s_nop 1
	v_cndmask_b32_e64 v79, v80, v79, s[64:65]
	v_add_f64 v[76:77], v[32:33], v[78:79]
.LBB80_88:
	s_or_b64 exec, exec, s[72:73]
	v_mov_b64_e32 v[32:33], v[76:77]
.LBB80_89:
	s_or_b64 exec, exec, s[70:71]
	v_add_u32_e32 v76, -1, v35
	v_and_b32_e32 v77, 64, v35
	v_cmp_lt_i32_e64 s[64:65], v76, v77
	s_nop 1
	v_cndmask_b32_e64 v35, v76, v35, s[64:65]
	v_lshlrev_b32_e32 v35, 2, v35
	ds_bpermute_b32 v32, v35, v32
	ds_bpermute_b32 v33, v35, v33
	s_waitcnt lgkmcnt(0)
	v_max_f64 v[78:79], v[32:33], v[32:33]
	v_min_f64 v[76:77], v[78:79], v[74:75]
	v_cmp_u_f64_e64 s[64:65], v[32:33], v[32:33]
	v_max_f64 v[74:75], v[78:79], v[74:75]
	s_nop 0
	v_cndmask_b32_e64 v35, v76, v32, s[64:65]
	v_cndmask_b32_e64 v76, v77, v33, s[64:65]
	;; [unrolled: 1-line block ×8, first 2 shown]
	v_cmp_neq_f64_e64 s[62:63], v[76:77], v[30:31]
	v_cmp_class_f64_e64 s[64:65], v[76:77], s33
	s_or_b64 s[62:63], s[62:63], s[64:65]
	s_and_saveexec_b64 s[66:67], s[62:63]
	s_cbranch_execz .LBB80_91
; %bb.90:
	s_mov_b32 s62, 0x652b82fe
	v_add_f64 v[32:33], v[76:77], -v[30:31]
	s_mov_b32 s63, 0x3ff71547
	v_mul_f64 v[74:75], v[32:33], s[62:63]
	v_rndne_f64_e32 v[74:75], v[74:75]
	s_mov_b32 s71, 0xbfe62e42
	s_mov_b32 s70, 0xfefa39ef
	v_fma_f64 v[76:77], s[70:71], v[74:75], v[32:33]
	s_mov_b32 s73, 0xbc7abc9e
	s_mov_b32 s72, 0x3b39803f
	;; [unrolled: 1-line block ×3, first 2 shown]
	v_fmac_f64_e32 v[76:77], s[72:73], v[74:75]
	v_mov_b32_e32 v78, 0xfca7ab0c
	v_mov_b32_e32 v79, 0x3e928af3
	s_mov_b32 s63, 0x3e5ade15
	v_fmac_f64_e32 v[78:79], s[62:63], v[76:77]
	v_mov_b32_e32 v80, 0x623fde64
	v_mov_b32_e32 v81, 0x3ec71dee
	v_fmac_f64_e32 v[80:81], v[76:77], v[78:79]
	v_mov_b32_e32 v78, 0x7c89e6b0
	v_mov_b32_e32 v79, 0x3efa0199
	;; [unrolled: 3-line block ×8, first 2 shown]
	v_fmac_f64_e32 v[78:79], v[76:77], v[80:81]
	v_fma_f64 v[78:79], v[76:77], v[78:79], 1.0
	s_mov_b32 s62, 0
	s_mov_b32 s64, 0
	v_fma_f64 v[76:77], v[76:77], v[78:79], 1.0
	v_cvt_i32_f64_e32 v35, v[74:75]
	s_mov_b32 s63, 0x40900000
	s_mov_b32 s65, 0xc090cc00
	v_ldexp_f64 v[74:75], v[76:77], v35
	v_mov_b32_e32 v35, 0x7ff00000
	v_cmp_nlt_f64_e64 s[62:63], s[62:63], v[32:33]
	v_cmp_ngt_f64_e64 s[64:65], s[64:65], v[32:33]
	s_mov_b32 s71, 0x3fe62e42
	v_cndmask_b32_e64 v35, v35, v75, s[62:63]
	s_and_b64 s[62:63], s[64:65], s[62:63]
	v_cndmask_b32_e64 v33, 0, v35, s[64:65]
	v_cndmask_b32_e64 v32, 0, v74, s[62:63]
	v_add_f64 v[74:75], v[32:33], 1.0
	v_add_f64 v[76:77], v[74:75], -1.0
	v_add_f64 v[78:79], v[76:77], -v[74:75]
	v_add_f64 v[78:79], v[78:79], 1.0
	v_add_f64 v[76:77], v[32:33], -v[76:77]
	s_mov_b32 s62, 0x55555555
	v_add_f64 v[76:77], v[76:77], v[78:79]
	v_frexp_mant_f64_e32 v[78:79], v[74:75]
	s_mov_b32 s63, 0x3fe55555
	v_frexp_exp_i32_f64_e32 v35, v[74:75]
	v_cmp_gt_f64_e64 s[62:63], s[62:63], v[78:79]
	s_mov_b32 s73, 0x3c7abc9e
	s_nop 0
	v_subbrev_co_u32_e64 v35, s[62:63], 0, v35, s[62:63]
	v_sub_u32_e32 v78, 0, v35
	v_ldexp_f64 v[74:75], v[74:75], v78
	v_ldexp_f64 v[76:77], v[76:77], v78
	v_add_f64 v[78:79], v[74:75], -1.0
	v_add_f64 v[84:85], v[74:75], 1.0
	v_add_f64 v[80:81], v[78:79], 1.0
	v_add_f64 v[86:87], v[84:85], -1.0
	v_add_f64 v[80:81], v[74:75], -v[80:81]
	v_add_f64 v[74:75], v[74:75], -v[86:87]
	v_add_f64 v[74:75], v[76:77], v[74:75]
	v_add_f64 v[80:81], v[76:77], v[80:81]
	;; [unrolled: 1-line block ×3, first 2 shown]
	v_rcp_f64_e32 v[86:87], v[76:77]
	v_add_f64 v[82:83], v[78:79], v[80:81]
	v_add_f64 v[78:79], v[82:83], -v[78:79]
	v_add_f64 v[78:79], v[80:81], -v[78:79]
	;; [unrolled: 1-line block ×4, first 2 shown]
	v_fma_f64 v[80:81], -v[76:77], v[86:87], 1.0
	v_fmac_f64_e32 v[86:87], v[80:81], v[86:87]
	v_fma_f64 v[80:81], -v[76:77], v[86:87], 1.0
	v_fmac_f64_e32 v[86:87], v[80:81], v[86:87]
	v_mul_f64 v[80:81], v[82:83], v[86:87]
	v_mul_f64 v[84:85], v[76:77], v[80:81]
	v_fma_f64 v[88:89], v[80:81], v[76:77], -v[84:85]
	v_fmac_f64_e32 v[88:89], v[80:81], v[74:75]
	v_add_f64 v[90:91], v[84:85], v[88:89]
	v_add_f64 v[92:93], v[82:83], -v[90:91]
	v_add_f64 v[82:83], v[82:83], -v[92:93]
	;; [unrolled: 1-line block ×4, first 2 shown]
	v_add_f64 v[78:79], v[78:79], v[82:83]
	v_add_f64 v[82:83], v[84:85], -v[88:89]
	v_add_f64 v[78:79], v[82:83], v[78:79]
	v_add_f64 v[82:83], v[92:93], v[78:79]
	v_add_f64 v[84:85], v[92:93], -v[82:83]
	v_add_f64 v[78:79], v[78:79], v[84:85]
	v_mul_f64 v[84:85], v[86:87], v[82:83]
	v_mul_f64 v[88:89], v[76:77], v[84:85]
	v_fma_f64 v[76:77], v[84:85], v[76:77], -v[88:89]
	v_fmac_f64_e32 v[76:77], v[84:85], v[74:75]
	v_add_f64 v[74:75], v[88:89], v[76:77]
	v_add_f64 v[90:91], v[82:83], -v[74:75]
	v_add_f64 v[82:83], v[82:83], -v[90:91]
	;; [unrolled: 1-line block ×4, first 2 shown]
	v_add_f64 v[74:75], v[78:79], v[74:75]
	v_add_f64 v[76:77], v[88:89], -v[76:77]
	v_add_f64 v[74:75], v[76:77], v[74:75]
	v_add_f64 v[76:77], v[80:81], v[84:85]
	;; [unrolled: 1-line block ×3, first 2 shown]
	v_add_f64 v[78:79], v[76:77], -v[80:81]
	v_mul_f64 v[74:75], v[86:87], v[74:75]
	v_add_f64 v[78:79], v[84:85], -v[78:79]
	v_add_f64 v[74:75], v[78:79], v[74:75]
	v_add_f64 v[78:79], v[76:77], v[74:75]
	v_add_f64 v[76:77], v[78:79], -v[76:77]
	s_mov_b32 s62, 0xbf559e2b
	v_add_f64 v[74:75], v[74:75], -v[76:77]
	v_mul_f64 v[76:77], v[78:79], v[78:79]
	v_mov_b32_e32 v80, 0x6b47b09a
	v_mov_b32_e32 v81, 0x3fc38538
	s_mov_b32 s63, 0x3fc3ab76
	v_fmac_f64_e32 v[80:81], s[62:63], v[76:77]
	v_mov_b32_e32 v82, 0xd7f4df2e
	v_mov_b32_e32 v83, 0x3fc7474d
	v_fmac_f64_e32 v[82:83], v[76:77], v[80:81]
	v_mov_b32_e32 v80, 0x16291751
	v_mov_b32_e32 v81, 0x3fcc71c0
	;; [unrolled: 3-line block ×5, first 2 shown]
	v_fmac_f64_e32 v[82:83], v[76:77], v[80:81]
	v_cvt_f64_i32_e32 v[80:81], v35
	v_mul_f64 v[84:85], v[80:81], s[70:71]
	v_fma_f64 v[86:87], v[80:81], s[70:71], -v[84:85]
	v_fmac_f64_e32 v[86:87], s[72:73], v[80:81]
	v_add_f64 v[80:81], v[84:85], v[86:87]
	v_add_f64 v[84:85], v[80:81], -v[84:85]
	v_mul_f64 v[76:77], v[78:79], v[76:77]
	v_add_f64 v[84:85], v[86:87], -v[84:85]
	v_ldexp_f64 v[86:87], v[78:79], 1
	v_mul_f64 v[76:77], v[76:77], v[82:83]
	v_add_f64 v[78:79], v[86:87], v[76:77]
	v_add_f64 v[82:83], v[78:79], -v[86:87]
	v_ldexp_f64 v[74:75], v[74:75], 1
	v_add_f64 v[76:77], v[76:77], -v[82:83]
	v_add_f64 v[74:75], v[74:75], v[76:77]
	v_add_f64 v[76:77], v[78:79], v[74:75]
	v_add_f64 v[78:79], v[76:77], -v[78:79]
	v_add_f64 v[74:75], v[74:75], -v[78:79]
	v_add_f64 v[78:79], v[80:81], v[76:77]
	v_add_f64 v[82:83], v[78:79], -v[80:81]
	v_add_f64 v[86:87], v[78:79], -v[82:83]
	;; [unrolled: 1-line block ×4, first 2 shown]
	v_add_f64 v[76:77], v[76:77], v[80:81]
	v_add_f64 v[80:81], v[84:85], v[74:75]
	v_add_f64 v[82:83], v[80:81], -v[84:85]
	v_add_f64 v[76:77], v[80:81], v[76:77]
	v_add_f64 v[86:87], v[80:81], -v[82:83]
	;; [unrolled: 2-line block ×3, first 2 shown]
	v_add_f64 v[74:75], v[74:75], -v[82:83]
	v_add_f64 v[78:79], v[80:81], -v[78:79]
	v_add_f64 v[74:75], v[74:75], v[84:85]
	v_add_f64 v[76:77], v[76:77], -v[78:79]
	s_mov_b32 s62, 0
	v_add_f64 v[74:75], v[74:75], v[76:77]
	s_mov_b32 s63, 0x7ff00000
	v_add_f64 v[74:75], v[80:81], v[74:75]
	v_cmp_eq_f64_e64 s[62:63], s[62:63], v[32:33]
	s_nop 1
	v_cndmask_b32_e64 v35, v74, v32, s[62:63]
	v_cndmask_b32_e64 v74, v75, v33, s[62:63]
	v_mov_b32_e32 v75, 0x7ff80000
	v_cmp_ngt_f64_e64 s[62:63], -1.0, v[32:33]
	s_nop 1
	v_cndmask_b32_e64 v75, v75, v74, s[62:63]
	v_cmp_nge_f64_e64 s[62:63], -1.0, v[32:33]
	s_nop 1
	v_cndmask_b32_e64 v74, 0, v35, s[62:63]
	v_mov_b32_e32 v35, 0xfff00000
	v_cmp_neq_f64_e64 s[62:63], -1.0, v[32:33]
	s_nop 1
	v_cndmask_b32_e64 v75, v35, v75, s[62:63]
	v_add_f64 v[32:33], v[30:31], v[74:75]
.LBB80_91:
	s_or_b64 exec, exec, s[66:67]
	v_cmp_eq_u32_e64 s[62:63], 0, v0
	; wave barrier
	s_nop 1
	v_cndmask_b32_e64 v33, v33, v73, s[62:63]
	v_cndmask_b32_e64 v32, v32, v72, s[62:63]
	ds_write_b64 v1, v[32:33]
	; wave barrier
	ds_read_b64 v[30:31], v1 offset:8
	v_max_f64 v[76:77], v[32:33], v[32:33]
	v_cmp_u_f64_e64 s[62:63], v[32:33], v[32:33]
	s_waitcnt lgkmcnt(0)
	v_max_f64 v[78:79], v[30:31], v[30:31]
	v_min_f64 v[74:75], v[76:77], v[78:79]
	v_cndmask_b32_e64 v35, v74, v32, s[62:63]
	v_cndmask_b32_e64 v74, v75, v33, s[62:63]
	v_cmp_u_f64_e64 s[64:65], v[30:31], v[30:31]
	v_max_f64 v[76:77], v[76:77], v[78:79]
	s_nop 0
	v_cndmask_b32_e64 v75, v74, v31, s[64:65]
	v_cndmask_b32_e64 v74, v35, v30, s[64:65]
	;; [unrolled: 1-line block ×6, first 2 shown]
	v_cmp_neq_f64_e64 s[62:63], v[74:75], v[30:31]
	v_cmp_class_f64_e64 s[64:65], v[74:75], s33
	s_or_b64 s[62:63], s[62:63], s[64:65]
	s_and_saveexec_b64 s[66:67], s[62:63]
	s_cbranch_execz .LBB80_93
; %bb.92:
	s_mov_b32 s62, 0x652b82fe
	v_add_f64 v[32:33], v[74:75], -v[30:31]
	s_mov_b32 s63, 0x3ff71547
	v_mul_f64 v[74:75], v[32:33], s[62:63]
	v_rndne_f64_e32 v[74:75], v[74:75]
	s_mov_b32 s71, 0xbfe62e42
	s_mov_b32 s70, 0xfefa39ef
	v_fma_f64 v[76:77], s[70:71], v[74:75], v[32:33]
	s_mov_b32 s73, 0xbc7abc9e
	s_mov_b32 s72, 0x3b39803f
	;; [unrolled: 1-line block ×3, first 2 shown]
	v_fmac_f64_e32 v[76:77], s[72:73], v[74:75]
	v_mov_b32_e32 v78, 0xfca7ab0c
	v_mov_b32_e32 v79, 0x3e928af3
	s_mov_b32 s63, 0x3e5ade15
	v_fmac_f64_e32 v[78:79], s[62:63], v[76:77]
	v_mov_b32_e32 v80, 0x623fde64
	v_mov_b32_e32 v81, 0x3ec71dee
	v_fmac_f64_e32 v[80:81], v[76:77], v[78:79]
	v_mov_b32_e32 v78, 0x7c89e6b0
	v_mov_b32_e32 v79, 0x3efa0199
	;; [unrolled: 3-line block ×8, first 2 shown]
	v_fmac_f64_e32 v[78:79], v[76:77], v[80:81]
	v_fma_f64 v[78:79], v[76:77], v[78:79], 1.0
	s_mov_b32 s62, 0
	s_mov_b32 s64, 0
	v_fma_f64 v[76:77], v[76:77], v[78:79], 1.0
	v_cvt_i32_f64_e32 v35, v[74:75]
	s_mov_b32 s63, 0x40900000
	s_mov_b32 s65, 0xc090cc00
	v_ldexp_f64 v[74:75], v[76:77], v35
	v_mov_b32_e32 v35, 0x7ff00000
	v_cmp_nlt_f64_e64 s[62:63], s[62:63], v[32:33]
	v_cmp_ngt_f64_e64 s[64:65], s[64:65], v[32:33]
	s_mov_b32 s71, 0x3fe62e42
	v_cndmask_b32_e64 v35, v35, v75, s[62:63]
	s_and_b64 s[62:63], s[64:65], s[62:63]
	v_cndmask_b32_e64 v33, 0, v35, s[64:65]
	v_cndmask_b32_e64 v32, 0, v74, s[62:63]
	v_add_f64 v[74:75], v[32:33], 1.0
	v_add_f64 v[76:77], v[74:75], -1.0
	v_add_f64 v[78:79], v[76:77], -v[74:75]
	v_add_f64 v[78:79], v[78:79], 1.0
	v_add_f64 v[76:77], v[32:33], -v[76:77]
	s_mov_b32 s62, 0x55555555
	v_add_f64 v[76:77], v[76:77], v[78:79]
	v_frexp_mant_f64_e32 v[78:79], v[74:75]
	s_mov_b32 s63, 0x3fe55555
	v_frexp_exp_i32_f64_e32 v35, v[74:75]
	v_cmp_gt_f64_e64 s[62:63], s[62:63], v[78:79]
	s_mov_b32 s73, 0x3c7abc9e
	s_nop 0
	v_subbrev_co_u32_e64 v35, s[62:63], 0, v35, s[62:63]
	v_sub_u32_e32 v78, 0, v35
	v_ldexp_f64 v[74:75], v[74:75], v78
	v_ldexp_f64 v[76:77], v[76:77], v78
	v_add_f64 v[78:79], v[74:75], -1.0
	v_add_f64 v[84:85], v[74:75], 1.0
	v_add_f64 v[80:81], v[78:79], 1.0
	v_add_f64 v[86:87], v[84:85], -1.0
	v_add_f64 v[80:81], v[74:75], -v[80:81]
	v_add_f64 v[74:75], v[74:75], -v[86:87]
	v_add_f64 v[74:75], v[76:77], v[74:75]
	v_add_f64 v[80:81], v[76:77], v[80:81]
	;; [unrolled: 1-line block ×3, first 2 shown]
	v_rcp_f64_e32 v[86:87], v[76:77]
	v_add_f64 v[82:83], v[78:79], v[80:81]
	v_add_f64 v[78:79], v[82:83], -v[78:79]
	v_add_f64 v[78:79], v[80:81], -v[78:79]
	;; [unrolled: 1-line block ×4, first 2 shown]
	v_fma_f64 v[80:81], -v[76:77], v[86:87], 1.0
	v_fmac_f64_e32 v[86:87], v[80:81], v[86:87]
	v_fma_f64 v[80:81], -v[76:77], v[86:87], 1.0
	v_fmac_f64_e32 v[86:87], v[80:81], v[86:87]
	v_mul_f64 v[80:81], v[82:83], v[86:87]
	v_mul_f64 v[84:85], v[76:77], v[80:81]
	v_fma_f64 v[88:89], v[80:81], v[76:77], -v[84:85]
	v_fmac_f64_e32 v[88:89], v[80:81], v[74:75]
	v_add_f64 v[90:91], v[84:85], v[88:89]
	v_add_f64 v[92:93], v[82:83], -v[90:91]
	v_add_f64 v[82:83], v[82:83], -v[92:93]
	;; [unrolled: 1-line block ×4, first 2 shown]
	v_add_f64 v[78:79], v[78:79], v[82:83]
	v_add_f64 v[82:83], v[84:85], -v[88:89]
	v_add_f64 v[78:79], v[82:83], v[78:79]
	v_add_f64 v[82:83], v[92:93], v[78:79]
	v_add_f64 v[84:85], v[92:93], -v[82:83]
	v_add_f64 v[78:79], v[78:79], v[84:85]
	v_mul_f64 v[84:85], v[86:87], v[82:83]
	v_mul_f64 v[88:89], v[76:77], v[84:85]
	v_fma_f64 v[76:77], v[84:85], v[76:77], -v[88:89]
	v_fmac_f64_e32 v[76:77], v[84:85], v[74:75]
	v_add_f64 v[74:75], v[88:89], v[76:77]
	v_add_f64 v[90:91], v[82:83], -v[74:75]
	v_add_f64 v[82:83], v[82:83], -v[90:91]
	;; [unrolled: 1-line block ×4, first 2 shown]
	v_add_f64 v[74:75], v[78:79], v[74:75]
	v_add_f64 v[76:77], v[88:89], -v[76:77]
	v_add_f64 v[74:75], v[76:77], v[74:75]
	v_add_f64 v[76:77], v[80:81], v[84:85]
	;; [unrolled: 1-line block ×3, first 2 shown]
	v_add_f64 v[78:79], v[76:77], -v[80:81]
	v_mul_f64 v[74:75], v[86:87], v[74:75]
	v_add_f64 v[78:79], v[84:85], -v[78:79]
	v_add_f64 v[74:75], v[78:79], v[74:75]
	v_add_f64 v[78:79], v[76:77], v[74:75]
	v_add_f64 v[76:77], v[78:79], -v[76:77]
	s_mov_b32 s62, 0xbf559e2b
	v_add_f64 v[74:75], v[74:75], -v[76:77]
	v_mul_f64 v[76:77], v[78:79], v[78:79]
	v_mov_b32_e32 v80, 0x6b47b09a
	v_mov_b32_e32 v81, 0x3fc38538
	s_mov_b32 s63, 0x3fc3ab76
	v_fmac_f64_e32 v[80:81], s[62:63], v[76:77]
	v_mov_b32_e32 v82, 0xd7f4df2e
	v_mov_b32_e32 v83, 0x3fc7474d
	v_fmac_f64_e32 v[82:83], v[76:77], v[80:81]
	v_mov_b32_e32 v80, 0x16291751
	v_mov_b32_e32 v81, 0x3fcc71c0
	;; [unrolled: 3-line block ×5, first 2 shown]
	v_fmac_f64_e32 v[82:83], v[76:77], v[80:81]
	v_cvt_f64_i32_e32 v[80:81], v35
	v_mul_f64 v[84:85], v[80:81], s[70:71]
	v_fma_f64 v[86:87], v[80:81], s[70:71], -v[84:85]
	v_fmac_f64_e32 v[86:87], s[72:73], v[80:81]
	v_add_f64 v[80:81], v[84:85], v[86:87]
	v_add_f64 v[84:85], v[80:81], -v[84:85]
	v_mul_f64 v[76:77], v[78:79], v[76:77]
	v_add_f64 v[84:85], v[86:87], -v[84:85]
	v_ldexp_f64 v[86:87], v[78:79], 1
	v_mul_f64 v[76:77], v[76:77], v[82:83]
	v_add_f64 v[78:79], v[86:87], v[76:77]
	v_add_f64 v[82:83], v[78:79], -v[86:87]
	v_ldexp_f64 v[74:75], v[74:75], 1
	v_add_f64 v[76:77], v[76:77], -v[82:83]
	v_add_f64 v[74:75], v[74:75], v[76:77]
	v_add_f64 v[76:77], v[78:79], v[74:75]
	v_add_f64 v[78:79], v[76:77], -v[78:79]
	v_add_f64 v[74:75], v[74:75], -v[78:79]
	v_add_f64 v[78:79], v[80:81], v[76:77]
	v_add_f64 v[82:83], v[78:79], -v[80:81]
	v_add_f64 v[86:87], v[78:79], -v[82:83]
	;; [unrolled: 1-line block ×4, first 2 shown]
	v_add_f64 v[76:77], v[76:77], v[80:81]
	v_add_f64 v[80:81], v[84:85], v[74:75]
	v_add_f64 v[82:83], v[80:81], -v[84:85]
	v_add_f64 v[76:77], v[80:81], v[76:77]
	v_add_f64 v[86:87], v[80:81], -v[82:83]
	;; [unrolled: 2-line block ×3, first 2 shown]
	v_add_f64 v[74:75], v[74:75], -v[82:83]
	v_add_f64 v[78:79], v[80:81], -v[78:79]
	v_add_f64 v[74:75], v[74:75], v[84:85]
	v_add_f64 v[76:77], v[76:77], -v[78:79]
	s_mov_b32 s62, 0
	v_add_f64 v[74:75], v[74:75], v[76:77]
	s_mov_b32 s63, 0x7ff00000
	v_add_f64 v[74:75], v[80:81], v[74:75]
	v_cmp_eq_f64_e64 s[62:63], s[62:63], v[32:33]
	s_nop 1
	v_cndmask_b32_e64 v35, v74, v32, s[62:63]
	v_cndmask_b32_e64 v74, v75, v33, s[62:63]
	v_mov_b32_e32 v75, 0x7ff80000
	v_cmp_ngt_f64_e64 s[62:63], -1.0, v[32:33]
	s_nop 1
	v_cndmask_b32_e64 v75, v75, v74, s[62:63]
	v_cmp_nge_f64_e64 s[62:63], -1.0, v[32:33]
	s_nop 1
	v_cndmask_b32_e64 v74, 0, v35, s[62:63]
	v_mov_b32_e32 v35, 0xfff00000
	v_cmp_neq_f64_e64 s[62:63], -1.0, v[32:33]
	s_nop 1
	v_cndmask_b32_e64 v75, v35, v75, s[62:63]
	v_add_f64 v[32:33], v[30:31], v[74:75]
.LBB80_93:
	s_or_b64 exec, exec, s[66:67]
	ds_read_b64 v[30:31], v1 offset:16
	v_max_f64 v[76:77], v[32:33], v[32:33]
	v_cmp_u_f64_e64 s[62:63], v[32:33], v[32:33]
	ds_write_b64 v1, v[32:33] offset:8
	s_waitcnt lgkmcnt(1)
	v_max_f64 v[78:79], v[30:31], v[30:31]
	v_min_f64 v[74:75], v[76:77], v[78:79]
	v_cndmask_b32_e64 v35, v74, v32, s[62:63]
	v_cndmask_b32_e64 v74, v75, v33, s[62:63]
	v_cmp_u_f64_e64 s[64:65], v[30:31], v[30:31]
	v_max_f64 v[76:77], v[76:77], v[78:79]
	s_nop 0
	v_cndmask_b32_e64 v75, v74, v31, s[64:65]
	v_cndmask_b32_e64 v74, v35, v30, s[64:65]
	;; [unrolled: 1-line block ×6, first 2 shown]
	v_cmp_neq_f64_e64 s[62:63], v[74:75], v[30:31]
	v_cmp_class_f64_e64 s[64:65], v[74:75], s33
	s_or_b64 s[62:63], s[62:63], s[64:65]
	s_and_saveexec_b64 s[66:67], s[62:63]
	s_cbranch_execz .LBB80_95
; %bb.94:
	s_mov_b32 s62, 0x652b82fe
	v_add_f64 v[32:33], v[74:75], -v[30:31]
	s_mov_b32 s63, 0x3ff71547
	v_mul_f64 v[74:75], v[32:33], s[62:63]
	v_rndne_f64_e32 v[74:75], v[74:75]
	s_mov_b32 s71, 0xbfe62e42
	s_mov_b32 s70, 0xfefa39ef
	v_fma_f64 v[76:77], s[70:71], v[74:75], v[32:33]
	s_mov_b32 s73, 0xbc7abc9e
	s_mov_b32 s72, 0x3b39803f
	;; [unrolled: 1-line block ×3, first 2 shown]
	v_fmac_f64_e32 v[76:77], s[72:73], v[74:75]
	v_mov_b32_e32 v78, 0xfca7ab0c
	v_mov_b32_e32 v79, 0x3e928af3
	s_mov_b32 s63, 0x3e5ade15
	v_fmac_f64_e32 v[78:79], s[62:63], v[76:77]
	v_mov_b32_e32 v80, 0x623fde64
	v_mov_b32_e32 v81, 0x3ec71dee
	v_fmac_f64_e32 v[80:81], v[76:77], v[78:79]
	v_mov_b32_e32 v78, 0x7c89e6b0
	v_mov_b32_e32 v79, 0x3efa0199
	;; [unrolled: 3-line block ×8, first 2 shown]
	v_fmac_f64_e32 v[78:79], v[76:77], v[80:81]
	v_fma_f64 v[78:79], v[76:77], v[78:79], 1.0
	s_mov_b32 s62, 0
	s_mov_b32 s64, 0
	v_fma_f64 v[76:77], v[76:77], v[78:79], 1.0
	v_cvt_i32_f64_e32 v35, v[74:75]
	s_mov_b32 s63, 0x40900000
	s_mov_b32 s65, 0xc090cc00
	v_ldexp_f64 v[74:75], v[76:77], v35
	v_mov_b32_e32 v35, 0x7ff00000
	v_cmp_nlt_f64_e64 s[62:63], s[62:63], v[32:33]
	v_cmp_ngt_f64_e64 s[64:65], s[64:65], v[32:33]
	s_mov_b32 s71, 0x3fe62e42
	v_cndmask_b32_e64 v35, v35, v75, s[62:63]
	s_and_b64 s[62:63], s[64:65], s[62:63]
	v_cndmask_b32_e64 v33, 0, v35, s[64:65]
	v_cndmask_b32_e64 v32, 0, v74, s[62:63]
	v_add_f64 v[74:75], v[32:33], 1.0
	v_add_f64 v[76:77], v[74:75], -1.0
	v_add_f64 v[78:79], v[76:77], -v[74:75]
	v_add_f64 v[78:79], v[78:79], 1.0
	v_add_f64 v[76:77], v[32:33], -v[76:77]
	s_mov_b32 s62, 0x55555555
	v_add_f64 v[76:77], v[76:77], v[78:79]
	v_frexp_mant_f64_e32 v[78:79], v[74:75]
	s_mov_b32 s63, 0x3fe55555
	v_frexp_exp_i32_f64_e32 v35, v[74:75]
	v_cmp_gt_f64_e64 s[62:63], s[62:63], v[78:79]
	s_mov_b32 s73, 0x3c7abc9e
	s_nop 0
	v_subbrev_co_u32_e64 v35, s[62:63], 0, v35, s[62:63]
	v_sub_u32_e32 v78, 0, v35
	v_ldexp_f64 v[74:75], v[74:75], v78
	v_ldexp_f64 v[76:77], v[76:77], v78
	v_add_f64 v[78:79], v[74:75], -1.0
	v_add_f64 v[84:85], v[74:75], 1.0
	v_add_f64 v[80:81], v[78:79], 1.0
	v_add_f64 v[86:87], v[84:85], -1.0
	v_add_f64 v[80:81], v[74:75], -v[80:81]
	v_add_f64 v[74:75], v[74:75], -v[86:87]
	v_add_f64 v[74:75], v[76:77], v[74:75]
	v_add_f64 v[80:81], v[76:77], v[80:81]
	v_add_f64 v[76:77], v[84:85], v[74:75]
	v_rcp_f64_e32 v[86:87], v[76:77]
	v_add_f64 v[82:83], v[78:79], v[80:81]
	v_add_f64 v[78:79], v[82:83], -v[78:79]
	v_add_f64 v[78:79], v[80:81], -v[78:79]
	;; [unrolled: 1-line block ×4, first 2 shown]
	v_fma_f64 v[80:81], -v[76:77], v[86:87], 1.0
	v_fmac_f64_e32 v[86:87], v[80:81], v[86:87]
	v_fma_f64 v[80:81], -v[76:77], v[86:87], 1.0
	v_fmac_f64_e32 v[86:87], v[80:81], v[86:87]
	v_mul_f64 v[80:81], v[82:83], v[86:87]
	v_mul_f64 v[84:85], v[76:77], v[80:81]
	v_fma_f64 v[88:89], v[80:81], v[76:77], -v[84:85]
	v_fmac_f64_e32 v[88:89], v[80:81], v[74:75]
	v_add_f64 v[90:91], v[84:85], v[88:89]
	v_add_f64 v[92:93], v[82:83], -v[90:91]
	v_add_f64 v[82:83], v[82:83], -v[92:93]
	v_add_f64 v[84:85], v[90:91], -v[84:85]
	v_add_f64 v[82:83], v[82:83], -v[90:91]
	v_add_f64 v[78:79], v[78:79], v[82:83]
	v_add_f64 v[82:83], v[84:85], -v[88:89]
	v_add_f64 v[78:79], v[82:83], v[78:79]
	v_add_f64 v[82:83], v[92:93], v[78:79]
	v_add_f64 v[84:85], v[92:93], -v[82:83]
	v_add_f64 v[78:79], v[78:79], v[84:85]
	v_mul_f64 v[84:85], v[86:87], v[82:83]
	v_mul_f64 v[88:89], v[76:77], v[84:85]
	v_fma_f64 v[76:77], v[84:85], v[76:77], -v[88:89]
	v_fmac_f64_e32 v[76:77], v[84:85], v[74:75]
	v_add_f64 v[74:75], v[88:89], v[76:77]
	v_add_f64 v[90:91], v[82:83], -v[74:75]
	v_add_f64 v[82:83], v[82:83], -v[90:91]
	;; [unrolled: 1-line block ×4, first 2 shown]
	v_add_f64 v[74:75], v[78:79], v[74:75]
	v_add_f64 v[76:77], v[88:89], -v[76:77]
	v_add_f64 v[74:75], v[76:77], v[74:75]
	v_add_f64 v[76:77], v[80:81], v[84:85]
	;; [unrolled: 1-line block ×3, first 2 shown]
	v_add_f64 v[78:79], v[76:77], -v[80:81]
	v_mul_f64 v[74:75], v[86:87], v[74:75]
	v_add_f64 v[78:79], v[84:85], -v[78:79]
	v_add_f64 v[74:75], v[78:79], v[74:75]
	v_add_f64 v[78:79], v[76:77], v[74:75]
	v_add_f64 v[76:77], v[78:79], -v[76:77]
	s_mov_b32 s62, 0xbf559e2b
	v_add_f64 v[74:75], v[74:75], -v[76:77]
	v_mul_f64 v[76:77], v[78:79], v[78:79]
	v_mov_b32_e32 v80, 0x6b47b09a
	v_mov_b32_e32 v81, 0x3fc38538
	s_mov_b32 s63, 0x3fc3ab76
	v_fmac_f64_e32 v[80:81], s[62:63], v[76:77]
	v_mov_b32_e32 v82, 0xd7f4df2e
	v_mov_b32_e32 v83, 0x3fc7474d
	v_fmac_f64_e32 v[82:83], v[76:77], v[80:81]
	v_mov_b32_e32 v80, 0x16291751
	v_mov_b32_e32 v81, 0x3fcc71c0
	;; [unrolled: 3-line block ×5, first 2 shown]
	v_fmac_f64_e32 v[82:83], v[76:77], v[80:81]
	v_cvt_f64_i32_e32 v[80:81], v35
	v_mul_f64 v[84:85], v[80:81], s[70:71]
	v_fma_f64 v[86:87], v[80:81], s[70:71], -v[84:85]
	v_fmac_f64_e32 v[86:87], s[72:73], v[80:81]
	v_add_f64 v[80:81], v[84:85], v[86:87]
	v_add_f64 v[84:85], v[80:81], -v[84:85]
	v_mul_f64 v[76:77], v[78:79], v[76:77]
	v_add_f64 v[84:85], v[86:87], -v[84:85]
	v_ldexp_f64 v[86:87], v[78:79], 1
	v_mul_f64 v[76:77], v[76:77], v[82:83]
	v_add_f64 v[78:79], v[86:87], v[76:77]
	v_add_f64 v[82:83], v[78:79], -v[86:87]
	v_ldexp_f64 v[74:75], v[74:75], 1
	v_add_f64 v[76:77], v[76:77], -v[82:83]
	v_add_f64 v[74:75], v[74:75], v[76:77]
	v_add_f64 v[76:77], v[78:79], v[74:75]
	v_add_f64 v[78:79], v[76:77], -v[78:79]
	v_add_f64 v[74:75], v[74:75], -v[78:79]
	v_add_f64 v[78:79], v[80:81], v[76:77]
	v_add_f64 v[82:83], v[78:79], -v[80:81]
	v_add_f64 v[86:87], v[78:79], -v[82:83]
	;; [unrolled: 1-line block ×4, first 2 shown]
	v_add_f64 v[76:77], v[76:77], v[80:81]
	v_add_f64 v[80:81], v[84:85], v[74:75]
	v_add_f64 v[82:83], v[80:81], -v[84:85]
	v_add_f64 v[76:77], v[80:81], v[76:77]
	v_add_f64 v[86:87], v[80:81], -v[82:83]
	;; [unrolled: 2-line block ×3, first 2 shown]
	v_add_f64 v[74:75], v[74:75], -v[82:83]
	v_add_f64 v[78:79], v[80:81], -v[78:79]
	v_add_f64 v[74:75], v[74:75], v[84:85]
	v_add_f64 v[76:77], v[76:77], -v[78:79]
	s_mov_b32 s62, 0
	v_add_f64 v[74:75], v[74:75], v[76:77]
	s_mov_b32 s63, 0x7ff00000
	v_add_f64 v[74:75], v[80:81], v[74:75]
	v_cmp_eq_f64_e64 s[62:63], s[62:63], v[32:33]
	s_nop 1
	v_cndmask_b32_e64 v35, v74, v32, s[62:63]
	v_cndmask_b32_e64 v74, v75, v33, s[62:63]
	v_mov_b32_e32 v75, 0x7ff80000
	v_cmp_ngt_f64_e64 s[62:63], -1.0, v[32:33]
	s_nop 1
	v_cndmask_b32_e64 v75, v75, v74, s[62:63]
	v_cmp_nge_f64_e64 s[62:63], -1.0, v[32:33]
	s_nop 1
	v_cndmask_b32_e64 v74, 0, v35, s[62:63]
	v_mov_b32_e32 v35, 0xfff00000
	v_cmp_neq_f64_e64 s[62:63], -1.0, v[32:33]
	s_nop 1
	v_cndmask_b32_e64 v75, v35, v75, s[62:63]
	v_add_f64 v[32:33], v[30:31], v[74:75]
.LBB80_95:
	s_or_b64 exec, exec, s[66:67]
	ds_read_b64 v[30:31], v1 offset:24
	v_max_f64 v[76:77], v[32:33], v[32:33]
	v_cmp_u_f64_e64 s[62:63], v[32:33], v[32:33]
	ds_write_b64 v1, v[32:33] offset:16
	s_waitcnt lgkmcnt(1)
	v_max_f64 v[78:79], v[30:31], v[30:31]
	v_min_f64 v[74:75], v[76:77], v[78:79]
	v_cndmask_b32_e64 v35, v74, v32, s[62:63]
	v_cndmask_b32_e64 v74, v75, v33, s[62:63]
	v_cmp_u_f64_e64 s[64:65], v[30:31], v[30:31]
	v_max_f64 v[76:77], v[76:77], v[78:79]
	s_nop 0
	v_cndmask_b32_e64 v75, v74, v31, s[64:65]
	v_cndmask_b32_e64 v74, v35, v30, s[64:65]
	v_cndmask_b32_e64 v35, v76, v32, s[62:63]
	v_cndmask_b32_e64 v76, v77, v33, s[62:63]
	v_cndmask_b32_e64 v31, v76, v31, s[64:65]
	v_cndmask_b32_e64 v30, v35, v30, s[64:65]
	v_cmp_neq_f64_e64 s[62:63], v[74:75], v[30:31]
	v_cmp_class_f64_e64 s[64:65], v[74:75], s33
	s_or_b64 s[62:63], s[62:63], s[64:65]
	s_and_saveexec_b64 s[66:67], s[62:63]
	s_cbranch_execz .LBB80_97
; %bb.96:
	s_mov_b32 s62, 0x652b82fe
	v_add_f64 v[32:33], v[74:75], -v[30:31]
	s_mov_b32 s63, 0x3ff71547
	v_mul_f64 v[74:75], v[32:33], s[62:63]
	v_rndne_f64_e32 v[74:75], v[74:75]
	s_mov_b32 s71, 0xbfe62e42
	s_mov_b32 s70, 0xfefa39ef
	v_fma_f64 v[76:77], s[70:71], v[74:75], v[32:33]
	s_mov_b32 s73, 0xbc7abc9e
	s_mov_b32 s72, 0x3b39803f
	;; [unrolled: 1-line block ×3, first 2 shown]
	v_fmac_f64_e32 v[76:77], s[72:73], v[74:75]
	v_mov_b32_e32 v78, 0xfca7ab0c
	v_mov_b32_e32 v79, 0x3e928af3
	s_mov_b32 s63, 0x3e5ade15
	v_fmac_f64_e32 v[78:79], s[62:63], v[76:77]
	v_mov_b32_e32 v80, 0x623fde64
	v_mov_b32_e32 v81, 0x3ec71dee
	v_fmac_f64_e32 v[80:81], v[76:77], v[78:79]
	v_mov_b32_e32 v78, 0x7c89e6b0
	v_mov_b32_e32 v79, 0x3efa0199
	;; [unrolled: 3-line block ×8, first 2 shown]
	v_fmac_f64_e32 v[78:79], v[76:77], v[80:81]
	v_fma_f64 v[78:79], v[76:77], v[78:79], 1.0
	s_mov_b32 s62, 0
	s_mov_b32 s64, 0
	v_fma_f64 v[76:77], v[76:77], v[78:79], 1.0
	v_cvt_i32_f64_e32 v35, v[74:75]
	s_mov_b32 s63, 0x40900000
	s_mov_b32 s65, 0xc090cc00
	v_ldexp_f64 v[74:75], v[76:77], v35
	v_mov_b32_e32 v35, 0x7ff00000
	v_cmp_nlt_f64_e64 s[62:63], s[62:63], v[32:33]
	v_cmp_ngt_f64_e64 s[64:65], s[64:65], v[32:33]
	s_mov_b32 s71, 0x3fe62e42
	v_cndmask_b32_e64 v35, v35, v75, s[62:63]
	s_and_b64 s[62:63], s[64:65], s[62:63]
	v_cndmask_b32_e64 v33, 0, v35, s[64:65]
	v_cndmask_b32_e64 v32, 0, v74, s[62:63]
	v_add_f64 v[74:75], v[32:33], 1.0
	v_add_f64 v[76:77], v[74:75], -1.0
	v_add_f64 v[78:79], v[76:77], -v[74:75]
	v_add_f64 v[78:79], v[78:79], 1.0
	v_add_f64 v[76:77], v[32:33], -v[76:77]
	s_mov_b32 s62, 0x55555555
	v_add_f64 v[76:77], v[76:77], v[78:79]
	v_frexp_mant_f64_e32 v[78:79], v[74:75]
	s_mov_b32 s63, 0x3fe55555
	v_frexp_exp_i32_f64_e32 v35, v[74:75]
	v_cmp_gt_f64_e64 s[62:63], s[62:63], v[78:79]
	s_mov_b32 s73, 0x3c7abc9e
	s_nop 0
	v_subbrev_co_u32_e64 v35, s[62:63], 0, v35, s[62:63]
	v_sub_u32_e32 v78, 0, v35
	v_ldexp_f64 v[74:75], v[74:75], v78
	v_ldexp_f64 v[76:77], v[76:77], v78
	v_add_f64 v[78:79], v[74:75], -1.0
	v_add_f64 v[84:85], v[74:75], 1.0
	v_add_f64 v[80:81], v[78:79], 1.0
	v_add_f64 v[86:87], v[84:85], -1.0
	v_add_f64 v[80:81], v[74:75], -v[80:81]
	v_add_f64 v[74:75], v[74:75], -v[86:87]
	v_add_f64 v[74:75], v[76:77], v[74:75]
	v_add_f64 v[80:81], v[76:77], v[80:81]
	;; [unrolled: 1-line block ×3, first 2 shown]
	v_rcp_f64_e32 v[86:87], v[76:77]
	v_add_f64 v[82:83], v[78:79], v[80:81]
	v_add_f64 v[78:79], v[82:83], -v[78:79]
	v_add_f64 v[78:79], v[80:81], -v[78:79]
	;; [unrolled: 1-line block ×4, first 2 shown]
	v_fma_f64 v[80:81], -v[76:77], v[86:87], 1.0
	v_fmac_f64_e32 v[86:87], v[80:81], v[86:87]
	v_fma_f64 v[80:81], -v[76:77], v[86:87], 1.0
	v_fmac_f64_e32 v[86:87], v[80:81], v[86:87]
	v_mul_f64 v[80:81], v[82:83], v[86:87]
	v_mul_f64 v[84:85], v[76:77], v[80:81]
	v_fma_f64 v[88:89], v[80:81], v[76:77], -v[84:85]
	v_fmac_f64_e32 v[88:89], v[80:81], v[74:75]
	v_add_f64 v[90:91], v[84:85], v[88:89]
	v_add_f64 v[92:93], v[82:83], -v[90:91]
	v_add_f64 v[82:83], v[82:83], -v[92:93]
	;; [unrolled: 1-line block ×4, first 2 shown]
	v_add_f64 v[78:79], v[78:79], v[82:83]
	v_add_f64 v[82:83], v[84:85], -v[88:89]
	v_add_f64 v[78:79], v[82:83], v[78:79]
	v_add_f64 v[82:83], v[92:93], v[78:79]
	v_add_f64 v[84:85], v[92:93], -v[82:83]
	v_add_f64 v[78:79], v[78:79], v[84:85]
	v_mul_f64 v[84:85], v[86:87], v[82:83]
	v_mul_f64 v[88:89], v[76:77], v[84:85]
	v_fma_f64 v[76:77], v[84:85], v[76:77], -v[88:89]
	v_fmac_f64_e32 v[76:77], v[84:85], v[74:75]
	v_add_f64 v[74:75], v[88:89], v[76:77]
	v_add_f64 v[90:91], v[82:83], -v[74:75]
	v_add_f64 v[82:83], v[82:83], -v[90:91]
	;; [unrolled: 1-line block ×4, first 2 shown]
	v_add_f64 v[74:75], v[78:79], v[74:75]
	v_add_f64 v[76:77], v[88:89], -v[76:77]
	v_add_f64 v[74:75], v[76:77], v[74:75]
	v_add_f64 v[76:77], v[80:81], v[84:85]
	;; [unrolled: 1-line block ×3, first 2 shown]
	v_add_f64 v[78:79], v[76:77], -v[80:81]
	v_mul_f64 v[74:75], v[86:87], v[74:75]
	v_add_f64 v[78:79], v[84:85], -v[78:79]
	v_add_f64 v[74:75], v[78:79], v[74:75]
	v_add_f64 v[78:79], v[76:77], v[74:75]
	v_add_f64 v[76:77], v[78:79], -v[76:77]
	s_mov_b32 s62, 0xbf559e2b
	v_add_f64 v[74:75], v[74:75], -v[76:77]
	v_mul_f64 v[76:77], v[78:79], v[78:79]
	v_mov_b32_e32 v80, 0x6b47b09a
	v_mov_b32_e32 v81, 0x3fc38538
	s_mov_b32 s63, 0x3fc3ab76
	v_fmac_f64_e32 v[80:81], s[62:63], v[76:77]
	v_mov_b32_e32 v82, 0xd7f4df2e
	v_mov_b32_e32 v83, 0x3fc7474d
	v_fmac_f64_e32 v[82:83], v[76:77], v[80:81]
	v_mov_b32_e32 v80, 0x16291751
	v_mov_b32_e32 v81, 0x3fcc71c0
	;; [unrolled: 3-line block ×5, first 2 shown]
	v_fmac_f64_e32 v[82:83], v[76:77], v[80:81]
	v_cvt_f64_i32_e32 v[80:81], v35
	v_mul_f64 v[84:85], v[80:81], s[70:71]
	v_fma_f64 v[86:87], v[80:81], s[70:71], -v[84:85]
	v_fmac_f64_e32 v[86:87], s[72:73], v[80:81]
	v_add_f64 v[80:81], v[84:85], v[86:87]
	v_add_f64 v[84:85], v[80:81], -v[84:85]
	v_mul_f64 v[76:77], v[78:79], v[76:77]
	v_add_f64 v[84:85], v[86:87], -v[84:85]
	v_ldexp_f64 v[86:87], v[78:79], 1
	v_mul_f64 v[76:77], v[76:77], v[82:83]
	v_add_f64 v[78:79], v[86:87], v[76:77]
	v_add_f64 v[82:83], v[78:79], -v[86:87]
	v_ldexp_f64 v[74:75], v[74:75], 1
	v_add_f64 v[76:77], v[76:77], -v[82:83]
	v_add_f64 v[74:75], v[74:75], v[76:77]
	v_add_f64 v[76:77], v[78:79], v[74:75]
	v_add_f64 v[78:79], v[76:77], -v[78:79]
	v_add_f64 v[74:75], v[74:75], -v[78:79]
	v_add_f64 v[78:79], v[80:81], v[76:77]
	v_add_f64 v[82:83], v[78:79], -v[80:81]
	v_add_f64 v[86:87], v[78:79], -v[82:83]
	;; [unrolled: 1-line block ×4, first 2 shown]
	v_add_f64 v[76:77], v[76:77], v[80:81]
	v_add_f64 v[80:81], v[84:85], v[74:75]
	v_add_f64 v[82:83], v[80:81], -v[84:85]
	v_add_f64 v[76:77], v[80:81], v[76:77]
	v_add_f64 v[86:87], v[80:81], -v[82:83]
	;; [unrolled: 2-line block ×3, first 2 shown]
	v_add_f64 v[74:75], v[74:75], -v[82:83]
	v_add_f64 v[78:79], v[80:81], -v[78:79]
	v_add_f64 v[74:75], v[74:75], v[84:85]
	v_add_f64 v[76:77], v[76:77], -v[78:79]
	s_mov_b32 s62, 0
	v_add_f64 v[74:75], v[74:75], v[76:77]
	s_mov_b32 s63, 0x7ff00000
	v_add_f64 v[74:75], v[80:81], v[74:75]
	v_cmp_eq_f64_e64 s[62:63], s[62:63], v[32:33]
	s_nop 1
	v_cndmask_b32_e64 v35, v74, v32, s[62:63]
	v_cndmask_b32_e64 v74, v75, v33, s[62:63]
	v_mov_b32_e32 v75, 0x7ff80000
	v_cmp_ngt_f64_e64 s[62:63], -1.0, v[32:33]
	s_nop 1
	v_cndmask_b32_e64 v75, v75, v74, s[62:63]
	v_cmp_nge_f64_e64 s[62:63], -1.0, v[32:33]
	s_nop 1
	v_cndmask_b32_e64 v74, 0, v35, s[62:63]
	v_mov_b32_e32 v35, 0xfff00000
	v_cmp_neq_f64_e64 s[62:63], -1.0, v[32:33]
	s_nop 1
	v_cndmask_b32_e64 v75, v35, v75, s[62:63]
	v_add_f64 v[32:33], v[30:31], v[74:75]
.LBB80_97:
	s_or_b64 exec, exec, s[66:67]
	ds_write_b64 v1, v[32:33] offset:24
.LBB80_98:
	s_or_b64 exec, exec, s[68:69]
	s_load_dwordx2 s[62:63], s[0:1], 0x20
	v_mul_u32_u24_e32 v35, 0x70, v0
	v_cmp_ne_u32_e64 s[0:1], 0, v0
	s_waitcnt lgkmcnt(0)
	s_barrier
	s_and_saveexec_b64 s[64:65], s[0:1]
	s_cbranch_execz .LBB80_100
; %bb.99:
	v_add_u32_e32 v0, -1, v0
	v_lshrrev_b32_e32 v1, 5, v0
	v_add_lshl_u32 v0, v1, v0, 3
	ds_read_b64 v[72:73], v0
.LBB80_100:
	s_or_b64 exec, exec, s[64:65]
	s_and_saveexec_b64 s[64:65], s[0:1]
	s_cbranch_execz .LBB80_104
; %bb.101:
	s_waitcnt lgkmcnt(0)
	v_max_f64 v[0:1], v[72:73], v[72:73]
	v_min_f64 v[30:31], v[0:1], v[68:69]
	v_cmp_u_f64_e64 s[0:1], v[72:73], v[72:73]
	v_max_f64 v[0:1], v[0:1], v[68:69]
	s_nop 0
	v_cndmask_b32_e64 v30, v30, v72, s[0:1]
	v_cndmask_b32_e64 v31, v31, v73, s[0:1]
	;; [unrolled: 1-line block ×8, first 2 shown]
	v_cmp_neq_f64_e64 s[0:1], v[30:31], v[0:1]
	v_cmp_class_f64_e64 s[60:61], v[30:31], s33
	s_or_b64 s[0:1], s[0:1], s[60:61]
	s_and_saveexec_b64 s[66:67], s[0:1]
	s_cbranch_execz .LBB80_103
; %bb.102:
	s_mov_b32 s0, 0x652b82fe
	v_add_f64 v[2:3], v[30:31], -v[0:1]
	s_mov_b32 s1, 0x3ff71547
	v_mul_f64 v[30:31], v[2:3], s[0:1]
	v_rndne_f64_e32 v[30:31], v[30:31]
	s_mov_b32 s69, 0xbfe62e42
	s_mov_b32 s68, 0xfefa39ef
	v_fma_f64 v[32:33], s[68:69], v[30:31], v[2:3]
	s_mov_b32 s71, 0xbc7abc9e
	s_mov_b32 s70, 0x3b39803f
	s_mov_b32 s0, 0x6a5dcb37
	v_fmac_f64_e32 v[32:33], s[70:71], v[30:31]
	v_mov_b32_e32 v66, 0xfca7ab0c
	v_mov_b32_e32 v67, 0x3e928af3
	s_mov_b32 s1, 0x3e5ade15
	v_fmac_f64_e32 v[66:67], s[0:1], v[32:33]
	v_mov_b32_e32 v68, 0x623fde64
	v_mov_b32_e32 v69, 0x3ec71dee
	v_fmac_f64_e32 v[68:69], v[32:33], v[66:67]
	v_mov_b32_e32 v66, 0x7c89e6b0
	v_mov_b32_e32 v67, 0x3efa0199
	v_fmac_f64_e32 v[66:67], v[32:33], v[68:69]
	v_mov_b32_e32 v68, 0x14761f6e
	v_mov_b32_e32 v69, 0x3f2a01a0
	v_fmac_f64_e32 v[68:69], v[32:33], v[66:67]
	v_mov_b32_e32 v66, 0x1852b7b0
	v_mov_b32_e32 v67, 0x3f56c16c
	v_fmac_f64_e32 v[66:67], v[32:33], v[68:69]
	v_mov_b32_e32 v68, 0x11122322
	v_mov_b32_e32 v69, 0x3f811111
	v_fmac_f64_e32 v[68:69], v[32:33], v[66:67]
	v_mov_b32_e32 v66, 0x555502a1
	v_mov_b32_e32 v67, 0x3fa55555
	v_fmac_f64_e32 v[66:67], v[32:33], v[68:69]
	v_mov_b32_e32 v68, 0x55555511
	v_mov_b32_e32 v69, 0x3fc55555
	v_fmac_f64_e32 v[68:69], v[32:33], v[66:67]
	v_mov_b32_e32 v66, 11
	v_mov_b32_e32 v67, 0x3fe00000
	v_fmac_f64_e32 v[66:67], v[32:33], v[68:69]
	v_fma_f64 v[66:67], v[32:33], v[66:67], 1.0
	s_mov_b32 s0, 0
	s_mov_b32 s60, 0
	v_fma_f64 v[32:33], v[32:33], v[66:67], 1.0
	v_cvt_i32_f64_e32 v30, v[30:31]
	s_mov_b32 s1, 0x40900000
	s_mov_b32 s61, 0xc090cc00
	v_ldexp_f64 v[30:31], v[32:33], v30
	v_mov_b32_e32 v32, 0x7ff00000
	v_cmp_nlt_f64_e64 s[0:1], s[0:1], v[2:3]
	v_cmp_ngt_f64_e64 s[60:61], s[60:61], v[2:3]
	s_mov_b32 s69, 0x3fe62e42
	v_cndmask_b32_e64 v31, v32, v31, s[0:1]
	s_and_b64 s[0:1], s[60:61], s[0:1]
	v_cndmask_b32_e64 v3, 0, v31, s[60:61]
	v_cndmask_b32_e64 v2, 0, v30, s[0:1]
	v_add_f64 v[30:31], v[2:3], 1.0
	v_add_f64 v[32:33], v[30:31], -1.0
	v_add_f64 v[66:67], v[32:33], -v[30:31]
	v_add_f64 v[66:67], v[66:67], 1.0
	v_add_f64 v[32:33], v[2:3], -v[32:33]
	s_mov_b32 s0, 0x55555555
	v_add_f64 v[32:33], v[32:33], v[66:67]
	v_frexp_mant_f64_e32 v[66:67], v[30:31]
	s_mov_b32 s1, 0x3fe55555
	v_frexp_exp_i32_f64_e32 v68, v[30:31]
	v_cmp_gt_f64_e64 s[0:1], s[0:1], v[66:67]
	s_mov_b32 s71, 0x3c7abc9e
	s_nop 0
	v_subbrev_co_u32_e64 v82, s[0:1], 0, v68, s[0:1]
	v_sub_u32_e32 v66, 0, v82
	v_ldexp_f64 v[30:31], v[30:31], v66
	v_ldexp_f64 v[32:33], v[32:33], v66
	v_add_f64 v[66:67], v[30:31], -1.0
	v_add_f64 v[72:73], v[30:31], 1.0
	v_add_f64 v[68:69], v[66:67], 1.0
	v_add_f64 v[74:75], v[72:73], -1.0
	v_add_f64 v[68:69], v[30:31], -v[68:69]
	v_add_f64 v[30:31], v[30:31], -v[74:75]
	v_add_f64 v[30:31], v[32:33], v[30:31]
	v_add_f64 v[68:69], v[32:33], v[68:69]
	;; [unrolled: 1-line block ×3, first 2 shown]
	v_rcp_f64_e32 v[74:75], v[32:33]
	v_add_f64 v[70:71], v[66:67], v[68:69]
	v_add_f64 v[66:67], v[70:71], -v[66:67]
	v_add_f64 v[66:67], v[68:69], -v[66:67]
	;; [unrolled: 1-line block ×4, first 2 shown]
	v_fma_f64 v[68:69], -v[32:33], v[74:75], 1.0
	v_fmac_f64_e32 v[74:75], v[68:69], v[74:75]
	v_fma_f64 v[68:69], -v[32:33], v[74:75], 1.0
	v_fmac_f64_e32 v[74:75], v[68:69], v[74:75]
	v_mul_f64 v[68:69], v[70:71], v[74:75]
	v_mul_f64 v[72:73], v[32:33], v[68:69]
	v_fma_f64 v[76:77], v[68:69], v[32:33], -v[72:73]
	v_fmac_f64_e32 v[76:77], v[68:69], v[30:31]
	v_add_f64 v[78:79], v[72:73], v[76:77]
	v_add_f64 v[80:81], v[70:71], -v[78:79]
	v_add_f64 v[70:71], v[70:71], -v[80:81]
	v_add_f64 v[72:73], v[78:79], -v[72:73]
	v_add_f64 v[70:71], v[70:71], -v[78:79]
	v_add_f64 v[66:67], v[66:67], v[70:71]
	v_add_f64 v[70:71], v[72:73], -v[76:77]
	v_add_f64 v[66:67], v[70:71], v[66:67]
	v_add_f64 v[70:71], v[80:81], v[66:67]
	v_add_f64 v[72:73], v[80:81], -v[70:71]
	v_add_f64 v[66:67], v[66:67], v[72:73]
	v_mul_f64 v[72:73], v[74:75], v[70:71]
	v_mul_f64 v[76:77], v[32:33], v[72:73]
	v_fma_f64 v[32:33], v[72:73], v[32:33], -v[76:77]
	v_fmac_f64_e32 v[32:33], v[72:73], v[30:31]
	v_add_f64 v[30:31], v[76:77], v[32:33]
	v_add_f64 v[78:79], v[70:71], -v[30:31]
	v_add_f64 v[70:71], v[70:71], -v[78:79]
	;; [unrolled: 1-line block ×4, first 2 shown]
	v_add_f64 v[30:31], v[66:67], v[30:31]
	v_add_f64 v[32:33], v[76:77], -v[32:33]
	v_add_f64 v[30:31], v[32:33], v[30:31]
	v_add_f64 v[32:33], v[68:69], v[72:73]
	;; [unrolled: 1-line block ×3, first 2 shown]
	v_add_f64 v[66:67], v[32:33], -v[68:69]
	v_mul_f64 v[30:31], v[74:75], v[30:31]
	v_add_f64 v[66:67], v[72:73], -v[66:67]
	v_add_f64 v[30:31], v[66:67], v[30:31]
	v_add_f64 v[66:67], v[32:33], v[30:31]
	v_add_f64 v[32:33], v[66:67], -v[32:33]
	s_mov_b32 s0, 0xbf559e2b
	v_add_f64 v[30:31], v[30:31], -v[32:33]
	v_mul_f64 v[32:33], v[66:67], v[66:67]
	v_mov_b32_e32 v68, 0x6b47b09a
	v_mov_b32_e32 v69, 0x3fc38538
	s_mov_b32 s1, 0x3fc3ab76
	v_fmac_f64_e32 v[68:69], s[0:1], v[32:33]
	v_mov_b32_e32 v70, 0xd7f4df2e
	v_mov_b32_e32 v71, 0x3fc7474d
	v_fmac_f64_e32 v[70:71], v[32:33], v[68:69]
	v_mov_b32_e32 v68, 0x16291751
	v_mov_b32_e32 v69, 0x3fcc71c0
	;; [unrolled: 3-line block ×5, first 2 shown]
	v_fmac_f64_e32 v[70:71], v[32:33], v[68:69]
	v_cvt_f64_i32_e32 v[68:69], v82
	v_mul_f64 v[72:73], v[68:69], s[68:69]
	v_fma_f64 v[74:75], v[68:69], s[68:69], -v[72:73]
	v_fmac_f64_e32 v[74:75], s[70:71], v[68:69]
	v_add_f64 v[68:69], v[72:73], v[74:75]
	v_add_f64 v[72:73], v[68:69], -v[72:73]
	v_mul_f64 v[32:33], v[66:67], v[32:33]
	v_add_f64 v[72:73], v[74:75], -v[72:73]
	v_ldexp_f64 v[74:75], v[66:67], 1
	v_mul_f64 v[32:33], v[32:33], v[70:71]
	v_add_f64 v[66:67], v[74:75], v[32:33]
	v_add_f64 v[70:71], v[66:67], -v[74:75]
	v_ldexp_f64 v[30:31], v[30:31], 1
	v_add_f64 v[32:33], v[32:33], -v[70:71]
	v_add_f64 v[30:31], v[30:31], v[32:33]
	v_add_f64 v[32:33], v[66:67], v[30:31]
	v_add_f64 v[66:67], v[32:33], -v[66:67]
	v_add_f64 v[30:31], v[30:31], -v[66:67]
	v_add_f64 v[66:67], v[68:69], v[32:33]
	v_add_f64 v[70:71], v[66:67], -v[68:69]
	v_add_f64 v[74:75], v[66:67], -v[70:71]
	;; [unrolled: 1-line block ×4, first 2 shown]
	v_add_f64 v[32:33], v[32:33], v[68:69]
	v_add_f64 v[68:69], v[72:73], v[30:31]
	v_add_f64 v[70:71], v[68:69], -v[72:73]
	v_add_f64 v[32:33], v[68:69], v[32:33]
	v_add_f64 v[74:75], v[68:69], -v[70:71]
	;; [unrolled: 2-line block ×3, first 2 shown]
	v_add_f64 v[30:31], v[30:31], -v[70:71]
	v_add_f64 v[66:67], v[68:69], -v[66:67]
	v_add_f64 v[30:31], v[30:31], v[72:73]
	v_add_f64 v[32:33], v[32:33], -v[66:67]
	s_mov_b32 s0, 0
	v_add_f64 v[30:31], v[30:31], v[32:33]
	s_mov_b32 s1, 0x7ff00000
	v_add_f64 v[30:31], v[68:69], v[30:31]
	v_cmp_eq_f64_e64 s[0:1], s[0:1], v[2:3]
	v_mov_b32_e32 v32, 0x7ff80000
	s_nop 0
	v_cndmask_b32_e64 v30, v30, v2, s[0:1]
	v_cndmask_b32_e64 v31, v31, v3, s[0:1]
	v_cmp_ngt_f64_e64 s[0:1], -1.0, v[2:3]
	s_nop 1
	v_cndmask_b32_e64 v31, v32, v31, s[0:1]
	v_cmp_nge_f64_e64 s[0:1], -1.0, v[2:3]
	v_mov_b32_e32 v32, 0xfff00000
	s_nop 0
	v_cndmask_b32_e64 v30, 0, v30, s[0:1]
	v_cmp_neq_f64_e64 s[0:1], -1.0, v[2:3]
	s_nop 1
	v_cndmask_b32_e64 v31, v32, v31, s[0:1]
	v_add_f64 v[72:73], v[0:1], v[30:31]
.LBB80_103:
	s_or_b64 exec, exec, s[66:67]
	v_max_f64 v[0:1], v[72:73], v[72:73]
	v_min_f64 v[66:67], v[0:1], v[42:43]
	v_max_f64 v[70:71], v[0:1], v[42:43]
	v_mov_b64_e32 v[2:3], v[72:73]
	;;#ASMSTART
	;;#ASMEND
.LBB80_104:
	s_or_b64 exec, exec, s[64:65]
	v_cmp_u_f64_e64 s[0:1], v[2:3], v[2:3]
	s_nop 1
	v_cndmask_b32_e64 v0, v66, v2, s[0:1]
	v_cndmask_b32_e64 v1, v67, v3, s[0:1]
	;; [unrolled: 1-line block ×8, first 2 shown]
	v_cmp_neq_f64_e64 s[0:1], v[30:31], v[4:5]
	v_cmp_class_f64_e64 s[28:29], v[30:31], s33
	s_or_b64 s[0:1], s[0:1], s[28:29]
	v_mov_b64_e32 v[0:1], v[2:3]
	s_and_saveexec_b64 s[60:61], s[0:1]
	s_cbranch_execz .LBB80_106
; %bb.105:
	s_mov_b32 s0, 0x652b82fe
	v_add_f64 v[0:1], v[30:31], -v[4:5]
	s_mov_b32 s1, 0x3ff71547
	v_mul_f64 v[30:31], v[0:1], s[0:1]
	v_rndne_f64_e32 v[30:31], v[30:31]
	s_mov_b32 s65, 0xbfe62e42
	s_mov_b32 s64, 0xfefa39ef
	v_fma_f64 v[32:33], s[64:65], v[30:31], v[0:1]
	s_mov_b32 s67, 0xbc7abc9e
	s_mov_b32 s66, 0x3b39803f
	;; [unrolled: 1-line block ×3, first 2 shown]
	v_fmac_f64_e32 v[32:33], s[66:67], v[30:31]
	v_mov_b32_e32 v42, 0xfca7ab0c
	v_mov_b32_e32 v43, 0x3e928af3
	s_mov_b32 s1, 0x3e5ade15
	v_fmac_f64_e32 v[42:43], s[0:1], v[32:33]
	v_mov_b32_e32 v66, 0x623fde64
	v_mov_b32_e32 v67, 0x3ec71dee
	v_fmac_f64_e32 v[66:67], v[32:33], v[42:43]
	v_mov_b32_e32 v42, 0x7c89e6b0
	v_mov_b32_e32 v43, 0x3efa0199
	;; [unrolled: 3-line block ×8, first 2 shown]
	v_fmac_f64_e32 v[42:43], v[32:33], v[66:67]
	v_fma_f64 v[42:43], v[32:33], v[42:43], 1.0
	s_mov_b32 s0, 0
	s_mov_b32 s28, 0
	v_fma_f64 v[32:33], v[32:33], v[42:43], 1.0
	v_cvt_i32_f64_e32 v30, v[30:31]
	s_mov_b32 s1, 0x40900000
	s_mov_b32 s29, 0xc090cc00
	v_ldexp_f64 v[30:31], v[32:33], v30
	v_mov_b32_e32 v32, 0x7ff00000
	v_cmp_nlt_f64_e64 s[0:1], s[0:1], v[0:1]
	v_cmp_ngt_f64_e64 s[28:29], s[28:29], v[0:1]
	s_mov_b32 s65, 0x3fe62e42
	v_cndmask_b32_e64 v31, v32, v31, s[0:1]
	s_and_b64 s[0:1], s[28:29], s[0:1]
	v_cndmask_b32_e64 v1, 0, v31, s[28:29]
	v_cndmask_b32_e64 v0, 0, v30, s[0:1]
	v_add_f64 v[30:31], v[0:1], 1.0
	v_add_f64 v[32:33], v[30:31], -1.0
	v_add_f64 v[42:43], v[32:33], -v[30:31]
	v_add_f64 v[42:43], v[42:43], 1.0
	v_add_f64 v[32:33], v[0:1], -v[32:33]
	s_mov_b32 s0, 0x55555555
	v_add_f64 v[32:33], v[32:33], v[42:43]
	v_frexp_mant_f64_e32 v[42:43], v[30:31]
	s_mov_b32 s1, 0x3fe55555
	v_frexp_exp_i32_f64_e32 v66, v[30:31]
	v_cmp_gt_f64_e64 s[0:1], s[0:1], v[42:43]
	s_mov_b32 s67, 0x3c7abc9e
	s_nop 0
	v_subbrev_co_u32_e64 v80, s[0:1], 0, v66, s[0:1]
	v_sub_u32_e32 v42, 0, v80
	v_ldexp_f64 v[30:31], v[30:31], v42
	v_ldexp_f64 v[32:33], v[32:33], v42
	v_add_f64 v[42:43], v[30:31], -1.0
	v_add_f64 v[70:71], v[30:31], 1.0
	v_add_f64 v[66:67], v[42:43], 1.0
	s_waitcnt lgkmcnt(0)
	v_add_f64 v[72:73], v[70:71], -1.0
	v_add_f64 v[66:67], v[30:31], -v[66:67]
	v_add_f64 v[30:31], v[30:31], -v[72:73]
	v_add_f64 v[30:31], v[32:33], v[30:31]
	v_add_f64 v[66:67], v[32:33], v[66:67]
	;; [unrolled: 1-line block ×3, first 2 shown]
	v_rcp_f64_e32 v[72:73], v[32:33]
	v_add_f64 v[68:69], v[42:43], v[66:67]
	v_add_f64 v[42:43], v[68:69], -v[42:43]
	v_add_f64 v[42:43], v[66:67], -v[42:43]
	;; [unrolled: 1-line block ×4, first 2 shown]
	v_fma_f64 v[66:67], -v[32:33], v[72:73], 1.0
	v_fmac_f64_e32 v[72:73], v[66:67], v[72:73]
	v_fma_f64 v[66:67], -v[32:33], v[72:73], 1.0
	v_fmac_f64_e32 v[72:73], v[66:67], v[72:73]
	v_mul_f64 v[66:67], v[68:69], v[72:73]
	v_mul_f64 v[70:71], v[32:33], v[66:67]
	v_fma_f64 v[74:75], v[66:67], v[32:33], -v[70:71]
	v_fmac_f64_e32 v[74:75], v[66:67], v[30:31]
	v_add_f64 v[76:77], v[70:71], v[74:75]
	v_add_f64 v[78:79], v[68:69], -v[76:77]
	v_add_f64 v[68:69], v[68:69], -v[78:79]
	;; [unrolled: 1-line block ×4, first 2 shown]
	v_add_f64 v[42:43], v[42:43], v[68:69]
	v_add_f64 v[68:69], v[70:71], -v[74:75]
	v_add_f64 v[42:43], v[68:69], v[42:43]
	v_add_f64 v[68:69], v[78:79], v[42:43]
	v_add_f64 v[70:71], v[78:79], -v[68:69]
	v_add_f64 v[42:43], v[42:43], v[70:71]
	v_mul_f64 v[70:71], v[72:73], v[68:69]
	v_mul_f64 v[74:75], v[32:33], v[70:71]
	v_fma_f64 v[32:33], v[70:71], v[32:33], -v[74:75]
	v_fmac_f64_e32 v[32:33], v[70:71], v[30:31]
	v_add_f64 v[30:31], v[74:75], v[32:33]
	v_add_f64 v[76:77], v[68:69], -v[30:31]
	v_add_f64 v[68:69], v[68:69], -v[76:77]
	;; [unrolled: 1-line block ×4, first 2 shown]
	v_add_f64 v[30:31], v[42:43], v[30:31]
	v_add_f64 v[32:33], v[74:75], -v[32:33]
	v_add_f64 v[30:31], v[32:33], v[30:31]
	v_add_f64 v[32:33], v[66:67], v[70:71]
	;; [unrolled: 1-line block ×3, first 2 shown]
	v_add_f64 v[42:43], v[32:33], -v[66:67]
	v_mul_f64 v[30:31], v[72:73], v[30:31]
	v_add_f64 v[42:43], v[70:71], -v[42:43]
	v_add_f64 v[30:31], v[42:43], v[30:31]
	v_add_f64 v[42:43], v[32:33], v[30:31]
	v_add_f64 v[32:33], v[42:43], -v[32:33]
	s_mov_b32 s0, 0xbf559e2b
	v_add_f64 v[30:31], v[30:31], -v[32:33]
	v_mul_f64 v[32:33], v[42:43], v[42:43]
	v_mov_b32_e32 v66, 0x6b47b09a
	v_mov_b32_e32 v67, 0x3fc38538
	s_mov_b32 s1, 0x3fc3ab76
	v_fmac_f64_e32 v[66:67], s[0:1], v[32:33]
	v_mov_b32_e32 v68, 0xd7f4df2e
	v_mov_b32_e32 v69, 0x3fc7474d
	v_fmac_f64_e32 v[68:69], v[32:33], v[66:67]
	v_mov_b32_e32 v66, 0x16291751
	v_mov_b32_e32 v67, 0x3fcc71c0
	;; [unrolled: 3-line block ×5, first 2 shown]
	v_fmac_f64_e32 v[68:69], v[32:33], v[66:67]
	v_cvt_f64_i32_e32 v[66:67], v80
	v_mul_f64 v[70:71], v[66:67], s[64:65]
	v_fma_f64 v[72:73], v[66:67], s[64:65], -v[70:71]
	v_fmac_f64_e32 v[72:73], s[66:67], v[66:67]
	v_add_f64 v[66:67], v[70:71], v[72:73]
	v_add_f64 v[70:71], v[66:67], -v[70:71]
	v_mul_f64 v[32:33], v[42:43], v[32:33]
	v_add_f64 v[70:71], v[72:73], -v[70:71]
	v_ldexp_f64 v[72:73], v[42:43], 1
	v_mul_f64 v[32:33], v[32:33], v[68:69]
	v_add_f64 v[42:43], v[72:73], v[32:33]
	v_add_f64 v[68:69], v[42:43], -v[72:73]
	v_ldexp_f64 v[30:31], v[30:31], 1
	v_add_f64 v[32:33], v[32:33], -v[68:69]
	v_add_f64 v[30:31], v[30:31], v[32:33]
	v_add_f64 v[32:33], v[42:43], v[30:31]
	v_add_f64 v[42:43], v[32:33], -v[42:43]
	v_add_f64 v[30:31], v[30:31], -v[42:43]
	v_add_f64 v[42:43], v[66:67], v[32:33]
	v_add_f64 v[68:69], v[42:43], -v[66:67]
	v_add_f64 v[72:73], v[42:43], -v[68:69]
	;; [unrolled: 1-line block ×4, first 2 shown]
	v_add_f64 v[32:33], v[32:33], v[66:67]
	v_add_f64 v[66:67], v[70:71], v[30:31]
	v_add_f64 v[68:69], v[66:67], -v[70:71]
	v_add_f64 v[32:33], v[66:67], v[32:33]
	v_add_f64 v[72:73], v[66:67], -v[68:69]
	;; [unrolled: 2-line block ×3, first 2 shown]
	v_add_f64 v[30:31], v[30:31], -v[68:69]
	v_add_f64 v[42:43], v[66:67], -v[42:43]
	v_add_f64 v[30:31], v[30:31], v[70:71]
	v_add_f64 v[32:33], v[32:33], -v[42:43]
	s_mov_b32 s0, 0
	v_add_f64 v[30:31], v[30:31], v[32:33]
	s_mov_b32 s1, 0x7ff00000
	v_add_f64 v[30:31], v[66:67], v[30:31]
	v_cmp_eq_f64_e64 s[0:1], s[0:1], v[0:1]
	v_mov_b32_e32 v32, 0x7ff80000
	s_nop 0
	v_cndmask_b32_e64 v30, v30, v0, s[0:1]
	v_cndmask_b32_e64 v31, v31, v1, s[0:1]
	v_cmp_ngt_f64_e64 s[0:1], -1.0, v[0:1]
	s_nop 1
	v_cndmask_b32_e64 v31, v32, v31, s[0:1]
	v_cmp_nge_f64_e64 s[0:1], -1.0, v[0:1]
	v_mov_b32_e32 v32, 0xfff00000
	s_nop 0
	v_cndmask_b32_e64 v30, 0, v30, s[0:1]
	v_cmp_neq_f64_e64 s[0:1], -1.0, v[0:1]
	s_nop 1
	v_cndmask_b32_e64 v31, v32, v31, s[0:1]
	v_add_f64 v[0:1], v[4:5], v[30:31]
.LBB80_106:
	s_or_b64 exec, exec, s[60:61]
	v_max_f64 v[4:5], v[0:1], v[0:1]
	v_min_f64 v[30:31], v[4:5], v[38:39]
	v_cmp_u_f64_e64 s[0:1], v[0:1], v[0:1]
	v_max_f64 v[4:5], v[4:5], v[38:39]
	s_nop 0
	v_cndmask_b32_e64 v30, v30, v0, s[0:1]
	v_cndmask_b32_e64 v31, v31, v1, s[0:1]
	;; [unrolled: 1-line block ×8, first 2 shown]
	v_cmp_neq_f64_e64 s[0:1], v[30:31], v[26:27]
	v_cmp_class_f64_e64 s[28:29], v[30:31], s33
	s_or_b64 s[0:1], s[0:1], s[28:29]
	v_mov_b64_e32 v[4:5], v[0:1]
	s_and_saveexec_b64 s[30:31], s[0:1]
	s_cbranch_execz .LBB80_108
; %bb.107:
	s_mov_b32 s0, 0x652b82fe
	v_add_f64 v[4:5], v[30:31], -v[26:27]
	s_mov_b32 s1, 0x3ff71547
	v_mul_f64 v[30:31], v[4:5], s[0:1]
	v_rndne_f64_e32 v[30:31], v[30:31]
	s_mov_b32 s61, 0xbfe62e42
	s_mov_b32 s60, 0xfefa39ef
	v_fma_f64 v[32:33], s[60:61], v[30:31], v[4:5]
	s_mov_b32 s65, 0xbc7abc9e
	s_mov_b32 s64, 0x3b39803f
	;; [unrolled: 1-line block ×3, first 2 shown]
	v_fmac_f64_e32 v[32:33], s[64:65], v[30:31]
	v_mov_b32_e32 v38, 0xfca7ab0c
	v_mov_b32_e32 v39, 0x3e928af3
	s_mov_b32 s1, 0x3e5ade15
	v_fmac_f64_e32 v[38:39], s[0:1], v[32:33]
	v_mov_b32_e32 v42, 0x623fde64
	v_mov_b32_e32 v43, 0x3ec71dee
	v_fmac_f64_e32 v[42:43], v[32:33], v[38:39]
	v_mov_b32_e32 v38, 0x7c89e6b0
	v_mov_b32_e32 v39, 0x3efa0199
	;; [unrolled: 3-line block ×8, first 2 shown]
	v_fmac_f64_e32 v[38:39], v[32:33], v[42:43]
	v_fma_f64 v[38:39], v[32:33], v[38:39], 1.0
	s_mov_b32 s0, 0
	s_mov_b32 s28, 0
	v_fma_f64 v[32:33], v[32:33], v[38:39], 1.0
	v_cvt_i32_f64_e32 v30, v[30:31]
	s_mov_b32 s1, 0x40900000
	s_mov_b32 s29, 0xc090cc00
	v_ldexp_f64 v[30:31], v[32:33], v30
	v_mov_b32_e32 v32, 0x7ff00000
	v_cmp_nlt_f64_e64 s[0:1], s[0:1], v[4:5]
	v_cmp_ngt_f64_e64 s[28:29], s[28:29], v[4:5]
	s_mov_b32 s61, 0x3fe62e42
	v_cndmask_b32_e64 v31, v32, v31, s[0:1]
	s_and_b64 s[0:1], s[28:29], s[0:1]
	v_cndmask_b32_e64 v5, 0, v31, s[28:29]
	v_cndmask_b32_e64 v4, 0, v30, s[0:1]
	v_add_f64 v[30:31], v[4:5], 1.0
	v_add_f64 v[32:33], v[30:31], -1.0
	v_add_f64 v[38:39], v[32:33], -v[30:31]
	v_add_f64 v[38:39], v[38:39], 1.0
	v_add_f64 v[32:33], v[4:5], -v[32:33]
	s_mov_b32 s0, 0x55555555
	v_add_f64 v[32:33], v[32:33], v[38:39]
	v_frexp_mant_f64_e32 v[38:39], v[30:31]
	s_mov_b32 s1, 0x3fe55555
	v_frexp_exp_i32_f64_e32 v42, v[30:31]
	v_cmp_gt_f64_e64 s[0:1], s[0:1], v[38:39]
	s_mov_b32 s65, 0x3c7abc9e
	s_nop 0
	v_subbrev_co_u32_e64 v78, s[0:1], 0, v42, s[0:1]
	v_sub_u32_e32 v38, 0, v78
	v_ldexp_f64 v[30:31], v[30:31], v38
	v_ldexp_f64 v[32:33], v[32:33], v38
	v_add_f64 v[38:39], v[30:31], -1.0
	v_add_f64 v[68:69], v[30:31], 1.0
	v_add_f64 v[42:43], v[38:39], 1.0
	v_add_f64 v[70:71], v[68:69], -1.0
	v_add_f64 v[42:43], v[30:31], -v[42:43]
	v_add_f64 v[30:31], v[30:31], -v[70:71]
	v_add_f64 v[30:31], v[32:33], v[30:31]
	v_add_f64 v[42:43], v[32:33], v[42:43]
	;; [unrolled: 1-line block ×3, first 2 shown]
	v_rcp_f64_e32 v[70:71], v[32:33]
	v_add_f64 v[66:67], v[38:39], v[42:43]
	v_add_f64 v[38:39], v[66:67], -v[38:39]
	v_add_f64 v[38:39], v[42:43], -v[38:39]
	;; [unrolled: 1-line block ×4, first 2 shown]
	v_fma_f64 v[42:43], -v[32:33], v[70:71], 1.0
	v_fmac_f64_e32 v[70:71], v[42:43], v[70:71]
	v_fma_f64 v[42:43], -v[32:33], v[70:71], 1.0
	v_fmac_f64_e32 v[70:71], v[42:43], v[70:71]
	v_mul_f64 v[42:43], v[66:67], v[70:71]
	v_mul_f64 v[68:69], v[32:33], v[42:43]
	s_waitcnt lgkmcnt(0)
	v_fma_f64 v[72:73], v[42:43], v[32:33], -v[68:69]
	v_fmac_f64_e32 v[72:73], v[42:43], v[30:31]
	v_add_f64 v[74:75], v[68:69], v[72:73]
	v_add_f64 v[76:77], v[66:67], -v[74:75]
	v_add_f64 v[66:67], v[66:67], -v[76:77]
	;; [unrolled: 1-line block ×4, first 2 shown]
	v_add_f64 v[38:39], v[38:39], v[66:67]
	v_add_f64 v[66:67], v[68:69], -v[72:73]
	v_add_f64 v[38:39], v[66:67], v[38:39]
	v_add_f64 v[66:67], v[76:77], v[38:39]
	v_add_f64 v[68:69], v[76:77], -v[66:67]
	v_add_f64 v[38:39], v[38:39], v[68:69]
	v_mul_f64 v[68:69], v[70:71], v[66:67]
	v_mul_f64 v[72:73], v[32:33], v[68:69]
	v_fma_f64 v[32:33], v[68:69], v[32:33], -v[72:73]
	v_fmac_f64_e32 v[32:33], v[68:69], v[30:31]
	v_add_f64 v[30:31], v[72:73], v[32:33]
	v_add_f64 v[74:75], v[66:67], -v[30:31]
	v_add_f64 v[66:67], v[66:67], -v[74:75]
	;; [unrolled: 1-line block ×4, first 2 shown]
	v_add_f64 v[30:31], v[38:39], v[30:31]
	v_add_f64 v[32:33], v[72:73], -v[32:33]
	v_add_f64 v[30:31], v[32:33], v[30:31]
	v_add_f64 v[32:33], v[42:43], v[68:69]
	v_add_f64 v[30:31], v[74:75], v[30:31]
	v_add_f64 v[38:39], v[32:33], -v[42:43]
	v_mul_f64 v[30:31], v[70:71], v[30:31]
	v_add_f64 v[38:39], v[68:69], -v[38:39]
	v_add_f64 v[30:31], v[38:39], v[30:31]
	v_add_f64 v[38:39], v[32:33], v[30:31]
	v_add_f64 v[32:33], v[38:39], -v[32:33]
	s_mov_b32 s0, 0xbf559e2b
	v_add_f64 v[30:31], v[30:31], -v[32:33]
	v_mul_f64 v[32:33], v[38:39], v[38:39]
	v_mov_b32_e32 v42, 0x6b47b09a
	v_mov_b32_e32 v43, 0x3fc38538
	s_mov_b32 s1, 0x3fc3ab76
	v_fmac_f64_e32 v[42:43], s[0:1], v[32:33]
	v_mov_b32_e32 v66, 0xd7f4df2e
	v_mov_b32_e32 v67, 0x3fc7474d
	v_fmac_f64_e32 v[66:67], v[32:33], v[42:43]
	v_mov_b32_e32 v42, 0x16291751
	v_mov_b32_e32 v43, 0x3fcc71c0
	;; [unrolled: 3-line block ×5, first 2 shown]
	v_fmac_f64_e32 v[66:67], v[32:33], v[42:43]
	v_cvt_f64_i32_e32 v[42:43], v78
	v_mul_f64 v[68:69], v[42:43], s[60:61]
	v_fma_f64 v[70:71], v[42:43], s[60:61], -v[68:69]
	v_fmac_f64_e32 v[70:71], s[64:65], v[42:43]
	v_add_f64 v[42:43], v[68:69], v[70:71]
	v_add_f64 v[68:69], v[42:43], -v[68:69]
	v_mul_f64 v[32:33], v[38:39], v[32:33]
	v_add_f64 v[68:69], v[70:71], -v[68:69]
	v_ldexp_f64 v[70:71], v[38:39], 1
	v_mul_f64 v[32:33], v[32:33], v[66:67]
	v_add_f64 v[38:39], v[70:71], v[32:33]
	v_add_f64 v[66:67], v[38:39], -v[70:71]
	v_ldexp_f64 v[30:31], v[30:31], 1
	v_add_f64 v[32:33], v[32:33], -v[66:67]
	v_add_f64 v[30:31], v[30:31], v[32:33]
	v_add_f64 v[32:33], v[38:39], v[30:31]
	v_add_f64 v[38:39], v[32:33], -v[38:39]
	v_add_f64 v[30:31], v[30:31], -v[38:39]
	v_add_f64 v[38:39], v[42:43], v[32:33]
	v_add_f64 v[66:67], v[38:39], -v[42:43]
	v_add_f64 v[70:71], v[38:39], -v[66:67]
	v_add_f64 v[42:43], v[42:43], -v[70:71]
	v_add_f64 v[32:33], v[32:33], -v[66:67]
	v_add_f64 v[32:33], v[32:33], v[42:43]
	v_add_f64 v[42:43], v[68:69], v[30:31]
	v_add_f64 v[66:67], v[42:43], -v[68:69]
	v_add_f64 v[32:33], v[42:43], v[32:33]
	v_add_f64 v[70:71], v[42:43], -v[66:67]
	v_add_f64 v[42:43], v[38:39], v[32:33]
	v_add_f64 v[68:69], v[68:69], -v[70:71]
	v_add_f64 v[30:31], v[30:31], -v[66:67]
	v_add_f64 v[38:39], v[42:43], -v[38:39]
	v_add_f64 v[30:31], v[30:31], v[68:69]
	v_add_f64 v[32:33], v[32:33], -v[38:39]
	s_mov_b32 s0, 0
	v_add_f64 v[30:31], v[30:31], v[32:33]
	s_mov_b32 s1, 0x7ff00000
	v_add_f64 v[30:31], v[42:43], v[30:31]
	v_cmp_eq_f64_e64 s[0:1], s[0:1], v[4:5]
	v_mov_b32_e32 v32, 0x7ff80000
	s_nop 0
	v_cndmask_b32_e64 v30, v30, v4, s[0:1]
	v_cndmask_b32_e64 v31, v31, v5, s[0:1]
	v_cmp_ngt_f64_e64 s[0:1], -1.0, v[4:5]
	s_nop 1
	v_cndmask_b32_e64 v31, v32, v31, s[0:1]
	v_cmp_nge_f64_e64 s[0:1], -1.0, v[4:5]
	v_mov_b32_e32 v32, 0xfff00000
	s_nop 0
	v_cndmask_b32_e64 v30, 0, v30, s[0:1]
	v_cmp_neq_f64_e64 s[0:1], -1.0, v[4:5]
	s_nop 1
	v_cndmask_b32_e64 v31, v32, v31, s[0:1]
	v_add_f64 v[4:5], v[26:27], v[30:31]
.LBB80_108:
	s_or_b64 exec, exec, s[30:31]
	v_max_f64 v[26:27], v[4:5], v[4:5]
	v_min_f64 v[30:31], v[26:27], v[40:41]
	v_cmp_u_f64_e64 s[0:1], v[4:5], v[4:5]
	v_max_f64 v[26:27], v[26:27], v[40:41]
	s_nop 0
	v_cndmask_b32_e64 v30, v30, v4, s[0:1]
	v_cndmask_b32_e64 v31, v31, v5, s[0:1]
	;; [unrolled: 1-line block ×8, first 2 shown]
	v_cmp_neq_f64_e64 s[0:1], v[30:31], v[28:29]
	v_cmp_class_f64_e64 s[28:29], v[30:31], s33
	s_or_b64 s[0:1], s[0:1], s[28:29]
	v_mov_b64_e32 v[26:27], v[4:5]
	s_and_saveexec_b64 s[30:31], s[0:1]
	s_cbranch_execz .LBB80_110
; %bb.109:
	s_mov_b32 s0, 0x652b82fe
	v_add_f64 v[26:27], v[30:31], -v[28:29]
	s_mov_b32 s1, 0x3ff71547
	v_mul_f64 v[30:31], v[26:27], s[0:1]
	v_rndne_f64_e32 v[30:31], v[30:31]
	s_mov_b32 s35, 0xbfe62e42
	s_mov_b32 s34, 0xfefa39ef
	v_fma_f64 v[32:33], s[34:35], v[30:31], v[26:27]
	s_mov_b32 s61, 0xbc7abc9e
	s_mov_b32 s60, 0x3b39803f
	;; [unrolled: 1-line block ×3, first 2 shown]
	v_fmac_f64_e32 v[32:33], s[60:61], v[30:31]
	v_mov_b32_e32 v38, 0xfca7ab0c
	v_mov_b32_e32 v39, 0x3e928af3
	s_mov_b32 s1, 0x3e5ade15
	v_fmac_f64_e32 v[38:39], s[0:1], v[32:33]
	v_mov_b32_e32 v40, 0x623fde64
	v_mov_b32_e32 v41, 0x3ec71dee
	v_fmac_f64_e32 v[40:41], v[32:33], v[38:39]
	v_mov_b32_e32 v38, 0x7c89e6b0
	v_mov_b32_e32 v39, 0x3efa0199
	;; [unrolled: 3-line block ×8, first 2 shown]
	v_fmac_f64_e32 v[38:39], v[32:33], v[40:41]
	v_fma_f64 v[38:39], v[32:33], v[38:39], 1.0
	s_mov_b32 s0, 0
	s_mov_b32 s28, 0
	v_fma_f64 v[32:33], v[32:33], v[38:39], 1.0
	v_cvt_i32_f64_e32 v30, v[30:31]
	s_mov_b32 s1, 0x40900000
	s_mov_b32 s29, 0xc090cc00
	v_ldexp_f64 v[30:31], v[32:33], v30
	v_mov_b32_e32 v32, 0x7ff00000
	v_cmp_nlt_f64_e64 s[0:1], s[0:1], v[26:27]
	v_cmp_ngt_f64_e64 s[28:29], s[28:29], v[26:27]
	s_mov_b32 s35, 0x3fe62e42
	v_cndmask_b32_e64 v31, v32, v31, s[0:1]
	s_and_b64 s[0:1], s[28:29], s[0:1]
	v_cndmask_b32_e64 v27, 0, v31, s[28:29]
	v_cndmask_b32_e64 v26, 0, v30, s[0:1]
	v_add_f64 v[30:31], v[26:27], 1.0
	v_add_f64 v[32:33], v[30:31], -1.0
	v_add_f64 v[38:39], v[32:33], -v[30:31]
	v_add_f64 v[38:39], v[38:39], 1.0
	v_add_f64 v[32:33], v[26:27], -v[32:33]
	s_mov_b32 s0, 0x55555555
	v_add_f64 v[32:33], v[32:33], v[38:39]
	v_frexp_mant_f64_e32 v[38:39], v[30:31]
	s_mov_b32 s1, 0x3fe55555
	v_frexp_exp_i32_f64_e32 v40, v[30:31]
	v_cmp_gt_f64_e64 s[0:1], s[0:1], v[38:39]
	s_mov_b32 s61, 0x3c7abc9e
	s_nop 0
	v_subbrev_co_u32_e64 v76, s[0:1], 0, v40, s[0:1]
	v_sub_u32_e32 v38, 0, v76
	v_ldexp_f64 v[30:31], v[30:31], v38
	v_ldexp_f64 v[32:33], v[32:33], v38
	v_add_f64 v[38:39], v[30:31], -1.0
	v_add_f64 v[66:67], v[30:31], 1.0
	v_add_f64 v[40:41], v[38:39], 1.0
	v_add_f64 v[68:69], v[66:67], -1.0
	v_add_f64 v[40:41], v[30:31], -v[40:41]
	v_add_f64 v[30:31], v[30:31], -v[68:69]
	v_add_f64 v[30:31], v[32:33], v[30:31]
	v_add_f64 v[40:41], v[32:33], v[40:41]
	;; [unrolled: 1-line block ×3, first 2 shown]
	v_rcp_f64_e32 v[68:69], v[32:33]
	v_add_f64 v[42:43], v[38:39], v[40:41]
	v_add_f64 v[38:39], v[42:43], -v[38:39]
	v_add_f64 v[38:39], v[40:41], -v[38:39]
	;; [unrolled: 1-line block ×4, first 2 shown]
	v_fma_f64 v[40:41], -v[32:33], v[68:69], 1.0
	v_fmac_f64_e32 v[68:69], v[40:41], v[68:69]
	v_fma_f64 v[40:41], -v[32:33], v[68:69], 1.0
	v_fmac_f64_e32 v[68:69], v[40:41], v[68:69]
	v_mul_f64 v[40:41], v[42:43], v[68:69]
	v_mul_f64 v[66:67], v[32:33], v[40:41]
	v_fma_f64 v[70:71], v[40:41], v[32:33], -v[66:67]
	v_fmac_f64_e32 v[70:71], v[40:41], v[30:31]
	s_waitcnt lgkmcnt(0)
	v_add_f64 v[72:73], v[66:67], v[70:71]
	v_add_f64 v[74:75], v[42:43], -v[72:73]
	v_add_f64 v[42:43], v[42:43], -v[74:75]
	v_add_f64 v[66:67], v[72:73], -v[66:67]
	v_add_f64 v[42:43], v[42:43], -v[72:73]
	v_add_f64 v[38:39], v[38:39], v[42:43]
	v_add_f64 v[42:43], v[66:67], -v[70:71]
	v_add_f64 v[38:39], v[42:43], v[38:39]
	v_add_f64 v[42:43], v[74:75], v[38:39]
	v_add_f64 v[66:67], v[74:75], -v[42:43]
	v_add_f64 v[38:39], v[38:39], v[66:67]
	v_mul_f64 v[66:67], v[68:69], v[42:43]
	v_mul_f64 v[70:71], v[32:33], v[66:67]
	v_fma_f64 v[32:33], v[66:67], v[32:33], -v[70:71]
	v_fmac_f64_e32 v[32:33], v[66:67], v[30:31]
	v_add_f64 v[30:31], v[70:71], v[32:33]
	v_add_f64 v[72:73], v[42:43], -v[30:31]
	v_add_f64 v[42:43], v[42:43], -v[72:73]
	;; [unrolled: 1-line block ×4, first 2 shown]
	v_add_f64 v[30:31], v[38:39], v[30:31]
	v_add_f64 v[32:33], v[70:71], -v[32:33]
	v_add_f64 v[30:31], v[32:33], v[30:31]
	v_add_f64 v[32:33], v[40:41], v[66:67]
	;; [unrolled: 1-line block ×3, first 2 shown]
	v_add_f64 v[38:39], v[32:33], -v[40:41]
	v_mul_f64 v[30:31], v[68:69], v[30:31]
	v_add_f64 v[38:39], v[66:67], -v[38:39]
	v_add_f64 v[30:31], v[38:39], v[30:31]
	v_add_f64 v[38:39], v[32:33], v[30:31]
	v_add_f64 v[32:33], v[38:39], -v[32:33]
	s_mov_b32 s0, 0xbf559e2b
	v_add_f64 v[30:31], v[30:31], -v[32:33]
	v_mul_f64 v[32:33], v[38:39], v[38:39]
	v_mov_b32_e32 v40, 0x6b47b09a
	v_mov_b32_e32 v41, 0x3fc38538
	s_mov_b32 s1, 0x3fc3ab76
	v_fmac_f64_e32 v[40:41], s[0:1], v[32:33]
	v_mov_b32_e32 v42, 0xd7f4df2e
	v_mov_b32_e32 v43, 0x3fc7474d
	v_fmac_f64_e32 v[42:43], v[32:33], v[40:41]
	v_mov_b32_e32 v40, 0x16291751
	v_mov_b32_e32 v41, 0x3fcc71c0
	;; [unrolled: 3-line block ×5, first 2 shown]
	v_fmac_f64_e32 v[42:43], v[32:33], v[40:41]
	v_cvt_f64_i32_e32 v[40:41], v76
	v_mul_f64 v[66:67], v[40:41], s[34:35]
	v_fma_f64 v[68:69], v[40:41], s[34:35], -v[66:67]
	v_fmac_f64_e32 v[68:69], s[60:61], v[40:41]
	v_add_f64 v[40:41], v[66:67], v[68:69]
	v_add_f64 v[66:67], v[40:41], -v[66:67]
	v_mul_f64 v[32:33], v[38:39], v[32:33]
	v_add_f64 v[66:67], v[68:69], -v[66:67]
	v_ldexp_f64 v[68:69], v[38:39], 1
	v_mul_f64 v[32:33], v[32:33], v[42:43]
	v_add_f64 v[38:39], v[68:69], v[32:33]
	v_add_f64 v[42:43], v[38:39], -v[68:69]
	v_ldexp_f64 v[30:31], v[30:31], 1
	v_add_f64 v[32:33], v[32:33], -v[42:43]
	v_add_f64 v[30:31], v[30:31], v[32:33]
	v_add_f64 v[32:33], v[38:39], v[30:31]
	v_add_f64 v[38:39], v[32:33], -v[38:39]
	v_add_f64 v[30:31], v[30:31], -v[38:39]
	v_add_f64 v[38:39], v[40:41], v[32:33]
	v_add_f64 v[42:43], v[38:39], -v[40:41]
	v_add_f64 v[68:69], v[38:39], -v[42:43]
	;; [unrolled: 1-line block ×4, first 2 shown]
	v_add_f64 v[32:33], v[32:33], v[40:41]
	v_add_f64 v[40:41], v[66:67], v[30:31]
	v_add_f64 v[42:43], v[40:41], -v[66:67]
	v_add_f64 v[32:33], v[40:41], v[32:33]
	v_add_f64 v[68:69], v[40:41], -v[42:43]
	;; [unrolled: 2-line block ×3, first 2 shown]
	v_add_f64 v[30:31], v[30:31], -v[42:43]
	v_add_f64 v[38:39], v[40:41], -v[38:39]
	v_add_f64 v[30:31], v[30:31], v[66:67]
	v_add_f64 v[32:33], v[32:33], -v[38:39]
	s_mov_b32 s0, 0
	v_add_f64 v[30:31], v[30:31], v[32:33]
	s_mov_b32 s1, 0x7ff00000
	v_add_f64 v[30:31], v[40:41], v[30:31]
	v_cmp_eq_f64_e64 s[0:1], s[0:1], v[26:27]
	v_mov_b32_e32 v32, 0x7ff80000
	s_nop 0
	v_cndmask_b32_e64 v30, v30, v26, s[0:1]
	v_cndmask_b32_e64 v31, v31, v27, s[0:1]
	v_cmp_ngt_f64_e64 s[0:1], -1.0, v[26:27]
	s_nop 1
	v_cndmask_b32_e64 v31, v32, v31, s[0:1]
	v_cmp_nge_f64_e64 s[0:1], -1.0, v[26:27]
	v_mov_b32_e32 v32, 0xfff00000
	s_nop 0
	v_cndmask_b32_e64 v30, 0, v30, s[0:1]
	v_cmp_neq_f64_e64 s[0:1], -1.0, v[26:27]
	s_nop 1
	v_cndmask_b32_e64 v31, v32, v31, s[0:1]
	v_add_f64 v[26:27], v[28:29], v[30:31]
.LBB80_110:
	s_or_b64 exec, exec, s[30:31]
	v_max_f64 v[28:29], v[26:27], v[26:27]
	v_min_f64 v[30:31], v[28:29], v[44:45]
	v_cmp_u_f64_e64 s[0:1], v[26:27], v[26:27]
	v_max_f64 v[28:29], v[28:29], v[44:45]
	s_nop 0
	v_cndmask_b32_e64 v30, v30, v26, s[0:1]
	v_cndmask_b32_e64 v31, v31, v27, s[0:1]
	;; [unrolled: 1-line block ×8, first 2 shown]
	v_cmp_neq_f64_e64 s[0:1], v[30:31], v[28:29]
	v_cmp_class_f64_e64 s[28:29], v[30:31], s33
	s_or_b64 s[0:1], s[0:1], s[28:29]
	v_mov_b64_e32 v[22:23], v[26:27]
	s_and_saveexec_b64 s[30:31], s[0:1]
	s_cbranch_execz .LBB80_112
; %bb.111:
	s_mov_b32 s0, 0x652b82fe
	v_add_f64 v[22:23], v[30:31], -v[28:29]
	s_mov_b32 s1, 0x3ff71547
	v_mul_f64 v[30:31], v[22:23], s[0:1]
	v_rndne_f64_e32 v[30:31], v[30:31]
	s_mov_b32 s35, 0xbfe62e42
	s_mov_b32 s34, 0xfefa39ef
	v_fma_f64 v[32:33], s[34:35], v[30:31], v[22:23]
	s_mov_b32 s37, 0xbc7abc9e
	s_mov_b32 s36, 0x3b39803f
	;; [unrolled: 1-line block ×3, first 2 shown]
	v_fmac_f64_e32 v[32:33], s[36:37], v[30:31]
	v_mov_b32_e32 v38, 0xfca7ab0c
	v_mov_b32_e32 v39, 0x3e928af3
	s_mov_b32 s1, 0x3e5ade15
	v_fmac_f64_e32 v[38:39], s[0:1], v[32:33]
	v_mov_b32_e32 v40, 0x623fde64
	v_mov_b32_e32 v41, 0x3ec71dee
	v_fmac_f64_e32 v[40:41], v[32:33], v[38:39]
	v_mov_b32_e32 v38, 0x7c89e6b0
	v_mov_b32_e32 v39, 0x3efa0199
	;; [unrolled: 3-line block ×8, first 2 shown]
	v_fmac_f64_e32 v[38:39], v[32:33], v[40:41]
	v_fma_f64 v[38:39], v[32:33], v[38:39], 1.0
	s_mov_b32 s0, 0
	s_mov_b32 s28, 0
	v_fma_f64 v[32:33], v[32:33], v[38:39], 1.0
	v_cvt_i32_f64_e32 v30, v[30:31]
	s_mov_b32 s1, 0x40900000
	s_mov_b32 s29, 0xc090cc00
	v_ldexp_f64 v[30:31], v[32:33], v30
	v_mov_b32_e32 v32, 0x7ff00000
	v_cmp_nlt_f64_e64 s[0:1], s[0:1], v[22:23]
	v_cmp_ngt_f64_e64 s[28:29], s[28:29], v[22:23]
	s_mov_b32 s35, 0x3fe62e42
	v_cndmask_b32_e64 v31, v32, v31, s[0:1]
	s_and_b64 s[0:1], s[28:29], s[0:1]
	v_cndmask_b32_e64 v23, 0, v31, s[28:29]
	v_cndmask_b32_e64 v22, 0, v30, s[0:1]
	v_add_f64 v[30:31], v[22:23], 1.0
	v_add_f64 v[32:33], v[30:31], -1.0
	v_add_f64 v[38:39], v[32:33], -v[30:31]
	v_add_f64 v[38:39], v[38:39], 1.0
	v_add_f64 v[32:33], v[22:23], -v[32:33]
	s_mov_b32 s0, 0x55555555
	v_add_f64 v[32:33], v[32:33], v[38:39]
	v_frexp_mant_f64_e32 v[38:39], v[30:31]
	s_mov_b32 s1, 0x3fe55555
	v_frexp_exp_i32_f64_e32 v40, v[30:31]
	v_cmp_gt_f64_e64 s[0:1], s[0:1], v[38:39]
	s_mov_b32 s37, 0x3c7abc9e
	s_nop 0
	v_subbrev_co_u32_e64 v74, s[0:1], 0, v40, s[0:1]
	v_sub_u32_e32 v38, 0, v74
	v_ldexp_f64 v[30:31], v[30:31], v38
	v_ldexp_f64 v[32:33], v[32:33], v38
	v_add_f64 v[38:39], v[30:31], -1.0
	v_add_f64 v[44:45], v[30:31], 1.0
	v_add_f64 v[40:41], v[38:39], 1.0
	v_add_f64 v[66:67], v[44:45], -1.0
	v_add_f64 v[40:41], v[30:31], -v[40:41]
	v_add_f64 v[30:31], v[30:31], -v[66:67]
	v_add_f64 v[30:31], v[32:33], v[30:31]
	v_add_f64 v[40:41], v[32:33], v[40:41]
	;; [unrolled: 1-line block ×3, first 2 shown]
	v_rcp_f64_e32 v[66:67], v[32:33]
	v_add_f64 v[42:43], v[38:39], v[40:41]
	v_add_f64 v[38:39], v[42:43], -v[38:39]
	v_add_f64 v[38:39], v[40:41], -v[38:39]
	;; [unrolled: 1-line block ×4, first 2 shown]
	v_fma_f64 v[40:41], -v[32:33], v[66:67], 1.0
	v_fmac_f64_e32 v[66:67], v[40:41], v[66:67]
	v_fma_f64 v[40:41], -v[32:33], v[66:67], 1.0
	v_fmac_f64_e32 v[66:67], v[40:41], v[66:67]
	v_mul_f64 v[40:41], v[42:43], v[66:67]
	v_mul_f64 v[44:45], v[32:33], v[40:41]
	v_fma_f64 v[68:69], v[40:41], v[32:33], -v[44:45]
	v_fmac_f64_e32 v[68:69], v[40:41], v[30:31]
	v_add_f64 v[70:71], v[44:45], v[68:69]
	s_waitcnt lgkmcnt(0)
	v_add_f64 v[72:73], v[42:43], -v[70:71]
	v_add_f64 v[42:43], v[42:43], -v[72:73]
	;; [unrolled: 1-line block ×4, first 2 shown]
	v_add_f64 v[38:39], v[38:39], v[42:43]
	v_add_f64 v[42:43], v[44:45], -v[68:69]
	v_add_f64 v[38:39], v[42:43], v[38:39]
	v_add_f64 v[42:43], v[72:73], v[38:39]
	v_add_f64 v[44:45], v[72:73], -v[42:43]
	v_add_f64 v[38:39], v[38:39], v[44:45]
	v_mul_f64 v[44:45], v[66:67], v[42:43]
	v_mul_f64 v[68:69], v[32:33], v[44:45]
	v_fma_f64 v[32:33], v[44:45], v[32:33], -v[68:69]
	v_fmac_f64_e32 v[32:33], v[44:45], v[30:31]
	v_add_f64 v[30:31], v[68:69], v[32:33]
	v_add_f64 v[70:71], v[42:43], -v[30:31]
	v_add_f64 v[42:43], v[42:43], -v[70:71]
	;; [unrolled: 1-line block ×4, first 2 shown]
	v_add_f64 v[30:31], v[38:39], v[30:31]
	v_add_f64 v[32:33], v[68:69], -v[32:33]
	v_add_f64 v[30:31], v[32:33], v[30:31]
	v_add_f64 v[32:33], v[40:41], v[44:45]
	;; [unrolled: 1-line block ×3, first 2 shown]
	v_add_f64 v[38:39], v[32:33], -v[40:41]
	v_mul_f64 v[30:31], v[66:67], v[30:31]
	v_add_f64 v[38:39], v[44:45], -v[38:39]
	v_add_f64 v[30:31], v[38:39], v[30:31]
	v_add_f64 v[38:39], v[32:33], v[30:31]
	v_add_f64 v[32:33], v[38:39], -v[32:33]
	s_mov_b32 s0, 0xbf559e2b
	v_add_f64 v[30:31], v[30:31], -v[32:33]
	v_mul_f64 v[32:33], v[38:39], v[38:39]
	v_mov_b32_e32 v40, 0x6b47b09a
	v_mov_b32_e32 v41, 0x3fc38538
	s_mov_b32 s1, 0x3fc3ab76
	v_fmac_f64_e32 v[40:41], s[0:1], v[32:33]
	v_mov_b32_e32 v42, 0xd7f4df2e
	v_mov_b32_e32 v43, 0x3fc7474d
	v_fmac_f64_e32 v[42:43], v[32:33], v[40:41]
	v_mov_b32_e32 v40, 0x16291751
	v_mov_b32_e32 v41, 0x3fcc71c0
	;; [unrolled: 3-line block ×5, first 2 shown]
	v_fmac_f64_e32 v[42:43], v[32:33], v[40:41]
	v_cvt_f64_i32_e32 v[40:41], v74
	v_mul_f64 v[44:45], v[40:41], s[34:35]
	v_fma_f64 v[66:67], v[40:41], s[34:35], -v[44:45]
	v_fmac_f64_e32 v[66:67], s[36:37], v[40:41]
	v_add_f64 v[40:41], v[44:45], v[66:67]
	v_add_f64 v[44:45], v[40:41], -v[44:45]
	v_mul_f64 v[32:33], v[38:39], v[32:33]
	v_add_f64 v[44:45], v[66:67], -v[44:45]
	v_ldexp_f64 v[66:67], v[38:39], 1
	v_mul_f64 v[32:33], v[32:33], v[42:43]
	v_add_f64 v[38:39], v[66:67], v[32:33]
	v_add_f64 v[42:43], v[38:39], -v[66:67]
	v_ldexp_f64 v[30:31], v[30:31], 1
	v_add_f64 v[32:33], v[32:33], -v[42:43]
	v_add_f64 v[30:31], v[30:31], v[32:33]
	v_add_f64 v[32:33], v[38:39], v[30:31]
	v_add_f64 v[38:39], v[32:33], -v[38:39]
	v_add_f64 v[30:31], v[30:31], -v[38:39]
	v_add_f64 v[38:39], v[40:41], v[32:33]
	v_add_f64 v[42:43], v[38:39], -v[40:41]
	v_add_f64 v[66:67], v[38:39], -v[42:43]
	;; [unrolled: 1-line block ×4, first 2 shown]
	v_add_f64 v[32:33], v[32:33], v[40:41]
	v_add_f64 v[40:41], v[44:45], v[30:31]
	v_add_f64 v[42:43], v[40:41], -v[44:45]
	v_add_f64 v[32:33], v[40:41], v[32:33]
	v_add_f64 v[66:67], v[40:41], -v[42:43]
	;; [unrolled: 2-line block ×3, first 2 shown]
	v_add_f64 v[30:31], v[30:31], -v[42:43]
	v_add_f64 v[38:39], v[40:41], -v[38:39]
	v_add_f64 v[30:31], v[30:31], v[44:45]
	v_add_f64 v[32:33], v[32:33], -v[38:39]
	s_mov_b32 s0, 0
	v_add_f64 v[30:31], v[30:31], v[32:33]
	s_mov_b32 s1, 0x7ff00000
	v_add_f64 v[30:31], v[40:41], v[30:31]
	v_cmp_eq_f64_e64 s[0:1], s[0:1], v[22:23]
	v_mov_b32_e32 v32, 0x7ff80000
	s_nop 0
	v_cndmask_b32_e64 v30, v30, v22, s[0:1]
	v_cndmask_b32_e64 v31, v31, v23, s[0:1]
	v_cmp_ngt_f64_e64 s[0:1], -1.0, v[22:23]
	s_nop 1
	v_cndmask_b32_e64 v31, v32, v31, s[0:1]
	v_cmp_nge_f64_e64 s[0:1], -1.0, v[22:23]
	v_mov_b32_e32 v32, 0xfff00000
	s_nop 0
	v_cndmask_b32_e64 v30, 0, v30, s[0:1]
	v_cmp_neq_f64_e64 s[0:1], -1.0, v[22:23]
	s_nop 1
	v_cndmask_b32_e64 v31, v32, v31, s[0:1]
	v_add_f64 v[22:23], v[28:29], v[30:31]
.LBB80_112:
	s_or_b64 exec, exec, s[30:31]
	v_max_f64 v[28:29], v[22:23], v[22:23]
	v_min_f64 v[30:31], v[28:29], v[46:47]
	v_cmp_u_f64_e64 s[0:1], v[22:23], v[22:23]
	v_max_f64 v[28:29], v[28:29], v[46:47]
	s_nop 0
	v_cndmask_b32_e64 v30, v30, v22, s[0:1]
	v_cndmask_b32_e64 v31, v31, v23, s[0:1]
	;; [unrolled: 1-line block ×8, first 2 shown]
	v_cmp_neq_f64_e64 s[0:1], v[30:31], v[28:29]
	v_cmp_class_f64_e64 s[28:29], v[30:31], s33
	s_or_b64 s[0:1], s[0:1], s[28:29]
	v_mov_b64_e32 v[24:25], v[22:23]
	s_and_saveexec_b64 s[30:31], s[0:1]
	s_cbranch_execz .LBB80_114
; %bb.113:
	s_mov_b32 s0, 0x652b82fe
	v_add_f64 v[24:25], v[30:31], -v[28:29]
	s_mov_b32 s1, 0x3ff71547
	v_mul_f64 v[30:31], v[24:25], s[0:1]
	v_rndne_f64_e32 v[30:31], v[30:31]
	s_mov_b32 s35, 0xbfe62e42
	s_mov_b32 s34, 0xfefa39ef
	v_fma_f64 v[32:33], s[34:35], v[30:31], v[24:25]
	s_mov_b32 s37, 0xbc7abc9e
	s_mov_b32 s36, 0x3b39803f
	;; [unrolled: 1-line block ×3, first 2 shown]
	v_fmac_f64_e32 v[32:33], s[36:37], v[30:31]
	v_mov_b32_e32 v38, 0xfca7ab0c
	v_mov_b32_e32 v39, 0x3e928af3
	s_mov_b32 s1, 0x3e5ade15
	v_fmac_f64_e32 v[38:39], s[0:1], v[32:33]
	v_mov_b32_e32 v40, 0x623fde64
	v_mov_b32_e32 v41, 0x3ec71dee
	v_fmac_f64_e32 v[40:41], v[32:33], v[38:39]
	v_mov_b32_e32 v38, 0x7c89e6b0
	v_mov_b32_e32 v39, 0x3efa0199
	;; [unrolled: 3-line block ×8, first 2 shown]
	v_fmac_f64_e32 v[38:39], v[32:33], v[40:41]
	v_fma_f64 v[38:39], v[32:33], v[38:39], 1.0
	s_mov_b32 s0, 0
	s_mov_b32 s28, 0
	v_fma_f64 v[32:33], v[32:33], v[38:39], 1.0
	v_cvt_i32_f64_e32 v30, v[30:31]
	s_mov_b32 s1, 0x40900000
	s_mov_b32 s29, 0xc090cc00
	v_ldexp_f64 v[30:31], v[32:33], v30
	v_mov_b32_e32 v32, 0x7ff00000
	v_cmp_nlt_f64_e64 s[0:1], s[0:1], v[24:25]
	v_cmp_ngt_f64_e64 s[28:29], s[28:29], v[24:25]
	s_mov_b32 s35, 0x3fe62e42
	v_cndmask_b32_e64 v31, v32, v31, s[0:1]
	s_and_b64 s[0:1], s[28:29], s[0:1]
	v_cndmask_b32_e64 v25, 0, v31, s[28:29]
	v_cndmask_b32_e64 v24, 0, v30, s[0:1]
	v_add_f64 v[30:31], v[24:25], 1.0
	v_add_f64 v[32:33], v[30:31], -1.0
	v_add_f64 v[38:39], v[32:33], -v[30:31]
	v_add_f64 v[38:39], v[38:39], 1.0
	v_add_f64 v[32:33], v[24:25], -v[32:33]
	s_mov_b32 s0, 0x55555555
	v_add_f64 v[32:33], v[32:33], v[38:39]
	v_frexp_mant_f64_e32 v[38:39], v[30:31]
	s_mov_b32 s1, 0x3fe55555
	v_frexp_exp_i32_f64_e32 v40, v[30:31]
	v_cmp_gt_f64_e64 s[0:1], s[0:1], v[38:39]
	s_mov_b32 s37, 0x3c7abc9e
	s_waitcnt lgkmcnt(0)
	v_subbrev_co_u32_e64 v72, s[0:1], 0, v40, s[0:1]
	v_sub_u32_e32 v38, 0, v72
	v_ldexp_f64 v[30:31], v[30:31], v38
	v_ldexp_f64 v[32:33], v[32:33], v38
	v_add_f64 v[38:39], v[30:31], -1.0
	v_add_f64 v[44:45], v[30:31], 1.0
	v_add_f64 v[40:41], v[38:39], 1.0
	v_add_f64 v[46:47], v[44:45], -1.0
	v_add_f64 v[40:41], v[30:31], -v[40:41]
	v_add_f64 v[30:31], v[30:31], -v[46:47]
	v_add_f64 v[30:31], v[32:33], v[30:31]
	v_add_f64 v[40:41], v[32:33], v[40:41]
	;; [unrolled: 1-line block ×3, first 2 shown]
	v_rcp_f64_e32 v[46:47], v[32:33]
	v_add_f64 v[42:43], v[38:39], v[40:41]
	v_add_f64 v[38:39], v[42:43], -v[38:39]
	v_add_f64 v[38:39], v[40:41], -v[38:39]
	;; [unrolled: 1-line block ×4, first 2 shown]
	v_fma_f64 v[40:41], -v[32:33], v[46:47], 1.0
	v_fmac_f64_e32 v[46:47], v[40:41], v[46:47]
	v_fma_f64 v[40:41], -v[32:33], v[46:47], 1.0
	v_fmac_f64_e32 v[46:47], v[40:41], v[46:47]
	v_mul_f64 v[40:41], v[42:43], v[46:47]
	v_mul_f64 v[44:45], v[32:33], v[40:41]
	v_fma_f64 v[66:67], v[40:41], v[32:33], -v[44:45]
	v_fmac_f64_e32 v[66:67], v[40:41], v[30:31]
	v_add_f64 v[68:69], v[44:45], v[66:67]
	v_add_f64 v[70:71], v[42:43], -v[68:69]
	v_add_f64 v[42:43], v[42:43], -v[70:71]
	;; [unrolled: 1-line block ×4, first 2 shown]
	v_add_f64 v[38:39], v[38:39], v[42:43]
	v_add_f64 v[42:43], v[44:45], -v[66:67]
	v_add_f64 v[38:39], v[42:43], v[38:39]
	v_add_f64 v[42:43], v[70:71], v[38:39]
	v_add_f64 v[44:45], v[70:71], -v[42:43]
	v_add_f64 v[38:39], v[38:39], v[44:45]
	v_mul_f64 v[44:45], v[46:47], v[42:43]
	v_mul_f64 v[66:67], v[32:33], v[44:45]
	v_fma_f64 v[32:33], v[44:45], v[32:33], -v[66:67]
	v_fmac_f64_e32 v[32:33], v[44:45], v[30:31]
	v_add_f64 v[30:31], v[66:67], v[32:33]
	v_add_f64 v[68:69], v[42:43], -v[30:31]
	v_add_f64 v[42:43], v[42:43], -v[68:69]
	;; [unrolled: 1-line block ×4, first 2 shown]
	v_add_f64 v[30:31], v[38:39], v[30:31]
	v_add_f64 v[32:33], v[66:67], -v[32:33]
	v_add_f64 v[30:31], v[32:33], v[30:31]
	v_add_f64 v[32:33], v[40:41], v[44:45]
	;; [unrolled: 1-line block ×3, first 2 shown]
	v_add_f64 v[38:39], v[32:33], -v[40:41]
	v_mul_f64 v[30:31], v[46:47], v[30:31]
	v_add_f64 v[38:39], v[44:45], -v[38:39]
	v_add_f64 v[30:31], v[38:39], v[30:31]
	v_add_f64 v[38:39], v[32:33], v[30:31]
	v_add_f64 v[32:33], v[38:39], -v[32:33]
	s_mov_b32 s0, 0xbf559e2b
	v_add_f64 v[30:31], v[30:31], -v[32:33]
	v_mul_f64 v[32:33], v[38:39], v[38:39]
	v_mov_b32_e32 v40, 0x6b47b09a
	v_mov_b32_e32 v41, 0x3fc38538
	s_mov_b32 s1, 0x3fc3ab76
	v_fmac_f64_e32 v[40:41], s[0:1], v[32:33]
	v_mov_b32_e32 v42, 0xd7f4df2e
	v_mov_b32_e32 v43, 0x3fc7474d
	v_fmac_f64_e32 v[42:43], v[32:33], v[40:41]
	v_mov_b32_e32 v40, 0x16291751
	v_mov_b32_e32 v41, 0x3fcc71c0
	v_fmac_f64_e32 v[40:41], v[32:33], v[42:43]
	v_mov_b32_e32 v42, 0x9b27acf1
	v_mov_b32_e32 v43, 0x3fd24924
	v_fmac_f64_e32 v[42:43], v[32:33], v[40:41]
	v_mov_b32_e32 v40, 0x998ef7b6
	v_mov_b32_e32 v41, 0x3fd99999
	v_fmac_f64_e32 v[40:41], v[32:33], v[42:43]
	v_mov_b32_e32 v42, 0x55555780
	v_mov_b32_e32 v43, 0x3fe55555
	v_fmac_f64_e32 v[42:43], v[32:33], v[40:41]
	v_cvt_f64_i32_e32 v[40:41], v72
	v_mul_f64 v[44:45], v[40:41], s[34:35]
	v_fma_f64 v[46:47], v[40:41], s[34:35], -v[44:45]
	v_fmac_f64_e32 v[46:47], s[36:37], v[40:41]
	v_add_f64 v[40:41], v[44:45], v[46:47]
	v_add_f64 v[44:45], v[40:41], -v[44:45]
	v_mul_f64 v[32:33], v[38:39], v[32:33]
	v_add_f64 v[44:45], v[46:47], -v[44:45]
	v_ldexp_f64 v[46:47], v[38:39], 1
	v_mul_f64 v[32:33], v[32:33], v[42:43]
	v_add_f64 v[38:39], v[46:47], v[32:33]
	v_add_f64 v[42:43], v[38:39], -v[46:47]
	v_ldexp_f64 v[30:31], v[30:31], 1
	v_add_f64 v[32:33], v[32:33], -v[42:43]
	v_add_f64 v[30:31], v[30:31], v[32:33]
	v_add_f64 v[32:33], v[38:39], v[30:31]
	v_add_f64 v[38:39], v[32:33], -v[38:39]
	v_add_f64 v[30:31], v[30:31], -v[38:39]
	v_add_f64 v[38:39], v[40:41], v[32:33]
	v_add_f64 v[42:43], v[38:39], -v[40:41]
	v_add_f64 v[46:47], v[38:39], -v[42:43]
	;; [unrolled: 1-line block ×4, first 2 shown]
	v_add_f64 v[32:33], v[32:33], v[40:41]
	v_add_f64 v[40:41], v[44:45], v[30:31]
	v_add_f64 v[42:43], v[40:41], -v[44:45]
	v_add_f64 v[32:33], v[40:41], v[32:33]
	v_add_f64 v[46:47], v[40:41], -v[42:43]
	;; [unrolled: 2-line block ×3, first 2 shown]
	v_add_f64 v[30:31], v[30:31], -v[42:43]
	v_add_f64 v[38:39], v[40:41], -v[38:39]
	v_add_f64 v[30:31], v[30:31], v[44:45]
	v_add_f64 v[32:33], v[32:33], -v[38:39]
	s_mov_b32 s0, 0
	v_add_f64 v[30:31], v[30:31], v[32:33]
	s_mov_b32 s1, 0x7ff00000
	v_add_f64 v[30:31], v[40:41], v[30:31]
	v_cmp_eq_f64_e64 s[0:1], s[0:1], v[24:25]
	v_mov_b32_e32 v32, 0x7ff80000
	s_nop 0
	v_cndmask_b32_e64 v30, v30, v24, s[0:1]
	v_cndmask_b32_e64 v31, v31, v25, s[0:1]
	v_cmp_ngt_f64_e64 s[0:1], -1.0, v[24:25]
	s_nop 1
	v_cndmask_b32_e64 v31, v32, v31, s[0:1]
	v_cmp_nge_f64_e64 s[0:1], -1.0, v[24:25]
	v_mov_b32_e32 v32, 0xfff00000
	s_nop 0
	v_cndmask_b32_e64 v30, 0, v30, s[0:1]
	v_cmp_neq_f64_e64 s[0:1], -1.0, v[24:25]
	s_nop 1
	v_cndmask_b32_e64 v31, v32, v31, s[0:1]
	v_add_f64 v[24:25], v[28:29], v[30:31]
.LBB80_114:
	s_or_b64 exec, exec, s[30:31]
	v_max_f64 v[28:29], v[24:25], v[24:25]
	v_min_f64 v[30:31], v[28:29], v[48:49]
	v_cmp_u_f64_e64 s[0:1], v[24:25], v[24:25]
	v_max_f64 v[28:29], v[28:29], v[48:49]
	s_nop 0
	v_cndmask_b32_e64 v30, v30, v24, s[0:1]
	v_cndmask_b32_e64 v31, v31, v25, s[0:1]
	;; [unrolled: 1-line block ×8, first 2 shown]
	v_cmp_neq_f64_e64 s[0:1], v[30:31], v[28:29]
	v_cmp_class_f64_e64 s[28:29], v[30:31], s33
	s_or_b64 s[0:1], s[0:1], s[28:29]
	v_mov_b64_e32 v[18:19], v[24:25]
	s_and_saveexec_b64 s[30:31], s[0:1]
	s_cbranch_execz .LBB80_116
; %bb.115:
	s_mov_b32 s0, 0x652b82fe
	v_add_f64 v[18:19], v[30:31], -v[28:29]
	s_mov_b32 s1, 0x3ff71547
	v_mul_f64 v[30:31], v[18:19], s[0:1]
	v_rndne_f64_e32 v[30:31], v[30:31]
	s_mov_b32 s35, 0xbfe62e42
	s_mov_b32 s34, 0xfefa39ef
	v_fma_f64 v[32:33], s[34:35], v[30:31], v[18:19]
	s_mov_b32 s37, 0xbc7abc9e
	s_mov_b32 s36, 0x3b39803f
	;; [unrolled: 1-line block ×3, first 2 shown]
	v_fmac_f64_e32 v[32:33], s[36:37], v[30:31]
	v_mov_b32_e32 v38, 0xfca7ab0c
	v_mov_b32_e32 v39, 0x3e928af3
	s_mov_b32 s1, 0x3e5ade15
	v_fmac_f64_e32 v[38:39], s[0:1], v[32:33]
	v_mov_b32_e32 v40, 0x623fde64
	v_mov_b32_e32 v41, 0x3ec71dee
	v_fmac_f64_e32 v[40:41], v[32:33], v[38:39]
	v_mov_b32_e32 v38, 0x7c89e6b0
	v_mov_b32_e32 v39, 0x3efa0199
	v_fmac_f64_e32 v[38:39], v[32:33], v[40:41]
	v_mov_b32_e32 v40, 0x14761f6e
	v_mov_b32_e32 v41, 0x3f2a01a0
	v_fmac_f64_e32 v[40:41], v[32:33], v[38:39]
	v_mov_b32_e32 v38, 0x1852b7b0
	v_mov_b32_e32 v39, 0x3f56c16c
	v_fmac_f64_e32 v[38:39], v[32:33], v[40:41]
	v_mov_b32_e32 v40, 0x11122322
	v_mov_b32_e32 v41, 0x3f811111
	v_fmac_f64_e32 v[40:41], v[32:33], v[38:39]
	v_mov_b32_e32 v38, 0x555502a1
	v_mov_b32_e32 v39, 0x3fa55555
	v_fmac_f64_e32 v[38:39], v[32:33], v[40:41]
	v_mov_b32_e32 v40, 0x55555511
	v_mov_b32_e32 v41, 0x3fc55555
	v_fmac_f64_e32 v[40:41], v[32:33], v[38:39]
	v_mov_b32_e32 v38, 11
	v_mov_b32_e32 v39, 0x3fe00000
	v_fmac_f64_e32 v[38:39], v[32:33], v[40:41]
	v_fma_f64 v[38:39], v[32:33], v[38:39], 1.0
	s_mov_b32 s0, 0
	s_mov_b32 s28, 0
	v_fma_f64 v[32:33], v[32:33], v[38:39], 1.0
	v_cvt_i32_f64_e32 v30, v[30:31]
	s_mov_b32 s1, 0x40900000
	s_mov_b32 s29, 0xc090cc00
	v_ldexp_f64 v[30:31], v[32:33], v30
	v_mov_b32_e32 v32, 0x7ff00000
	v_cmp_nlt_f64_e64 s[0:1], s[0:1], v[18:19]
	v_cmp_ngt_f64_e64 s[28:29], s[28:29], v[18:19]
	s_mov_b32 s35, 0x3fe62e42
	v_cndmask_b32_e64 v31, v32, v31, s[0:1]
	s_and_b64 s[0:1], s[28:29], s[0:1]
	v_cndmask_b32_e64 v19, 0, v31, s[28:29]
	v_cndmask_b32_e64 v18, 0, v30, s[0:1]
	v_add_f64 v[30:31], v[18:19], 1.0
	v_add_f64 v[32:33], v[30:31], -1.0
	v_add_f64 v[38:39], v[32:33], -v[30:31]
	v_add_f64 v[38:39], v[38:39], 1.0
	v_add_f64 v[32:33], v[18:19], -v[32:33]
	s_mov_b32 s0, 0x55555555
	v_add_f64 v[32:33], v[32:33], v[38:39]
	v_frexp_mant_f64_e32 v[38:39], v[30:31]
	s_mov_b32 s1, 0x3fe55555
	v_frexp_exp_i32_f64_e32 v40, v[30:31]
	v_cmp_gt_f64_e64 s[0:1], s[0:1], v[38:39]
	s_mov_b32 s37, 0x3c7abc9e
	s_nop 0
	v_subbrev_co_u32_e64 v70, s[0:1], 0, v40, s[0:1]
	v_sub_u32_e32 v38, 0, v70
	v_ldexp_f64 v[30:31], v[30:31], v38
	v_ldexp_f64 v[32:33], v[32:33], v38
	v_add_f64 v[38:39], v[30:31], -1.0
	v_add_f64 v[44:45], v[30:31], 1.0
	v_add_f64 v[40:41], v[38:39], 1.0
	v_add_f64 v[46:47], v[44:45], -1.0
	v_add_f64 v[40:41], v[30:31], -v[40:41]
	v_add_f64 v[30:31], v[30:31], -v[46:47]
	v_add_f64 v[30:31], v[32:33], v[30:31]
	v_add_f64 v[40:41], v[32:33], v[40:41]
	;; [unrolled: 1-line block ×3, first 2 shown]
	v_rcp_f64_e32 v[46:47], v[32:33]
	v_add_f64 v[42:43], v[38:39], v[40:41]
	v_add_f64 v[38:39], v[42:43], -v[38:39]
	v_add_f64 v[38:39], v[40:41], -v[38:39]
	;; [unrolled: 1-line block ×4, first 2 shown]
	v_fma_f64 v[40:41], -v[32:33], v[46:47], 1.0
	v_fmac_f64_e32 v[46:47], v[40:41], v[46:47]
	v_fma_f64 v[40:41], -v[32:33], v[46:47], 1.0
	v_fmac_f64_e32 v[46:47], v[40:41], v[46:47]
	v_mul_f64 v[40:41], v[42:43], v[46:47]
	v_mul_f64 v[44:45], v[32:33], v[40:41]
	v_fma_f64 v[48:49], v[40:41], v[32:33], -v[44:45]
	v_fmac_f64_e32 v[48:49], v[40:41], v[30:31]
	v_add_f64 v[66:67], v[44:45], v[48:49]
	v_add_f64 v[68:69], v[42:43], -v[66:67]
	v_add_f64 v[42:43], v[42:43], -v[68:69]
	;; [unrolled: 1-line block ×4, first 2 shown]
	v_add_f64 v[38:39], v[38:39], v[42:43]
	v_add_f64 v[42:43], v[44:45], -v[48:49]
	v_add_f64 v[38:39], v[42:43], v[38:39]
	v_add_f64 v[42:43], v[68:69], v[38:39]
	v_add_f64 v[44:45], v[68:69], -v[42:43]
	v_add_f64 v[38:39], v[38:39], v[44:45]
	v_mul_f64 v[44:45], v[46:47], v[42:43]
	v_mul_f64 v[48:49], v[32:33], v[44:45]
	v_fma_f64 v[32:33], v[44:45], v[32:33], -v[48:49]
	v_fmac_f64_e32 v[32:33], v[44:45], v[30:31]
	v_add_f64 v[30:31], v[48:49], v[32:33]
	v_add_f64 v[66:67], v[42:43], -v[30:31]
	v_add_f64 v[42:43], v[42:43], -v[66:67]
	;; [unrolled: 1-line block ×4, first 2 shown]
	v_add_f64 v[30:31], v[38:39], v[30:31]
	v_add_f64 v[32:33], v[48:49], -v[32:33]
	v_add_f64 v[30:31], v[32:33], v[30:31]
	v_add_f64 v[32:33], v[40:41], v[44:45]
	;; [unrolled: 1-line block ×3, first 2 shown]
	v_add_f64 v[38:39], v[32:33], -v[40:41]
	v_mul_f64 v[30:31], v[46:47], v[30:31]
	v_add_f64 v[38:39], v[44:45], -v[38:39]
	v_add_f64 v[30:31], v[38:39], v[30:31]
	v_add_f64 v[38:39], v[32:33], v[30:31]
	v_add_f64 v[32:33], v[38:39], -v[32:33]
	s_mov_b32 s0, 0xbf559e2b
	v_add_f64 v[30:31], v[30:31], -v[32:33]
	v_mul_f64 v[32:33], v[38:39], v[38:39]
	v_mov_b32_e32 v40, 0x6b47b09a
	v_mov_b32_e32 v41, 0x3fc38538
	s_mov_b32 s1, 0x3fc3ab76
	v_fmac_f64_e32 v[40:41], s[0:1], v[32:33]
	v_mov_b32_e32 v42, 0xd7f4df2e
	v_mov_b32_e32 v43, 0x3fc7474d
	v_fmac_f64_e32 v[42:43], v[32:33], v[40:41]
	v_mov_b32_e32 v40, 0x16291751
	v_mov_b32_e32 v41, 0x3fcc71c0
	v_fmac_f64_e32 v[40:41], v[32:33], v[42:43]
	v_mov_b32_e32 v42, 0x9b27acf1
	v_mov_b32_e32 v43, 0x3fd24924
	v_fmac_f64_e32 v[42:43], v[32:33], v[40:41]
	v_mov_b32_e32 v40, 0x998ef7b6
	v_mov_b32_e32 v41, 0x3fd99999
	v_fmac_f64_e32 v[40:41], v[32:33], v[42:43]
	v_mov_b32_e32 v42, 0x55555780
	v_mov_b32_e32 v43, 0x3fe55555
	v_fmac_f64_e32 v[42:43], v[32:33], v[40:41]
	v_cvt_f64_i32_e32 v[40:41], v70
	v_mul_f64 v[44:45], v[40:41], s[34:35]
	v_fma_f64 v[46:47], v[40:41], s[34:35], -v[44:45]
	v_fmac_f64_e32 v[46:47], s[36:37], v[40:41]
	v_add_f64 v[40:41], v[44:45], v[46:47]
	v_add_f64 v[44:45], v[40:41], -v[44:45]
	v_mul_f64 v[32:33], v[38:39], v[32:33]
	v_add_f64 v[44:45], v[46:47], -v[44:45]
	v_ldexp_f64 v[46:47], v[38:39], 1
	v_mul_f64 v[32:33], v[32:33], v[42:43]
	v_add_f64 v[38:39], v[46:47], v[32:33]
	v_add_f64 v[42:43], v[38:39], -v[46:47]
	v_ldexp_f64 v[30:31], v[30:31], 1
	v_add_f64 v[32:33], v[32:33], -v[42:43]
	v_add_f64 v[30:31], v[30:31], v[32:33]
	v_add_f64 v[32:33], v[38:39], v[30:31]
	v_add_f64 v[38:39], v[32:33], -v[38:39]
	v_add_f64 v[30:31], v[30:31], -v[38:39]
	v_add_f64 v[38:39], v[40:41], v[32:33]
	v_add_f64 v[42:43], v[38:39], -v[40:41]
	v_add_f64 v[46:47], v[38:39], -v[42:43]
	;; [unrolled: 1-line block ×4, first 2 shown]
	v_add_f64 v[32:33], v[32:33], v[40:41]
	v_add_f64 v[40:41], v[44:45], v[30:31]
	v_add_f64 v[42:43], v[40:41], -v[44:45]
	v_add_f64 v[32:33], v[40:41], v[32:33]
	v_add_f64 v[46:47], v[40:41], -v[42:43]
	;; [unrolled: 2-line block ×3, first 2 shown]
	v_add_f64 v[30:31], v[30:31], -v[42:43]
	v_add_f64 v[38:39], v[40:41], -v[38:39]
	v_add_f64 v[30:31], v[30:31], v[44:45]
	v_add_f64 v[32:33], v[32:33], -v[38:39]
	s_mov_b32 s0, 0
	v_add_f64 v[30:31], v[30:31], v[32:33]
	s_mov_b32 s1, 0x7ff00000
	v_add_f64 v[30:31], v[40:41], v[30:31]
	v_cmp_eq_f64_e64 s[0:1], s[0:1], v[18:19]
	v_mov_b32_e32 v32, 0x7ff80000
	s_nop 0
	v_cndmask_b32_e64 v30, v30, v18, s[0:1]
	v_cndmask_b32_e64 v31, v31, v19, s[0:1]
	v_cmp_ngt_f64_e64 s[0:1], -1.0, v[18:19]
	s_nop 1
	v_cndmask_b32_e64 v31, v32, v31, s[0:1]
	v_cmp_nge_f64_e64 s[0:1], -1.0, v[18:19]
	v_mov_b32_e32 v32, 0xfff00000
	s_nop 0
	v_cndmask_b32_e64 v30, 0, v30, s[0:1]
	v_cmp_neq_f64_e64 s[0:1], -1.0, v[18:19]
	s_nop 1
	v_cndmask_b32_e64 v31, v32, v31, s[0:1]
	v_add_f64 v[18:19], v[28:29], v[30:31]
.LBB80_116:
	s_or_b64 exec, exec, s[30:31]
	v_max_f64 v[28:29], v[18:19], v[18:19]
	v_min_f64 v[30:31], v[28:29], v[50:51]
	v_cmp_u_f64_e64 s[0:1], v[18:19], v[18:19]
	v_max_f64 v[28:29], v[28:29], v[50:51]
	s_nop 0
	v_cndmask_b32_e64 v30, v30, v18, s[0:1]
	v_cndmask_b32_e64 v31, v31, v19, s[0:1]
	;; [unrolled: 1-line block ×8, first 2 shown]
	v_cmp_neq_f64_e64 s[0:1], v[30:31], v[28:29]
	v_cmp_class_f64_e64 s[28:29], v[30:31], s33
	s_or_b64 s[0:1], s[0:1], s[28:29]
	v_mov_b64_e32 v[20:21], v[18:19]
	s_and_saveexec_b64 s[30:31], s[0:1]
	s_cbranch_execz .LBB80_118
; %bb.117:
	s_mov_b32 s0, 0x652b82fe
	v_add_f64 v[20:21], v[30:31], -v[28:29]
	s_mov_b32 s1, 0x3ff71547
	v_mul_f64 v[30:31], v[20:21], s[0:1]
	v_rndne_f64_e32 v[30:31], v[30:31]
	s_mov_b32 s35, 0xbfe62e42
	s_mov_b32 s34, 0xfefa39ef
	v_fma_f64 v[32:33], s[34:35], v[30:31], v[20:21]
	s_mov_b32 s37, 0xbc7abc9e
	s_mov_b32 s36, 0x3b39803f
	;; [unrolled: 1-line block ×3, first 2 shown]
	v_fmac_f64_e32 v[32:33], s[36:37], v[30:31]
	v_mov_b32_e32 v38, 0xfca7ab0c
	v_mov_b32_e32 v39, 0x3e928af3
	s_mov_b32 s1, 0x3e5ade15
	v_fmac_f64_e32 v[38:39], s[0:1], v[32:33]
	v_mov_b32_e32 v40, 0x623fde64
	v_mov_b32_e32 v41, 0x3ec71dee
	v_fmac_f64_e32 v[40:41], v[32:33], v[38:39]
	v_mov_b32_e32 v38, 0x7c89e6b0
	v_mov_b32_e32 v39, 0x3efa0199
	;; [unrolled: 3-line block ×8, first 2 shown]
	v_fmac_f64_e32 v[38:39], v[32:33], v[40:41]
	v_fma_f64 v[38:39], v[32:33], v[38:39], 1.0
	s_mov_b32 s0, 0
	s_mov_b32 s28, 0
	v_fma_f64 v[32:33], v[32:33], v[38:39], 1.0
	v_cvt_i32_f64_e32 v30, v[30:31]
	s_mov_b32 s1, 0x40900000
	s_mov_b32 s29, 0xc090cc00
	v_ldexp_f64 v[30:31], v[32:33], v30
	v_mov_b32_e32 v32, 0x7ff00000
	v_cmp_nlt_f64_e64 s[0:1], s[0:1], v[20:21]
	v_cmp_ngt_f64_e64 s[28:29], s[28:29], v[20:21]
	s_mov_b32 s35, 0x3fe62e42
	v_cndmask_b32_e64 v31, v32, v31, s[0:1]
	s_and_b64 s[0:1], s[28:29], s[0:1]
	v_cndmask_b32_e64 v21, 0, v31, s[28:29]
	v_cndmask_b32_e64 v20, 0, v30, s[0:1]
	v_add_f64 v[30:31], v[20:21], 1.0
	v_add_f64 v[32:33], v[30:31], -1.0
	v_add_f64 v[38:39], v[32:33], -v[30:31]
	v_add_f64 v[38:39], v[38:39], 1.0
	v_add_f64 v[32:33], v[20:21], -v[32:33]
	s_mov_b32 s0, 0x55555555
	v_add_f64 v[32:33], v[32:33], v[38:39]
	v_frexp_mant_f64_e32 v[38:39], v[30:31]
	s_mov_b32 s1, 0x3fe55555
	v_frexp_exp_i32_f64_e32 v40, v[30:31]
	v_cmp_gt_f64_e64 s[0:1], s[0:1], v[38:39]
	s_mov_b32 s37, 0x3c7abc9e
	s_nop 0
	v_subbrev_co_u32_e64 v68, s[0:1], 0, v40, s[0:1]
	v_sub_u32_e32 v38, 0, v68
	v_ldexp_f64 v[30:31], v[30:31], v38
	v_ldexp_f64 v[32:33], v[32:33], v38
	v_add_f64 v[38:39], v[30:31], -1.0
	v_add_f64 v[44:45], v[30:31], 1.0
	v_add_f64 v[40:41], v[38:39], 1.0
	v_add_f64 v[46:47], v[44:45], -1.0
	v_add_f64 v[40:41], v[30:31], -v[40:41]
	v_add_f64 v[30:31], v[30:31], -v[46:47]
	v_add_f64 v[30:31], v[32:33], v[30:31]
	v_add_f64 v[40:41], v[32:33], v[40:41]
	;; [unrolled: 1-line block ×3, first 2 shown]
	v_rcp_f64_e32 v[46:47], v[32:33]
	v_add_f64 v[42:43], v[38:39], v[40:41]
	v_add_f64 v[38:39], v[42:43], -v[38:39]
	v_add_f64 v[38:39], v[40:41], -v[38:39]
	;; [unrolled: 1-line block ×4, first 2 shown]
	v_fma_f64 v[40:41], -v[32:33], v[46:47], 1.0
	v_fmac_f64_e32 v[46:47], v[40:41], v[46:47]
	v_fma_f64 v[40:41], -v[32:33], v[46:47], 1.0
	v_fmac_f64_e32 v[46:47], v[40:41], v[46:47]
	v_mul_f64 v[40:41], v[42:43], v[46:47]
	v_mul_f64 v[44:45], v[32:33], v[40:41]
	v_fma_f64 v[48:49], v[40:41], v[32:33], -v[44:45]
	v_fmac_f64_e32 v[48:49], v[40:41], v[30:31]
	v_add_f64 v[50:51], v[44:45], v[48:49]
	v_add_f64 v[66:67], v[42:43], -v[50:51]
	v_add_f64 v[42:43], v[42:43], -v[66:67]
	;; [unrolled: 1-line block ×4, first 2 shown]
	v_add_f64 v[38:39], v[38:39], v[42:43]
	v_add_f64 v[42:43], v[44:45], -v[48:49]
	v_add_f64 v[38:39], v[42:43], v[38:39]
	v_add_f64 v[42:43], v[66:67], v[38:39]
	v_add_f64 v[44:45], v[66:67], -v[42:43]
	v_add_f64 v[38:39], v[38:39], v[44:45]
	v_mul_f64 v[44:45], v[46:47], v[42:43]
	v_mul_f64 v[48:49], v[32:33], v[44:45]
	v_fma_f64 v[32:33], v[44:45], v[32:33], -v[48:49]
	v_fmac_f64_e32 v[32:33], v[44:45], v[30:31]
	v_add_f64 v[30:31], v[48:49], v[32:33]
	v_add_f64 v[50:51], v[42:43], -v[30:31]
	v_add_f64 v[42:43], v[42:43], -v[50:51]
	;; [unrolled: 1-line block ×4, first 2 shown]
	v_add_f64 v[30:31], v[38:39], v[30:31]
	v_add_f64 v[32:33], v[48:49], -v[32:33]
	v_add_f64 v[30:31], v[32:33], v[30:31]
	v_add_f64 v[32:33], v[40:41], v[44:45]
	;; [unrolled: 1-line block ×3, first 2 shown]
	v_add_f64 v[38:39], v[32:33], -v[40:41]
	v_mul_f64 v[30:31], v[46:47], v[30:31]
	v_add_f64 v[38:39], v[44:45], -v[38:39]
	v_add_f64 v[30:31], v[38:39], v[30:31]
	v_add_f64 v[38:39], v[32:33], v[30:31]
	v_add_f64 v[32:33], v[38:39], -v[32:33]
	s_mov_b32 s0, 0xbf559e2b
	v_add_f64 v[30:31], v[30:31], -v[32:33]
	v_mul_f64 v[32:33], v[38:39], v[38:39]
	v_mov_b32_e32 v40, 0x6b47b09a
	v_mov_b32_e32 v41, 0x3fc38538
	s_mov_b32 s1, 0x3fc3ab76
	v_fmac_f64_e32 v[40:41], s[0:1], v[32:33]
	v_mov_b32_e32 v42, 0xd7f4df2e
	v_mov_b32_e32 v43, 0x3fc7474d
	v_fmac_f64_e32 v[42:43], v[32:33], v[40:41]
	v_mov_b32_e32 v40, 0x16291751
	v_mov_b32_e32 v41, 0x3fcc71c0
	;; [unrolled: 3-line block ×5, first 2 shown]
	v_fmac_f64_e32 v[42:43], v[32:33], v[40:41]
	v_cvt_f64_i32_e32 v[40:41], v68
	v_mul_f64 v[44:45], v[40:41], s[34:35]
	v_fma_f64 v[46:47], v[40:41], s[34:35], -v[44:45]
	v_fmac_f64_e32 v[46:47], s[36:37], v[40:41]
	v_add_f64 v[40:41], v[44:45], v[46:47]
	v_add_f64 v[44:45], v[40:41], -v[44:45]
	v_mul_f64 v[32:33], v[38:39], v[32:33]
	v_add_f64 v[44:45], v[46:47], -v[44:45]
	v_ldexp_f64 v[46:47], v[38:39], 1
	v_mul_f64 v[32:33], v[32:33], v[42:43]
	v_add_f64 v[38:39], v[46:47], v[32:33]
	v_add_f64 v[42:43], v[38:39], -v[46:47]
	v_ldexp_f64 v[30:31], v[30:31], 1
	v_add_f64 v[32:33], v[32:33], -v[42:43]
	v_add_f64 v[30:31], v[30:31], v[32:33]
	v_add_f64 v[32:33], v[38:39], v[30:31]
	v_add_f64 v[38:39], v[32:33], -v[38:39]
	v_add_f64 v[30:31], v[30:31], -v[38:39]
	v_add_f64 v[38:39], v[40:41], v[32:33]
	v_add_f64 v[42:43], v[38:39], -v[40:41]
	v_add_f64 v[46:47], v[38:39], -v[42:43]
	;; [unrolled: 1-line block ×4, first 2 shown]
	v_add_f64 v[32:33], v[32:33], v[40:41]
	v_add_f64 v[40:41], v[44:45], v[30:31]
	v_add_f64 v[42:43], v[40:41], -v[44:45]
	v_add_f64 v[32:33], v[40:41], v[32:33]
	v_add_f64 v[46:47], v[40:41], -v[42:43]
	;; [unrolled: 2-line block ×3, first 2 shown]
	v_add_f64 v[30:31], v[30:31], -v[42:43]
	v_add_f64 v[38:39], v[40:41], -v[38:39]
	v_add_f64 v[30:31], v[30:31], v[44:45]
	v_add_f64 v[32:33], v[32:33], -v[38:39]
	s_mov_b32 s0, 0
	v_add_f64 v[30:31], v[30:31], v[32:33]
	s_mov_b32 s1, 0x7ff00000
	v_add_f64 v[30:31], v[40:41], v[30:31]
	v_cmp_eq_f64_e64 s[0:1], s[0:1], v[20:21]
	v_mov_b32_e32 v32, 0x7ff80000
	s_nop 0
	v_cndmask_b32_e64 v30, v30, v20, s[0:1]
	v_cndmask_b32_e64 v31, v31, v21, s[0:1]
	v_cmp_ngt_f64_e64 s[0:1], -1.0, v[20:21]
	s_nop 1
	v_cndmask_b32_e64 v31, v32, v31, s[0:1]
	v_cmp_nge_f64_e64 s[0:1], -1.0, v[20:21]
	v_mov_b32_e32 v32, 0xfff00000
	s_nop 0
	v_cndmask_b32_e64 v30, 0, v30, s[0:1]
	v_cmp_neq_f64_e64 s[0:1], -1.0, v[20:21]
	s_nop 1
	v_cndmask_b32_e64 v31, v32, v31, s[0:1]
	v_add_f64 v[20:21], v[28:29], v[30:31]
.LBB80_118:
	s_or_b64 exec, exec, s[30:31]
	v_max_f64 v[28:29], v[20:21], v[20:21]
	v_min_f64 v[30:31], v[28:29], v[52:53]
	v_cmp_u_f64_e64 s[0:1], v[20:21], v[20:21]
	v_max_f64 v[28:29], v[28:29], v[52:53]
	s_nop 0
	v_cndmask_b32_e64 v30, v30, v20, s[0:1]
	v_cndmask_b32_e64 v31, v31, v21, s[0:1]
	v_cndmask_b32_e64 v28, v28, v20, s[0:1]
	v_cndmask_b32_e64 v29, v29, v21, s[0:1]
	v_cndmask_b32_e64 v31, v31, v15, s[44:45]
	v_cndmask_b32_e64 v30, v30, v14, s[44:45]
	v_cndmask_b32_e64 v29, v29, v15, s[44:45]
	v_cndmask_b32_e64 v28, v28, v14, s[44:45]
	v_cmp_neq_f64_e64 s[0:1], v[30:31], v[28:29]
	v_cmp_class_f64_e64 s[28:29], v[30:31], s33
	s_or_b64 s[0:1], s[0:1], s[28:29]
	v_mov_b64_e32 v[14:15], v[20:21]
	s_and_saveexec_b64 s[30:31], s[0:1]
	s_cbranch_execz .LBB80_120
; %bb.119:
	s_mov_b32 s0, 0x652b82fe
	v_add_f64 v[14:15], v[30:31], -v[28:29]
	s_mov_b32 s1, 0x3ff71547
	v_mul_f64 v[30:31], v[14:15], s[0:1]
	v_rndne_f64_e32 v[30:31], v[30:31]
	s_mov_b32 s35, 0xbfe62e42
	s_mov_b32 s34, 0xfefa39ef
	v_fma_f64 v[32:33], s[34:35], v[30:31], v[14:15]
	s_mov_b32 s37, 0xbc7abc9e
	s_mov_b32 s36, 0x3b39803f
	;; [unrolled: 1-line block ×3, first 2 shown]
	v_fmac_f64_e32 v[32:33], s[36:37], v[30:31]
	v_mov_b32_e32 v38, 0xfca7ab0c
	v_mov_b32_e32 v39, 0x3e928af3
	s_mov_b32 s1, 0x3e5ade15
	v_fmac_f64_e32 v[38:39], s[0:1], v[32:33]
	v_mov_b32_e32 v40, 0x623fde64
	v_mov_b32_e32 v41, 0x3ec71dee
	v_fmac_f64_e32 v[40:41], v[32:33], v[38:39]
	v_mov_b32_e32 v38, 0x7c89e6b0
	v_mov_b32_e32 v39, 0x3efa0199
	;; [unrolled: 3-line block ×8, first 2 shown]
	v_fmac_f64_e32 v[38:39], v[32:33], v[40:41]
	v_fma_f64 v[38:39], v[32:33], v[38:39], 1.0
	s_mov_b32 s0, 0
	s_mov_b32 s28, 0
	v_fma_f64 v[32:33], v[32:33], v[38:39], 1.0
	v_cvt_i32_f64_e32 v30, v[30:31]
	s_mov_b32 s1, 0x40900000
	s_mov_b32 s29, 0xc090cc00
	v_ldexp_f64 v[30:31], v[32:33], v30
	v_mov_b32_e32 v32, 0x7ff00000
	v_cmp_nlt_f64_e64 s[0:1], s[0:1], v[14:15]
	v_cmp_ngt_f64_e64 s[28:29], s[28:29], v[14:15]
	s_mov_b32 s35, 0x3fe62e42
	v_cndmask_b32_e64 v31, v32, v31, s[0:1]
	s_and_b64 s[0:1], s[28:29], s[0:1]
	v_cndmask_b32_e64 v15, 0, v31, s[28:29]
	v_cndmask_b32_e64 v14, 0, v30, s[0:1]
	v_add_f64 v[30:31], v[14:15], 1.0
	v_add_f64 v[32:33], v[30:31], -1.0
	v_add_f64 v[38:39], v[32:33], -v[30:31]
	v_add_f64 v[38:39], v[38:39], 1.0
	v_add_f64 v[32:33], v[14:15], -v[32:33]
	s_mov_b32 s0, 0x55555555
	v_add_f64 v[32:33], v[32:33], v[38:39]
	v_frexp_mant_f64_e32 v[38:39], v[30:31]
	s_mov_b32 s1, 0x3fe55555
	v_frexp_exp_i32_f64_e32 v40, v[30:31]
	v_cmp_gt_f64_e64 s[0:1], s[0:1], v[38:39]
	s_mov_b32 s37, 0x3c7abc9e
	s_nop 0
	v_subbrev_co_u32_e64 v66, s[0:1], 0, v40, s[0:1]
	v_sub_u32_e32 v38, 0, v66
	v_ldexp_f64 v[30:31], v[30:31], v38
	v_ldexp_f64 v[32:33], v[32:33], v38
	v_add_f64 v[38:39], v[30:31], -1.0
	v_add_f64 v[44:45], v[30:31], 1.0
	v_add_f64 v[40:41], v[38:39], 1.0
	v_add_f64 v[46:47], v[44:45], -1.0
	v_add_f64 v[40:41], v[30:31], -v[40:41]
	v_add_f64 v[30:31], v[30:31], -v[46:47]
	v_add_f64 v[30:31], v[32:33], v[30:31]
	v_add_f64 v[40:41], v[32:33], v[40:41]
	;; [unrolled: 1-line block ×3, first 2 shown]
	v_rcp_f64_e32 v[46:47], v[32:33]
	v_add_f64 v[42:43], v[38:39], v[40:41]
	v_add_f64 v[38:39], v[42:43], -v[38:39]
	v_add_f64 v[38:39], v[40:41], -v[38:39]
	;; [unrolled: 1-line block ×4, first 2 shown]
	v_fma_f64 v[40:41], -v[32:33], v[46:47], 1.0
	v_fmac_f64_e32 v[46:47], v[40:41], v[46:47]
	v_fma_f64 v[40:41], -v[32:33], v[46:47], 1.0
	v_fmac_f64_e32 v[46:47], v[40:41], v[46:47]
	v_mul_f64 v[40:41], v[42:43], v[46:47]
	v_mul_f64 v[44:45], v[32:33], v[40:41]
	v_fma_f64 v[48:49], v[40:41], v[32:33], -v[44:45]
	v_fmac_f64_e32 v[48:49], v[40:41], v[30:31]
	v_add_f64 v[50:51], v[44:45], v[48:49]
	v_add_f64 v[52:53], v[42:43], -v[50:51]
	v_add_f64 v[42:43], v[42:43], -v[52:53]
	;; [unrolled: 1-line block ×4, first 2 shown]
	v_add_f64 v[38:39], v[38:39], v[42:43]
	v_add_f64 v[42:43], v[44:45], -v[48:49]
	v_add_f64 v[38:39], v[42:43], v[38:39]
	v_add_f64 v[42:43], v[52:53], v[38:39]
	v_add_f64 v[44:45], v[52:53], -v[42:43]
	v_add_f64 v[38:39], v[38:39], v[44:45]
	v_mul_f64 v[44:45], v[46:47], v[42:43]
	v_mul_f64 v[48:49], v[32:33], v[44:45]
	v_fma_f64 v[32:33], v[44:45], v[32:33], -v[48:49]
	v_fmac_f64_e32 v[32:33], v[44:45], v[30:31]
	v_add_f64 v[30:31], v[48:49], v[32:33]
	v_add_f64 v[50:51], v[42:43], -v[30:31]
	v_add_f64 v[42:43], v[42:43], -v[50:51]
	;; [unrolled: 1-line block ×4, first 2 shown]
	v_add_f64 v[30:31], v[38:39], v[30:31]
	v_add_f64 v[32:33], v[48:49], -v[32:33]
	v_add_f64 v[30:31], v[32:33], v[30:31]
	v_add_f64 v[32:33], v[40:41], v[44:45]
	;; [unrolled: 1-line block ×3, first 2 shown]
	v_add_f64 v[38:39], v[32:33], -v[40:41]
	v_mul_f64 v[30:31], v[46:47], v[30:31]
	v_add_f64 v[38:39], v[44:45], -v[38:39]
	v_add_f64 v[30:31], v[38:39], v[30:31]
	v_add_f64 v[38:39], v[32:33], v[30:31]
	v_add_f64 v[32:33], v[38:39], -v[32:33]
	s_mov_b32 s0, 0xbf559e2b
	v_add_f64 v[30:31], v[30:31], -v[32:33]
	v_mul_f64 v[32:33], v[38:39], v[38:39]
	v_mov_b32_e32 v40, 0x6b47b09a
	v_mov_b32_e32 v41, 0x3fc38538
	s_mov_b32 s1, 0x3fc3ab76
	v_fmac_f64_e32 v[40:41], s[0:1], v[32:33]
	v_mov_b32_e32 v42, 0xd7f4df2e
	v_mov_b32_e32 v43, 0x3fc7474d
	v_fmac_f64_e32 v[42:43], v[32:33], v[40:41]
	v_mov_b32_e32 v40, 0x16291751
	v_mov_b32_e32 v41, 0x3fcc71c0
	;; [unrolled: 3-line block ×5, first 2 shown]
	v_fmac_f64_e32 v[42:43], v[32:33], v[40:41]
	v_cvt_f64_i32_e32 v[40:41], v66
	v_mul_f64 v[44:45], v[40:41], s[34:35]
	v_fma_f64 v[46:47], v[40:41], s[34:35], -v[44:45]
	v_fmac_f64_e32 v[46:47], s[36:37], v[40:41]
	v_add_f64 v[40:41], v[44:45], v[46:47]
	v_add_f64 v[44:45], v[40:41], -v[44:45]
	v_mul_f64 v[32:33], v[38:39], v[32:33]
	v_add_f64 v[44:45], v[46:47], -v[44:45]
	v_ldexp_f64 v[46:47], v[38:39], 1
	v_mul_f64 v[32:33], v[32:33], v[42:43]
	v_add_f64 v[38:39], v[46:47], v[32:33]
	v_add_f64 v[42:43], v[38:39], -v[46:47]
	v_ldexp_f64 v[30:31], v[30:31], 1
	v_add_f64 v[32:33], v[32:33], -v[42:43]
	v_add_f64 v[30:31], v[30:31], v[32:33]
	v_add_f64 v[32:33], v[38:39], v[30:31]
	v_add_f64 v[38:39], v[32:33], -v[38:39]
	v_add_f64 v[30:31], v[30:31], -v[38:39]
	v_add_f64 v[38:39], v[40:41], v[32:33]
	v_add_f64 v[42:43], v[38:39], -v[40:41]
	v_add_f64 v[46:47], v[38:39], -v[42:43]
	;; [unrolled: 1-line block ×4, first 2 shown]
	v_add_f64 v[32:33], v[32:33], v[40:41]
	v_add_f64 v[40:41], v[44:45], v[30:31]
	v_add_f64 v[42:43], v[40:41], -v[44:45]
	v_add_f64 v[32:33], v[40:41], v[32:33]
	v_add_f64 v[46:47], v[40:41], -v[42:43]
	;; [unrolled: 2-line block ×3, first 2 shown]
	v_add_f64 v[30:31], v[30:31], -v[42:43]
	v_add_f64 v[38:39], v[40:41], -v[38:39]
	v_add_f64 v[30:31], v[30:31], v[44:45]
	v_add_f64 v[32:33], v[32:33], -v[38:39]
	s_mov_b32 s0, 0
	v_add_f64 v[30:31], v[30:31], v[32:33]
	s_mov_b32 s1, 0x7ff00000
	v_add_f64 v[30:31], v[40:41], v[30:31]
	v_cmp_eq_f64_e64 s[0:1], s[0:1], v[14:15]
	v_mov_b32_e32 v32, 0x7ff80000
	s_nop 0
	v_cndmask_b32_e64 v30, v30, v14, s[0:1]
	v_cndmask_b32_e64 v31, v31, v15, s[0:1]
	v_cmp_ngt_f64_e64 s[0:1], -1.0, v[14:15]
	s_nop 1
	v_cndmask_b32_e64 v31, v32, v31, s[0:1]
	v_cmp_nge_f64_e64 s[0:1], -1.0, v[14:15]
	v_mov_b32_e32 v32, 0xfff00000
	s_nop 0
	v_cndmask_b32_e64 v30, 0, v30, s[0:1]
	v_cmp_neq_f64_e64 s[0:1], -1.0, v[14:15]
	s_nop 1
	v_cndmask_b32_e64 v31, v32, v31, s[0:1]
	v_add_f64 v[14:15], v[28:29], v[30:31]
.LBB80_120:
	s_or_b64 exec, exec, s[30:31]
	v_max_f64 v[28:29], v[14:15], v[14:15]
	v_min_f64 v[30:31], v[28:29], v[54:55]
	v_cmp_u_f64_e64 s[0:1], v[14:15], v[14:15]
	v_max_f64 v[28:29], v[28:29], v[54:55]
	s_nop 0
	v_cndmask_b32_e64 v30, v30, v14, s[0:1]
	v_cndmask_b32_e64 v31, v31, v15, s[0:1]
	;; [unrolled: 1-line block ×8, first 2 shown]
	v_cmp_neq_f64_e64 s[0:1], v[30:31], v[28:29]
	v_cmp_class_f64_e64 s[28:29], v[30:31], s33
	s_or_b64 s[0:1], s[0:1], s[28:29]
	v_mov_b64_e32 v[16:17], v[14:15]
	s_and_saveexec_b64 s[30:31], s[0:1]
	s_cbranch_execz .LBB80_122
; %bb.121:
	s_mov_b32 s0, 0x652b82fe
	v_add_f64 v[16:17], v[30:31], -v[28:29]
	s_mov_b32 s1, 0x3ff71547
	v_mul_f64 v[30:31], v[16:17], s[0:1]
	v_rndne_f64_e32 v[30:31], v[30:31]
	s_mov_b32 s35, 0xbfe62e42
	s_mov_b32 s34, 0xfefa39ef
	v_fma_f64 v[32:33], s[34:35], v[30:31], v[16:17]
	s_mov_b32 s37, 0xbc7abc9e
	s_mov_b32 s36, 0x3b39803f
	;; [unrolled: 1-line block ×3, first 2 shown]
	v_fmac_f64_e32 v[32:33], s[36:37], v[30:31]
	v_mov_b32_e32 v38, 0xfca7ab0c
	v_mov_b32_e32 v39, 0x3e928af3
	s_mov_b32 s1, 0x3e5ade15
	v_fmac_f64_e32 v[38:39], s[0:1], v[32:33]
	v_mov_b32_e32 v40, 0x623fde64
	v_mov_b32_e32 v41, 0x3ec71dee
	v_fmac_f64_e32 v[40:41], v[32:33], v[38:39]
	v_mov_b32_e32 v38, 0x7c89e6b0
	v_mov_b32_e32 v39, 0x3efa0199
	;; [unrolled: 3-line block ×8, first 2 shown]
	v_fmac_f64_e32 v[38:39], v[32:33], v[40:41]
	v_fma_f64 v[38:39], v[32:33], v[38:39], 1.0
	s_mov_b32 s0, 0
	s_mov_b32 s28, 0
	v_fma_f64 v[32:33], v[32:33], v[38:39], 1.0
	v_cvt_i32_f64_e32 v30, v[30:31]
	s_mov_b32 s1, 0x40900000
	s_mov_b32 s29, 0xc090cc00
	v_ldexp_f64 v[30:31], v[32:33], v30
	v_mov_b32_e32 v32, 0x7ff00000
	v_cmp_nlt_f64_e64 s[0:1], s[0:1], v[16:17]
	v_cmp_ngt_f64_e64 s[28:29], s[28:29], v[16:17]
	s_mov_b32 s35, 0x3fe62e42
	v_cndmask_b32_e64 v31, v32, v31, s[0:1]
	s_and_b64 s[0:1], s[28:29], s[0:1]
	v_cndmask_b32_e64 v17, 0, v31, s[28:29]
	v_cndmask_b32_e64 v16, 0, v30, s[0:1]
	v_add_f64 v[30:31], v[16:17], 1.0
	v_add_f64 v[32:33], v[30:31], -1.0
	v_add_f64 v[38:39], v[32:33], -v[30:31]
	v_add_f64 v[38:39], v[38:39], 1.0
	v_add_f64 v[32:33], v[16:17], -v[32:33]
	s_mov_b32 s0, 0x55555555
	v_add_f64 v[32:33], v[32:33], v[38:39]
	v_frexp_mant_f64_e32 v[38:39], v[30:31]
	s_mov_b32 s1, 0x3fe55555
	v_frexp_exp_i32_f64_e32 v40, v[30:31]
	v_cmp_gt_f64_e64 s[0:1], s[0:1], v[38:39]
	s_mov_b32 s37, 0x3c7abc9e
	s_nop 0
	v_subbrev_co_u32_e64 v54, s[0:1], 0, v40, s[0:1]
	v_sub_u32_e32 v38, 0, v54
	v_ldexp_f64 v[30:31], v[30:31], v38
	v_ldexp_f64 v[32:33], v[32:33], v38
	v_add_f64 v[38:39], v[30:31], -1.0
	v_add_f64 v[44:45], v[30:31], 1.0
	v_add_f64 v[40:41], v[38:39], 1.0
	v_add_f64 v[46:47], v[44:45], -1.0
	v_add_f64 v[40:41], v[30:31], -v[40:41]
	v_add_f64 v[30:31], v[30:31], -v[46:47]
	v_add_f64 v[30:31], v[32:33], v[30:31]
	v_add_f64 v[40:41], v[32:33], v[40:41]
	;; [unrolled: 1-line block ×3, first 2 shown]
	v_rcp_f64_e32 v[46:47], v[32:33]
	v_add_f64 v[42:43], v[38:39], v[40:41]
	v_add_f64 v[38:39], v[42:43], -v[38:39]
	v_add_f64 v[38:39], v[40:41], -v[38:39]
	;; [unrolled: 1-line block ×4, first 2 shown]
	v_fma_f64 v[40:41], -v[32:33], v[46:47], 1.0
	v_fmac_f64_e32 v[46:47], v[40:41], v[46:47]
	v_fma_f64 v[40:41], -v[32:33], v[46:47], 1.0
	v_fmac_f64_e32 v[46:47], v[40:41], v[46:47]
	v_mul_f64 v[40:41], v[42:43], v[46:47]
	v_mul_f64 v[44:45], v[32:33], v[40:41]
	v_fma_f64 v[48:49], v[40:41], v[32:33], -v[44:45]
	v_fmac_f64_e32 v[48:49], v[40:41], v[30:31]
	v_add_f64 v[50:51], v[44:45], v[48:49]
	v_add_f64 v[52:53], v[42:43], -v[50:51]
	v_add_f64 v[42:43], v[42:43], -v[52:53]
	;; [unrolled: 1-line block ×4, first 2 shown]
	v_add_f64 v[38:39], v[38:39], v[42:43]
	v_add_f64 v[42:43], v[44:45], -v[48:49]
	v_add_f64 v[38:39], v[42:43], v[38:39]
	v_add_f64 v[42:43], v[52:53], v[38:39]
	v_add_f64 v[44:45], v[52:53], -v[42:43]
	v_add_f64 v[38:39], v[38:39], v[44:45]
	v_mul_f64 v[44:45], v[46:47], v[42:43]
	v_mul_f64 v[48:49], v[32:33], v[44:45]
	v_fma_f64 v[32:33], v[44:45], v[32:33], -v[48:49]
	v_fmac_f64_e32 v[32:33], v[44:45], v[30:31]
	v_add_f64 v[30:31], v[48:49], v[32:33]
	v_add_f64 v[50:51], v[42:43], -v[30:31]
	v_add_f64 v[42:43], v[42:43], -v[50:51]
	;; [unrolled: 1-line block ×4, first 2 shown]
	v_add_f64 v[30:31], v[38:39], v[30:31]
	v_add_f64 v[32:33], v[48:49], -v[32:33]
	v_add_f64 v[30:31], v[32:33], v[30:31]
	v_add_f64 v[32:33], v[40:41], v[44:45]
	v_add_f64 v[30:31], v[50:51], v[30:31]
	v_add_f64 v[38:39], v[32:33], -v[40:41]
	v_mul_f64 v[30:31], v[46:47], v[30:31]
	v_add_f64 v[38:39], v[44:45], -v[38:39]
	v_add_f64 v[30:31], v[38:39], v[30:31]
	v_add_f64 v[38:39], v[32:33], v[30:31]
	v_add_f64 v[32:33], v[38:39], -v[32:33]
	s_mov_b32 s0, 0xbf559e2b
	v_add_f64 v[30:31], v[30:31], -v[32:33]
	v_mul_f64 v[32:33], v[38:39], v[38:39]
	v_mov_b32_e32 v40, 0x6b47b09a
	v_mov_b32_e32 v41, 0x3fc38538
	s_mov_b32 s1, 0x3fc3ab76
	v_fmac_f64_e32 v[40:41], s[0:1], v[32:33]
	v_mov_b32_e32 v42, 0xd7f4df2e
	v_mov_b32_e32 v43, 0x3fc7474d
	v_fmac_f64_e32 v[42:43], v[32:33], v[40:41]
	v_mov_b32_e32 v40, 0x16291751
	v_mov_b32_e32 v41, 0x3fcc71c0
	;; [unrolled: 3-line block ×5, first 2 shown]
	v_fmac_f64_e32 v[42:43], v[32:33], v[40:41]
	v_cvt_f64_i32_e32 v[40:41], v54
	v_mul_f64 v[44:45], v[40:41], s[34:35]
	v_fma_f64 v[46:47], v[40:41], s[34:35], -v[44:45]
	v_fmac_f64_e32 v[46:47], s[36:37], v[40:41]
	v_add_f64 v[40:41], v[44:45], v[46:47]
	v_add_f64 v[44:45], v[40:41], -v[44:45]
	v_mul_f64 v[32:33], v[38:39], v[32:33]
	v_add_f64 v[44:45], v[46:47], -v[44:45]
	v_ldexp_f64 v[46:47], v[38:39], 1
	v_mul_f64 v[32:33], v[32:33], v[42:43]
	v_add_f64 v[38:39], v[46:47], v[32:33]
	v_add_f64 v[42:43], v[38:39], -v[46:47]
	v_ldexp_f64 v[30:31], v[30:31], 1
	v_add_f64 v[32:33], v[32:33], -v[42:43]
	v_add_f64 v[30:31], v[30:31], v[32:33]
	v_add_f64 v[32:33], v[38:39], v[30:31]
	v_add_f64 v[38:39], v[32:33], -v[38:39]
	v_add_f64 v[30:31], v[30:31], -v[38:39]
	v_add_f64 v[38:39], v[40:41], v[32:33]
	v_add_f64 v[42:43], v[38:39], -v[40:41]
	v_add_f64 v[46:47], v[38:39], -v[42:43]
	;; [unrolled: 1-line block ×4, first 2 shown]
	v_add_f64 v[32:33], v[32:33], v[40:41]
	v_add_f64 v[40:41], v[44:45], v[30:31]
	v_add_f64 v[42:43], v[40:41], -v[44:45]
	v_add_f64 v[32:33], v[40:41], v[32:33]
	v_add_f64 v[46:47], v[40:41], -v[42:43]
	;; [unrolled: 2-line block ×3, first 2 shown]
	v_add_f64 v[30:31], v[30:31], -v[42:43]
	v_add_f64 v[38:39], v[40:41], -v[38:39]
	v_add_f64 v[30:31], v[30:31], v[44:45]
	v_add_f64 v[32:33], v[32:33], -v[38:39]
	s_mov_b32 s0, 0
	v_add_f64 v[30:31], v[30:31], v[32:33]
	s_mov_b32 s1, 0x7ff00000
	v_add_f64 v[30:31], v[40:41], v[30:31]
	v_cmp_eq_f64_e64 s[0:1], s[0:1], v[16:17]
	v_mov_b32_e32 v32, 0x7ff80000
	s_nop 0
	v_cndmask_b32_e64 v30, v30, v16, s[0:1]
	v_cndmask_b32_e64 v31, v31, v17, s[0:1]
	v_cmp_ngt_f64_e64 s[0:1], -1.0, v[16:17]
	s_nop 1
	v_cndmask_b32_e64 v31, v32, v31, s[0:1]
	v_cmp_nge_f64_e64 s[0:1], -1.0, v[16:17]
	v_mov_b32_e32 v32, 0xfff00000
	s_nop 0
	v_cndmask_b32_e64 v30, 0, v30, s[0:1]
	v_cmp_neq_f64_e64 s[0:1], -1.0, v[16:17]
	s_nop 1
	v_cndmask_b32_e64 v31, v32, v31, s[0:1]
	v_add_f64 v[16:17], v[28:29], v[30:31]
.LBB80_122:
	s_or_b64 exec, exec, s[30:31]
	v_max_f64 v[28:29], v[16:17], v[16:17]
	v_min_f64 v[30:31], v[28:29], v[56:57]
	v_cmp_u_f64_e64 s[0:1], v[16:17], v[16:17]
	v_max_f64 v[28:29], v[28:29], v[56:57]
	s_nop 0
	v_cndmask_b32_e64 v30, v30, v16, s[0:1]
	v_cndmask_b32_e64 v31, v31, v17, s[0:1]
	;; [unrolled: 1-line block ×8, first 2 shown]
	v_cmp_neq_f64_e64 s[0:1], v[30:31], v[28:29]
	v_cmp_class_f64_e64 s[28:29], v[30:31], s33
	s_or_b64 s[0:1], s[0:1], s[28:29]
	v_mov_b64_e32 v[10:11], v[16:17]
	s_and_saveexec_b64 s[30:31], s[0:1]
	s_cbranch_execz .LBB80_124
; %bb.123:
	s_mov_b32 s0, 0x652b82fe
	v_add_f64 v[10:11], v[30:31], -v[28:29]
	s_mov_b32 s1, 0x3ff71547
	v_mul_f64 v[30:31], v[10:11], s[0:1]
	v_rndne_f64_e32 v[30:31], v[30:31]
	s_mov_b32 s35, 0xbfe62e42
	s_mov_b32 s34, 0xfefa39ef
	v_fma_f64 v[32:33], s[34:35], v[30:31], v[10:11]
	s_mov_b32 s37, 0xbc7abc9e
	s_mov_b32 s36, 0x3b39803f
	;; [unrolled: 1-line block ×3, first 2 shown]
	v_fmac_f64_e32 v[32:33], s[36:37], v[30:31]
	v_mov_b32_e32 v38, 0xfca7ab0c
	v_mov_b32_e32 v39, 0x3e928af3
	s_mov_b32 s1, 0x3e5ade15
	v_fmac_f64_e32 v[38:39], s[0:1], v[32:33]
	v_mov_b32_e32 v40, 0x623fde64
	v_mov_b32_e32 v41, 0x3ec71dee
	v_fmac_f64_e32 v[40:41], v[32:33], v[38:39]
	v_mov_b32_e32 v38, 0x7c89e6b0
	v_mov_b32_e32 v39, 0x3efa0199
	;; [unrolled: 3-line block ×8, first 2 shown]
	v_fmac_f64_e32 v[38:39], v[32:33], v[40:41]
	v_fma_f64 v[38:39], v[32:33], v[38:39], 1.0
	s_mov_b32 s0, 0
	s_mov_b32 s28, 0
	v_fma_f64 v[32:33], v[32:33], v[38:39], 1.0
	v_cvt_i32_f64_e32 v30, v[30:31]
	s_mov_b32 s1, 0x40900000
	s_mov_b32 s29, 0xc090cc00
	v_ldexp_f64 v[30:31], v[32:33], v30
	v_mov_b32_e32 v32, 0x7ff00000
	v_cmp_nlt_f64_e64 s[0:1], s[0:1], v[10:11]
	v_cmp_ngt_f64_e64 s[28:29], s[28:29], v[10:11]
	s_mov_b32 s35, 0x3fe62e42
	v_cndmask_b32_e64 v31, v32, v31, s[0:1]
	s_and_b64 s[0:1], s[28:29], s[0:1]
	v_cndmask_b32_e64 v11, 0, v31, s[28:29]
	v_cndmask_b32_e64 v10, 0, v30, s[0:1]
	v_add_f64 v[30:31], v[10:11], 1.0
	v_add_f64 v[32:33], v[30:31], -1.0
	v_add_f64 v[38:39], v[32:33], -v[30:31]
	v_add_f64 v[38:39], v[38:39], 1.0
	v_add_f64 v[32:33], v[10:11], -v[32:33]
	s_mov_b32 s0, 0x55555555
	v_add_f64 v[32:33], v[32:33], v[38:39]
	v_frexp_mant_f64_e32 v[38:39], v[30:31]
	s_mov_b32 s1, 0x3fe55555
	v_frexp_exp_i32_f64_e32 v40, v[30:31]
	v_cmp_gt_f64_e64 s[0:1], s[0:1], v[38:39]
	s_mov_b32 s37, 0x3c7abc9e
	s_nop 0
	v_subbrev_co_u32_e64 v54, s[0:1], 0, v40, s[0:1]
	v_sub_u32_e32 v38, 0, v54
	v_ldexp_f64 v[30:31], v[30:31], v38
	v_ldexp_f64 v[32:33], v[32:33], v38
	v_add_f64 v[38:39], v[30:31], -1.0
	v_add_f64 v[44:45], v[30:31], 1.0
	v_add_f64 v[40:41], v[38:39], 1.0
	v_add_f64 v[46:47], v[44:45], -1.0
	v_add_f64 v[40:41], v[30:31], -v[40:41]
	v_add_f64 v[30:31], v[30:31], -v[46:47]
	v_add_f64 v[30:31], v[32:33], v[30:31]
	v_add_f64 v[40:41], v[32:33], v[40:41]
	;; [unrolled: 1-line block ×3, first 2 shown]
	v_rcp_f64_e32 v[46:47], v[32:33]
	v_add_f64 v[42:43], v[38:39], v[40:41]
	v_add_f64 v[38:39], v[42:43], -v[38:39]
	v_add_f64 v[38:39], v[40:41], -v[38:39]
	;; [unrolled: 1-line block ×4, first 2 shown]
	v_fma_f64 v[40:41], -v[32:33], v[46:47], 1.0
	v_fmac_f64_e32 v[46:47], v[40:41], v[46:47]
	v_fma_f64 v[40:41], -v[32:33], v[46:47], 1.0
	v_fmac_f64_e32 v[46:47], v[40:41], v[46:47]
	v_mul_f64 v[40:41], v[42:43], v[46:47]
	v_mul_f64 v[44:45], v[32:33], v[40:41]
	v_fma_f64 v[48:49], v[40:41], v[32:33], -v[44:45]
	v_fmac_f64_e32 v[48:49], v[40:41], v[30:31]
	v_add_f64 v[50:51], v[44:45], v[48:49]
	v_add_f64 v[52:53], v[42:43], -v[50:51]
	v_add_f64 v[42:43], v[42:43], -v[52:53]
	;; [unrolled: 1-line block ×4, first 2 shown]
	v_add_f64 v[38:39], v[38:39], v[42:43]
	v_add_f64 v[42:43], v[44:45], -v[48:49]
	v_add_f64 v[38:39], v[42:43], v[38:39]
	v_add_f64 v[42:43], v[52:53], v[38:39]
	v_add_f64 v[44:45], v[52:53], -v[42:43]
	v_add_f64 v[38:39], v[38:39], v[44:45]
	v_mul_f64 v[44:45], v[46:47], v[42:43]
	v_mul_f64 v[48:49], v[32:33], v[44:45]
	v_fma_f64 v[32:33], v[44:45], v[32:33], -v[48:49]
	v_fmac_f64_e32 v[32:33], v[44:45], v[30:31]
	v_add_f64 v[30:31], v[48:49], v[32:33]
	v_add_f64 v[50:51], v[42:43], -v[30:31]
	v_add_f64 v[42:43], v[42:43], -v[50:51]
	;; [unrolled: 1-line block ×4, first 2 shown]
	v_add_f64 v[30:31], v[38:39], v[30:31]
	v_add_f64 v[32:33], v[48:49], -v[32:33]
	v_add_f64 v[30:31], v[32:33], v[30:31]
	v_add_f64 v[32:33], v[40:41], v[44:45]
	;; [unrolled: 1-line block ×3, first 2 shown]
	v_add_f64 v[38:39], v[32:33], -v[40:41]
	v_mul_f64 v[30:31], v[46:47], v[30:31]
	v_add_f64 v[38:39], v[44:45], -v[38:39]
	v_add_f64 v[30:31], v[38:39], v[30:31]
	v_add_f64 v[38:39], v[32:33], v[30:31]
	v_add_f64 v[32:33], v[38:39], -v[32:33]
	s_mov_b32 s0, 0xbf559e2b
	v_add_f64 v[30:31], v[30:31], -v[32:33]
	v_mul_f64 v[32:33], v[38:39], v[38:39]
	v_mov_b32_e32 v40, 0x6b47b09a
	v_mov_b32_e32 v41, 0x3fc38538
	s_mov_b32 s1, 0x3fc3ab76
	v_fmac_f64_e32 v[40:41], s[0:1], v[32:33]
	v_mov_b32_e32 v42, 0xd7f4df2e
	v_mov_b32_e32 v43, 0x3fc7474d
	v_fmac_f64_e32 v[42:43], v[32:33], v[40:41]
	v_mov_b32_e32 v40, 0x16291751
	v_mov_b32_e32 v41, 0x3fcc71c0
	v_fmac_f64_e32 v[40:41], v[32:33], v[42:43]
	v_mov_b32_e32 v42, 0x9b27acf1
	v_mov_b32_e32 v43, 0x3fd24924
	v_fmac_f64_e32 v[42:43], v[32:33], v[40:41]
	v_mov_b32_e32 v40, 0x998ef7b6
	v_mov_b32_e32 v41, 0x3fd99999
	v_fmac_f64_e32 v[40:41], v[32:33], v[42:43]
	v_mov_b32_e32 v42, 0x55555780
	v_mov_b32_e32 v43, 0x3fe55555
	v_fmac_f64_e32 v[42:43], v[32:33], v[40:41]
	v_cvt_f64_i32_e32 v[40:41], v54
	v_mul_f64 v[44:45], v[40:41], s[34:35]
	v_fma_f64 v[46:47], v[40:41], s[34:35], -v[44:45]
	v_fmac_f64_e32 v[46:47], s[36:37], v[40:41]
	v_add_f64 v[40:41], v[44:45], v[46:47]
	v_add_f64 v[44:45], v[40:41], -v[44:45]
	v_mul_f64 v[32:33], v[38:39], v[32:33]
	v_add_f64 v[44:45], v[46:47], -v[44:45]
	v_ldexp_f64 v[46:47], v[38:39], 1
	v_mul_f64 v[32:33], v[32:33], v[42:43]
	v_add_f64 v[38:39], v[46:47], v[32:33]
	v_add_f64 v[42:43], v[38:39], -v[46:47]
	v_ldexp_f64 v[30:31], v[30:31], 1
	v_add_f64 v[32:33], v[32:33], -v[42:43]
	v_add_f64 v[30:31], v[30:31], v[32:33]
	v_add_f64 v[32:33], v[38:39], v[30:31]
	v_add_f64 v[38:39], v[32:33], -v[38:39]
	v_add_f64 v[30:31], v[30:31], -v[38:39]
	v_add_f64 v[38:39], v[40:41], v[32:33]
	v_add_f64 v[42:43], v[38:39], -v[40:41]
	v_add_f64 v[46:47], v[38:39], -v[42:43]
	;; [unrolled: 1-line block ×4, first 2 shown]
	v_add_f64 v[32:33], v[32:33], v[40:41]
	v_add_f64 v[40:41], v[44:45], v[30:31]
	v_add_f64 v[42:43], v[40:41], -v[44:45]
	v_add_f64 v[32:33], v[40:41], v[32:33]
	v_add_f64 v[46:47], v[40:41], -v[42:43]
	;; [unrolled: 2-line block ×3, first 2 shown]
	v_add_f64 v[30:31], v[30:31], -v[42:43]
	v_add_f64 v[38:39], v[40:41], -v[38:39]
	v_add_f64 v[30:31], v[30:31], v[44:45]
	v_add_f64 v[32:33], v[32:33], -v[38:39]
	s_mov_b32 s0, 0
	v_add_f64 v[30:31], v[30:31], v[32:33]
	s_mov_b32 s1, 0x7ff00000
	v_add_f64 v[30:31], v[40:41], v[30:31]
	v_cmp_eq_f64_e64 s[0:1], s[0:1], v[10:11]
	v_mov_b32_e32 v32, 0x7ff80000
	s_nop 0
	v_cndmask_b32_e64 v30, v30, v10, s[0:1]
	v_cndmask_b32_e64 v31, v31, v11, s[0:1]
	v_cmp_ngt_f64_e64 s[0:1], -1.0, v[10:11]
	s_nop 1
	v_cndmask_b32_e64 v31, v32, v31, s[0:1]
	v_cmp_nge_f64_e64 s[0:1], -1.0, v[10:11]
	v_mov_b32_e32 v32, 0xfff00000
	s_nop 0
	v_cndmask_b32_e64 v30, 0, v30, s[0:1]
	v_cmp_neq_f64_e64 s[0:1], -1.0, v[10:11]
	s_nop 1
	v_cndmask_b32_e64 v31, v32, v31, s[0:1]
	v_add_f64 v[10:11], v[28:29], v[30:31]
.LBB80_124:
	s_or_b64 exec, exec, s[30:31]
	v_max_f64 v[28:29], v[10:11], v[10:11]
	v_min_f64 v[30:31], v[28:29], v[58:59]
	v_cmp_u_f64_e64 s[0:1], v[10:11], v[10:11]
	v_max_f64 v[28:29], v[28:29], v[58:59]
	s_nop 0
	v_cndmask_b32_e64 v30, v30, v10, s[0:1]
	v_cndmask_b32_e64 v31, v31, v11, s[0:1]
	;; [unrolled: 1-line block ×8, first 2 shown]
	v_cmp_neq_f64_e64 s[0:1], v[30:31], v[28:29]
	v_cmp_class_f64_e64 s[28:29], v[30:31], s33
	s_or_b64 s[0:1], s[0:1], s[28:29]
	v_mov_b64_e32 v[12:13], v[10:11]
	s_and_saveexec_b64 s[30:31], s[0:1]
	s_cbranch_execz .LBB80_126
; %bb.125:
	s_mov_b32 s0, 0x652b82fe
	v_add_f64 v[12:13], v[30:31], -v[28:29]
	s_mov_b32 s1, 0x3ff71547
	v_mul_f64 v[30:31], v[12:13], s[0:1]
	v_rndne_f64_e32 v[30:31], v[30:31]
	s_mov_b32 s35, 0xbfe62e42
	s_mov_b32 s34, 0xfefa39ef
	v_fma_f64 v[32:33], s[34:35], v[30:31], v[12:13]
	s_mov_b32 s37, 0xbc7abc9e
	s_mov_b32 s36, 0x3b39803f
	;; [unrolled: 1-line block ×3, first 2 shown]
	v_fmac_f64_e32 v[32:33], s[36:37], v[30:31]
	v_mov_b32_e32 v38, 0xfca7ab0c
	v_mov_b32_e32 v39, 0x3e928af3
	s_mov_b32 s1, 0x3e5ade15
	v_fmac_f64_e32 v[38:39], s[0:1], v[32:33]
	v_mov_b32_e32 v40, 0x623fde64
	v_mov_b32_e32 v41, 0x3ec71dee
	v_fmac_f64_e32 v[40:41], v[32:33], v[38:39]
	v_mov_b32_e32 v38, 0x7c89e6b0
	v_mov_b32_e32 v39, 0x3efa0199
	;; [unrolled: 3-line block ×8, first 2 shown]
	v_fmac_f64_e32 v[38:39], v[32:33], v[40:41]
	v_fma_f64 v[38:39], v[32:33], v[38:39], 1.0
	s_mov_b32 s0, 0
	s_mov_b32 s28, 0
	v_fma_f64 v[32:33], v[32:33], v[38:39], 1.0
	v_cvt_i32_f64_e32 v30, v[30:31]
	s_mov_b32 s1, 0x40900000
	s_mov_b32 s29, 0xc090cc00
	v_ldexp_f64 v[30:31], v[32:33], v30
	v_mov_b32_e32 v32, 0x7ff00000
	v_cmp_nlt_f64_e64 s[0:1], s[0:1], v[12:13]
	v_cmp_ngt_f64_e64 s[28:29], s[28:29], v[12:13]
	s_mov_b32 s35, 0x3fe62e42
	v_cndmask_b32_e64 v31, v32, v31, s[0:1]
	s_and_b64 s[0:1], s[28:29], s[0:1]
	v_cndmask_b32_e64 v13, 0, v31, s[28:29]
	v_cndmask_b32_e64 v12, 0, v30, s[0:1]
	v_add_f64 v[30:31], v[12:13], 1.0
	v_add_f64 v[32:33], v[30:31], -1.0
	v_add_f64 v[38:39], v[32:33], -v[30:31]
	v_add_f64 v[38:39], v[38:39], 1.0
	v_add_f64 v[32:33], v[12:13], -v[32:33]
	s_mov_b32 s0, 0x55555555
	v_add_f64 v[32:33], v[32:33], v[38:39]
	v_frexp_mant_f64_e32 v[38:39], v[30:31]
	s_mov_b32 s1, 0x3fe55555
	v_frexp_exp_i32_f64_e32 v40, v[30:31]
	v_cmp_gt_f64_e64 s[0:1], s[0:1], v[38:39]
	s_mov_b32 s37, 0x3c7abc9e
	s_nop 0
	v_subbrev_co_u32_e64 v54, s[0:1], 0, v40, s[0:1]
	v_sub_u32_e32 v38, 0, v54
	v_ldexp_f64 v[30:31], v[30:31], v38
	v_ldexp_f64 v[32:33], v[32:33], v38
	v_add_f64 v[38:39], v[30:31], -1.0
	v_add_f64 v[44:45], v[30:31], 1.0
	v_add_f64 v[40:41], v[38:39], 1.0
	v_add_f64 v[46:47], v[44:45], -1.0
	v_add_f64 v[40:41], v[30:31], -v[40:41]
	v_add_f64 v[30:31], v[30:31], -v[46:47]
	v_add_f64 v[30:31], v[32:33], v[30:31]
	v_add_f64 v[40:41], v[32:33], v[40:41]
	;; [unrolled: 1-line block ×3, first 2 shown]
	v_rcp_f64_e32 v[46:47], v[32:33]
	v_add_f64 v[42:43], v[38:39], v[40:41]
	v_add_f64 v[38:39], v[42:43], -v[38:39]
	v_add_f64 v[38:39], v[40:41], -v[38:39]
	v_add_f64 v[40:41], v[32:33], -v[44:45]
	v_add_f64 v[30:31], v[30:31], -v[40:41]
	v_fma_f64 v[40:41], -v[32:33], v[46:47], 1.0
	v_fmac_f64_e32 v[46:47], v[40:41], v[46:47]
	v_fma_f64 v[40:41], -v[32:33], v[46:47], 1.0
	v_fmac_f64_e32 v[46:47], v[40:41], v[46:47]
	v_mul_f64 v[40:41], v[42:43], v[46:47]
	v_mul_f64 v[44:45], v[32:33], v[40:41]
	v_fma_f64 v[48:49], v[40:41], v[32:33], -v[44:45]
	v_fmac_f64_e32 v[48:49], v[40:41], v[30:31]
	v_add_f64 v[50:51], v[44:45], v[48:49]
	v_add_f64 v[52:53], v[42:43], -v[50:51]
	v_add_f64 v[42:43], v[42:43], -v[52:53]
	;; [unrolled: 1-line block ×4, first 2 shown]
	v_add_f64 v[38:39], v[38:39], v[42:43]
	v_add_f64 v[42:43], v[44:45], -v[48:49]
	v_add_f64 v[38:39], v[42:43], v[38:39]
	v_add_f64 v[42:43], v[52:53], v[38:39]
	v_add_f64 v[44:45], v[52:53], -v[42:43]
	v_add_f64 v[38:39], v[38:39], v[44:45]
	v_mul_f64 v[44:45], v[46:47], v[42:43]
	v_mul_f64 v[48:49], v[32:33], v[44:45]
	v_fma_f64 v[32:33], v[44:45], v[32:33], -v[48:49]
	v_fmac_f64_e32 v[32:33], v[44:45], v[30:31]
	v_add_f64 v[30:31], v[48:49], v[32:33]
	v_add_f64 v[50:51], v[42:43], -v[30:31]
	v_add_f64 v[42:43], v[42:43], -v[50:51]
	;; [unrolled: 1-line block ×4, first 2 shown]
	v_add_f64 v[30:31], v[38:39], v[30:31]
	v_add_f64 v[32:33], v[48:49], -v[32:33]
	v_add_f64 v[30:31], v[32:33], v[30:31]
	v_add_f64 v[32:33], v[40:41], v[44:45]
	;; [unrolled: 1-line block ×3, first 2 shown]
	v_add_f64 v[38:39], v[32:33], -v[40:41]
	v_mul_f64 v[30:31], v[46:47], v[30:31]
	v_add_f64 v[38:39], v[44:45], -v[38:39]
	v_add_f64 v[30:31], v[38:39], v[30:31]
	v_add_f64 v[38:39], v[32:33], v[30:31]
	v_add_f64 v[32:33], v[38:39], -v[32:33]
	s_mov_b32 s0, 0xbf559e2b
	v_add_f64 v[30:31], v[30:31], -v[32:33]
	v_mul_f64 v[32:33], v[38:39], v[38:39]
	v_mov_b32_e32 v40, 0x6b47b09a
	v_mov_b32_e32 v41, 0x3fc38538
	s_mov_b32 s1, 0x3fc3ab76
	v_fmac_f64_e32 v[40:41], s[0:1], v[32:33]
	v_mov_b32_e32 v42, 0xd7f4df2e
	v_mov_b32_e32 v43, 0x3fc7474d
	v_fmac_f64_e32 v[42:43], v[32:33], v[40:41]
	v_mov_b32_e32 v40, 0x16291751
	v_mov_b32_e32 v41, 0x3fcc71c0
	;; [unrolled: 3-line block ×5, first 2 shown]
	v_fmac_f64_e32 v[42:43], v[32:33], v[40:41]
	v_cvt_f64_i32_e32 v[40:41], v54
	v_mul_f64 v[44:45], v[40:41], s[34:35]
	v_fma_f64 v[46:47], v[40:41], s[34:35], -v[44:45]
	v_fmac_f64_e32 v[46:47], s[36:37], v[40:41]
	v_add_f64 v[40:41], v[44:45], v[46:47]
	v_add_f64 v[44:45], v[40:41], -v[44:45]
	v_mul_f64 v[32:33], v[38:39], v[32:33]
	v_add_f64 v[44:45], v[46:47], -v[44:45]
	v_ldexp_f64 v[46:47], v[38:39], 1
	v_mul_f64 v[32:33], v[32:33], v[42:43]
	v_add_f64 v[38:39], v[46:47], v[32:33]
	v_add_f64 v[42:43], v[38:39], -v[46:47]
	v_ldexp_f64 v[30:31], v[30:31], 1
	v_add_f64 v[32:33], v[32:33], -v[42:43]
	v_add_f64 v[30:31], v[30:31], v[32:33]
	v_add_f64 v[32:33], v[38:39], v[30:31]
	v_add_f64 v[38:39], v[32:33], -v[38:39]
	v_add_f64 v[30:31], v[30:31], -v[38:39]
	v_add_f64 v[38:39], v[40:41], v[32:33]
	v_add_f64 v[42:43], v[38:39], -v[40:41]
	v_add_f64 v[46:47], v[38:39], -v[42:43]
	;; [unrolled: 1-line block ×4, first 2 shown]
	v_add_f64 v[32:33], v[32:33], v[40:41]
	v_add_f64 v[40:41], v[44:45], v[30:31]
	v_add_f64 v[42:43], v[40:41], -v[44:45]
	v_add_f64 v[32:33], v[40:41], v[32:33]
	v_add_f64 v[46:47], v[40:41], -v[42:43]
	;; [unrolled: 2-line block ×3, first 2 shown]
	v_add_f64 v[30:31], v[30:31], -v[42:43]
	v_add_f64 v[38:39], v[40:41], -v[38:39]
	v_add_f64 v[30:31], v[30:31], v[44:45]
	v_add_f64 v[32:33], v[32:33], -v[38:39]
	s_mov_b32 s0, 0
	v_add_f64 v[30:31], v[30:31], v[32:33]
	s_mov_b32 s1, 0x7ff00000
	v_add_f64 v[30:31], v[40:41], v[30:31]
	v_cmp_eq_f64_e64 s[0:1], s[0:1], v[12:13]
	v_mov_b32_e32 v32, 0x7ff80000
	s_nop 0
	v_cndmask_b32_e64 v30, v30, v12, s[0:1]
	v_cndmask_b32_e64 v31, v31, v13, s[0:1]
	v_cmp_ngt_f64_e64 s[0:1], -1.0, v[12:13]
	s_nop 1
	v_cndmask_b32_e64 v31, v32, v31, s[0:1]
	v_cmp_nge_f64_e64 s[0:1], -1.0, v[12:13]
	v_mov_b32_e32 v32, 0xfff00000
	s_nop 0
	v_cndmask_b32_e64 v30, 0, v30, s[0:1]
	v_cmp_neq_f64_e64 s[0:1], -1.0, v[12:13]
	s_nop 1
	v_cndmask_b32_e64 v31, v32, v31, s[0:1]
	v_add_f64 v[12:13], v[28:29], v[30:31]
.LBB80_126:
	s_or_b64 exec, exec, s[30:31]
	v_max_f64 v[28:29], v[12:13], v[12:13]
	v_min_f64 v[30:31], v[28:29], v[60:61]
	v_cmp_u_f64_e64 s[0:1], v[12:13], v[12:13]
	v_max_f64 v[28:29], v[28:29], v[60:61]
	s_nop 0
	v_cndmask_b32_e64 v30, v30, v12, s[0:1]
	v_cndmask_b32_e64 v31, v31, v13, s[0:1]
	;; [unrolled: 1-line block ×8, first 2 shown]
	v_cmp_neq_f64_e64 s[0:1], v[30:31], v[28:29]
	v_cmp_class_f64_e64 s[28:29], v[30:31], s33
	s_or_b64 s[0:1], s[0:1], s[28:29]
	v_mov_b64_e32 v[6:7], v[12:13]
	s_and_saveexec_b64 s[30:31], s[0:1]
	s_cbranch_execz .LBB80_128
; %bb.127:
	s_mov_b32 s0, 0x652b82fe
	v_add_f64 v[6:7], v[30:31], -v[28:29]
	s_mov_b32 s1, 0x3ff71547
	v_mul_f64 v[30:31], v[6:7], s[0:1]
	v_rndne_f64_e32 v[30:31], v[30:31]
	s_mov_b32 s35, 0xbfe62e42
	s_mov_b32 s34, 0xfefa39ef
	v_fma_f64 v[32:33], s[34:35], v[30:31], v[6:7]
	s_mov_b32 s37, 0xbc7abc9e
	s_mov_b32 s36, 0x3b39803f
	s_mov_b32 s0, 0x6a5dcb37
	v_fmac_f64_e32 v[32:33], s[36:37], v[30:31]
	v_mov_b32_e32 v38, 0xfca7ab0c
	v_mov_b32_e32 v39, 0x3e928af3
	s_mov_b32 s1, 0x3e5ade15
	v_fmac_f64_e32 v[38:39], s[0:1], v[32:33]
	v_mov_b32_e32 v40, 0x623fde64
	v_mov_b32_e32 v41, 0x3ec71dee
	v_fmac_f64_e32 v[40:41], v[32:33], v[38:39]
	v_mov_b32_e32 v38, 0x7c89e6b0
	v_mov_b32_e32 v39, 0x3efa0199
	;; [unrolled: 3-line block ×8, first 2 shown]
	v_fmac_f64_e32 v[38:39], v[32:33], v[40:41]
	v_fma_f64 v[38:39], v[32:33], v[38:39], 1.0
	s_mov_b32 s0, 0
	s_mov_b32 s28, 0
	v_fma_f64 v[32:33], v[32:33], v[38:39], 1.0
	v_cvt_i32_f64_e32 v30, v[30:31]
	s_mov_b32 s1, 0x40900000
	s_mov_b32 s29, 0xc090cc00
	v_ldexp_f64 v[30:31], v[32:33], v30
	v_mov_b32_e32 v32, 0x7ff00000
	v_cmp_nlt_f64_e64 s[0:1], s[0:1], v[6:7]
	v_cmp_ngt_f64_e64 s[28:29], s[28:29], v[6:7]
	s_mov_b32 s35, 0x3fe62e42
	v_cndmask_b32_e64 v31, v32, v31, s[0:1]
	s_and_b64 s[0:1], s[28:29], s[0:1]
	v_cndmask_b32_e64 v7, 0, v31, s[28:29]
	v_cndmask_b32_e64 v6, 0, v30, s[0:1]
	v_add_f64 v[30:31], v[6:7], 1.0
	v_add_f64 v[32:33], v[30:31], -1.0
	v_add_f64 v[38:39], v[32:33], -v[30:31]
	v_add_f64 v[38:39], v[38:39], 1.0
	v_add_f64 v[32:33], v[6:7], -v[32:33]
	s_mov_b32 s0, 0x55555555
	v_add_f64 v[32:33], v[32:33], v[38:39]
	v_frexp_mant_f64_e32 v[38:39], v[30:31]
	s_mov_b32 s1, 0x3fe55555
	v_frexp_exp_i32_f64_e32 v40, v[30:31]
	v_cmp_gt_f64_e64 s[0:1], s[0:1], v[38:39]
	s_mov_b32 s37, 0x3c7abc9e
	s_nop 0
	v_subbrev_co_u32_e64 v54, s[0:1], 0, v40, s[0:1]
	v_sub_u32_e32 v38, 0, v54
	v_ldexp_f64 v[30:31], v[30:31], v38
	v_ldexp_f64 v[32:33], v[32:33], v38
	v_add_f64 v[38:39], v[30:31], -1.0
	v_add_f64 v[44:45], v[30:31], 1.0
	v_add_f64 v[40:41], v[38:39], 1.0
	v_add_f64 v[46:47], v[44:45], -1.0
	v_add_f64 v[40:41], v[30:31], -v[40:41]
	v_add_f64 v[30:31], v[30:31], -v[46:47]
	v_add_f64 v[30:31], v[32:33], v[30:31]
	v_add_f64 v[40:41], v[32:33], v[40:41]
	;; [unrolled: 1-line block ×3, first 2 shown]
	v_rcp_f64_e32 v[46:47], v[32:33]
	v_add_f64 v[42:43], v[38:39], v[40:41]
	v_add_f64 v[38:39], v[42:43], -v[38:39]
	v_add_f64 v[38:39], v[40:41], -v[38:39]
	;; [unrolled: 1-line block ×4, first 2 shown]
	v_fma_f64 v[40:41], -v[32:33], v[46:47], 1.0
	v_fmac_f64_e32 v[46:47], v[40:41], v[46:47]
	v_fma_f64 v[40:41], -v[32:33], v[46:47], 1.0
	v_fmac_f64_e32 v[46:47], v[40:41], v[46:47]
	v_mul_f64 v[40:41], v[42:43], v[46:47]
	v_mul_f64 v[44:45], v[32:33], v[40:41]
	v_fma_f64 v[48:49], v[40:41], v[32:33], -v[44:45]
	v_fmac_f64_e32 v[48:49], v[40:41], v[30:31]
	v_add_f64 v[50:51], v[44:45], v[48:49]
	v_add_f64 v[52:53], v[42:43], -v[50:51]
	v_add_f64 v[42:43], v[42:43], -v[52:53]
	;; [unrolled: 1-line block ×4, first 2 shown]
	v_add_f64 v[38:39], v[38:39], v[42:43]
	v_add_f64 v[42:43], v[44:45], -v[48:49]
	v_add_f64 v[38:39], v[42:43], v[38:39]
	v_add_f64 v[42:43], v[52:53], v[38:39]
	v_add_f64 v[44:45], v[52:53], -v[42:43]
	v_add_f64 v[38:39], v[38:39], v[44:45]
	v_mul_f64 v[44:45], v[46:47], v[42:43]
	v_mul_f64 v[48:49], v[32:33], v[44:45]
	v_fma_f64 v[32:33], v[44:45], v[32:33], -v[48:49]
	v_fmac_f64_e32 v[32:33], v[44:45], v[30:31]
	v_add_f64 v[30:31], v[48:49], v[32:33]
	v_add_f64 v[50:51], v[42:43], -v[30:31]
	v_add_f64 v[42:43], v[42:43], -v[50:51]
	;; [unrolled: 1-line block ×4, first 2 shown]
	v_add_f64 v[30:31], v[38:39], v[30:31]
	v_add_f64 v[32:33], v[48:49], -v[32:33]
	v_add_f64 v[30:31], v[32:33], v[30:31]
	v_add_f64 v[32:33], v[40:41], v[44:45]
	;; [unrolled: 1-line block ×3, first 2 shown]
	v_add_f64 v[38:39], v[32:33], -v[40:41]
	v_mul_f64 v[30:31], v[46:47], v[30:31]
	v_add_f64 v[38:39], v[44:45], -v[38:39]
	v_add_f64 v[30:31], v[38:39], v[30:31]
	v_add_f64 v[38:39], v[32:33], v[30:31]
	v_add_f64 v[32:33], v[38:39], -v[32:33]
	s_mov_b32 s0, 0xbf559e2b
	v_add_f64 v[30:31], v[30:31], -v[32:33]
	v_mul_f64 v[32:33], v[38:39], v[38:39]
	v_mov_b32_e32 v40, 0x6b47b09a
	v_mov_b32_e32 v41, 0x3fc38538
	s_mov_b32 s1, 0x3fc3ab76
	v_fmac_f64_e32 v[40:41], s[0:1], v[32:33]
	v_mov_b32_e32 v42, 0xd7f4df2e
	v_mov_b32_e32 v43, 0x3fc7474d
	v_fmac_f64_e32 v[42:43], v[32:33], v[40:41]
	v_mov_b32_e32 v40, 0x16291751
	v_mov_b32_e32 v41, 0x3fcc71c0
	v_fmac_f64_e32 v[40:41], v[32:33], v[42:43]
	v_mov_b32_e32 v42, 0x9b27acf1
	v_mov_b32_e32 v43, 0x3fd24924
	v_fmac_f64_e32 v[42:43], v[32:33], v[40:41]
	v_mov_b32_e32 v40, 0x998ef7b6
	v_mov_b32_e32 v41, 0x3fd99999
	v_fmac_f64_e32 v[40:41], v[32:33], v[42:43]
	v_mov_b32_e32 v42, 0x55555780
	v_mov_b32_e32 v43, 0x3fe55555
	v_fmac_f64_e32 v[42:43], v[32:33], v[40:41]
	v_cvt_f64_i32_e32 v[40:41], v54
	v_mul_f64 v[44:45], v[40:41], s[34:35]
	v_fma_f64 v[46:47], v[40:41], s[34:35], -v[44:45]
	v_fmac_f64_e32 v[46:47], s[36:37], v[40:41]
	v_add_f64 v[40:41], v[44:45], v[46:47]
	v_add_f64 v[44:45], v[40:41], -v[44:45]
	v_mul_f64 v[32:33], v[38:39], v[32:33]
	v_add_f64 v[44:45], v[46:47], -v[44:45]
	v_ldexp_f64 v[46:47], v[38:39], 1
	v_mul_f64 v[32:33], v[32:33], v[42:43]
	v_add_f64 v[38:39], v[46:47], v[32:33]
	v_add_f64 v[42:43], v[38:39], -v[46:47]
	v_ldexp_f64 v[30:31], v[30:31], 1
	v_add_f64 v[32:33], v[32:33], -v[42:43]
	v_add_f64 v[30:31], v[30:31], v[32:33]
	v_add_f64 v[32:33], v[38:39], v[30:31]
	v_add_f64 v[38:39], v[32:33], -v[38:39]
	v_add_f64 v[30:31], v[30:31], -v[38:39]
	v_add_f64 v[38:39], v[40:41], v[32:33]
	v_add_f64 v[42:43], v[38:39], -v[40:41]
	v_add_f64 v[46:47], v[38:39], -v[42:43]
	;; [unrolled: 1-line block ×4, first 2 shown]
	v_add_f64 v[32:33], v[32:33], v[40:41]
	v_add_f64 v[40:41], v[44:45], v[30:31]
	v_add_f64 v[42:43], v[40:41], -v[44:45]
	v_add_f64 v[32:33], v[40:41], v[32:33]
	v_add_f64 v[46:47], v[40:41], -v[42:43]
	;; [unrolled: 2-line block ×3, first 2 shown]
	v_add_f64 v[30:31], v[30:31], -v[42:43]
	v_add_f64 v[38:39], v[40:41], -v[38:39]
	v_add_f64 v[30:31], v[30:31], v[44:45]
	v_add_f64 v[32:33], v[32:33], -v[38:39]
	s_mov_b32 s0, 0
	v_add_f64 v[30:31], v[30:31], v[32:33]
	s_mov_b32 s1, 0x7ff00000
	v_add_f64 v[30:31], v[40:41], v[30:31]
	v_cmp_eq_f64_e64 s[0:1], s[0:1], v[6:7]
	v_mov_b32_e32 v32, 0x7ff80000
	s_nop 0
	v_cndmask_b32_e64 v30, v30, v6, s[0:1]
	v_cndmask_b32_e64 v31, v31, v7, s[0:1]
	v_cmp_ngt_f64_e64 s[0:1], -1.0, v[6:7]
	s_nop 1
	v_cndmask_b32_e64 v31, v32, v31, s[0:1]
	v_cmp_nge_f64_e64 s[0:1], -1.0, v[6:7]
	v_mov_b32_e32 v32, 0xfff00000
	s_nop 0
	v_cndmask_b32_e64 v30, 0, v30, s[0:1]
	v_cmp_neq_f64_e64 s[0:1], -1.0, v[6:7]
	s_nop 1
	v_cndmask_b32_e64 v31, v32, v31, s[0:1]
	v_add_f64 v[6:7], v[28:29], v[30:31]
.LBB80_128:
	s_or_b64 exec, exec, s[30:31]
	v_max_f64 v[28:29], v[6:7], v[6:7]
	v_min_f64 v[30:31], v[28:29], v[62:63]
	v_cmp_u_f64_e64 s[0:1], v[6:7], v[6:7]
	v_max_f64 v[28:29], v[28:29], v[62:63]
	s_nop 0
	v_cndmask_b32_e64 v30, v30, v6, s[0:1]
	v_cndmask_b32_e64 v31, v31, v7, s[0:1]
	;; [unrolled: 1-line block ×8, first 2 shown]
	v_cmp_neq_f64_e64 s[0:1], v[30:31], v[28:29]
	v_cmp_class_f64_e64 s[28:29], v[30:31], s33
	s_or_b64 s[0:1], s[0:1], s[28:29]
	v_mov_b64_e32 v[8:9], v[6:7]
	s_and_saveexec_b64 s[30:31], s[0:1]
	s_cbranch_execz .LBB80_130
; %bb.129:
	s_mov_b32 s0, 0x652b82fe
	v_add_f64 v[8:9], v[30:31], -v[28:29]
	s_mov_b32 s1, 0x3ff71547
	v_mul_f64 v[30:31], v[8:9], s[0:1]
	v_rndne_f64_e32 v[30:31], v[30:31]
	s_mov_b32 s35, 0xbfe62e42
	s_mov_b32 s34, 0xfefa39ef
	v_fma_f64 v[32:33], s[34:35], v[30:31], v[8:9]
	s_mov_b32 s37, 0xbc7abc9e
	s_mov_b32 s36, 0x3b39803f
	;; [unrolled: 1-line block ×3, first 2 shown]
	v_fmac_f64_e32 v[32:33], s[36:37], v[30:31]
	v_mov_b32_e32 v38, 0xfca7ab0c
	v_mov_b32_e32 v39, 0x3e928af3
	s_mov_b32 s1, 0x3e5ade15
	v_fmac_f64_e32 v[38:39], s[0:1], v[32:33]
	v_mov_b32_e32 v40, 0x623fde64
	v_mov_b32_e32 v41, 0x3ec71dee
	v_fmac_f64_e32 v[40:41], v[32:33], v[38:39]
	v_mov_b32_e32 v38, 0x7c89e6b0
	v_mov_b32_e32 v39, 0x3efa0199
	;; [unrolled: 3-line block ×8, first 2 shown]
	v_fmac_f64_e32 v[38:39], v[32:33], v[40:41]
	v_fma_f64 v[38:39], v[32:33], v[38:39], 1.0
	s_mov_b32 s0, 0
	s_mov_b32 s28, 0
	v_fma_f64 v[32:33], v[32:33], v[38:39], 1.0
	v_cvt_i32_f64_e32 v30, v[30:31]
	s_mov_b32 s1, 0x40900000
	s_mov_b32 s29, 0xc090cc00
	v_ldexp_f64 v[30:31], v[32:33], v30
	v_mov_b32_e32 v32, 0x7ff00000
	v_cmp_nlt_f64_e64 s[0:1], s[0:1], v[8:9]
	v_cmp_ngt_f64_e64 s[28:29], s[28:29], v[8:9]
	s_mov_b32 s35, 0x3fe62e42
	v_cndmask_b32_e64 v31, v32, v31, s[0:1]
	s_and_b64 s[0:1], s[28:29], s[0:1]
	v_cndmask_b32_e64 v9, 0, v31, s[28:29]
	v_cndmask_b32_e64 v8, 0, v30, s[0:1]
	v_add_f64 v[30:31], v[8:9], 1.0
	v_add_f64 v[32:33], v[30:31], -1.0
	v_add_f64 v[38:39], v[32:33], -v[30:31]
	v_add_f64 v[38:39], v[38:39], 1.0
	v_add_f64 v[32:33], v[8:9], -v[32:33]
	s_mov_b32 s0, 0x55555555
	v_add_f64 v[32:33], v[32:33], v[38:39]
	v_frexp_mant_f64_e32 v[38:39], v[30:31]
	s_mov_b32 s1, 0x3fe55555
	v_frexp_exp_i32_f64_e32 v40, v[30:31]
	v_cmp_gt_f64_e64 s[0:1], s[0:1], v[38:39]
	s_mov_b32 s37, 0x3c7abc9e
	s_nop 0
	v_subbrev_co_u32_e64 v54, s[0:1], 0, v40, s[0:1]
	v_sub_u32_e32 v38, 0, v54
	v_ldexp_f64 v[30:31], v[30:31], v38
	v_ldexp_f64 v[32:33], v[32:33], v38
	v_add_f64 v[38:39], v[30:31], -1.0
	v_add_f64 v[44:45], v[30:31], 1.0
	v_add_f64 v[40:41], v[38:39], 1.0
	v_add_f64 v[46:47], v[44:45], -1.0
	v_add_f64 v[40:41], v[30:31], -v[40:41]
	v_add_f64 v[30:31], v[30:31], -v[46:47]
	v_add_f64 v[30:31], v[32:33], v[30:31]
	v_add_f64 v[40:41], v[32:33], v[40:41]
	;; [unrolled: 1-line block ×3, first 2 shown]
	v_rcp_f64_e32 v[46:47], v[32:33]
	v_add_f64 v[42:43], v[38:39], v[40:41]
	v_add_f64 v[38:39], v[42:43], -v[38:39]
	v_add_f64 v[38:39], v[40:41], -v[38:39]
	v_add_f64 v[40:41], v[32:33], -v[44:45]
	v_add_f64 v[30:31], v[30:31], -v[40:41]
	v_fma_f64 v[40:41], -v[32:33], v[46:47], 1.0
	v_fmac_f64_e32 v[46:47], v[40:41], v[46:47]
	v_fma_f64 v[40:41], -v[32:33], v[46:47], 1.0
	v_fmac_f64_e32 v[46:47], v[40:41], v[46:47]
	v_mul_f64 v[40:41], v[42:43], v[46:47]
	v_mul_f64 v[44:45], v[32:33], v[40:41]
	v_fma_f64 v[48:49], v[40:41], v[32:33], -v[44:45]
	v_fmac_f64_e32 v[48:49], v[40:41], v[30:31]
	v_add_f64 v[50:51], v[44:45], v[48:49]
	v_add_f64 v[52:53], v[42:43], -v[50:51]
	v_add_f64 v[42:43], v[42:43], -v[52:53]
	;; [unrolled: 1-line block ×4, first 2 shown]
	v_add_f64 v[38:39], v[38:39], v[42:43]
	v_add_f64 v[42:43], v[44:45], -v[48:49]
	v_add_f64 v[38:39], v[42:43], v[38:39]
	v_add_f64 v[42:43], v[52:53], v[38:39]
	v_add_f64 v[44:45], v[52:53], -v[42:43]
	v_add_f64 v[38:39], v[38:39], v[44:45]
	v_mul_f64 v[44:45], v[46:47], v[42:43]
	v_mul_f64 v[48:49], v[32:33], v[44:45]
	v_fma_f64 v[32:33], v[44:45], v[32:33], -v[48:49]
	v_fmac_f64_e32 v[32:33], v[44:45], v[30:31]
	v_add_f64 v[30:31], v[48:49], v[32:33]
	v_add_f64 v[50:51], v[42:43], -v[30:31]
	v_add_f64 v[42:43], v[42:43], -v[50:51]
	;; [unrolled: 1-line block ×4, first 2 shown]
	v_add_f64 v[30:31], v[38:39], v[30:31]
	v_add_f64 v[32:33], v[48:49], -v[32:33]
	v_add_f64 v[30:31], v[32:33], v[30:31]
	v_add_f64 v[32:33], v[40:41], v[44:45]
	;; [unrolled: 1-line block ×3, first 2 shown]
	v_add_f64 v[38:39], v[32:33], -v[40:41]
	v_mul_f64 v[30:31], v[46:47], v[30:31]
	v_add_f64 v[38:39], v[44:45], -v[38:39]
	v_add_f64 v[30:31], v[38:39], v[30:31]
	v_add_f64 v[38:39], v[32:33], v[30:31]
	v_add_f64 v[32:33], v[38:39], -v[32:33]
	s_mov_b32 s0, 0xbf559e2b
	v_add_f64 v[30:31], v[30:31], -v[32:33]
	v_mul_f64 v[32:33], v[38:39], v[38:39]
	v_mov_b32_e32 v40, 0x6b47b09a
	v_mov_b32_e32 v41, 0x3fc38538
	s_mov_b32 s1, 0x3fc3ab76
	v_fmac_f64_e32 v[40:41], s[0:1], v[32:33]
	v_mov_b32_e32 v42, 0xd7f4df2e
	v_mov_b32_e32 v43, 0x3fc7474d
	v_fmac_f64_e32 v[42:43], v[32:33], v[40:41]
	v_mov_b32_e32 v40, 0x16291751
	v_mov_b32_e32 v41, 0x3fcc71c0
	;; [unrolled: 3-line block ×5, first 2 shown]
	v_fmac_f64_e32 v[42:43], v[32:33], v[40:41]
	v_cvt_f64_i32_e32 v[40:41], v54
	v_mul_f64 v[44:45], v[40:41], s[34:35]
	v_fma_f64 v[46:47], v[40:41], s[34:35], -v[44:45]
	v_fmac_f64_e32 v[46:47], s[36:37], v[40:41]
	v_add_f64 v[40:41], v[44:45], v[46:47]
	v_add_f64 v[44:45], v[40:41], -v[44:45]
	v_mul_f64 v[32:33], v[38:39], v[32:33]
	v_add_f64 v[44:45], v[46:47], -v[44:45]
	v_ldexp_f64 v[46:47], v[38:39], 1
	v_mul_f64 v[32:33], v[32:33], v[42:43]
	v_add_f64 v[38:39], v[46:47], v[32:33]
	v_add_f64 v[42:43], v[38:39], -v[46:47]
	v_ldexp_f64 v[30:31], v[30:31], 1
	v_add_f64 v[32:33], v[32:33], -v[42:43]
	v_add_f64 v[30:31], v[30:31], v[32:33]
	v_add_f64 v[32:33], v[38:39], v[30:31]
	v_add_f64 v[38:39], v[32:33], -v[38:39]
	v_add_f64 v[30:31], v[30:31], -v[38:39]
	v_add_f64 v[38:39], v[40:41], v[32:33]
	v_add_f64 v[42:43], v[38:39], -v[40:41]
	v_add_f64 v[46:47], v[38:39], -v[42:43]
	;; [unrolled: 1-line block ×4, first 2 shown]
	v_add_f64 v[32:33], v[32:33], v[40:41]
	v_add_f64 v[40:41], v[44:45], v[30:31]
	v_add_f64 v[42:43], v[40:41], -v[44:45]
	v_add_f64 v[32:33], v[40:41], v[32:33]
	v_add_f64 v[46:47], v[40:41], -v[42:43]
	;; [unrolled: 2-line block ×3, first 2 shown]
	v_add_f64 v[30:31], v[30:31], -v[42:43]
	v_add_f64 v[38:39], v[40:41], -v[38:39]
	v_add_f64 v[30:31], v[30:31], v[44:45]
	v_add_f64 v[32:33], v[32:33], -v[38:39]
	s_mov_b32 s0, 0
	v_add_f64 v[30:31], v[30:31], v[32:33]
	s_mov_b32 s1, 0x7ff00000
	v_add_f64 v[30:31], v[40:41], v[30:31]
	v_cmp_eq_f64_e64 s[0:1], s[0:1], v[8:9]
	v_mov_b32_e32 v32, 0x7ff80000
	s_nop 0
	v_cndmask_b32_e64 v30, v30, v8, s[0:1]
	v_cndmask_b32_e64 v31, v31, v9, s[0:1]
	v_cmp_ngt_f64_e64 s[0:1], -1.0, v[8:9]
	s_nop 1
	v_cndmask_b32_e64 v31, v32, v31, s[0:1]
	v_cmp_nge_f64_e64 s[0:1], -1.0, v[8:9]
	v_mov_b32_e32 v32, 0xfff00000
	s_nop 0
	v_cndmask_b32_e64 v30, 0, v30, s[0:1]
	v_cmp_neq_f64_e64 s[0:1], -1.0, v[8:9]
	s_nop 1
	v_cndmask_b32_e64 v31, v32, v31, s[0:1]
	v_add_f64 v[8:9], v[28:29], v[30:31]
.LBB80_130:
	s_or_b64 exec, exec, s[30:31]
	v_max_f64 v[28:29], v[8:9], v[8:9]
	v_min_f64 v[30:31], v[28:29], v[64:65]
	v_cmp_u_f64_e64 s[0:1], v[8:9], v[8:9]
	v_max_f64 v[28:29], v[28:29], v[64:65]
	s_nop 0
	v_cndmask_b32_e64 v30, v30, v8, s[0:1]
	v_cndmask_b32_e64 v31, v31, v9, s[0:1]
	;; [unrolled: 1-line block ×8, first 2 shown]
	v_cmp_neq_f64_e64 s[0:1], v[32:33], v[28:29]
	v_cmp_class_f64_e64 s[28:29], v[32:33], s33
	s_or_b64 s[0:1], s[0:1], s[28:29]
	v_mov_b64_e32 v[30:31], v[8:9]
	s_and_saveexec_b64 s[30:31], s[0:1]
	s_cbranch_execz .LBB80_132
; %bb.131:
	s_mov_b32 s0, 0x652b82fe
	v_add_f64 v[30:31], v[32:33], -v[28:29]
	s_mov_b32 s1, 0x3ff71547
	v_mul_f64 v[32:33], v[30:31], s[0:1]
	v_rndne_f64_e32 v[32:33], v[32:33]
	s_mov_b32 s35, 0xbfe62e42
	s_mov_b32 s34, 0xfefa39ef
	v_fma_f64 v[36:37], s[34:35], v[32:33], v[30:31]
	s_mov_b32 s37, 0xbc7abc9e
	s_mov_b32 s36, 0x3b39803f
	;; [unrolled: 1-line block ×3, first 2 shown]
	v_fmac_f64_e32 v[36:37], s[36:37], v[32:33]
	v_mov_b32_e32 v38, 0xfca7ab0c
	v_mov_b32_e32 v39, 0x3e928af3
	s_mov_b32 s1, 0x3e5ade15
	v_fmac_f64_e32 v[38:39], s[0:1], v[36:37]
	v_mov_b32_e32 v40, 0x623fde64
	v_mov_b32_e32 v41, 0x3ec71dee
	v_fmac_f64_e32 v[40:41], v[36:37], v[38:39]
	v_mov_b32_e32 v38, 0x7c89e6b0
	v_mov_b32_e32 v39, 0x3efa0199
	;; [unrolled: 3-line block ×8, first 2 shown]
	v_fmac_f64_e32 v[38:39], v[36:37], v[40:41]
	v_fma_f64 v[38:39], v[36:37], v[38:39], 1.0
	s_mov_b32 s0, 0
	s_mov_b32 s28, 0
	v_fma_f64 v[36:37], v[36:37], v[38:39], 1.0
	v_cvt_i32_f64_e32 v32, v[32:33]
	s_mov_b32 s1, 0x40900000
	s_mov_b32 s29, 0xc090cc00
	v_ldexp_f64 v[32:33], v[36:37], v32
	v_mov_b32_e32 v36, 0x7ff00000
	v_cmp_nlt_f64_e64 s[0:1], s[0:1], v[30:31]
	v_cmp_ngt_f64_e64 s[28:29], s[28:29], v[30:31]
	s_mov_b32 s35, 0x3fe62e42
	v_cndmask_b32_e64 v33, v36, v33, s[0:1]
	s_and_b64 s[0:1], s[28:29], s[0:1]
	v_cndmask_b32_e64 v31, 0, v33, s[28:29]
	v_cndmask_b32_e64 v30, 0, v32, s[0:1]
	v_add_f64 v[32:33], v[30:31], 1.0
	v_add_f64 v[36:37], v[32:33], -1.0
	v_add_f64 v[38:39], v[36:37], -v[32:33]
	v_add_f64 v[38:39], v[38:39], 1.0
	v_add_f64 v[36:37], v[30:31], -v[36:37]
	s_mov_b32 s0, 0x55555555
	v_add_f64 v[36:37], v[36:37], v[38:39]
	v_frexp_mant_f64_e32 v[38:39], v[32:33]
	s_mov_b32 s1, 0x3fe55555
	v_frexp_exp_i32_f64_e32 v40, v[32:33]
	v_cmp_gt_f64_e64 s[0:1], s[0:1], v[38:39]
	s_mov_b32 s37, 0x3c7abc9e
	s_nop 0
	v_subbrev_co_u32_e64 v54, s[0:1], 0, v40, s[0:1]
	v_sub_u32_e32 v38, 0, v54
	v_ldexp_f64 v[32:33], v[32:33], v38
	v_ldexp_f64 v[36:37], v[36:37], v38
	v_add_f64 v[38:39], v[32:33], -1.0
	v_add_f64 v[44:45], v[32:33], 1.0
	v_add_f64 v[40:41], v[38:39], 1.0
	v_add_f64 v[46:47], v[44:45], -1.0
	v_add_f64 v[40:41], v[32:33], -v[40:41]
	v_add_f64 v[32:33], v[32:33], -v[46:47]
	v_add_f64 v[32:33], v[36:37], v[32:33]
	v_add_f64 v[40:41], v[36:37], v[40:41]
	;; [unrolled: 1-line block ×3, first 2 shown]
	v_rcp_f64_e32 v[46:47], v[36:37]
	v_add_f64 v[42:43], v[38:39], v[40:41]
	v_add_f64 v[38:39], v[42:43], -v[38:39]
	v_add_f64 v[38:39], v[40:41], -v[38:39]
	;; [unrolled: 1-line block ×4, first 2 shown]
	v_fma_f64 v[40:41], -v[36:37], v[46:47], 1.0
	v_fmac_f64_e32 v[46:47], v[40:41], v[46:47]
	v_fma_f64 v[40:41], -v[36:37], v[46:47], 1.0
	v_fmac_f64_e32 v[46:47], v[40:41], v[46:47]
	v_mul_f64 v[40:41], v[42:43], v[46:47]
	v_mul_f64 v[44:45], v[36:37], v[40:41]
	v_fma_f64 v[48:49], v[40:41], v[36:37], -v[44:45]
	v_fmac_f64_e32 v[48:49], v[40:41], v[32:33]
	v_add_f64 v[50:51], v[44:45], v[48:49]
	v_add_f64 v[52:53], v[42:43], -v[50:51]
	v_add_f64 v[42:43], v[42:43], -v[52:53]
	;; [unrolled: 1-line block ×4, first 2 shown]
	v_add_f64 v[38:39], v[38:39], v[42:43]
	v_add_f64 v[42:43], v[44:45], -v[48:49]
	v_add_f64 v[38:39], v[42:43], v[38:39]
	v_add_f64 v[42:43], v[52:53], v[38:39]
	v_add_f64 v[44:45], v[52:53], -v[42:43]
	v_add_f64 v[38:39], v[38:39], v[44:45]
	v_mul_f64 v[44:45], v[46:47], v[42:43]
	v_mul_f64 v[48:49], v[36:37], v[44:45]
	v_fma_f64 v[36:37], v[44:45], v[36:37], -v[48:49]
	v_fmac_f64_e32 v[36:37], v[44:45], v[32:33]
	v_add_f64 v[32:33], v[48:49], v[36:37]
	v_add_f64 v[50:51], v[42:43], -v[32:33]
	v_add_f64 v[42:43], v[42:43], -v[50:51]
	;; [unrolled: 1-line block ×4, first 2 shown]
	v_add_f64 v[32:33], v[38:39], v[32:33]
	v_add_f64 v[36:37], v[48:49], -v[36:37]
	v_add_f64 v[32:33], v[36:37], v[32:33]
	v_add_f64 v[36:37], v[40:41], v[44:45]
	;; [unrolled: 1-line block ×3, first 2 shown]
	v_add_f64 v[38:39], v[36:37], -v[40:41]
	v_mul_f64 v[32:33], v[46:47], v[32:33]
	v_add_f64 v[38:39], v[44:45], -v[38:39]
	v_add_f64 v[32:33], v[38:39], v[32:33]
	v_add_f64 v[38:39], v[36:37], v[32:33]
	v_add_f64 v[36:37], v[38:39], -v[36:37]
	s_mov_b32 s0, 0xbf559e2b
	v_add_f64 v[32:33], v[32:33], -v[36:37]
	v_mul_f64 v[36:37], v[38:39], v[38:39]
	v_mov_b32_e32 v40, 0x6b47b09a
	v_mov_b32_e32 v41, 0x3fc38538
	s_mov_b32 s1, 0x3fc3ab76
	v_fmac_f64_e32 v[40:41], s[0:1], v[36:37]
	v_mov_b32_e32 v42, 0xd7f4df2e
	v_mov_b32_e32 v43, 0x3fc7474d
	v_fmac_f64_e32 v[42:43], v[36:37], v[40:41]
	v_mov_b32_e32 v40, 0x16291751
	v_mov_b32_e32 v41, 0x3fcc71c0
	;; [unrolled: 3-line block ×5, first 2 shown]
	v_fmac_f64_e32 v[42:43], v[36:37], v[40:41]
	v_cvt_f64_i32_e32 v[40:41], v54
	v_mul_f64 v[44:45], v[40:41], s[34:35]
	v_fma_f64 v[46:47], v[40:41], s[34:35], -v[44:45]
	v_fmac_f64_e32 v[46:47], s[36:37], v[40:41]
	v_add_f64 v[40:41], v[44:45], v[46:47]
	v_add_f64 v[44:45], v[40:41], -v[44:45]
	v_mul_f64 v[36:37], v[38:39], v[36:37]
	v_add_f64 v[44:45], v[46:47], -v[44:45]
	v_ldexp_f64 v[46:47], v[38:39], 1
	v_mul_f64 v[36:37], v[36:37], v[42:43]
	v_add_f64 v[38:39], v[46:47], v[36:37]
	v_add_f64 v[42:43], v[38:39], -v[46:47]
	v_ldexp_f64 v[32:33], v[32:33], 1
	v_add_f64 v[36:37], v[36:37], -v[42:43]
	v_add_f64 v[32:33], v[32:33], v[36:37]
	v_add_f64 v[36:37], v[38:39], v[32:33]
	v_add_f64 v[38:39], v[36:37], -v[38:39]
	v_add_f64 v[32:33], v[32:33], -v[38:39]
	v_add_f64 v[38:39], v[40:41], v[36:37]
	v_add_f64 v[42:43], v[38:39], -v[40:41]
	v_add_f64 v[46:47], v[38:39], -v[42:43]
	;; [unrolled: 1-line block ×4, first 2 shown]
	v_add_f64 v[36:37], v[36:37], v[40:41]
	v_add_f64 v[40:41], v[44:45], v[32:33]
	v_add_f64 v[42:43], v[40:41], -v[44:45]
	v_add_f64 v[36:37], v[40:41], v[36:37]
	v_add_f64 v[46:47], v[40:41], -v[42:43]
	;; [unrolled: 2-line block ×3, first 2 shown]
	v_add_f64 v[32:33], v[32:33], -v[42:43]
	v_add_f64 v[38:39], v[40:41], -v[38:39]
	v_add_f64 v[32:33], v[32:33], v[44:45]
	v_add_f64 v[36:37], v[36:37], -v[38:39]
	s_mov_b32 s0, 0
	v_add_f64 v[32:33], v[32:33], v[36:37]
	s_mov_b32 s1, 0x7ff00000
	v_add_f64 v[32:33], v[40:41], v[32:33]
	v_cmp_eq_f64_e64 s[0:1], s[0:1], v[30:31]
	v_mov_b32_e32 v36, 0x7ff80000
	s_nop 0
	v_cndmask_b32_e64 v32, v32, v30, s[0:1]
	v_cndmask_b32_e64 v33, v33, v31, s[0:1]
	v_cmp_ngt_f64_e64 s[0:1], -1.0, v[30:31]
	s_nop 1
	v_cndmask_b32_e64 v33, v36, v33, s[0:1]
	v_cmp_nge_f64_e64 s[0:1], -1.0, v[30:31]
	v_mov_b32_e32 v36, 0xfff00000
	s_nop 0
	v_cndmask_b32_e64 v32, 0, v32, s[0:1]
	v_cmp_neq_f64_e64 s[0:1], -1.0, v[30:31]
	s_nop 1
	v_cndmask_b32_e64 v33, v36, v33, s[0:1]
	v_add_f64 v[30:31], v[28:29], v[32:33]
.LBB80_132:
	s_or_b64 exec, exec, s[30:31]
	v_add_u32_e32 v28, v34, v35
	s_waitcnt lgkmcnt(0)
	s_barrier
	ds_write2_b64 v28, v[2:3], v[0:1] offset1:1
	ds_write2_b64 v28, v[4:5], v[26:27] offset0:2 offset1:3
	ds_write2_b64 v28, v[22:23], v[24:25] offset0:4 offset1:5
	;; [unrolled: 1-line block ×6, first 2 shown]
	ds_write_b64 v28, v[30:31] offset:112
	s_waitcnt lgkmcnt(0)
	s_barrier
	ds_read2st64_b64 v[24:27], v34 offset0:4 offset1:8
	ds_read2st64_b64 v[20:23], v34 offset0:12 offset1:16
	;; [unrolled: 1-line block ×7, first 2 shown]
	v_mov_b32_e32 v35, 0
	v_lshl_add_u64 v[28:29], s[62:63], 0, v[34:35]
	s_and_saveexec_b64 s[0:1], vcc
	s_cbranch_execnz .LBB80_148
; %bb.133:
	s_or_b64 exec, exec, s[0:1]
	s_and_saveexec_b64 s[0:1], s[58:59]
	s_cbranch_execnz .LBB80_149
.LBB80_134:
	s_or_b64 exec, exec, s[0:1]
	s_and_saveexec_b64 s[0:1], s[2:3]
	s_cbranch_execnz .LBB80_150
.LBB80_135:
	s_or_b64 exec, exec, s[0:1]
	s_and_saveexec_b64 s[0:1], s[4:5]
	s_cbranch_execnz .LBB80_151
.LBB80_136:
	s_or_b64 exec, exec, s[0:1]
	s_and_saveexec_b64 s[0:1], s[6:7]
	s_cbranch_execnz .LBB80_152
.LBB80_137:
	s_or_b64 exec, exec, s[0:1]
	s_and_saveexec_b64 s[0:1], s[8:9]
	s_cbranch_execnz .LBB80_153
.LBB80_138:
	s_or_b64 exec, exec, s[0:1]
	s_and_saveexec_b64 s[0:1], s[10:11]
	s_cbranch_execnz .LBB80_154
.LBB80_139:
	s_or_b64 exec, exec, s[0:1]
	s_and_saveexec_b64 s[0:1], s[12:13]
	s_cbranch_execnz .LBB80_155
.LBB80_140:
	s_or_b64 exec, exec, s[0:1]
	s_and_saveexec_b64 s[0:1], s[14:15]
	s_cbranch_execnz .LBB80_156
.LBB80_141:
	s_or_b64 exec, exec, s[0:1]
	s_and_saveexec_b64 s[0:1], s[16:17]
	s_cbranch_execnz .LBB80_157
.LBB80_142:
	s_or_b64 exec, exec, s[0:1]
	s_and_saveexec_b64 s[0:1], s[18:19]
	s_cbranch_execnz .LBB80_158
.LBB80_143:
	s_or_b64 exec, exec, s[0:1]
	s_and_saveexec_b64 s[0:1], s[20:21]
	s_cbranch_execnz .LBB80_159
.LBB80_144:
	s_or_b64 exec, exec, s[0:1]
	s_and_saveexec_b64 s[0:1], s[22:23]
	s_cbranch_execnz .LBB80_160
.LBB80_145:
	s_or_b64 exec, exec, s[0:1]
	s_and_saveexec_b64 s[0:1], s[24:25]
	s_cbranch_execnz .LBB80_161
.LBB80_146:
	s_or_b64 exec, exec, s[0:1]
	s_and_saveexec_b64 s[0:1], s[26:27]
	s_cbranch_execnz .LBB80_162
.LBB80_147:
	s_endpgm
.LBB80_148:
	ds_read_b64 v[30:31], v34
	s_waitcnt lgkmcnt(0)
	global_store_dwordx2 v[28:29], v[30:31], off
	s_or_b64 exec, exec, s[0:1]
	s_and_saveexec_b64 s[0:1], s[58:59]
	s_cbranch_execz .LBB80_134
.LBB80_149:
	s_waitcnt lgkmcnt(6)
	global_store_dwordx2 v[28:29], v[24:25], off offset:2048
	s_or_b64 exec, exec, s[0:1]
	s_and_saveexec_b64 s[0:1], s[2:3]
	s_cbranch_execz .LBB80_135
.LBB80_150:
	s_waitcnt lgkmcnt(6)
	v_add_co_u32_e32 v24, vcc, 0x1000, v28
	s_nop 1
	v_addc_co_u32_e32 v25, vcc, 0, v29, vcc
	global_store_dwordx2 v[24:25], v[26:27], off
	s_or_b64 exec, exec, s[0:1]
	s_and_saveexec_b64 s[0:1], s[4:5]
	s_cbranch_execz .LBB80_136
.LBB80_151:
	s_waitcnt lgkmcnt(6)
	v_add_co_u32_e32 v24, vcc, 0x1000, v28
	s_nop 1
	v_addc_co_u32_e32 v25, vcc, 0, v29, vcc
	s_waitcnt lgkmcnt(5)
	global_store_dwordx2 v[24:25], v[20:21], off offset:2048
	s_or_b64 exec, exec, s[0:1]
	s_and_saveexec_b64 s[0:1], s[6:7]
	s_cbranch_execz .LBB80_137
.LBB80_152:
	s_waitcnt lgkmcnt(5)
	v_add_co_u32_e32 v20, vcc, 0x2000, v28
	s_nop 1
	v_addc_co_u32_e32 v21, vcc, 0, v29, vcc
	global_store_dwordx2 v[20:21], v[22:23], off
	s_or_b64 exec, exec, s[0:1]
	s_and_saveexec_b64 s[0:1], s[8:9]
	s_cbranch_execz .LBB80_138
.LBB80_153:
	s_waitcnt lgkmcnt(5)
	v_add_co_u32_e32 v20, vcc, 0x2000, v28
	s_nop 1
	v_addc_co_u32_e32 v21, vcc, 0, v29, vcc
	s_waitcnt lgkmcnt(4)
	global_store_dwordx2 v[20:21], v[16:17], off offset:2048
	s_or_b64 exec, exec, s[0:1]
	s_and_saveexec_b64 s[0:1], s[10:11]
	s_cbranch_execz .LBB80_139
.LBB80_154:
	s_waitcnt lgkmcnt(4)
	v_add_co_u32_e32 v16, vcc, 0x3000, v28
	s_nop 1
	v_addc_co_u32_e32 v17, vcc, 0, v29, vcc
	global_store_dwordx2 v[16:17], v[18:19], off
	s_or_b64 exec, exec, s[0:1]
	s_and_saveexec_b64 s[0:1], s[12:13]
	s_cbranch_execz .LBB80_140
.LBB80_155:
	s_waitcnt lgkmcnt(4)
	v_add_co_u32_e32 v16, vcc, 0x3000, v28
	s_nop 1
	v_addc_co_u32_e32 v17, vcc, 0, v29, vcc
	s_waitcnt lgkmcnt(3)
	global_store_dwordx2 v[16:17], v[12:13], off offset:2048
	s_or_b64 exec, exec, s[0:1]
	s_and_saveexec_b64 s[0:1], s[14:15]
	s_cbranch_execz .LBB80_141
.LBB80_156:
	s_waitcnt lgkmcnt(3)
	v_add_co_u32_e32 v12, vcc, 0x4000, v28
	s_nop 1
	v_addc_co_u32_e32 v13, vcc, 0, v29, vcc
	global_store_dwordx2 v[12:13], v[14:15], off
	s_or_b64 exec, exec, s[0:1]
	s_and_saveexec_b64 s[0:1], s[16:17]
	s_cbranch_execz .LBB80_142
.LBB80_157:
	s_waitcnt lgkmcnt(3)
	v_add_co_u32_e32 v12, vcc, 0x4000, v28
	s_nop 1
	v_addc_co_u32_e32 v13, vcc, 0, v29, vcc
	s_waitcnt lgkmcnt(2)
	global_store_dwordx2 v[12:13], v[8:9], off offset:2048
	s_or_b64 exec, exec, s[0:1]
	s_and_saveexec_b64 s[0:1], s[18:19]
	s_cbranch_execz .LBB80_143
.LBB80_158:
	s_waitcnt lgkmcnt(2)
	v_add_co_u32_e32 v8, vcc, 0x5000, v28
	s_nop 1
	v_addc_co_u32_e32 v9, vcc, 0, v29, vcc
	global_store_dwordx2 v[8:9], v[10:11], off
	s_or_b64 exec, exec, s[0:1]
	s_and_saveexec_b64 s[0:1], s[20:21]
	s_cbranch_execz .LBB80_144
.LBB80_159:
	s_waitcnt lgkmcnt(2)
	v_add_co_u32_e32 v8, vcc, 0x5000, v28
	s_nop 1
	v_addc_co_u32_e32 v9, vcc, 0, v29, vcc
	s_waitcnt lgkmcnt(1)
	global_store_dwordx2 v[8:9], v[4:5], off offset:2048
	s_or_b64 exec, exec, s[0:1]
	s_and_saveexec_b64 s[0:1], s[22:23]
	s_cbranch_execz .LBB80_145
.LBB80_160:
	s_waitcnt lgkmcnt(1)
	v_add_co_u32_e32 v4, vcc, 0x6000, v28
	s_nop 1
	v_addc_co_u32_e32 v5, vcc, 0, v29, vcc
	global_store_dwordx2 v[4:5], v[6:7], off
	s_or_b64 exec, exec, s[0:1]
	s_and_saveexec_b64 s[0:1], s[24:25]
	s_cbranch_execz .LBB80_146
.LBB80_161:
	s_waitcnt lgkmcnt(1)
	v_add_co_u32_e32 v4, vcc, 0x6000, v28
	s_nop 1
	v_addc_co_u32_e32 v5, vcc, 0, v29, vcc
	s_waitcnt lgkmcnt(0)
	global_store_dwordx2 v[4:5], v[0:1], off offset:2048
	s_or_b64 exec, exec, s[0:1]
	s_and_saveexec_b64 s[0:1], s[26:27]
	s_cbranch_execz .LBB80_147
.LBB80_162:
	s_waitcnt lgkmcnt(0)
	v_add_co_u32_e32 v0, vcc, 0x7000, v28
	s_nop 1
	v_addc_co_u32_e32 v1, vcc, 0, v29, vcc
	global_store_dwordx2 v[0:1], v[2:3], off
	s_endpgm
	.section	.rodata,"a",@progbits
	.p2align	6, 0x0
	.amdhsa_kernel _ZN7rocprim17ROCPRIM_400000_NS6detail17trampoline_kernelINS0_14default_configENS1_20scan_config_selectorIdEEZZNS1_9scan_implILNS1_25lookback_scan_determinismE0ELb0ELb0ES3_PKdPddZZZN2at6native31launch_logcumsumexp_cuda_kernelERKNSB_10TensorBaseESF_lENKUlvE_clEvENKUlvE_clEvEUlddE_dEEDaPvRmT3_T4_T5_mT6_P12ihipStream_tbENKUlT_T0_E_clISt17integral_constantIbLb0EESV_IbLb1EEEEDaSR_SS_EUlSR_E0_NS1_11comp_targetILNS1_3genE5ELNS1_11target_archE942ELNS1_3gpuE9ELNS1_3repE0EEENS1_30default_config_static_selectorELNS0_4arch9wavefront6targetE1EEEvT1_
		.amdhsa_group_segment_fixed_size 30720
		.amdhsa_private_segment_fixed_size 0
		.amdhsa_kernarg_size 40
		.amdhsa_user_sgpr_count 2
		.amdhsa_user_sgpr_dispatch_ptr 0
		.amdhsa_user_sgpr_queue_ptr 0
		.amdhsa_user_sgpr_kernarg_segment_ptr 1
		.amdhsa_user_sgpr_dispatch_id 0
		.amdhsa_user_sgpr_kernarg_preload_length 0
		.amdhsa_user_sgpr_kernarg_preload_offset 0
		.amdhsa_user_sgpr_private_segment_size 0
		.amdhsa_uses_dynamic_stack 0
		.amdhsa_enable_private_segment 0
		.amdhsa_system_sgpr_workgroup_id_x 1
		.amdhsa_system_sgpr_workgroup_id_y 0
		.amdhsa_system_sgpr_workgroup_id_z 0
		.amdhsa_system_sgpr_workgroup_info 0
		.amdhsa_system_vgpr_workitem_id 0
		.amdhsa_next_free_vgpr 100
		.amdhsa_next_free_sgpr 78
		.amdhsa_accum_offset 100
		.amdhsa_reserve_vcc 1
		.amdhsa_float_round_mode_32 0
		.amdhsa_float_round_mode_16_64 0
		.amdhsa_float_denorm_mode_32 3
		.amdhsa_float_denorm_mode_16_64 3
		.amdhsa_dx10_clamp 1
		.amdhsa_ieee_mode 1
		.amdhsa_fp16_overflow 0
		.amdhsa_tg_split 0
		.amdhsa_exception_fp_ieee_invalid_op 0
		.amdhsa_exception_fp_denorm_src 0
		.amdhsa_exception_fp_ieee_div_zero 0
		.amdhsa_exception_fp_ieee_overflow 0
		.amdhsa_exception_fp_ieee_underflow 0
		.amdhsa_exception_fp_ieee_inexact 0
		.amdhsa_exception_int_div_zero 0
	.end_amdhsa_kernel
	.section	.text._ZN7rocprim17ROCPRIM_400000_NS6detail17trampoline_kernelINS0_14default_configENS1_20scan_config_selectorIdEEZZNS1_9scan_implILNS1_25lookback_scan_determinismE0ELb0ELb0ES3_PKdPddZZZN2at6native31launch_logcumsumexp_cuda_kernelERKNSB_10TensorBaseESF_lENKUlvE_clEvENKUlvE_clEvEUlddE_dEEDaPvRmT3_T4_T5_mT6_P12ihipStream_tbENKUlT_T0_E_clISt17integral_constantIbLb0EESV_IbLb1EEEEDaSR_SS_EUlSR_E0_NS1_11comp_targetILNS1_3genE5ELNS1_11target_archE942ELNS1_3gpuE9ELNS1_3repE0EEENS1_30default_config_static_selectorELNS0_4arch9wavefront6targetE1EEEvT1_,"axG",@progbits,_ZN7rocprim17ROCPRIM_400000_NS6detail17trampoline_kernelINS0_14default_configENS1_20scan_config_selectorIdEEZZNS1_9scan_implILNS1_25lookback_scan_determinismE0ELb0ELb0ES3_PKdPddZZZN2at6native31launch_logcumsumexp_cuda_kernelERKNSB_10TensorBaseESF_lENKUlvE_clEvENKUlvE_clEvEUlddE_dEEDaPvRmT3_T4_T5_mT6_P12ihipStream_tbENKUlT_T0_E_clISt17integral_constantIbLb0EESV_IbLb1EEEEDaSR_SS_EUlSR_E0_NS1_11comp_targetILNS1_3genE5ELNS1_11target_archE942ELNS1_3gpuE9ELNS1_3repE0EEENS1_30default_config_static_selectorELNS0_4arch9wavefront6targetE1EEEvT1_,comdat
.Lfunc_end80:
	.size	_ZN7rocprim17ROCPRIM_400000_NS6detail17trampoline_kernelINS0_14default_configENS1_20scan_config_selectorIdEEZZNS1_9scan_implILNS1_25lookback_scan_determinismE0ELb0ELb0ES3_PKdPddZZZN2at6native31launch_logcumsumexp_cuda_kernelERKNSB_10TensorBaseESF_lENKUlvE_clEvENKUlvE_clEvEUlddE_dEEDaPvRmT3_T4_T5_mT6_P12ihipStream_tbENKUlT_T0_E_clISt17integral_constantIbLb0EESV_IbLb1EEEEDaSR_SS_EUlSR_E0_NS1_11comp_targetILNS1_3genE5ELNS1_11target_archE942ELNS1_3gpuE9ELNS1_3repE0EEENS1_30default_config_static_selectorELNS0_4arch9wavefront6targetE1EEEvT1_, .Lfunc_end80-_ZN7rocprim17ROCPRIM_400000_NS6detail17trampoline_kernelINS0_14default_configENS1_20scan_config_selectorIdEEZZNS1_9scan_implILNS1_25lookback_scan_determinismE0ELb0ELb0ES3_PKdPddZZZN2at6native31launch_logcumsumexp_cuda_kernelERKNSB_10TensorBaseESF_lENKUlvE_clEvENKUlvE_clEvEUlddE_dEEDaPvRmT3_T4_T5_mT6_P12ihipStream_tbENKUlT_T0_E_clISt17integral_constantIbLb0EESV_IbLb1EEEEDaSR_SS_EUlSR_E0_NS1_11comp_targetILNS1_3genE5ELNS1_11target_archE942ELNS1_3gpuE9ELNS1_3repE0EEENS1_30default_config_static_selectorELNS0_4arch9wavefront6targetE1EEEvT1_
                                        ; -- End function
	.section	.AMDGPU.csdata,"",@progbits
; Kernel info:
; codeLenInByte = 70192
; NumSgprs: 84
; NumVgprs: 100
; NumAgprs: 0
; TotalNumVgprs: 100
; ScratchSize: 0
; MemoryBound: 0
; FloatMode: 240
; IeeeMode: 1
; LDSByteSize: 30720 bytes/workgroup (compile time only)
; SGPRBlocks: 10
; VGPRBlocks: 12
; NumSGPRsForWavesPerEU: 84
; NumVGPRsForWavesPerEU: 100
; AccumOffset: 100
; Occupancy: 2
; WaveLimiterHint : 0
; COMPUTE_PGM_RSRC2:SCRATCH_EN: 0
; COMPUTE_PGM_RSRC2:USER_SGPR: 2
; COMPUTE_PGM_RSRC2:TRAP_HANDLER: 0
; COMPUTE_PGM_RSRC2:TGID_X_EN: 1
; COMPUTE_PGM_RSRC2:TGID_Y_EN: 0
; COMPUTE_PGM_RSRC2:TGID_Z_EN: 0
; COMPUTE_PGM_RSRC2:TIDIG_COMP_CNT: 0
; COMPUTE_PGM_RSRC3_GFX90A:ACCUM_OFFSET: 24
; COMPUTE_PGM_RSRC3_GFX90A:TG_SPLIT: 0
	.section	.text._ZN7rocprim17ROCPRIM_400000_NS6detail17trampoline_kernelINS0_14default_configENS1_20scan_config_selectorIdEEZZNS1_9scan_implILNS1_25lookback_scan_determinismE0ELb0ELb0ES3_PKdPddZZZN2at6native31launch_logcumsumexp_cuda_kernelERKNSB_10TensorBaseESF_lENKUlvE_clEvENKUlvE_clEvEUlddE_dEEDaPvRmT3_T4_T5_mT6_P12ihipStream_tbENKUlT_T0_E_clISt17integral_constantIbLb0EESV_IbLb1EEEEDaSR_SS_EUlSR_E0_NS1_11comp_targetILNS1_3genE4ELNS1_11target_archE910ELNS1_3gpuE8ELNS1_3repE0EEENS1_30default_config_static_selectorELNS0_4arch9wavefront6targetE1EEEvT1_,"axG",@progbits,_ZN7rocprim17ROCPRIM_400000_NS6detail17trampoline_kernelINS0_14default_configENS1_20scan_config_selectorIdEEZZNS1_9scan_implILNS1_25lookback_scan_determinismE0ELb0ELb0ES3_PKdPddZZZN2at6native31launch_logcumsumexp_cuda_kernelERKNSB_10TensorBaseESF_lENKUlvE_clEvENKUlvE_clEvEUlddE_dEEDaPvRmT3_T4_T5_mT6_P12ihipStream_tbENKUlT_T0_E_clISt17integral_constantIbLb0EESV_IbLb1EEEEDaSR_SS_EUlSR_E0_NS1_11comp_targetILNS1_3genE4ELNS1_11target_archE910ELNS1_3gpuE8ELNS1_3repE0EEENS1_30default_config_static_selectorELNS0_4arch9wavefront6targetE1EEEvT1_,comdat
	.globl	_ZN7rocprim17ROCPRIM_400000_NS6detail17trampoline_kernelINS0_14default_configENS1_20scan_config_selectorIdEEZZNS1_9scan_implILNS1_25lookback_scan_determinismE0ELb0ELb0ES3_PKdPddZZZN2at6native31launch_logcumsumexp_cuda_kernelERKNSB_10TensorBaseESF_lENKUlvE_clEvENKUlvE_clEvEUlddE_dEEDaPvRmT3_T4_T5_mT6_P12ihipStream_tbENKUlT_T0_E_clISt17integral_constantIbLb0EESV_IbLb1EEEEDaSR_SS_EUlSR_E0_NS1_11comp_targetILNS1_3genE4ELNS1_11target_archE910ELNS1_3gpuE8ELNS1_3repE0EEENS1_30default_config_static_selectorELNS0_4arch9wavefront6targetE1EEEvT1_ ; -- Begin function _ZN7rocprim17ROCPRIM_400000_NS6detail17trampoline_kernelINS0_14default_configENS1_20scan_config_selectorIdEEZZNS1_9scan_implILNS1_25lookback_scan_determinismE0ELb0ELb0ES3_PKdPddZZZN2at6native31launch_logcumsumexp_cuda_kernelERKNSB_10TensorBaseESF_lENKUlvE_clEvENKUlvE_clEvEUlddE_dEEDaPvRmT3_T4_T5_mT6_P12ihipStream_tbENKUlT_T0_E_clISt17integral_constantIbLb0EESV_IbLb1EEEEDaSR_SS_EUlSR_E0_NS1_11comp_targetILNS1_3genE4ELNS1_11target_archE910ELNS1_3gpuE8ELNS1_3repE0EEENS1_30default_config_static_selectorELNS0_4arch9wavefront6targetE1EEEvT1_
	.p2align	8
	.type	_ZN7rocprim17ROCPRIM_400000_NS6detail17trampoline_kernelINS0_14default_configENS1_20scan_config_selectorIdEEZZNS1_9scan_implILNS1_25lookback_scan_determinismE0ELb0ELb0ES3_PKdPddZZZN2at6native31launch_logcumsumexp_cuda_kernelERKNSB_10TensorBaseESF_lENKUlvE_clEvENKUlvE_clEvEUlddE_dEEDaPvRmT3_T4_T5_mT6_P12ihipStream_tbENKUlT_T0_E_clISt17integral_constantIbLb0EESV_IbLb1EEEEDaSR_SS_EUlSR_E0_NS1_11comp_targetILNS1_3genE4ELNS1_11target_archE910ELNS1_3gpuE8ELNS1_3repE0EEENS1_30default_config_static_selectorELNS0_4arch9wavefront6targetE1EEEvT1_,@function
_ZN7rocprim17ROCPRIM_400000_NS6detail17trampoline_kernelINS0_14default_configENS1_20scan_config_selectorIdEEZZNS1_9scan_implILNS1_25lookback_scan_determinismE0ELb0ELb0ES3_PKdPddZZZN2at6native31launch_logcumsumexp_cuda_kernelERKNSB_10TensorBaseESF_lENKUlvE_clEvENKUlvE_clEvEUlddE_dEEDaPvRmT3_T4_T5_mT6_P12ihipStream_tbENKUlT_T0_E_clISt17integral_constantIbLb0EESV_IbLb1EEEEDaSR_SS_EUlSR_E0_NS1_11comp_targetILNS1_3genE4ELNS1_11target_archE910ELNS1_3gpuE8ELNS1_3repE0EEENS1_30default_config_static_selectorELNS0_4arch9wavefront6targetE1EEEvT1_: ; @_ZN7rocprim17ROCPRIM_400000_NS6detail17trampoline_kernelINS0_14default_configENS1_20scan_config_selectorIdEEZZNS1_9scan_implILNS1_25lookback_scan_determinismE0ELb0ELb0ES3_PKdPddZZZN2at6native31launch_logcumsumexp_cuda_kernelERKNSB_10TensorBaseESF_lENKUlvE_clEvENKUlvE_clEvEUlddE_dEEDaPvRmT3_T4_T5_mT6_P12ihipStream_tbENKUlT_T0_E_clISt17integral_constantIbLb0EESV_IbLb1EEEEDaSR_SS_EUlSR_E0_NS1_11comp_targetILNS1_3genE4ELNS1_11target_archE910ELNS1_3gpuE8ELNS1_3repE0EEENS1_30default_config_static_selectorELNS0_4arch9wavefront6targetE1EEEvT1_
; %bb.0:
	.section	.rodata,"a",@progbits
	.p2align	6, 0x0
	.amdhsa_kernel _ZN7rocprim17ROCPRIM_400000_NS6detail17trampoline_kernelINS0_14default_configENS1_20scan_config_selectorIdEEZZNS1_9scan_implILNS1_25lookback_scan_determinismE0ELb0ELb0ES3_PKdPddZZZN2at6native31launch_logcumsumexp_cuda_kernelERKNSB_10TensorBaseESF_lENKUlvE_clEvENKUlvE_clEvEUlddE_dEEDaPvRmT3_T4_T5_mT6_P12ihipStream_tbENKUlT_T0_E_clISt17integral_constantIbLb0EESV_IbLb1EEEEDaSR_SS_EUlSR_E0_NS1_11comp_targetILNS1_3genE4ELNS1_11target_archE910ELNS1_3gpuE8ELNS1_3repE0EEENS1_30default_config_static_selectorELNS0_4arch9wavefront6targetE1EEEvT1_
		.amdhsa_group_segment_fixed_size 0
		.amdhsa_private_segment_fixed_size 0
		.amdhsa_kernarg_size 40
		.amdhsa_user_sgpr_count 2
		.amdhsa_user_sgpr_dispatch_ptr 0
		.amdhsa_user_sgpr_queue_ptr 0
		.amdhsa_user_sgpr_kernarg_segment_ptr 1
		.amdhsa_user_sgpr_dispatch_id 0
		.amdhsa_user_sgpr_kernarg_preload_length 0
		.amdhsa_user_sgpr_kernarg_preload_offset 0
		.amdhsa_user_sgpr_private_segment_size 0
		.amdhsa_uses_dynamic_stack 0
		.amdhsa_enable_private_segment 0
		.amdhsa_system_sgpr_workgroup_id_x 1
		.amdhsa_system_sgpr_workgroup_id_y 0
		.amdhsa_system_sgpr_workgroup_id_z 0
		.amdhsa_system_sgpr_workgroup_info 0
		.amdhsa_system_vgpr_workitem_id 0
		.amdhsa_next_free_vgpr 1
		.amdhsa_next_free_sgpr 0
		.amdhsa_accum_offset 4
		.amdhsa_reserve_vcc 0
		.amdhsa_float_round_mode_32 0
		.amdhsa_float_round_mode_16_64 0
		.amdhsa_float_denorm_mode_32 3
		.amdhsa_float_denorm_mode_16_64 3
		.amdhsa_dx10_clamp 1
		.amdhsa_ieee_mode 1
		.amdhsa_fp16_overflow 0
		.amdhsa_tg_split 0
		.amdhsa_exception_fp_ieee_invalid_op 0
		.amdhsa_exception_fp_denorm_src 0
		.amdhsa_exception_fp_ieee_div_zero 0
		.amdhsa_exception_fp_ieee_overflow 0
		.amdhsa_exception_fp_ieee_underflow 0
		.amdhsa_exception_fp_ieee_inexact 0
		.amdhsa_exception_int_div_zero 0
	.end_amdhsa_kernel
	.section	.text._ZN7rocprim17ROCPRIM_400000_NS6detail17trampoline_kernelINS0_14default_configENS1_20scan_config_selectorIdEEZZNS1_9scan_implILNS1_25lookback_scan_determinismE0ELb0ELb0ES3_PKdPddZZZN2at6native31launch_logcumsumexp_cuda_kernelERKNSB_10TensorBaseESF_lENKUlvE_clEvENKUlvE_clEvEUlddE_dEEDaPvRmT3_T4_T5_mT6_P12ihipStream_tbENKUlT_T0_E_clISt17integral_constantIbLb0EESV_IbLb1EEEEDaSR_SS_EUlSR_E0_NS1_11comp_targetILNS1_3genE4ELNS1_11target_archE910ELNS1_3gpuE8ELNS1_3repE0EEENS1_30default_config_static_selectorELNS0_4arch9wavefront6targetE1EEEvT1_,"axG",@progbits,_ZN7rocprim17ROCPRIM_400000_NS6detail17trampoline_kernelINS0_14default_configENS1_20scan_config_selectorIdEEZZNS1_9scan_implILNS1_25lookback_scan_determinismE0ELb0ELb0ES3_PKdPddZZZN2at6native31launch_logcumsumexp_cuda_kernelERKNSB_10TensorBaseESF_lENKUlvE_clEvENKUlvE_clEvEUlddE_dEEDaPvRmT3_T4_T5_mT6_P12ihipStream_tbENKUlT_T0_E_clISt17integral_constantIbLb0EESV_IbLb1EEEEDaSR_SS_EUlSR_E0_NS1_11comp_targetILNS1_3genE4ELNS1_11target_archE910ELNS1_3gpuE8ELNS1_3repE0EEENS1_30default_config_static_selectorELNS0_4arch9wavefront6targetE1EEEvT1_,comdat
.Lfunc_end81:
	.size	_ZN7rocprim17ROCPRIM_400000_NS6detail17trampoline_kernelINS0_14default_configENS1_20scan_config_selectorIdEEZZNS1_9scan_implILNS1_25lookback_scan_determinismE0ELb0ELb0ES3_PKdPddZZZN2at6native31launch_logcumsumexp_cuda_kernelERKNSB_10TensorBaseESF_lENKUlvE_clEvENKUlvE_clEvEUlddE_dEEDaPvRmT3_T4_T5_mT6_P12ihipStream_tbENKUlT_T0_E_clISt17integral_constantIbLb0EESV_IbLb1EEEEDaSR_SS_EUlSR_E0_NS1_11comp_targetILNS1_3genE4ELNS1_11target_archE910ELNS1_3gpuE8ELNS1_3repE0EEENS1_30default_config_static_selectorELNS0_4arch9wavefront6targetE1EEEvT1_, .Lfunc_end81-_ZN7rocprim17ROCPRIM_400000_NS6detail17trampoline_kernelINS0_14default_configENS1_20scan_config_selectorIdEEZZNS1_9scan_implILNS1_25lookback_scan_determinismE0ELb0ELb0ES3_PKdPddZZZN2at6native31launch_logcumsumexp_cuda_kernelERKNSB_10TensorBaseESF_lENKUlvE_clEvENKUlvE_clEvEUlddE_dEEDaPvRmT3_T4_T5_mT6_P12ihipStream_tbENKUlT_T0_E_clISt17integral_constantIbLb0EESV_IbLb1EEEEDaSR_SS_EUlSR_E0_NS1_11comp_targetILNS1_3genE4ELNS1_11target_archE910ELNS1_3gpuE8ELNS1_3repE0EEENS1_30default_config_static_selectorELNS0_4arch9wavefront6targetE1EEEvT1_
                                        ; -- End function
	.section	.AMDGPU.csdata,"",@progbits
; Kernel info:
; codeLenInByte = 0
; NumSgprs: 6
; NumVgprs: 0
; NumAgprs: 0
; TotalNumVgprs: 0
; ScratchSize: 0
; MemoryBound: 0
; FloatMode: 240
; IeeeMode: 1
; LDSByteSize: 0 bytes/workgroup (compile time only)
; SGPRBlocks: 0
; VGPRBlocks: 0
; NumSGPRsForWavesPerEU: 6
; NumVGPRsForWavesPerEU: 1
; AccumOffset: 4
; Occupancy: 8
; WaveLimiterHint : 0
; COMPUTE_PGM_RSRC2:SCRATCH_EN: 0
; COMPUTE_PGM_RSRC2:USER_SGPR: 2
; COMPUTE_PGM_RSRC2:TRAP_HANDLER: 0
; COMPUTE_PGM_RSRC2:TGID_X_EN: 1
; COMPUTE_PGM_RSRC2:TGID_Y_EN: 0
; COMPUTE_PGM_RSRC2:TGID_Z_EN: 0
; COMPUTE_PGM_RSRC2:TIDIG_COMP_CNT: 0
; COMPUTE_PGM_RSRC3_GFX90A:ACCUM_OFFSET: 0
; COMPUTE_PGM_RSRC3_GFX90A:TG_SPLIT: 0
	.section	.text._ZN7rocprim17ROCPRIM_400000_NS6detail17trampoline_kernelINS0_14default_configENS1_20scan_config_selectorIdEEZZNS1_9scan_implILNS1_25lookback_scan_determinismE0ELb0ELb0ES3_PKdPddZZZN2at6native31launch_logcumsumexp_cuda_kernelERKNSB_10TensorBaseESF_lENKUlvE_clEvENKUlvE_clEvEUlddE_dEEDaPvRmT3_T4_T5_mT6_P12ihipStream_tbENKUlT_T0_E_clISt17integral_constantIbLb0EESV_IbLb1EEEEDaSR_SS_EUlSR_E0_NS1_11comp_targetILNS1_3genE3ELNS1_11target_archE908ELNS1_3gpuE7ELNS1_3repE0EEENS1_30default_config_static_selectorELNS0_4arch9wavefront6targetE1EEEvT1_,"axG",@progbits,_ZN7rocprim17ROCPRIM_400000_NS6detail17trampoline_kernelINS0_14default_configENS1_20scan_config_selectorIdEEZZNS1_9scan_implILNS1_25lookback_scan_determinismE0ELb0ELb0ES3_PKdPddZZZN2at6native31launch_logcumsumexp_cuda_kernelERKNSB_10TensorBaseESF_lENKUlvE_clEvENKUlvE_clEvEUlddE_dEEDaPvRmT3_T4_T5_mT6_P12ihipStream_tbENKUlT_T0_E_clISt17integral_constantIbLb0EESV_IbLb1EEEEDaSR_SS_EUlSR_E0_NS1_11comp_targetILNS1_3genE3ELNS1_11target_archE908ELNS1_3gpuE7ELNS1_3repE0EEENS1_30default_config_static_selectorELNS0_4arch9wavefront6targetE1EEEvT1_,comdat
	.globl	_ZN7rocprim17ROCPRIM_400000_NS6detail17trampoline_kernelINS0_14default_configENS1_20scan_config_selectorIdEEZZNS1_9scan_implILNS1_25lookback_scan_determinismE0ELb0ELb0ES3_PKdPddZZZN2at6native31launch_logcumsumexp_cuda_kernelERKNSB_10TensorBaseESF_lENKUlvE_clEvENKUlvE_clEvEUlddE_dEEDaPvRmT3_T4_T5_mT6_P12ihipStream_tbENKUlT_T0_E_clISt17integral_constantIbLb0EESV_IbLb1EEEEDaSR_SS_EUlSR_E0_NS1_11comp_targetILNS1_3genE3ELNS1_11target_archE908ELNS1_3gpuE7ELNS1_3repE0EEENS1_30default_config_static_selectorELNS0_4arch9wavefront6targetE1EEEvT1_ ; -- Begin function _ZN7rocprim17ROCPRIM_400000_NS6detail17trampoline_kernelINS0_14default_configENS1_20scan_config_selectorIdEEZZNS1_9scan_implILNS1_25lookback_scan_determinismE0ELb0ELb0ES3_PKdPddZZZN2at6native31launch_logcumsumexp_cuda_kernelERKNSB_10TensorBaseESF_lENKUlvE_clEvENKUlvE_clEvEUlddE_dEEDaPvRmT3_T4_T5_mT6_P12ihipStream_tbENKUlT_T0_E_clISt17integral_constantIbLb0EESV_IbLb1EEEEDaSR_SS_EUlSR_E0_NS1_11comp_targetILNS1_3genE3ELNS1_11target_archE908ELNS1_3gpuE7ELNS1_3repE0EEENS1_30default_config_static_selectorELNS0_4arch9wavefront6targetE1EEEvT1_
	.p2align	8
	.type	_ZN7rocprim17ROCPRIM_400000_NS6detail17trampoline_kernelINS0_14default_configENS1_20scan_config_selectorIdEEZZNS1_9scan_implILNS1_25lookback_scan_determinismE0ELb0ELb0ES3_PKdPddZZZN2at6native31launch_logcumsumexp_cuda_kernelERKNSB_10TensorBaseESF_lENKUlvE_clEvENKUlvE_clEvEUlddE_dEEDaPvRmT3_T4_T5_mT6_P12ihipStream_tbENKUlT_T0_E_clISt17integral_constantIbLb0EESV_IbLb1EEEEDaSR_SS_EUlSR_E0_NS1_11comp_targetILNS1_3genE3ELNS1_11target_archE908ELNS1_3gpuE7ELNS1_3repE0EEENS1_30default_config_static_selectorELNS0_4arch9wavefront6targetE1EEEvT1_,@function
_ZN7rocprim17ROCPRIM_400000_NS6detail17trampoline_kernelINS0_14default_configENS1_20scan_config_selectorIdEEZZNS1_9scan_implILNS1_25lookback_scan_determinismE0ELb0ELb0ES3_PKdPddZZZN2at6native31launch_logcumsumexp_cuda_kernelERKNSB_10TensorBaseESF_lENKUlvE_clEvENKUlvE_clEvEUlddE_dEEDaPvRmT3_T4_T5_mT6_P12ihipStream_tbENKUlT_T0_E_clISt17integral_constantIbLb0EESV_IbLb1EEEEDaSR_SS_EUlSR_E0_NS1_11comp_targetILNS1_3genE3ELNS1_11target_archE908ELNS1_3gpuE7ELNS1_3repE0EEENS1_30default_config_static_selectorELNS0_4arch9wavefront6targetE1EEEvT1_: ; @_ZN7rocprim17ROCPRIM_400000_NS6detail17trampoline_kernelINS0_14default_configENS1_20scan_config_selectorIdEEZZNS1_9scan_implILNS1_25lookback_scan_determinismE0ELb0ELb0ES3_PKdPddZZZN2at6native31launch_logcumsumexp_cuda_kernelERKNSB_10TensorBaseESF_lENKUlvE_clEvENKUlvE_clEvEUlddE_dEEDaPvRmT3_T4_T5_mT6_P12ihipStream_tbENKUlT_T0_E_clISt17integral_constantIbLb0EESV_IbLb1EEEEDaSR_SS_EUlSR_E0_NS1_11comp_targetILNS1_3genE3ELNS1_11target_archE908ELNS1_3gpuE7ELNS1_3repE0EEENS1_30default_config_static_selectorELNS0_4arch9wavefront6targetE1EEEvT1_
; %bb.0:
	.section	.rodata,"a",@progbits
	.p2align	6, 0x0
	.amdhsa_kernel _ZN7rocprim17ROCPRIM_400000_NS6detail17trampoline_kernelINS0_14default_configENS1_20scan_config_selectorIdEEZZNS1_9scan_implILNS1_25lookback_scan_determinismE0ELb0ELb0ES3_PKdPddZZZN2at6native31launch_logcumsumexp_cuda_kernelERKNSB_10TensorBaseESF_lENKUlvE_clEvENKUlvE_clEvEUlddE_dEEDaPvRmT3_T4_T5_mT6_P12ihipStream_tbENKUlT_T0_E_clISt17integral_constantIbLb0EESV_IbLb1EEEEDaSR_SS_EUlSR_E0_NS1_11comp_targetILNS1_3genE3ELNS1_11target_archE908ELNS1_3gpuE7ELNS1_3repE0EEENS1_30default_config_static_selectorELNS0_4arch9wavefront6targetE1EEEvT1_
		.amdhsa_group_segment_fixed_size 0
		.amdhsa_private_segment_fixed_size 0
		.amdhsa_kernarg_size 40
		.amdhsa_user_sgpr_count 2
		.amdhsa_user_sgpr_dispatch_ptr 0
		.amdhsa_user_sgpr_queue_ptr 0
		.amdhsa_user_sgpr_kernarg_segment_ptr 1
		.amdhsa_user_sgpr_dispatch_id 0
		.amdhsa_user_sgpr_kernarg_preload_length 0
		.amdhsa_user_sgpr_kernarg_preload_offset 0
		.amdhsa_user_sgpr_private_segment_size 0
		.amdhsa_uses_dynamic_stack 0
		.amdhsa_enable_private_segment 0
		.amdhsa_system_sgpr_workgroup_id_x 1
		.amdhsa_system_sgpr_workgroup_id_y 0
		.amdhsa_system_sgpr_workgroup_id_z 0
		.amdhsa_system_sgpr_workgroup_info 0
		.amdhsa_system_vgpr_workitem_id 0
		.amdhsa_next_free_vgpr 1
		.amdhsa_next_free_sgpr 0
		.amdhsa_accum_offset 4
		.amdhsa_reserve_vcc 0
		.amdhsa_float_round_mode_32 0
		.amdhsa_float_round_mode_16_64 0
		.amdhsa_float_denorm_mode_32 3
		.amdhsa_float_denorm_mode_16_64 3
		.amdhsa_dx10_clamp 1
		.amdhsa_ieee_mode 1
		.amdhsa_fp16_overflow 0
		.amdhsa_tg_split 0
		.amdhsa_exception_fp_ieee_invalid_op 0
		.amdhsa_exception_fp_denorm_src 0
		.amdhsa_exception_fp_ieee_div_zero 0
		.amdhsa_exception_fp_ieee_overflow 0
		.amdhsa_exception_fp_ieee_underflow 0
		.amdhsa_exception_fp_ieee_inexact 0
		.amdhsa_exception_int_div_zero 0
	.end_amdhsa_kernel
	.section	.text._ZN7rocprim17ROCPRIM_400000_NS6detail17trampoline_kernelINS0_14default_configENS1_20scan_config_selectorIdEEZZNS1_9scan_implILNS1_25lookback_scan_determinismE0ELb0ELb0ES3_PKdPddZZZN2at6native31launch_logcumsumexp_cuda_kernelERKNSB_10TensorBaseESF_lENKUlvE_clEvENKUlvE_clEvEUlddE_dEEDaPvRmT3_T4_T5_mT6_P12ihipStream_tbENKUlT_T0_E_clISt17integral_constantIbLb0EESV_IbLb1EEEEDaSR_SS_EUlSR_E0_NS1_11comp_targetILNS1_3genE3ELNS1_11target_archE908ELNS1_3gpuE7ELNS1_3repE0EEENS1_30default_config_static_selectorELNS0_4arch9wavefront6targetE1EEEvT1_,"axG",@progbits,_ZN7rocprim17ROCPRIM_400000_NS6detail17trampoline_kernelINS0_14default_configENS1_20scan_config_selectorIdEEZZNS1_9scan_implILNS1_25lookback_scan_determinismE0ELb0ELb0ES3_PKdPddZZZN2at6native31launch_logcumsumexp_cuda_kernelERKNSB_10TensorBaseESF_lENKUlvE_clEvENKUlvE_clEvEUlddE_dEEDaPvRmT3_T4_T5_mT6_P12ihipStream_tbENKUlT_T0_E_clISt17integral_constantIbLb0EESV_IbLb1EEEEDaSR_SS_EUlSR_E0_NS1_11comp_targetILNS1_3genE3ELNS1_11target_archE908ELNS1_3gpuE7ELNS1_3repE0EEENS1_30default_config_static_selectorELNS0_4arch9wavefront6targetE1EEEvT1_,comdat
.Lfunc_end82:
	.size	_ZN7rocprim17ROCPRIM_400000_NS6detail17trampoline_kernelINS0_14default_configENS1_20scan_config_selectorIdEEZZNS1_9scan_implILNS1_25lookback_scan_determinismE0ELb0ELb0ES3_PKdPddZZZN2at6native31launch_logcumsumexp_cuda_kernelERKNSB_10TensorBaseESF_lENKUlvE_clEvENKUlvE_clEvEUlddE_dEEDaPvRmT3_T4_T5_mT6_P12ihipStream_tbENKUlT_T0_E_clISt17integral_constantIbLb0EESV_IbLb1EEEEDaSR_SS_EUlSR_E0_NS1_11comp_targetILNS1_3genE3ELNS1_11target_archE908ELNS1_3gpuE7ELNS1_3repE0EEENS1_30default_config_static_selectorELNS0_4arch9wavefront6targetE1EEEvT1_, .Lfunc_end82-_ZN7rocprim17ROCPRIM_400000_NS6detail17trampoline_kernelINS0_14default_configENS1_20scan_config_selectorIdEEZZNS1_9scan_implILNS1_25lookback_scan_determinismE0ELb0ELb0ES3_PKdPddZZZN2at6native31launch_logcumsumexp_cuda_kernelERKNSB_10TensorBaseESF_lENKUlvE_clEvENKUlvE_clEvEUlddE_dEEDaPvRmT3_T4_T5_mT6_P12ihipStream_tbENKUlT_T0_E_clISt17integral_constantIbLb0EESV_IbLb1EEEEDaSR_SS_EUlSR_E0_NS1_11comp_targetILNS1_3genE3ELNS1_11target_archE908ELNS1_3gpuE7ELNS1_3repE0EEENS1_30default_config_static_selectorELNS0_4arch9wavefront6targetE1EEEvT1_
                                        ; -- End function
	.section	.AMDGPU.csdata,"",@progbits
; Kernel info:
; codeLenInByte = 0
; NumSgprs: 6
; NumVgprs: 0
; NumAgprs: 0
; TotalNumVgprs: 0
; ScratchSize: 0
; MemoryBound: 0
; FloatMode: 240
; IeeeMode: 1
; LDSByteSize: 0 bytes/workgroup (compile time only)
; SGPRBlocks: 0
; VGPRBlocks: 0
; NumSGPRsForWavesPerEU: 6
; NumVGPRsForWavesPerEU: 1
; AccumOffset: 4
; Occupancy: 8
; WaveLimiterHint : 0
; COMPUTE_PGM_RSRC2:SCRATCH_EN: 0
; COMPUTE_PGM_RSRC2:USER_SGPR: 2
; COMPUTE_PGM_RSRC2:TRAP_HANDLER: 0
; COMPUTE_PGM_RSRC2:TGID_X_EN: 1
; COMPUTE_PGM_RSRC2:TGID_Y_EN: 0
; COMPUTE_PGM_RSRC2:TGID_Z_EN: 0
; COMPUTE_PGM_RSRC2:TIDIG_COMP_CNT: 0
; COMPUTE_PGM_RSRC3_GFX90A:ACCUM_OFFSET: 0
; COMPUTE_PGM_RSRC3_GFX90A:TG_SPLIT: 0
	.section	.text._ZN7rocprim17ROCPRIM_400000_NS6detail17trampoline_kernelINS0_14default_configENS1_20scan_config_selectorIdEEZZNS1_9scan_implILNS1_25lookback_scan_determinismE0ELb0ELb0ES3_PKdPddZZZN2at6native31launch_logcumsumexp_cuda_kernelERKNSB_10TensorBaseESF_lENKUlvE_clEvENKUlvE_clEvEUlddE_dEEDaPvRmT3_T4_T5_mT6_P12ihipStream_tbENKUlT_T0_E_clISt17integral_constantIbLb0EESV_IbLb1EEEEDaSR_SS_EUlSR_E0_NS1_11comp_targetILNS1_3genE2ELNS1_11target_archE906ELNS1_3gpuE6ELNS1_3repE0EEENS1_30default_config_static_selectorELNS0_4arch9wavefront6targetE1EEEvT1_,"axG",@progbits,_ZN7rocprim17ROCPRIM_400000_NS6detail17trampoline_kernelINS0_14default_configENS1_20scan_config_selectorIdEEZZNS1_9scan_implILNS1_25lookback_scan_determinismE0ELb0ELb0ES3_PKdPddZZZN2at6native31launch_logcumsumexp_cuda_kernelERKNSB_10TensorBaseESF_lENKUlvE_clEvENKUlvE_clEvEUlddE_dEEDaPvRmT3_T4_T5_mT6_P12ihipStream_tbENKUlT_T0_E_clISt17integral_constantIbLb0EESV_IbLb1EEEEDaSR_SS_EUlSR_E0_NS1_11comp_targetILNS1_3genE2ELNS1_11target_archE906ELNS1_3gpuE6ELNS1_3repE0EEENS1_30default_config_static_selectorELNS0_4arch9wavefront6targetE1EEEvT1_,comdat
	.globl	_ZN7rocprim17ROCPRIM_400000_NS6detail17trampoline_kernelINS0_14default_configENS1_20scan_config_selectorIdEEZZNS1_9scan_implILNS1_25lookback_scan_determinismE0ELb0ELb0ES3_PKdPddZZZN2at6native31launch_logcumsumexp_cuda_kernelERKNSB_10TensorBaseESF_lENKUlvE_clEvENKUlvE_clEvEUlddE_dEEDaPvRmT3_T4_T5_mT6_P12ihipStream_tbENKUlT_T0_E_clISt17integral_constantIbLb0EESV_IbLb1EEEEDaSR_SS_EUlSR_E0_NS1_11comp_targetILNS1_3genE2ELNS1_11target_archE906ELNS1_3gpuE6ELNS1_3repE0EEENS1_30default_config_static_selectorELNS0_4arch9wavefront6targetE1EEEvT1_ ; -- Begin function _ZN7rocprim17ROCPRIM_400000_NS6detail17trampoline_kernelINS0_14default_configENS1_20scan_config_selectorIdEEZZNS1_9scan_implILNS1_25lookback_scan_determinismE0ELb0ELb0ES3_PKdPddZZZN2at6native31launch_logcumsumexp_cuda_kernelERKNSB_10TensorBaseESF_lENKUlvE_clEvENKUlvE_clEvEUlddE_dEEDaPvRmT3_T4_T5_mT6_P12ihipStream_tbENKUlT_T0_E_clISt17integral_constantIbLb0EESV_IbLb1EEEEDaSR_SS_EUlSR_E0_NS1_11comp_targetILNS1_3genE2ELNS1_11target_archE906ELNS1_3gpuE6ELNS1_3repE0EEENS1_30default_config_static_selectorELNS0_4arch9wavefront6targetE1EEEvT1_
	.p2align	8
	.type	_ZN7rocprim17ROCPRIM_400000_NS6detail17trampoline_kernelINS0_14default_configENS1_20scan_config_selectorIdEEZZNS1_9scan_implILNS1_25lookback_scan_determinismE0ELb0ELb0ES3_PKdPddZZZN2at6native31launch_logcumsumexp_cuda_kernelERKNSB_10TensorBaseESF_lENKUlvE_clEvENKUlvE_clEvEUlddE_dEEDaPvRmT3_T4_T5_mT6_P12ihipStream_tbENKUlT_T0_E_clISt17integral_constantIbLb0EESV_IbLb1EEEEDaSR_SS_EUlSR_E0_NS1_11comp_targetILNS1_3genE2ELNS1_11target_archE906ELNS1_3gpuE6ELNS1_3repE0EEENS1_30default_config_static_selectorELNS0_4arch9wavefront6targetE1EEEvT1_,@function
_ZN7rocprim17ROCPRIM_400000_NS6detail17trampoline_kernelINS0_14default_configENS1_20scan_config_selectorIdEEZZNS1_9scan_implILNS1_25lookback_scan_determinismE0ELb0ELb0ES3_PKdPddZZZN2at6native31launch_logcumsumexp_cuda_kernelERKNSB_10TensorBaseESF_lENKUlvE_clEvENKUlvE_clEvEUlddE_dEEDaPvRmT3_T4_T5_mT6_P12ihipStream_tbENKUlT_T0_E_clISt17integral_constantIbLb0EESV_IbLb1EEEEDaSR_SS_EUlSR_E0_NS1_11comp_targetILNS1_3genE2ELNS1_11target_archE906ELNS1_3gpuE6ELNS1_3repE0EEENS1_30default_config_static_selectorELNS0_4arch9wavefront6targetE1EEEvT1_: ; @_ZN7rocprim17ROCPRIM_400000_NS6detail17trampoline_kernelINS0_14default_configENS1_20scan_config_selectorIdEEZZNS1_9scan_implILNS1_25lookback_scan_determinismE0ELb0ELb0ES3_PKdPddZZZN2at6native31launch_logcumsumexp_cuda_kernelERKNSB_10TensorBaseESF_lENKUlvE_clEvENKUlvE_clEvEUlddE_dEEDaPvRmT3_T4_T5_mT6_P12ihipStream_tbENKUlT_T0_E_clISt17integral_constantIbLb0EESV_IbLb1EEEEDaSR_SS_EUlSR_E0_NS1_11comp_targetILNS1_3genE2ELNS1_11target_archE906ELNS1_3gpuE6ELNS1_3repE0EEENS1_30default_config_static_selectorELNS0_4arch9wavefront6targetE1EEEvT1_
; %bb.0:
	.section	.rodata,"a",@progbits
	.p2align	6, 0x0
	.amdhsa_kernel _ZN7rocprim17ROCPRIM_400000_NS6detail17trampoline_kernelINS0_14default_configENS1_20scan_config_selectorIdEEZZNS1_9scan_implILNS1_25lookback_scan_determinismE0ELb0ELb0ES3_PKdPddZZZN2at6native31launch_logcumsumexp_cuda_kernelERKNSB_10TensorBaseESF_lENKUlvE_clEvENKUlvE_clEvEUlddE_dEEDaPvRmT3_T4_T5_mT6_P12ihipStream_tbENKUlT_T0_E_clISt17integral_constantIbLb0EESV_IbLb1EEEEDaSR_SS_EUlSR_E0_NS1_11comp_targetILNS1_3genE2ELNS1_11target_archE906ELNS1_3gpuE6ELNS1_3repE0EEENS1_30default_config_static_selectorELNS0_4arch9wavefront6targetE1EEEvT1_
		.amdhsa_group_segment_fixed_size 0
		.amdhsa_private_segment_fixed_size 0
		.amdhsa_kernarg_size 40
		.amdhsa_user_sgpr_count 2
		.amdhsa_user_sgpr_dispatch_ptr 0
		.amdhsa_user_sgpr_queue_ptr 0
		.amdhsa_user_sgpr_kernarg_segment_ptr 1
		.amdhsa_user_sgpr_dispatch_id 0
		.amdhsa_user_sgpr_kernarg_preload_length 0
		.amdhsa_user_sgpr_kernarg_preload_offset 0
		.amdhsa_user_sgpr_private_segment_size 0
		.amdhsa_uses_dynamic_stack 0
		.amdhsa_enable_private_segment 0
		.amdhsa_system_sgpr_workgroup_id_x 1
		.amdhsa_system_sgpr_workgroup_id_y 0
		.amdhsa_system_sgpr_workgroup_id_z 0
		.amdhsa_system_sgpr_workgroup_info 0
		.amdhsa_system_vgpr_workitem_id 0
		.amdhsa_next_free_vgpr 1
		.amdhsa_next_free_sgpr 0
		.amdhsa_accum_offset 4
		.amdhsa_reserve_vcc 0
		.amdhsa_float_round_mode_32 0
		.amdhsa_float_round_mode_16_64 0
		.amdhsa_float_denorm_mode_32 3
		.amdhsa_float_denorm_mode_16_64 3
		.amdhsa_dx10_clamp 1
		.amdhsa_ieee_mode 1
		.amdhsa_fp16_overflow 0
		.amdhsa_tg_split 0
		.amdhsa_exception_fp_ieee_invalid_op 0
		.amdhsa_exception_fp_denorm_src 0
		.amdhsa_exception_fp_ieee_div_zero 0
		.amdhsa_exception_fp_ieee_overflow 0
		.amdhsa_exception_fp_ieee_underflow 0
		.amdhsa_exception_fp_ieee_inexact 0
		.amdhsa_exception_int_div_zero 0
	.end_amdhsa_kernel
	.section	.text._ZN7rocprim17ROCPRIM_400000_NS6detail17trampoline_kernelINS0_14default_configENS1_20scan_config_selectorIdEEZZNS1_9scan_implILNS1_25lookback_scan_determinismE0ELb0ELb0ES3_PKdPddZZZN2at6native31launch_logcumsumexp_cuda_kernelERKNSB_10TensorBaseESF_lENKUlvE_clEvENKUlvE_clEvEUlddE_dEEDaPvRmT3_T4_T5_mT6_P12ihipStream_tbENKUlT_T0_E_clISt17integral_constantIbLb0EESV_IbLb1EEEEDaSR_SS_EUlSR_E0_NS1_11comp_targetILNS1_3genE2ELNS1_11target_archE906ELNS1_3gpuE6ELNS1_3repE0EEENS1_30default_config_static_selectorELNS0_4arch9wavefront6targetE1EEEvT1_,"axG",@progbits,_ZN7rocprim17ROCPRIM_400000_NS6detail17trampoline_kernelINS0_14default_configENS1_20scan_config_selectorIdEEZZNS1_9scan_implILNS1_25lookback_scan_determinismE0ELb0ELb0ES3_PKdPddZZZN2at6native31launch_logcumsumexp_cuda_kernelERKNSB_10TensorBaseESF_lENKUlvE_clEvENKUlvE_clEvEUlddE_dEEDaPvRmT3_T4_T5_mT6_P12ihipStream_tbENKUlT_T0_E_clISt17integral_constantIbLb0EESV_IbLb1EEEEDaSR_SS_EUlSR_E0_NS1_11comp_targetILNS1_3genE2ELNS1_11target_archE906ELNS1_3gpuE6ELNS1_3repE0EEENS1_30default_config_static_selectorELNS0_4arch9wavefront6targetE1EEEvT1_,comdat
.Lfunc_end83:
	.size	_ZN7rocprim17ROCPRIM_400000_NS6detail17trampoline_kernelINS0_14default_configENS1_20scan_config_selectorIdEEZZNS1_9scan_implILNS1_25lookback_scan_determinismE0ELb0ELb0ES3_PKdPddZZZN2at6native31launch_logcumsumexp_cuda_kernelERKNSB_10TensorBaseESF_lENKUlvE_clEvENKUlvE_clEvEUlddE_dEEDaPvRmT3_T4_T5_mT6_P12ihipStream_tbENKUlT_T0_E_clISt17integral_constantIbLb0EESV_IbLb1EEEEDaSR_SS_EUlSR_E0_NS1_11comp_targetILNS1_3genE2ELNS1_11target_archE906ELNS1_3gpuE6ELNS1_3repE0EEENS1_30default_config_static_selectorELNS0_4arch9wavefront6targetE1EEEvT1_, .Lfunc_end83-_ZN7rocprim17ROCPRIM_400000_NS6detail17trampoline_kernelINS0_14default_configENS1_20scan_config_selectorIdEEZZNS1_9scan_implILNS1_25lookback_scan_determinismE0ELb0ELb0ES3_PKdPddZZZN2at6native31launch_logcumsumexp_cuda_kernelERKNSB_10TensorBaseESF_lENKUlvE_clEvENKUlvE_clEvEUlddE_dEEDaPvRmT3_T4_T5_mT6_P12ihipStream_tbENKUlT_T0_E_clISt17integral_constantIbLb0EESV_IbLb1EEEEDaSR_SS_EUlSR_E0_NS1_11comp_targetILNS1_3genE2ELNS1_11target_archE906ELNS1_3gpuE6ELNS1_3repE0EEENS1_30default_config_static_selectorELNS0_4arch9wavefront6targetE1EEEvT1_
                                        ; -- End function
	.section	.AMDGPU.csdata,"",@progbits
; Kernel info:
; codeLenInByte = 0
; NumSgprs: 6
; NumVgprs: 0
; NumAgprs: 0
; TotalNumVgprs: 0
; ScratchSize: 0
; MemoryBound: 0
; FloatMode: 240
; IeeeMode: 1
; LDSByteSize: 0 bytes/workgroup (compile time only)
; SGPRBlocks: 0
; VGPRBlocks: 0
; NumSGPRsForWavesPerEU: 6
; NumVGPRsForWavesPerEU: 1
; AccumOffset: 4
; Occupancy: 8
; WaveLimiterHint : 0
; COMPUTE_PGM_RSRC2:SCRATCH_EN: 0
; COMPUTE_PGM_RSRC2:USER_SGPR: 2
; COMPUTE_PGM_RSRC2:TRAP_HANDLER: 0
; COMPUTE_PGM_RSRC2:TGID_X_EN: 1
; COMPUTE_PGM_RSRC2:TGID_Y_EN: 0
; COMPUTE_PGM_RSRC2:TGID_Z_EN: 0
; COMPUTE_PGM_RSRC2:TIDIG_COMP_CNT: 0
; COMPUTE_PGM_RSRC3_GFX90A:ACCUM_OFFSET: 0
; COMPUTE_PGM_RSRC3_GFX90A:TG_SPLIT: 0
	.section	.text._ZN7rocprim17ROCPRIM_400000_NS6detail17trampoline_kernelINS0_14default_configENS1_20scan_config_selectorIdEEZZNS1_9scan_implILNS1_25lookback_scan_determinismE0ELb0ELb0ES3_PKdPddZZZN2at6native31launch_logcumsumexp_cuda_kernelERKNSB_10TensorBaseESF_lENKUlvE_clEvENKUlvE_clEvEUlddE_dEEDaPvRmT3_T4_T5_mT6_P12ihipStream_tbENKUlT_T0_E_clISt17integral_constantIbLb0EESV_IbLb1EEEEDaSR_SS_EUlSR_E0_NS1_11comp_targetILNS1_3genE10ELNS1_11target_archE1201ELNS1_3gpuE5ELNS1_3repE0EEENS1_30default_config_static_selectorELNS0_4arch9wavefront6targetE1EEEvT1_,"axG",@progbits,_ZN7rocprim17ROCPRIM_400000_NS6detail17trampoline_kernelINS0_14default_configENS1_20scan_config_selectorIdEEZZNS1_9scan_implILNS1_25lookback_scan_determinismE0ELb0ELb0ES3_PKdPddZZZN2at6native31launch_logcumsumexp_cuda_kernelERKNSB_10TensorBaseESF_lENKUlvE_clEvENKUlvE_clEvEUlddE_dEEDaPvRmT3_T4_T5_mT6_P12ihipStream_tbENKUlT_T0_E_clISt17integral_constantIbLb0EESV_IbLb1EEEEDaSR_SS_EUlSR_E0_NS1_11comp_targetILNS1_3genE10ELNS1_11target_archE1201ELNS1_3gpuE5ELNS1_3repE0EEENS1_30default_config_static_selectorELNS0_4arch9wavefront6targetE1EEEvT1_,comdat
	.globl	_ZN7rocprim17ROCPRIM_400000_NS6detail17trampoline_kernelINS0_14default_configENS1_20scan_config_selectorIdEEZZNS1_9scan_implILNS1_25lookback_scan_determinismE0ELb0ELb0ES3_PKdPddZZZN2at6native31launch_logcumsumexp_cuda_kernelERKNSB_10TensorBaseESF_lENKUlvE_clEvENKUlvE_clEvEUlddE_dEEDaPvRmT3_T4_T5_mT6_P12ihipStream_tbENKUlT_T0_E_clISt17integral_constantIbLb0EESV_IbLb1EEEEDaSR_SS_EUlSR_E0_NS1_11comp_targetILNS1_3genE10ELNS1_11target_archE1201ELNS1_3gpuE5ELNS1_3repE0EEENS1_30default_config_static_selectorELNS0_4arch9wavefront6targetE1EEEvT1_ ; -- Begin function _ZN7rocprim17ROCPRIM_400000_NS6detail17trampoline_kernelINS0_14default_configENS1_20scan_config_selectorIdEEZZNS1_9scan_implILNS1_25lookback_scan_determinismE0ELb0ELb0ES3_PKdPddZZZN2at6native31launch_logcumsumexp_cuda_kernelERKNSB_10TensorBaseESF_lENKUlvE_clEvENKUlvE_clEvEUlddE_dEEDaPvRmT3_T4_T5_mT6_P12ihipStream_tbENKUlT_T0_E_clISt17integral_constantIbLb0EESV_IbLb1EEEEDaSR_SS_EUlSR_E0_NS1_11comp_targetILNS1_3genE10ELNS1_11target_archE1201ELNS1_3gpuE5ELNS1_3repE0EEENS1_30default_config_static_selectorELNS0_4arch9wavefront6targetE1EEEvT1_
	.p2align	8
	.type	_ZN7rocprim17ROCPRIM_400000_NS6detail17trampoline_kernelINS0_14default_configENS1_20scan_config_selectorIdEEZZNS1_9scan_implILNS1_25lookback_scan_determinismE0ELb0ELb0ES3_PKdPddZZZN2at6native31launch_logcumsumexp_cuda_kernelERKNSB_10TensorBaseESF_lENKUlvE_clEvENKUlvE_clEvEUlddE_dEEDaPvRmT3_T4_T5_mT6_P12ihipStream_tbENKUlT_T0_E_clISt17integral_constantIbLb0EESV_IbLb1EEEEDaSR_SS_EUlSR_E0_NS1_11comp_targetILNS1_3genE10ELNS1_11target_archE1201ELNS1_3gpuE5ELNS1_3repE0EEENS1_30default_config_static_selectorELNS0_4arch9wavefront6targetE1EEEvT1_,@function
_ZN7rocprim17ROCPRIM_400000_NS6detail17trampoline_kernelINS0_14default_configENS1_20scan_config_selectorIdEEZZNS1_9scan_implILNS1_25lookback_scan_determinismE0ELb0ELb0ES3_PKdPddZZZN2at6native31launch_logcumsumexp_cuda_kernelERKNSB_10TensorBaseESF_lENKUlvE_clEvENKUlvE_clEvEUlddE_dEEDaPvRmT3_T4_T5_mT6_P12ihipStream_tbENKUlT_T0_E_clISt17integral_constantIbLb0EESV_IbLb1EEEEDaSR_SS_EUlSR_E0_NS1_11comp_targetILNS1_3genE10ELNS1_11target_archE1201ELNS1_3gpuE5ELNS1_3repE0EEENS1_30default_config_static_selectorELNS0_4arch9wavefront6targetE1EEEvT1_: ; @_ZN7rocprim17ROCPRIM_400000_NS6detail17trampoline_kernelINS0_14default_configENS1_20scan_config_selectorIdEEZZNS1_9scan_implILNS1_25lookback_scan_determinismE0ELb0ELb0ES3_PKdPddZZZN2at6native31launch_logcumsumexp_cuda_kernelERKNSB_10TensorBaseESF_lENKUlvE_clEvENKUlvE_clEvEUlddE_dEEDaPvRmT3_T4_T5_mT6_P12ihipStream_tbENKUlT_T0_E_clISt17integral_constantIbLb0EESV_IbLb1EEEEDaSR_SS_EUlSR_E0_NS1_11comp_targetILNS1_3genE10ELNS1_11target_archE1201ELNS1_3gpuE5ELNS1_3repE0EEENS1_30default_config_static_selectorELNS0_4arch9wavefront6targetE1EEEvT1_
; %bb.0:
	.section	.rodata,"a",@progbits
	.p2align	6, 0x0
	.amdhsa_kernel _ZN7rocprim17ROCPRIM_400000_NS6detail17trampoline_kernelINS0_14default_configENS1_20scan_config_selectorIdEEZZNS1_9scan_implILNS1_25lookback_scan_determinismE0ELb0ELb0ES3_PKdPddZZZN2at6native31launch_logcumsumexp_cuda_kernelERKNSB_10TensorBaseESF_lENKUlvE_clEvENKUlvE_clEvEUlddE_dEEDaPvRmT3_T4_T5_mT6_P12ihipStream_tbENKUlT_T0_E_clISt17integral_constantIbLb0EESV_IbLb1EEEEDaSR_SS_EUlSR_E0_NS1_11comp_targetILNS1_3genE10ELNS1_11target_archE1201ELNS1_3gpuE5ELNS1_3repE0EEENS1_30default_config_static_selectorELNS0_4arch9wavefront6targetE1EEEvT1_
		.amdhsa_group_segment_fixed_size 0
		.amdhsa_private_segment_fixed_size 0
		.amdhsa_kernarg_size 40
		.amdhsa_user_sgpr_count 2
		.amdhsa_user_sgpr_dispatch_ptr 0
		.amdhsa_user_sgpr_queue_ptr 0
		.amdhsa_user_sgpr_kernarg_segment_ptr 1
		.amdhsa_user_sgpr_dispatch_id 0
		.amdhsa_user_sgpr_kernarg_preload_length 0
		.amdhsa_user_sgpr_kernarg_preload_offset 0
		.amdhsa_user_sgpr_private_segment_size 0
		.amdhsa_uses_dynamic_stack 0
		.amdhsa_enable_private_segment 0
		.amdhsa_system_sgpr_workgroup_id_x 1
		.amdhsa_system_sgpr_workgroup_id_y 0
		.amdhsa_system_sgpr_workgroup_id_z 0
		.amdhsa_system_sgpr_workgroup_info 0
		.amdhsa_system_vgpr_workitem_id 0
		.amdhsa_next_free_vgpr 1
		.amdhsa_next_free_sgpr 0
		.amdhsa_accum_offset 4
		.amdhsa_reserve_vcc 0
		.amdhsa_float_round_mode_32 0
		.amdhsa_float_round_mode_16_64 0
		.amdhsa_float_denorm_mode_32 3
		.amdhsa_float_denorm_mode_16_64 3
		.amdhsa_dx10_clamp 1
		.amdhsa_ieee_mode 1
		.amdhsa_fp16_overflow 0
		.amdhsa_tg_split 0
		.amdhsa_exception_fp_ieee_invalid_op 0
		.amdhsa_exception_fp_denorm_src 0
		.amdhsa_exception_fp_ieee_div_zero 0
		.amdhsa_exception_fp_ieee_overflow 0
		.amdhsa_exception_fp_ieee_underflow 0
		.amdhsa_exception_fp_ieee_inexact 0
		.amdhsa_exception_int_div_zero 0
	.end_amdhsa_kernel
	.section	.text._ZN7rocprim17ROCPRIM_400000_NS6detail17trampoline_kernelINS0_14default_configENS1_20scan_config_selectorIdEEZZNS1_9scan_implILNS1_25lookback_scan_determinismE0ELb0ELb0ES3_PKdPddZZZN2at6native31launch_logcumsumexp_cuda_kernelERKNSB_10TensorBaseESF_lENKUlvE_clEvENKUlvE_clEvEUlddE_dEEDaPvRmT3_T4_T5_mT6_P12ihipStream_tbENKUlT_T0_E_clISt17integral_constantIbLb0EESV_IbLb1EEEEDaSR_SS_EUlSR_E0_NS1_11comp_targetILNS1_3genE10ELNS1_11target_archE1201ELNS1_3gpuE5ELNS1_3repE0EEENS1_30default_config_static_selectorELNS0_4arch9wavefront6targetE1EEEvT1_,"axG",@progbits,_ZN7rocprim17ROCPRIM_400000_NS6detail17trampoline_kernelINS0_14default_configENS1_20scan_config_selectorIdEEZZNS1_9scan_implILNS1_25lookback_scan_determinismE0ELb0ELb0ES3_PKdPddZZZN2at6native31launch_logcumsumexp_cuda_kernelERKNSB_10TensorBaseESF_lENKUlvE_clEvENKUlvE_clEvEUlddE_dEEDaPvRmT3_T4_T5_mT6_P12ihipStream_tbENKUlT_T0_E_clISt17integral_constantIbLb0EESV_IbLb1EEEEDaSR_SS_EUlSR_E0_NS1_11comp_targetILNS1_3genE10ELNS1_11target_archE1201ELNS1_3gpuE5ELNS1_3repE0EEENS1_30default_config_static_selectorELNS0_4arch9wavefront6targetE1EEEvT1_,comdat
.Lfunc_end84:
	.size	_ZN7rocprim17ROCPRIM_400000_NS6detail17trampoline_kernelINS0_14default_configENS1_20scan_config_selectorIdEEZZNS1_9scan_implILNS1_25lookback_scan_determinismE0ELb0ELb0ES3_PKdPddZZZN2at6native31launch_logcumsumexp_cuda_kernelERKNSB_10TensorBaseESF_lENKUlvE_clEvENKUlvE_clEvEUlddE_dEEDaPvRmT3_T4_T5_mT6_P12ihipStream_tbENKUlT_T0_E_clISt17integral_constantIbLb0EESV_IbLb1EEEEDaSR_SS_EUlSR_E0_NS1_11comp_targetILNS1_3genE10ELNS1_11target_archE1201ELNS1_3gpuE5ELNS1_3repE0EEENS1_30default_config_static_selectorELNS0_4arch9wavefront6targetE1EEEvT1_, .Lfunc_end84-_ZN7rocprim17ROCPRIM_400000_NS6detail17trampoline_kernelINS0_14default_configENS1_20scan_config_selectorIdEEZZNS1_9scan_implILNS1_25lookback_scan_determinismE0ELb0ELb0ES3_PKdPddZZZN2at6native31launch_logcumsumexp_cuda_kernelERKNSB_10TensorBaseESF_lENKUlvE_clEvENKUlvE_clEvEUlddE_dEEDaPvRmT3_T4_T5_mT6_P12ihipStream_tbENKUlT_T0_E_clISt17integral_constantIbLb0EESV_IbLb1EEEEDaSR_SS_EUlSR_E0_NS1_11comp_targetILNS1_3genE10ELNS1_11target_archE1201ELNS1_3gpuE5ELNS1_3repE0EEENS1_30default_config_static_selectorELNS0_4arch9wavefront6targetE1EEEvT1_
                                        ; -- End function
	.section	.AMDGPU.csdata,"",@progbits
; Kernel info:
; codeLenInByte = 0
; NumSgprs: 6
; NumVgprs: 0
; NumAgprs: 0
; TotalNumVgprs: 0
; ScratchSize: 0
; MemoryBound: 0
; FloatMode: 240
; IeeeMode: 1
; LDSByteSize: 0 bytes/workgroup (compile time only)
; SGPRBlocks: 0
; VGPRBlocks: 0
; NumSGPRsForWavesPerEU: 6
; NumVGPRsForWavesPerEU: 1
; AccumOffset: 4
; Occupancy: 8
; WaveLimiterHint : 0
; COMPUTE_PGM_RSRC2:SCRATCH_EN: 0
; COMPUTE_PGM_RSRC2:USER_SGPR: 2
; COMPUTE_PGM_RSRC2:TRAP_HANDLER: 0
; COMPUTE_PGM_RSRC2:TGID_X_EN: 1
; COMPUTE_PGM_RSRC2:TGID_Y_EN: 0
; COMPUTE_PGM_RSRC2:TGID_Z_EN: 0
; COMPUTE_PGM_RSRC2:TIDIG_COMP_CNT: 0
; COMPUTE_PGM_RSRC3_GFX90A:ACCUM_OFFSET: 0
; COMPUTE_PGM_RSRC3_GFX90A:TG_SPLIT: 0
	.section	.text._ZN7rocprim17ROCPRIM_400000_NS6detail17trampoline_kernelINS0_14default_configENS1_20scan_config_selectorIdEEZZNS1_9scan_implILNS1_25lookback_scan_determinismE0ELb0ELb0ES3_PKdPddZZZN2at6native31launch_logcumsumexp_cuda_kernelERKNSB_10TensorBaseESF_lENKUlvE_clEvENKUlvE_clEvEUlddE_dEEDaPvRmT3_T4_T5_mT6_P12ihipStream_tbENKUlT_T0_E_clISt17integral_constantIbLb0EESV_IbLb1EEEEDaSR_SS_EUlSR_E0_NS1_11comp_targetILNS1_3genE10ELNS1_11target_archE1200ELNS1_3gpuE4ELNS1_3repE0EEENS1_30default_config_static_selectorELNS0_4arch9wavefront6targetE1EEEvT1_,"axG",@progbits,_ZN7rocprim17ROCPRIM_400000_NS6detail17trampoline_kernelINS0_14default_configENS1_20scan_config_selectorIdEEZZNS1_9scan_implILNS1_25lookback_scan_determinismE0ELb0ELb0ES3_PKdPddZZZN2at6native31launch_logcumsumexp_cuda_kernelERKNSB_10TensorBaseESF_lENKUlvE_clEvENKUlvE_clEvEUlddE_dEEDaPvRmT3_T4_T5_mT6_P12ihipStream_tbENKUlT_T0_E_clISt17integral_constantIbLb0EESV_IbLb1EEEEDaSR_SS_EUlSR_E0_NS1_11comp_targetILNS1_3genE10ELNS1_11target_archE1200ELNS1_3gpuE4ELNS1_3repE0EEENS1_30default_config_static_selectorELNS0_4arch9wavefront6targetE1EEEvT1_,comdat
	.globl	_ZN7rocprim17ROCPRIM_400000_NS6detail17trampoline_kernelINS0_14default_configENS1_20scan_config_selectorIdEEZZNS1_9scan_implILNS1_25lookback_scan_determinismE0ELb0ELb0ES3_PKdPddZZZN2at6native31launch_logcumsumexp_cuda_kernelERKNSB_10TensorBaseESF_lENKUlvE_clEvENKUlvE_clEvEUlddE_dEEDaPvRmT3_T4_T5_mT6_P12ihipStream_tbENKUlT_T0_E_clISt17integral_constantIbLb0EESV_IbLb1EEEEDaSR_SS_EUlSR_E0_NS1_11comp_targetILNS1_3genE10ELNS1_11target_archE1200ELNS1_3gpuE4ELNS1_3repE0EEENS1_30default_config_static_selectorELNS0_4arch9wavefront6targetE1EEEvT1_ ; -- Begin function _ZN7rocprim17ROCPRIM_400000_NS6detail17trampoline_kernelINS0_14default_configENS1_20scan_config_selectorIdEEZZNS1_9scan_implILNS1_25lookback_scan_determinismE0ELb0ELb0ES3_PKdPddZZZN2at6native31launch_logcumsumexp_cuda_kernelERKNSB_10TensorBaseESF_lENKUlvE_clEvENKUlvE_clEvEUlddE_dEEDaPvRmT3_T4_T5_mT6_P12ihipStream_tbENKUlT_T0_E_clISt17integral_constantIbLb0EESV_IbLb1EEEEDaSR_SS_EUlSR_E0_NS1_11comp_targetILNS1_3genE10ELNS1_11target_archE1200ELNS1_3gpuE4ELNS1_3repE0EEENS1_30default_config_static_selectorELNS0_4arch9wavefront6targetE1EEEvT1_
	.p2align	8
	.type	_ZN7rocprim17ROCPRIM_400000_NS6detail17trampoline_kernelINS0_14default_configENS1_20scan_config_selectorIdEEZZNS1_9scan_implILNS1_25lookback_scan_determinismE0ELb0ELb0ES3_PKdPddZZZN2at6native31launch_logcumsumexp_cuda_kernelERKNSB_10TensorBaseESF_lENKUlvE_clEvENKUlvE_clEvEUlddE_dEEDaPvRmT3_T4_T5_mT6_P12ihipStream_tbENKUlT_T0_E_clISt17integral_constantIbLb0EESV_IbLb1EEEEDaSR_SS_EUlSR_E0_NS1_11comp_targetILNS1_3genE10ELNS1_11target_archE1200ELNS1_3gpuE4ELNS1_3repE0EEENS1_30default_config_static_selectorELNS0_4arch9wavefront6targetE1EEEvT1_,@function
_ZN7rocprim17ROCPRIM_400000_NS6detail17trampoline_kernelINS0_14default_configENS1_20scan_config_selectorIdEEZZNS1_9scan_implILNS1_25lookback_scan_determinismE0ELb0ELb0ES3_PKdPddZZZN2at6native31launch_logcumsumexp_cuda_kernelERKNSB_10TensorBaseESF_lENKUlvE_clEvENKUlvE_clEvEUlddE_dEEDaPvRmT3_T4_T5_mT6_P12ihipStream_tbENKUlT_T0_E_clISt17integral_constantIbLb0EESV_IbLb1EEEEDaSR_SS_EUlSR_E0_NS1_11comp_targetILNS1_3genE10ELNS1_11target_archE1200ELNS1_3gpuE4ELNS1_3repE0EEENS1_30default_config_static_selectorELNS0_4arch9wavefront6targetE1EEEvT1_: ; @_ZN7rocprim17ROCPRIM_400000_NS6detail17trampoline_kernelINS0_14default_configENS1_20scan_config_selectorIdEEZZNS1_9scan_implILNS1_25lookback_scan_determinismE0ELb0ELb0ES3_PKdPddZZZN2at6native31launch_logcumsumexp_cuda_kernelERKNSB_10TensorBaseESF_lENKUlvE_clEvENKUlvE_clEvEUlddE_dEEDaPvRmT3_T4_T5_mT6_P12ihipStream_tbENKUlT_T0_E_clISt17integral_constantIbLb0EESV_IbLb1EEEEDaSR_SS_EUlSR_E0_NS1_11comp_targetILNS1_3genE10ELNS1_11target_archE1200ELNS1_3gpuE4ELNS1_3repE0EEENS1_30default_config_static_selectorELNS0_4arch9wavefront6targetE1EEEvT1_
; %bb.0:
	.section	.rodata,"a",@progbits
	.p2align	6, 0x0
	.amdhsa_kernel _ZN7rocprim17ROCPRIM_400000_NS6detail17trampoline_kernelINS0_14default_configENS1_20scan_config_selectorIdEEZZNS1_9scan_implILNS1_25lookback_scan_determinismE0ELb0ELb0ES3_PKdPddZZZN2at6native31launch_logcumsumexp_cuda_kernelERKNSB_10TensorBaseESF_lENKUlvE_clEvENKUlvE_clEvEUlddE_dEEDaPvRmT3_T4_T5_mT6_P12ihipStream_tbENKUlT_T0_E_clISt17integral_constantIbLb0EESV_IbLb1EEEEDaSR_SS_EUlSR_E0_NS1_11comp_targetILNS1_3genE10ELNS1_11target_archE1200ELNS1_3gpuE4ELNS1_3repE0EEENS1_30default_config_static_selectorELNS0_4arch9wavefront6targetE1EEEvT1_
		.amdhsa_group_segment_fixed_size 0
		.amdhsa_private_segment_fixed_size 0
		.amdhsa_kernarg_size 40
		.amdhsa_user_sgpr_count 2
		.amdhsa_user_sgpr_dispatch_ptr 0
		.amdhsa_user_sgpr_queue_ptr 0
		.amdhsa_user_sgpr_kernarg_segment_ptr 1
		.amdhsa_user_sgpr_dispatch_id 0
		.amdhsa_user_sgpr_kernarg_preload_length 0
		.amdhsa_user_sgpr_kernarg_preload_offset 0
		.amdhsa_user_sgpr_private_segment_size 0
		.amdhsa_uses_dynamic_stack 0
		.amdhsa_enable_private_segment 0
		.amdhsa_system_sgpr_workgroup_id_x 1
		.amdhsa_system_sgpr_workgroup_id_y 0
		.amdhsa_system_sgpr_workgroup_id_z 0
		.amdhsa_system_sgpr_workgroup_info 0
		.amdhsa_system_vgpr_workitem_id 0
		.amdhsa_next_free_vgpr 1
		.amdhsa_next_free_sgpr 0
		.amdhsa_accum_offset 4
		.amdhsa_reserve_vcc 0
		.amdhsa_float_round_mode_32 0
		.amdhsa_float_round_mode_16_64 0
		.amdhsa_float_denorm_mode_32 3
		.amdhsa_float_denorm_mode_16_64 3
		.amdhsa_dx10_clamp 1
		.amdhsa_ieee_mode 1
		.amdhsa_fp16_overflow 0
		.amdhsa_tg_split 0
		.amdhsa_exception_fp_ieee_invalid_op 0
		.amdhsa_exception_fp_denorm_src 0
		.amdhsa_exception_fp_ieee_div_zero 0
		.amdhsa_exception_fp_ieee_overflow 0
		.amdhsa_exception_fp_ieee_underflow 0
		.amdhsa_exception_fp_ieee_inexact 0
		.amdhsa_exception_int_div_zero 0
	.end_amdhsa_kernel
	.section	.text._ZN7rocprim17ROCPRIM_400000_NS6detail17trampoline_kernelINS0_14default_configENS1_20scan_config_selectorIdEEZZNS1_9scan_implILNS1_25lookback_scan_determinismE0ELb0ELb0ES3_PKdPddZZZN2at6native31launch_logcumsumexp_cuda_kernelERKNSB_10TensorBaseESF_lENKUlvE_clEvENKUlvE_clEvEUlddE_dEEDaPvRmT3_T4_T5_mT6_P12ihipStream_tbENKUlT_T0_E_clISt17integral_constantIbLb0EESV_IbLb1EEEEDaSR_SS_EUlSR_E0_NS1_11comp_targetILNS1_3genE10ELNS1_11target_archE1200ELNS1_3gpuE4ELNS1_3repE0EEENS1_30default_config_static_selectorELNS0_4arch9wavefront6targetE1EEEvT1_,"axG",@progbits,_ZN7rocprim17ROCPRIM_400000_NS6detail17trampoline_kernelINS0_14default_configENS1_20scan_config_selectorIdEEZZNS1_9scan_implILNS1_25lookback_scan_determinismE0ELb0ELb0ES3_PKdPddZZZN2at6native31launch_logcumsumexp_cuda_kernelERKNSB_10TensorBaseESF_lENKUlvE_clEvENKUlvE_clEvEUlddE_dEEDaPvRmT3_T4_T5_mT6_P12ihipStream_tbENKUlT_T0_E_clISt17integral_constantIbLb0EESV_IbLb1EEEEDaSR_SS_EUlSR_E0_NS1_11comp_targetILNS1_3genE10ELNS1_11target_archE1200ELNS1_3gpuE4ELNS1_3repE0EEENS1_30default_config_static_selectorELNS0_4arch9wavefront6targetE1EEEvT1_,comdat
.Lfunc_end85:
	.size	_ZN7rocprim17ROCPRIM_400000_NS6detail17trampoline_kernelINS0_14default_configENS1_20scan_config_selectorIdEEZZNS1_9scan_implILNS1_25lookback_scan_determinismE0ELb0ELb0ES3_PKdPddZZZN2at6native31launch_logcumsumexp_cuda_kernelERKNSB_10TensorBaseESF_lENKUlvE_clEvENKUlvE_clEvEUlddE_dEEDaPvRmT3_T4_T5_mT6_P12ihipStream_tbENKUlT_T0_E_clISt17integral_constantIbLb0EESV_IbLb1EEEEDaSR_SS_EUlSR_E0_NS1_11comp_targetILNS1_3genE10ELNS1_11target_archE1200ELNS1_3gpuE4ELNS1_3repE0EEENS1_30default_config_static_selectorELNS0_4arch9wavefront6targetE1EEEvT1_, .Lfunc_end85-_ZN7rocprim17ROCPRIM_400000_NS6detail17trampoline_kernelINS0_14default_configENS1_20scan_config_selectorIdEEZZNS1_9scan_implILNS1_25lookback_scan_determinismE0ELb0ELb0ES3_PKdPddZZZN2at6native31launch_logcumsumexp_cuda_kernelERKNSB_10TensorBaseESF_lENKUlvE_clEvENKUlvE_clEvEUlddE_dEEDaPvRmT3_T4_T5_mT6_P12ihipStream_tbENKUlT_T0_E_clISt17integral_constantIbLb0EESV_IbLb1EEEEDaSR_SS_EUlSR_E0_NS1_11comp_targetILNS1_3genE10ELNS1_11target_archE1200ELNS1_3gpuE4ELNS1_3repE0EEENS1_30default_config_static_selectorELNS0_4arch9wavefront6targetE1EEEvT1_
                                        ; -- End function
	.section	.AMDGPU.csdata,"",@progbits
; Kernel info:
; codeLenInByte = 0
; NumSgprs: 6
; NumVgprs: 0
; NumAgprs: 0
; TotalNumVgprs: 0
; ScratchSize: 0
; MemoryBound: 0
; FloatMode: 240
; IeeeMode: 1
; LDSByteSize: 0 bytes/workgroup (compile time only)
; SGPRBlocks: 0
; VGPRBlocks: 0
; NumSGPRsForWavesPerEU: 6
; NumVGPRsForWavesPerEU: 1
; AccumOffset: 4
; Occupancy: 8
; WaveLimiterHint : 0
; COMPUTE_PGM_RSRC2:SCRATCH_EN: 0
; COMPUTE_PGM_RSRC2:USER_SGPR: 2
; COMPUTE_PGM_RSRC2:TRAP_HANDLER: 0
; COMPUTE_PGM_RSRC2:TGID_X_EN: 1
; COMPUTE_PGM_RSRC2:TGID_Y_EN: 0
; COMPUTE_PGM_RSRC2:TGID_Z_EN: 0
; COMPUTE_PGM_RSRC2:TIDIG_COMP_CNT: 0
; COMPUTE_PGM_RSRC3_GFX90A:ACCUM_OFFSET: 0
; COMPUTE_PGM_RSRC3_GFX90A:TG_SPLIT: 0
	.section	.text._ZN7rocprim17ROCPRIM_400000_NS6detail17trampoline_kernelINS0_14default_configENS1_20scan_config_selectorIdEEZZNS1_9scan_implILNS1_25lookback_scan_determinismE0ELb0ELb0ES3_PKdPddZZZN2at6native31launch_logcumsumexp_cuda_kernelERKNSB_10TensorBaseESF_lENKUlvE_clEvENKUlvE_clEvEUlddE_dEEDaPvRmT3_T4_T5_mT6_P12ihipStream_tbENKUlT_T0_E_clISt17integral_constantIbLb0EESV_IbLb1EEEEDaSR_SS_EUlSR_E0_NS1_11comp_targetILNS1_3genE9ELNS1_11target_archE1100ELNS1_3gpuE3ELNS1_3repE0EEENS1_30default_config_static_selectorELNS0_4arch9wavefront6targetE1EEEvT1_,"axG",@progbits,_ZN7rocprim17ROCPRIM_400000_NS6detail17trampoline_kernelINS0_14default_configENS1_20scan_config_selectorIdEEZZNS1_9scan_implILNS1_25lookback_scan_determinismE0ELb0ELb0ES3_PKdPddZZZN2at6native31launch_logcumsumexp_cuda_kernelERKNSB_10TensorBaseESF_lENKUlvE_clEvENKUlvE_clEvEUlddE_dEEDaPvRmT3_T4_T5_mT6_P12ihipStream_tbENKUlT_T0_E_clISt17integral_constantIbLb0EESV_IbLb1EEEEDaSR_SS_EUlSR_E0_NS1_11comp_targetILNS1_3genE9ELNS1_11target_archE1100ELNS1_3gpuE3ELNS1_3repE0EEENS1_30default_config_static_selectorELNS0_4arch9wavefront6targetE1EEEvT1_,comdat
	.globl	_ZN7rocprim17ROCPRIM_400000_NS6detail17trampoline_kernelINS0_14default_configENS1_20scan_config_selectorIdEEZZNS1_9scan_implILNS1_25lookback_scan_determinismE0ELb0ELb0ES3_PKdPddZZZN2at6native31launch_logcumsumexp_cuda_kernelERKNSB_10TensorBaseESF_lENKUlvE_clEvENKUlvE_clEvEUlddE_dEEDaPvRmT3_T4_T5_mT6_P12ihipStream_tbENKUlT_T0_E_clISt17integral_constantIbLb0EESV_IbLb1EEEEDaSR_SS_EUlSR_E0_NS1_11comp_targetILNS1_3genE9ELNS1_11target_archE1100ELNS1_3gpuE3ELNS1_3repE0EEENS1_30default_config_static_selectorELNS0_4arch9wavefront6targetE1EEEvT1_ ; -- Begin function _ZN7rocprim17ROCPRIM_400000_NS6detail17trampoline_kernelINS0_14default_configENS1_20scan_config_selectorIdEEZZNS1_9scan_implILNS1_25lookback_scan_determinismE0ELb0ELb0ES3_PKdPddZZZN2at6native31launch_logcumsumexp_cuda_kernelERKNSB_10TensorBaseESF_lENKUlvE_clEvENKUlvE_clEvEUlddE_dEEDaPvRmT3_T4_T5_mT6_P12ihipStream_tbENKUlT_T0_E_clISt17integral_constantIbLb0EESV_IbLb1EEEEDaSR_SS_EUlSR_E0_NS1_11comp_targetILNS1_3genE9ELNS1_11target_archE1100ELNS1_3gpuE3ELNS1_3repE0EEENS1_30default_config_static_selectorELNS0_4arch9wavefront6targetE1EEEvT1_
	.p2align	8
	.type	_ZN7rocprim17ROCPRIM_400000_NS6detail17trampoline_kernelINS0_14default_configENS1_20scan_config_selectorIdEEZZNS1_9scan_implILNS1_25lookback_scan_determinismE0ELb0ELb0ES3_PKdPddZZZN2at6native31launch_logcumsumexp_cuda_kernelERKNSB_10TensorBaseESF_lENKUlvE_clEvENKUlvE_clEvEUlddE_dEEDaPvRmT3_T4_T5_mT6_P12ihipStream_tbENKUlT_T0_E_clISt17integral_constantIbLb0EESV_IbLb1EEEEDaSR_SS_EUlSR_E0_NS1_11comp_targetILNS1_3genE9ELNS1_11target_archE1100ELNS1_3gpuE3ELNS1_3repE0EEENS1_30default_config_static_selectorELNS0_4arch9wavefront6targetE1EEEvT1_,@function
_ZN7rocprim17ROCPRIM_400000_NS6detail17trampoline_kernelINS0_14default_configENS1_20scan_config_selectorIdEEZZNS1_9scan_implILNS1_25lookback_scan_determinismE0ELb0ELb0ES3_PKdPddZZZN2at6native31launch_logcumsumexp_cuda_kernelERKNSB_10TensorBaseESF_lENKUlvE_clEvENKUlvE_clEvEUlddE_dEEDaPvRmT3_T4_T5_mT6_P12ihipStream_tbENKUlT_T0_E_clISt17integral_constantIbLb0EESV_IbLb1EEEEDaSR_SS_EUlSR_E0_NS1_11comp_targetILNS1_3genE9ELNS1_11target_archE1100ELNS1_3gpuE3ELNS1_3repE0EEENS1_30default_config_static_selectorELNS0_4arch9wavefront6targetE1EEEvT1_: ; @_ZN7rocprim17ROCPRIM_400000_NS6detail17trampoline_kernelINS0_14default_configENS1_20scan_config_selectorIdEEZZNS1_9scan_implILNS1_25lookback_scan_determinismE0ELb0ELb0ES3_PKdPddZZZN2at6native31launch_logcumsumexp_cuda_kernelERKNSB_10TensorBaseESF_lENKUlvE_clEvENKUlvE_clEvEUlddE_dEEDaPvRmT3_T4_T5_mT6_P12ihipStream_tbENKUlT_T0_E_clISt17integral_constantIbLb0EESV_IbLb1EEEEDaSR_SS_EUlSR_E0_NS1_11comp_targetILNS1_3genE9ELNS1_11target_archE1100ELNS1_3gpuE3ELNS1_3repE0EEENS1_30default_config_static_selectorELNS0_4arch9wavefront6targetE1EEEvT1_
; %bb.0:
	.section	.rodata,"a",@progbits
	.p2align	6, 0x0
	.amdhsa_kernel _ZN7rocprim17ROCPRIM_400000_NS6detail17trampoline_kernelINS0_14default_configENS1_20scan_config_selectorIdEEZZNS1_9scan_implILNS1_25lookback_scan_determinismE0ELb0ELb0ES3_PKdPddZZZN2at6native31launch_logcumsumexp_cuda_kernelERKNSB_10TensorBaseESF_lENKUlvE_clEvENKUlvE_clEvEUlddE_dEEDaPvRmT3_T4_T5_mT6_P12ihipStream_tbENKUlT_T0_E_clISt17integral_constantIbLb0EESV_IbLb1EEEEDaSR_SS_EUlSR_E0_NS1_11comp_targetILNS1_3genE9ELNS1_11target_archE1100ELNS1_3gpuE3ELNS1_3repE0EEENS1_30default_config_static_selectorELNS0_4arch9wavefront6targetE1EEEvT1_
		.amdhsa_group_segment_fixed_size 0
		.amdhsa_private_segment_fixed_size 0
		.amdhsa_kernarg_size 40
		.amdhsa_user_sgpr_count 2
		.amdhsa_user_sgpr_dispatch_ptr 0
		.amdhsa_user_sgpr_queue_ptr 0
		.amdhsa_user_sgpr_kernarg_segment_ptr 1
		.amdhsa_user_sgpr_dispatch_id 0
		.amdhsa_user_sgpr_kernarg_preload_length 0
		.amdhsa_user_sgpr_kernarg_preload_offset 0
		.amdhsa_user_sgpr_private_segment_size 0
		.amdhsa_uses_dynamic_stack 0
		.amdhsa_enable_private_segment 0
		.amdhsa_system_sgpr_workgroup_id_x 1
		.amdhsa_system_sgpr_workgroup_id_y 0
		.amdhsa_system_sgpr_workgroup_id_z 0
		.amdhsa_system_sgpr_workgroup_info 0
		.amdhsa_system_vgpr_workitem_id 0
		.amdhsa_next_free_vgpr 1
		.amdhsa_next_free_sgpr 0
		.amdhsa_accum_offset 4
		.amdhsa_reserve_vcc 0
		.amdhsa_float_round_mode_32 0
		.amdhsa_float_round_mode_16_64 0
		.amdhsa_float_denorm_mode_32 3
		.amdhsa_float_denorm_mode_16_64 3
		.amdhsa_dx10_clamp 1
		.amdhsa_ieee_mode 1
		.amdhsa_fp16_overflow 0
		.amdhsa_tg_split 0
		.amdhsa_exception_fp_ieee_invalid_op 0
		.amdhsa_exception_fp_denorm_src 0
		.amdhsa_exception_fp_ieee_div_zero 0
		.amdhsa_exception_fp_ieee_overflow 0
		.amdhsa_exception_fp_ieee_underflow 0
		.amdhsa_exception_fp_ieee_inexact 0
		.amdhsa_exception_int_div_zero 0
	.end_amdhsa_kernel
	.section	.text._ZN7rocprim17ROCPRIM_400000_NS6detail17trampoline_kernelINS0_14default_configENS1_20scan_config_selectorIdEEZZNS1_9scan_implILNS1_25lookback_scan_determinismE0ELb0ELb0ES3_PKdPddZZZN2at6native31launch_logcumsumexp_cuda_kernelERKNSB_10TensorBaseESF_lENKUlvE_clEvENKUlvE_clEvEUlddE_dEEDaPvRmT3_T4_T5_mT6_P12ihipStream_tbENKUlT_T0_E_clISt17integral_constantIbLb0EESV_IbLb1EEEEDaSR_SS_EUlSR_E0_NS1_11comp_targetILNS1_3genE9ELNS1_11target_archE1100ELNS1_3gpuE3ELNS1_3repE0EEENS1_30default_config_static_selectorELNS0_4arch9wavefront6targetE1EEEvT1_,"axG",@progbits,_ZN7rocprim17ROCPRIM_400000_NS6detail17trampoline_kernelINS0_14default_configENS1_20scan_config_selectorIdEEZZNS1_9scan_implILNS1_25lookback_scan_determinismE0ELb0ELb0ES3_PKdPddZZZN2at6native31launch_logcumsumexp_cuda_kernelERKNSB_10TensorBaseESF_lENKUlvE_clEvENKUlvE_clEvEUlddE_dEEDaPvRmT3_T4_T5_mT6_P12ihipStream_tbENKUlT_T0_E_clISt17integral_constantIbLb0EESV_IbLb1EEEEDaSR_SS_EUlSR_E0_NS1_11comp_targetILNS1_3genE9ELNS1_11target_archE1100ELNS1_3gpuE3ELNS1_3repE0EEENS1_30default_config_static_selectorELNS0_4arch9wavefront6targetE1EEEvT1_,comdat
.Lfunc_end86:
	.size	_ZN7rocprim17ROCPRIM_400000_NS6detail17trampoline_kernelINS0_14default_configENS1_20scan_config_selectorIdEEZZNS1_9scan_implILNS1_25lookback_scan_determinismE0ELb0ELb0ES3_PKdPddZZZN2at6native31launch_logcumsumexp_cuda_kernelERKNSB_10TensorBaseESF_lENKUlvE_clEvENKUlvE_clEvEUlddE_dEEDaPvRmT3_T4_T5_mT6_P12ihipStream_tbENKUlT_T0_E_clISt17integral_constantIbLb0EESV_IbLb1EEEEDaSR_SS_EUlSR_E0_NS1_11comp_targetILNS1_3genE9ELNS1_11target_archE1100ELNS1_3gpuE3ELNS1_3repE0EEENS1_30default_config_static_selectorELNS0_4arch9wavefront6targetE1EEEvT1_, .Lfunc_end86-_ZN7rocprim17ROCPRIM_400000_NS6detail17trampoline_kernelINS0_14default_configENS1_20scan_config_selectorIdEEZZNS1_9scan_implILNS1_25lookback_scan_determinismE0ELb0ELb0ES3_PKdPddZZZN2at6native31launch_logcumsumexp_cuda_kernelERKNSB_10TensorBaseESF_lENKUlvE_clEvENKUlvE_clEvEUlddE_dEEDaPvRmT3_T4_T5_mT6_P12ihipStream_tbENKUlT_T0_E_clISt17integral_constantIbLb0EESV_IbLb1EEEEDaSR_SS_EUlSR_E0_NS1_11comp_targetILNS1_3genE9ELNS1_11target_archE1100ELNS1_3gpuE3ELNS1_3repE0EEENS1_30default_config_static_selectorELNS0_4arch9wavefront6targetE1EEEvT1_
                                        ; -- End function
	.section	.AMDGPU.csdata,"",@progbits
; Kernel info:
; codeLenInByte = 0
; NumSgprs: 6
; NumVgprs: 0
; NumAgprs: 0
; TotalNumVgprs: 0
; ScratchSize: 0
; MemoryBound: 0
; FloatMode: 240
; IeeeMode: 1
; LDSByteSize: 0 bytes/workgroup (compile time only)
; SGPRBlocks: 0
; VGPRBlocks: 0
; NumSGPRsForWavesPerEU: 6
; NumVGPRsForWavesPerEU: 1
; AccumOffset: 4
; Occupancy: 8
; WaveLimiterHint : 0
; COMPUTE_PGM_RSRC2:SCRATCH_EN: 0
; COMPUTE_PGM_RSRC2:USER_SGPR: 2
; COMPUTE_PGM_RSRC2:TRAP_HANDLER: 0
; COMPUTE_PGM_RSRC2:TGID_X_EN: 1
; COMPUTE_PGM_RSRC2:TGID_Y_EN: 0
; COMPUTE_PGM_RSRC2:TGID_Z_EN: 0
; COMPUTE_PGM_RSRC2:TIDIG_COMP_CNT: 0
; COMPUTE_PGM_RSRC3_GFX90A:ACCUM_OFFSET: 0
; COMPUTE_PGM_RSRC3_GFX90A:TG_SPLIT: 0
	.section	.text._ZN7rocprim17ROCPRIM_400000_NS6detail17trampoline_kernelINS0_14default_configENS1_20scan_config_selectorIdEEZZNS1_9scan_implILNS1_25lookback_scan_determinismE0ELb0ELb0ES3_PKdPddZZZN2at6native31launch_logcumsumexp_cuda_kernelERKNSB_10TensorBaseESF_lENKUlvE_clEvENKUlvE_clEvEUlddE_dEEDaPvRmT3_T4_T5_mT6_P12ihipStream_tbENKUlT_T0_E_clISt17integral_constantIbLb0EESV_IbLb1EEEEDaSR_SS_EUlSR_E0_NS1_11comp_targetILNS1_3genE8ELNS1_11target_archE1030ELNS1_3gpuE2ELNS1_3repE0EEENS1_30default_config_static_selectorELNS0_4arch9wavefront6targetE1EEEvT1_,"axG",@progbits,_ZN7rocprim17ROCPRIM_400000_NS6detail17trampoline_kernelINS0_14default_configENS1_20scan_config_selectorIdEEZZNS1_9scan_implILNS1_25lookback_scan_determinismE0ELb0ELb0ES3_PKdPddZZZN2at6native31launch_logcumsumexp_cuda_kernelERKNSB_10TensorBaseESF_lENKUlvE_clEvENKUlvE_clEvEUlddE_dEEDaPvRmT3_T4_T5_mT6_P12ihipStream_tbENKUlT_T0_E_clISt17integral_constantIbLb0EESV_IbLb1EEEEDaSR_SS_EUlSR_E0_NS1_11comp_targetILNS1_3genE8ELNS1_11target_archE1030ELNS1_3gpuE2ELNS1_3repE0EEENS1_30default_config_static_selectorELNS0_4arch9wavefront6targetE1EEEvT1_,comdat
	.globl	_ZN7rocprim17ROCPRIM_400000_NS6detail17trampoline_kernelINS0_14default_configENS1_20scan_config_selectorIdEEZZNS1_9scan_implILNS1_25lookback_scan_determinismE0ELb0ELb0ES3_PKdPddZZZN2at6native31launch_logcumsumexp_cuda_kernelERKNSB_10TensorBaseESF_lENKUlvE_clEvENKUlvE_clEvEUlddE_dEEDaPvRmT3_T4_T5_mT6_P12ihipStream_tbENKUlT_T0_E_clISt17integral_constantIbLb0EESV_IbLb1EEEEDaSR_SS_EUlSR_E0_NS1_11comp_targetILNS1_3genE8ELNS1_11target_archE1030ELNS1_3gpuE2ELNS1_3repE0EEENS1_30default_config_static_selectorELNS0_4arch9wavefront6targetE1EEEvT1_ ; -- Begin function _ZN7rocprim17ROCPRIM_400000_NS6detail17trampoline_kernelINS0_14default_configENS1_20scan_config_selectorIdEEZZNS1_9scan_implILNS1_25lookback_scan_determinismE0ELb0ELb0ES3_PKdPddZZZN2at6native31launch_logcumsumexp_cuda_kernelERKNSB_10TensorBaseESF_lENKUlvE_clEvENKUlvE_clEvEUlddE_dEEDaPvRmT3_T4_T5_mT6_P12ihipStream_tbENKUlT_T0_E_clISt17integral_constantIbLb0EESV_IbLb1EEEEDaSR_SS_EUlSR_E0_NS1_11comp_targetILNS1_3genE8ELNS1_11target_archE1030ELNS1_3gpuE2ELNS1_3repE0EEENS1_30default_config_static_selectorELNS0_4arch9wavefront6targetE1EEEvT1_
	.p2align	8
	.type	_ZN7rocprim17ROCPRIM_400000_NS6detail17trampoline_kernelINS0_14default_configENS1_20scan_config_selectorIdEEZZNS1_9scan_implILNS1_25lookback_scan_determinismE0ELb0ELb0ES3_PKdPddZZZN2at6native31launch_logcumsumexp_cuda_kernelERKNSB_10TensorBaseESF_lENKUlvE_clEvENKUlvE_clEvEUlddE_dEEDaPvRmT3_T4_T5_mT6_P12ihipStream_tbENKUlT_T0_E_clISt17integral_constantIbLb0EESV_IbLb1EEEEDaSR_SS_EUlSR_E0_NS1_11comp_targetILNS1_3genE8ELNS1_11target_archE1030ELNS1_3gpuE2ELNS1_3repE0EEENS1_30default_config_static_selectorELNS0_4arch9wavefront6targetE1EEEvT1_,@function
_ZN7rocprim17ROCPRIM_400000_NS6detail17trampoline_kernelINS0_14default_configENS1_20scan_config_selectorIdEEZZNS1_9scan_implILNS1_25lookback_scan_determinismE0ELb0ELb0ES3_PKdPddZZZN2at6native31launch_logcumsumexp_cuda_kernelERKNSB_10TensorBaseESF_lENKUlvE_clEvENKUlvE_clEvEUlddE_dEEDaPvRmT3_T4_T5_mT6_P12ihipStream_tbENKUlT_T0_E_clISt17integral_constantIbLb0EESV_IbLb1EEEEDaSR_SS_EUlSR_E0_NS1_11comp_targetILNS1_3genE8ELNS1_11target_archE1030ELNS1_3gpuE2ELNS1_3repE0EEENS1_30default_config_static_selectorELNS0_4arch9wavefront6targetE1EEEvT1_: ; @_ZN7rocprim17ROCPRIM_400000_NS6detail17trampoline_kernelINS0_14default_configENS1_20scan_config_selectorIdEEZZNS1_9scan_implILNS1_25lookback_scan_determinismE0ELb0ELb0ES3_PKdPddZZZN2at6native31launch_logcumsumexp_cuda_kernelERKNSB_10TensorBaseESF_lENKUlvE_clEvENKUlvE_clEvEUlddE_dEEDaPvRmT3_T4_T5_mT6_P12ihipStream_tbENKUlT_T0_E_clISt17integral_constantIbLb0EESV_IbLb1EEEEDaSR_SS_EUlSR_E0_NS1_11comp_targetILNS1_3genE8ELNS1_11target_archE1030ELNS1_3gpuE2ELNS1_3repE0EEENS1_30default_config_static_selectorELNS0_4arch9wavefront6targetE1EEEvT1_
; %bb.0:
	.section	.rodata,"a",@progbits
	.p2align	6, 0x0
	.amdhsa_kernel _ZN7rocprim17ROCPRIM_400000_NS6detail17trampoline_kernelINS0_14default_configENS1_20scan_config_selectorIdEEZZNS1_9scan_implILNS1_25lookback_scan_determinismE0ELb0ELb0ES3_PKdPddZZZN2at6native31launch_logcumsumexp_cuda_kernelERKNSB_10TensorBaseESF_lENKUlvE_clEvENKUlvE_clEvEUlddE_dEEDaPvRmT3_T4_T5_mT6_P12ihipStream_tbENKUlT_T0_E_clISt17integral_constantIbLb0EESV_IbLb1EEEEDaSR_SS_EUlSR_E0_NS1_11comp_targetILNS1_3genE8ELNS1_11target_archE1030ELNS1_3gpuE2ELNS1_3repE0EEENS1_30default_config_static_selectorELNS0_4arch9wavefront6targetE1EEEvT1_
		.amdhsa_group_segment_fixed_size 0
		.amdhsa_private_segment_fixed_size 0
		.amdhsa_kernarg_size 40
		.amdhsa_user_sgpr_count 2
		.amdhsa_user_sgpr_dispatch_ptr 0
		.amdhsa_user_sgpr_queue_ptr 0
		.amdhsa_user_sgpr_kernarg_segment_ptr 1
		.amdhsa_user_sgpr_dispatch_id 0
		.amdhsa_user_sgpr_kernarg_preload_length 0
		.amdhsa_user_sgpr_kernarg_preload_offset 0
		.amdhsa_user_sgpr_private_segment_size 0
		.amdhsa_uses_dynamic_stack 0
		.amdhsa_enable_private_segment 0
		.amdhsa_system_sgpr_workgroup_id_x 1
		.amdhsa_system_sgpr_workgroup_id_y 0
		.amdhsa_system_sgpr_workgroup_id_z 0
		.amdhsa_system_sgpr_workgroup_info 0
		.amdhsa_system_vgpr_workitem_id 0
		.amdhsa_next_free_vgpr 1
		.amdhsa_next_free_sgpr 0
		.amdhsa_accum_offset 4
		.amdhsa_reserve_vcc 0
		.amdhsa_float_round_mode_32 0
		.amdhsa_float_round_mode_16_64 0
		.amdhsa_float_denorm_mode_32 3
		.amdhsa_float_denorm_mode_16_64 3
		.amdhsa_dx10_clamp 1
		.amdhsa_ieee_mode 1
		.amdhsa_fp16_overflow 0
		.amdhsa_tg_split 0
		.amdhsa_exception_fp_ieee_invalid_op 0
		.amdhsa_exception_fp_denorm_src 0
		.amdhsa_exception_fp_ieee_div_zero 0
		.amdhsa_exception_fp_ieee_overflow 0
		.amdhsa_exception_fp_ieee_underflow 0
		.amdhsa_exception_fp_ieee_inexact 0
		.amdhsa_exception_int_div_zero 0
	.end_amdhsa_kernel
	.section	.text._ZN7rocprim17ROCPRIM_400000_NS6detail17trampoline_kernelINS0_14default_configENS1_20scan_config_selectorIdEEZZNS1_9scan_implILNS1_25lookback_scan_determinismE0ELb0ELb0ES3_PKdPddZZZN2at6native31launch_logcumsumexp_cuda_kernelERKNSB_10TensorBaseESF_lENKUlvE_clEvENKUlvE_clEvEUlddE_dEEDaPvRmT3_T4_T5_mT6_P12ihipStream_tbENKUlT_T0_E_clISt17integral_constantIbLb0EESV_IbLb1EEEEDaSR_SS_EUlSR_E0_NS1_11comp_targetILNS1_3genE8ELNS1_11target_archE1030ELNS1_3gpuE2ELNS1_3repE0EEENS1_30default_config_static_selectorELNS0_4arch9wavefront6targetE1EEEvT1_,"axG",@progbits,_ZN7rocprim17ROCPRIM_400000_NS6detail17trampoline_kernelINS0_14default_configENS1_20scan_config_selectorIdEEZZNS1_9scan_implILNS1_25lookback_scan_determinismE0ELb0ELb0ES3_PKdPddZZZN2at6native31launch_logcumsumexp_cuda_kernelERKNSB_10TensorBaseESF_lENKUlvE_clEvENKUlvE_clEvEUlddE_dEEDaPvRmT3_T4_T5_mT6_P12ihipStream_tbENKUlT_T0_E_clISt17integral_constantIbLb0EESV_IbLb1EEEEDaSR_SS_EUlSR_E0_NS1_11comp_targetILNS1_3genE8ELNS1_11target_archE1030ELNS1_3gpuE2ELNS1_3repE0EEENS1_30default_config_static_selectorELNS0_4arch9wavefront6targetE1EEEvT1_,comdat
.Lfunc_end87:
	.size	_ZN7rocprim17ROCPRIM_400000_NS6detail17trampoline_kernelINS0_14default_configENS1_20scan_config_selectorIdEEZZNS1_9scan_implILNS1_25lookback_scan_determinismE0ELb0ELb0ES3_PKdPddZZZN2at6native31launch_logcumsumexp_cuda_kernelERKNSB_10TensorBaseESF_lENKUlvE_clEvENKUlvE_clEvEUlddE_dEEDaPvRmT3_T4_T5_mT6_P12ihipStream_tbENKUlT_T0_E_clISt17integral_constantIbLb0EESV_IbLb1EEEEDaSR_SS_EUlSR_E0_NS1_11comp_targetILNS1_3genE8ELNS1_11target_archE1030ELNS1_3gpuE2ELNS1_3repE0EEENS1_30default_config_static_selectorELNS0_4arch9wavefront6targetE1EEEvT1_, .Lfunc_end87-_ZN7rocprim17ROCPRIM_400000_NS6detail17trampoline_kernelINS0_14default_configENS1_20scan_config_selectorIdEEZZNS1_9scan_implILNS1_25lookback_scan_determinismE0ELb0ELb0ES3_PKdPddZZZN2at6native31launch_logcumsumexp_cuda_kernelERKNSB_10TensorBaseESF_lENKUlvE_clEvENKUlvE_clEvEUlddE_dEEDaPvRmT3_T4_T5_mT6_P12ihipStream_tbENKUlT_T0_E_clISt17integral_constantIbLb0EESV_IbLb1EEEEDaSR_SS_EUlSR_E0_NS1_11comp_targetILNS1_3genE8ELNS1_11target_archE1030ELNS1_3gpuE2ELNS1_3repE0EEENS1_30default_config_static_selectorELNS0_4arch9wavefront6targetE1EEEvT1_
                                        ; -- End function
	.section	.AMDGPU.csdata,"",@progbits
; Kernel info:
; codeLenInByte = 0
; NumSgprs: 6
; NumVgprs: 0
; NumAgprs: 0
; TotalNumVgprs: 0
; ScratchSize: 0
; MemoryBound: 0
; FloatMode: 240
; IeeeMode: 1
; LDSByteSize: 0 bytes/workgroup (compile time only)
; SGPRBlocks: 0
; VGPRBlocks: 0
; NumSGPRsForWavesPerEU: 6
; NumVGPRsForWavesPerEU: 1
; AccumOffset: 4
; Occupancy: 8
; WaveLimiterHint : 0
; COMPUTE_PGM_RSRC2:SCRATCH_EN: 0
; COMPUTE_PGM_RSRC2:USER_SGPR: 2
; COMPUTE_PGM_RSRC2:TRAP_HANDLER: 0
; COMPUTE_PGM_RSRC2:TGID_X_EN: 1
; COMPUTE_PGM_RSRC2:TGID_Y_EN: 0
; COMPUTE_PGM_RSRC2:TGID_Z_EN: 0
; COMPUTE_PGM_RSRC2:TIDIG_COMP_CNT: 0
; COMPUTE_PGM_RSRC3_GFX90A:ACCUM_OFFSET: 0
; COMPUTE_PGM_RSRC3_GFX90A:TG_SPLIT: 0
	.section	.text._ZN2at6native32tensor_kernel_scan_innermost_dimIdZZZNS0_31launch_logcumsumexp_cuda_kernelERKNS_10TensorBaseES4_lENKUlvE_clEvENKUlvE_clEvEUlddE_EEvPT_PKS8_jjjS8_T0_,"axG",@progbits,_ZN2at6native32tensor_kernel_scan_innermost_dimIdZZZNS0_31launch_logcumsumexp_cuda_kernelERKNS_10TensorBaseES4_lENKUlvE_clEvENKUlvE_clEvEUlddE_EEvPT_PKS8_jjjS8_T0_,comdat
	.globl	_ZN2at6native32tensor_kernel_scan_innermost_dimIdZZZNS0_31launch_logcumsumexp_cuda_kernelERKNS_10TensorBaseES4_lENKUlvE_clEvENKUlvE_clEvEUlddE_EEvPT_PKS8_jjjS8_T0_ ; -- Begin function _ZN2at6native32tensor_kernel_scan_innermost_dimIdZZZNS0_31launch_logcumsumexp_cuda_kernelERKNS_10TensorBaseES4_lENKUlvE_clEvENKUlvE_clEvEUlddE_EEvPT_PKS8_jjjS8_T0_
	.p2align	8
	.type	_ZN2at6native32tensor_kernel_scan_innermost_dimIdZZZNS0_31launch_logcumsumexp_cuda_kernelERKNS_10TensorBaseES4_lENKUlvE_clEvENKUlvE_clEvEUlddE_EEvPT_PKS8_jjjS8_T0_,@function
_ZN2at6native32tensor_kernel_scan_innermost_dimIdZZZNS0_31launch_logcumsumexp_cuda_kernelERKNS_10TensorBaseES4_lENKUlvE_clEvENKUlvE_clEvEUlddE_EEvPT_PKS8_jjjS8_T0_: ; @_ZN2at6native32tensor_kernel_scan_innermost_dimIdZZZNS0_31launch_logcumsumexp_cuda_kernelERKNS_10TensorBaseES4_lENKUlvE_clEvENKUlvE_clEvEUlddE_EEvPT_PKS8_jjjS8_T0_
; %bb.0:
	s_load_dwordx8 s[16:23], s[0:1], 0x0
	s_load_dwordx2 s[14:15], s[0:1], 0x20
	v_bfe_u32 v2, v0, 10, 10
	s_waitcnt lgkmcnt(0)
	s_lshl_b32 s3, 2, s22
	v_mul_lo_u32 v1, s3, v2
	s_mul_hi_u32 s4, s20, s21
	s_mov_b32 s24, s20
	v_lshl_add_u32 v48, v1, 3, 0
	s_cmp_lg_u32 s4, 0
	s_mov_b64 s[4:5], -1
	s_cbranch_scc1 .LBB88_30
; %bb.1:
	s_load_dword s6, s[0:1], 0x3c
	s_add_u32 s4, s0, 48
	s_addc_u32 s5, s1, 0
	s_waitcnt lgkmcnt(0)
	s_lshr_b32 s6, s6, 16
	s_mul_i32 s23, s2, s6
	s_cmp_ge_u32 s23, s20
	s_cbranch_scc1 .LBB88_29
; %bb.2:
	s_load_dword s33, s[4:5], 0x0
	s_lshl_b32 s25, 1, s22
	s_cmp_lg_u32 s21, 0
	v_and_b32_e32 v1, 0x3ff, v0
	s_cselect_b64 s[4:5], -1, 0
	v_lshl_add_u32 v3, v1, 3, v48
	v_add_u32_e32 v50, -8, v48
	v_cndmask_b32_e64 v4, 0, 1, s[4:5]
	s_mov_b32 s26, 0x652b82fe
	s_mov_b32 s28, 0xfefa39ef
	;; [unrolled: 1-line block ×9, first 2 shown]
	v_lshl_add_u32 v49, s25, 3, v3
	v_cmp_eq_u32_e64 s[8:9], 0, v1
	v_lshl_add_u32 v51, s3, 3, v50
	s_waitcnt lgkmcnt(0)
	s_mul_i32 s33, s33, s6
	s_add_i32 s56, s22, 1
	v_cmp_ne_u32_e64 s[4:5], 1, v4
	v_mov_b32_e32 v5, 0
	s_movk_i32 s57, 0x1f8
	s_mov_b32 s27, 0x3ff71547
	s_mov_b32 s29, 0xbfe62e42
	;; [unrolled: 1-line block ×11, first 2 shown]
	v_mov_b32_e32 v6, 0xfca7ab0c
	v_mov_b32_e32 v7, 0x3e928af3
	;; [unrolled: 1-line block ×33, first 2 shown]
	s_branch .LBB88_4
.LBB88_3:                               ;   in Loop: Header=BB88_4 Depth=1
	s_add_i32 s23, s23, s33
	s_cmp_ge_u32 s23, s20
	s_cbranch_scc1 .LBB88_29
.LBB88_4:                               ; =>This Loop Header: Depth=1
                                        ;     Child Loop BB88_7 Depth 2
                                        ;       Child Loop BB88_19 Depth 3
	s_and_b64 vcc, exec, s[4:5]
	s_cbranch_vccnz .LBB88_3
; %bb.5:                                ;   in Loop: Header=BB88_4 Depth=1
	v_add_u32_e32 v40, s23, v2
	v_mul_lo_u32 v4, v40, s21
	v_lshlrev_b64 v[38:39], 3, v[4:5]
	v_lshl_add_u64 v[36:37], s[18:19], 0, v[38:39]
	v_lshl_add_u64 v[38:39], s[16:17], 0, v[38:39]
	v_cmp_gt_u32_e32 vcc, s20, v40
	v_cmp_le_u32_e64 s[6:7], s20, v40
	s_mov_b32 s58, 0
	v_mov_b64_e32 v[42:43], s[14:15]
	s_branch .LBB88_7
.LBB88_6:                               ;   in Loop: Header=BB88_7 Depth=2
	s_or_b64 exec, exec, s[12:13]
	ds_read_b64 v[42:43], v51
	s_add_i32 s58, s58, s3
	s_cmp_ge_u32 s58, s21
	s_waitcnt lgkmcnt(0)
	s_barrier
	s_cbranch_scc1 .LBB88_3
.LBB88_7:                               ;   Parent Loop BB88_4 Depth=1
                                        ; =>  This Loop Header: Depth=2
                                        ;       Child Loop BB88_19 Depth 3
	v_add_u32_e32 v4, s58, v1
	v_add_u32_e32 v40, s25, v4
	s_and_saveexec_b64 s[50:51], vcc
	s_cbranch_execz .LBB88_16
; %bb.8:                                ;   in Loop: Header=BB88_7 Depth=2
	v_cmp_gt_u32_e64 s[10:11], s21, v4
	v_mov_b64_e32 v[44:45], s[14:15]
	s_and_saveexec_b64 s[12:13], s[10:11]
	s_cbranch_execz .LBB88_10
; %bb.9:                                ;   in Loop: Header=BB88_7 Depth=2
	v_lshl_add_u64 v[44:45], v[4:5], 3, v[36:37]
	global_load_dwordx2 v[44:45], v[44:45], off
.LBB88_10:                              ;   in Loop: Header=BB88_7 Depth=2
	s_or_b64 exec, exec, s[12:13]
	s_waitcnt vmcnt(0)
	ds_write_b64 v3, v[44:45]
	v_cmp_gt_u32_e64 s[10:11], s21, v40
	v_mov_b64_e32 v[44:45], s[14:15]
	s_and_saveexec_b64 s[12:13], s[10:11]
	s_cbranch_execz .LBB88_12
; %bb.11:                               ;   in Loop: Header=BB88_7 Depth=2
	v_mov_b32_e32 v41, v5
	v_lshl_add_u64 v[44:45], v[40:41], 3, v[36:37]
	global_load_dwordx2 v[44:45], v[44:45], off
.LBB88_12:                              ;   in Loop: Header=BB88_7 Depth=2
	s_or_b64 exec, exec, s[12:13]
	s_waitcnt vmcnt(0)
	ds_write_b64 v49, v[44:45]
	s_and_b64 exec, exec, s[8:9]
	s_cbranch_execz .LBB88_16
; %bb.13:                               ;   in Loop: Header=BB88_7 Depth=2
	ds_read_b64 v[44:45], v48
	v_max_f64 v[56:57], v[42:43], v[42:43]
	v_cmp_u_f64_e64 s[12:13], v[42:43], v[42:43]
	s_waitcnt lgkmcnt(0)
	v_max_f64 v[58:59], v[44:45], v[44:45]
	v_min_f64 v[46:47], v[58:59], v[56:57]
	v_cmp_u_f64_e64 s[10:11], v[44:45], v[44:45]
	v_max_f64 v[56:57], v[58:59], v[56:57]
	s_nop 0
	v_cndmask_b32_e64 v41, v46, v44, s[10:11]
	v_cndmask_b32_e64 v46, v47, v45, s[10:11]
	;; [unrolled: 1-line block ×8, first 2 shown]
	v_cmp_neq_f64_e64 s[10:11], v[46:47], v[42:43]
	v_cmp_class_f64_e64 s[12:13], v[46:47], s57
	s_or_b64 s[10:11], s[10:11], s[12:13]
	s_and_saveexec_b64 s[52:53], s[10:11]
	s_cbranch_execz .LBB88_15
; %bb.14:                               ;   in Loop: Header=BB88_7 Depth=2
	v_add_f64 v[44:45], v[46:47], -v[42:43]
	v_mul_f64 v[46:47], v[44:45], s[26:27]
	v_rndne_f64_e32 v[46:47], v[46:47]
	v_fma_f64 v[56:57], s[28:29], v[46:47], v[44:45]
	v_fmac_f64_e32 v[56:57], s[30:31], v[46:47]
	v_mov_b64_e32 v[58:59], v[6:7]
	v_fmac_f64_e32 v[58:59], s[34:35], v[56:57]
	v_mov_b64_e32 v[60:61], v[8:9]
	;; [unrolled: 2-line block ×9, first 2 shown]
	v_fmac_f64_e32 v[58:59], v[56:57], v[60:61]
	v_fma_f64 v[58:59], v[56:57], v[58:59], 1.0
	v_fma_f64 v[56:57], v[56:57], v[58:59], 1.0
	v_cvt_i32_f64_e32 v41, v[46:47]
	v_ldexp_f64 v[46:47], v[56:57], v41
	v_cmp_nlt_f64_e64 s[10:11], s[36:37], v[44:45]
	v_cmp_ngt_f64_e64 s[12:13], s[38:39], v[44:45]
	s_mov_b32 s44, s28
	v_cndmask_b32_e64 v41, v52, v47, s[10:11]
	s_and_b64 s[10:11], s[12:13], s[10:11]
	v_cndmask_b32_e64 v45, 0, v41, s[12:13]
	v_cndmask_b32_e64 v44, 0, v46, s[10:11]
	v_add_f64 v[46:47], v[44:45], 1.0
	v_add_f64 v[56:57], v[46:47], -1.0
	v_add_f64 v[58:59], v[56:57], -v[46:47]
	v_add_f64 v[58:59], v[58:59], 1.0
	v_add_f64 v[56:57], v[44:45], -v[56:57]
	v_add_f64 v[56:57], v[56:57], v[58:59]
	v_frexp_mant_f64_e32 v[58:59], v[46:47]
	v_frexp_exp_i32_f64_e32 v41, v[46:47]
	v_cmp_gt_f64_e64 s[10:11], s[40:41], v[58:59]
	s_mov_b32 s46, s30
	s_nop 0
	v_subbrev_co_u32_e64 v41, s[10:11], 0, v41, s[10:11]
	v_sub_u32_e32 v55, 0, v41
	v_ldexp_f64 v[46:47], v[46:47], v55
	v_add_f64 v[58:59], v[46:47], -1.0
	v_add_f64 v[64:65], v[46:47], 1.0
	v_add_f64 v[60:61], v[58:59], 1.0
	v_add_f64 v[66:67], v[64:65], -1.0
	v_ldexp_f64 v[56:57], v[56:57], v55
	v_add_f64 v[60:61], v[46:47], -v[60:61]
	v_add_f64 v[46:47], v[46:47], -v[66:67]
	v_add_f64 v[46:47], v[56:57], v[46:47]
	v_add_f64 v[60:61], v[56:57], v[60:61]
	v_add_f64 v[56:57], v[64:65], v[46:47]
	v_rcp_f64_e32 v[66:67], v[56:57]
	v_add_f64 v[62:63], v[58:59], v[60:61]
	v_add_f64 v[58:59], v[62:63], -v[58:59]
	v_add_f64 v[58:59], v[60:61], -v[58:59]
	;; [unrolled: 1-line block ×4, first 2 shown]
	v_fma_f64 v[60:61], -v[56:57], v[66:67], 1.0
	v_fmac_f64_e32 v[66:67], v[60:61], v[66:67]
	v_fma_f64 v[60:61], -v[56:57], v[66:67], 1.0
	v_fmac_f64_e32 v[66:67], v[60:61], v[66:67]
	v_mul_f64 v[60:61], v[62:63], v[66:67]
	v_mul_f64 v[64:65], v[56:57], v[60:61]
	v_fma_f64 v[68:69], v[60:61], v[56:57], -v[64:65]
	v_fmac_f64_e32 v[68:69], v[60:61], v[46:47]
	v_add_f64 v[70:71], v[64:65], v[68:69]
	v_add_f64 v[72:73], v[62:63], -v[70:71]
	v_add_f64 v[62:63], v[62:63], -v[72:73]
	;; [unrolled: 1-line block ×4, first 2 shown]
	v_add_f64 v[58:59], v[58:59], v[62:63]
	v_add_f64 v[62:63], v[64:65], -v[68:69]
	v_add_f64 v[58:59], v[62:63], v[58:59]
	v_add_f64 v[62:63], v[72:73], v[58:59]
	v_add_f64 v[64:65], v[72:73], -v[62:63]
	v_add_f64 v[58:59], v[58:59], v[64:65]
	v_mul_f64 v[64:65], v[66:67], v[62:63]
	v_mul_f64 v[68:69], v[56:57], v[64:65]
	v_fma_f64 v[56:57], v[64:65], v[56:57], -v[68:69]
	v_fmac_f64_e32 v[56:57], v[64:65], v[46:47]
	v_add_f64 v[46:47], v[68:69], v[56:57]
	v_add_f64 v[70:71], v[62:63], -v[46:47]
	v_add_f64 v[62:63], v[62:63], -v[70:71]
	;; [unrolled: 1-line block ×4, first 2 shown]
	v_add_f64 v[46:47], v[58:59], v[46:47]
	v_add_f64 v[56:57], v[68:69], -v[56:57]
	v_add_f64 v[46:47], v[56:57], v[46:47]
	v_add_f64 v[56:57], v[60:61], v[64:65]
	;; [unrolled: 1-line block ×3, first 2 shown]
	v_add_f64 v[58:59], v[56:57], -v[60:61]
	v_mul_f64 v[46:47], v[66:67], v[46:47]
	v_add_f64 v[58:59], v[64:65], -v[58:59]
	v_add_f64 v[46:47], v[58:59], v[46:47]
	v_add_f64 v[58:59], v[56:57], v[46:47]
	v_add_f64 v[56:57], v[58:59], -v[56:57]
	v_add_f64 v[46:47], v[46:47], -v[56:57]
	v_mul_f64 v[56:57], v[58:59], v[58:59]
	v_mov_b64_e32 v[60:61], v[24:25]
	v_fmac_f64_e32 v[60:61], s[42:43], v[56:57]
	v_mov_b64_e32 v[62:63], v[26:27]
	v_fmac_f64_e32 v[62:63], v[56:57], v[60:61]
	;; [unrolled: 2-line block ×6, first 2 shown]
	v_cvt_f64_i32_e32 v[60:61], v41
	v_mul_f64 v[64:65], v[60:61], s[44:45]
	v_fma_f64 v[66:67], v[60:61], s[44:45], -v[64:65]
	v_fmac_f64_e32 v[66:67], s[46:47], v[60:61]
	v_add_f64 v[60:61], v[64:65], v[66:67]
	v_add_f64 v[64:65], v[60:61], -v[64:65]
	v_mul_f64 v[56:57], v[58:59], v[56:57]
	v_add_f64 v[64:65], v[66:67], -v[64:65]
	v_ldexp_f64 v[66:67], v[58:59], 1
	v_mul_f64 v[56:57], v[56:57], v[62:63]
	v_add_f64 v[58:59], v[66:67], v[56:57]
	v_add_f64 v[62:63], v[58:59], -v[66:67]
	v_ldexp_f64 v[46:47], v[46:47], 1
	v_add_f64 v[56:57], v[56:57], -v[62:63]
	v_add_f64 v[46:47], v[46:47], v[56:57]
	v_add_f64 v[56:57], v[58:59], v[46:47]
	v_add_f64 v[58:59], v[56:57], -v[58:59]
	v_add_f64 v[46:47], v[46:47], -v[58:59]
	v_add_f64 v[58:59], v[60:61], v[56:57]
	v_add_f64 v[62:63], v[58:59], -v[60:61]
	v_add_f64 v[66:67], v[58:59], -v[62:63]
	v_add_f64 v[60:61], v[60:61], -v[66:67]
	v_add_f64 v[56:57], v[56:57], -v[62:63]
	v_add_f64 v[56:57], v[56:57], v[60:61]
	v_add_f64 v[60:61], v[64:65], v[46:47]
	v_add_f64 v[62:63], v[60:61], -v[64:65]
	v_add_f64 v[56:57], v[60:61], v[56:57]
	v_add_f64 v[66:67], v[60:61], -v[62:63]
	;; [unrolled: 2-line block ×3, first 2 shown]
	v_add_f64 v[46:47], v[46:47], -v[62:63]
	v_add_f64 v[58:59], v[60:61], -v[58:59]
	v_add_f64 v[46:47], v[46:47], v[64:65]
	v_add_f64 v[56:57], v[56:57], -v[58:59]
	v_add_f64 v[46:47], v[46:47], v[56:57]
	v_add_f64 v[46:47], v[60:61], v[46:47]
	v_cmp_eq_f64_e64 s[10:11], s[48:49], v[44:45]
	s_nop 1
	v_cndmask_b32_e64 v41, v46, v44, s[10:11]
	v_cndmask_b32_e64 v46, v47, v45, s[10:11]
	v_cmp_ngt_f64_e64 s[10:11], -1.0, v[44:45]
	s_nop 1
	v_cndmask_b32_e64 v47, v53, v46, s[10:11]
	v_cmp_nge_f64_e64 s[10:11], -1.0, v[44:45]
	s_nop 1
	v_cndmask_b32_e64 v46, 0, v41, s[10:11]
	v_cmp_neq_f64_e64 s[10:11], -1.0, v[44:45]
	s_nop 1
	v_cndmask_b32_e64 v47, v54, v47, s[10:11]
	v_add_f64 v[44:45], v[42:43], v[46:47]
.LBB88_15:                              ;   in Loop: Header=BB88_7 Depth=2
	s_or_b64 exec, exec, s[52:53]
	ds_write_b64 v48, v[44:45]
.LBB88_16:                              ;   in Loop: Header=BB88_7 Depth=2
	s_or_b64 exec, exec, s[50:51]
	s_mov_b64 s[50:51], 0
	v_mov_b32_e32 v42, 0
	s_waitcnt lgkmcnt(0)
	s_barrier
	s_branch .LBB88_19
.LBB88_17:                              ;   in Loop: Header=BB88_19 Depth=3
	s_or_b64 exec, exec, s[54:55]
	ds_write_b64 v55, v[44:45]
.LBB88_18:                              ;   in Loop: Header=BB88_19 Depth=3
	s_or_b64 exec, exec, s[52:53]
	v_cmp_eq_u32_e64 s[10:11], s56, v41
	s_or_b64 s[50:51], s[10:11], s[50:51]
	v_mov_b32_e32 v42, v41
	s_waitcnt lgkmcnt(0)
	s_barrier
	s_andn2_b64 exec, exec, s[50:51]
	s_cbranch_execz .LBB88_24
.LBB88_19:                              ;   Parent Loop BB88_4 Depth=1
                                        ;     Parent Loop BB88_7 Depth=2
                                        ; =>    This Inner Loop Header: Depth=3
	v_add_u32_e32 v41, 1, v42
	s_and_saveexec_b64 s[10:11], s[6:7]
	s_xor_b64 s[10:11], exec, s[10:11]
; %bb.20:                               ;   in Loop: Header=BB88_19 Depth=3
	v_add_u32_e32 v41, 1, v42
                                        ; implicit-def: $vgpr42
; %bb.21:                               ;   in Loop: Header=BB88_19 Depth=3
	s_andn2_saveexec_b64 s[52:53], s[10:11]
	s_cbranch_execz .LBB88_18
; %bb.22:                               ;   in Loop: Header=BB88_19 Depth=3
	v_lshlrev_b32_e64 v43, v42, 1
	v_lshrrev_b32_e32 v44, v42, v1
	v_bfm_b32 v42, v42, 0
	v_lshl_or_b32 v43, v44, v41, v43
	v_and_b32_e32 v42, v42, v1
	v_lshlrev_b32_e32 v43, 3, v43
	v_lshlrev_b32_e32 v42, 3, v42
	v_add3_u32 v55, v48, v43, v42
	v_add_u32_e32 v42, v50, v43
	ds_read_b64 v[42:43], v42
	ds_read_b64 v[44:45], v55
	s_waitcnt lgkmcnt(1)
	v_max_f64 v[56:57], v[42:43], v[42:43]
	s_waitcnt lgkmcnt(0)
	v_max_f64 v[58:59], v[44:45], v[44:45]
	v_min_f64 v[46:47], v[58:59], v[56:57]
	v_cmp_u_f64_e64 s[10:11], v[44:45], v[44:45]
	v_max_f64 v[56:57], v[58:59], v[56:57]
	v_cmp_u_f64_e64 s[12:13], v[42:43], v[42:43]
	v_cndmask_b32_e64 v46, v46, v44, s[10:11]
	v_cndmask_b32_e64 v47, v47, v45, s[10:11]
	;; [unrolled: 1-line block ×8, first 2 shown]
	v_cmp_neq_f64_e64 s[10:11], v[46:47], v[42:43]
	v_cmp_class_f64_e64 s[12:13], v[46:47], s57
	s_or_b64 s[10:11], s[10:11], s[12:13]
	s_and_saveexec_b64 s[54:55], s[10:11]
	s_cbranch_execz .LBB88_17
; %bb.23:                               ;   in Loop: Header=BB88_19 Depth=3
	v_add_f64 v[44:45], v[46:47], -v[42:43]
	v_mul_f64 v[46:47], v[44:45], s[26:27]
	v_rndne_f64_e32 v[46:47], v[46:47]
	v_fma_f64 v[56:57], s[28:29], v[46:47], v[44:45]
	v_fmac_f64_e32 v[56:57], s[30:31], v[46:47]
	v_mov_b64_e32 v[58:59], v[6:7]
	v_fmac_f64_e32 v[58:59], s[34:35], v[56:57]
	v_mov_b64_e32 v[60:61], v[8:9]
	;; [unrolled: 2-line block ×9, first 2 shown]
	v_fmac_f64_e32 v[58:59], v[56:57], v[60:61]
	v_fma_f64 v[58:59], v[56:57], v[58:59], 1.0
	v_fma_f64 v[56:57], v[56:57], v[58:59], 1.0
	v_cvt_i32_f64_e32 v46, v[46:47]
	v_ldexp_f64 v[46:47], v[56:57], v46
	v_cmp_nlt_f64_e64 s[10:11], s[36:37], v[44:45]
	v_cmp_ngt_f64_e64 s[12:13], s[38:39], v[44:45]
	s_mov_b32 s44, s28
	v_cndmask_b32_e64 v47, v52, v47, s[10:11]
	s_and_b64 s[10:11], s[12:13], s[10:11]
	v_cndmask_b32_e64 v45, 0, v47, s[12:13]
	v_cndmask_b32_e64 v44, 0, v46, s[10:11]
	v_add_f64 v[46:47], v[44:45], 1.0
	v_add_f64 v[56:57], v[46:47], -1.0
	v_add_f64 v[58:59], v[56:57], -v[46:47]
	v_add_f64 v[58:59], v[58:59], 1.0
	v_add_f64 v[56:57], v[44:45], -v[56:57]
	v_add_f64 v[56:57], v[56:57], v[58:59]
	v_frexp_mant_f64_e32 v[58:59], v[46:47]
	v_frexp_exp_i32_f64_e32 v60, v[46:47]
	v_cmp_gt_f64_e64 s[10:11], s[40:41], v[58:59]
	s_mov_b32 s46, s30
	s_nop 0
	v_subbrev_co_u32_e64 v74, s[10:11], 0, v60, s[10:11]
	v_sub_u32_e32 v58, 0, v74
	v_ldexp_f64 v[46:47], v[46:47], v58
	v_ldexp_f64 v[56:57], v[56:57], v58
	v_add_f64 v[58:59], v[46:47], -1.0
	v_add_f64 v[64:65], v[46:47], 1.0
	v_add_f64 v[60:61], v[58:59], 1.0
	v_add_f64 v[66:67], v[64:65], -1.0
	v_add_f64 v[60:61], v[46:47], -v[60:61]
	v_add_f64 v[46:47], v[46:47], -v[66:67]
	v_add_f64 v[46:47], v[56:57], v[46:47]
	v_add_f64 v[60:61], v[56:57], v[60:61]
	;; [unrolled: 1-line block ×3, first 2 shown]
	v_rcp_f64_e32 v[66:67], v[56:57]
	v_add_f64 v[62:63], v[58:59], v[60:61]
	v_add_f64 v[58:59], v[62:63], -v[58:59]
	v_add_f64 v[58:59], v[60:61], -v[58:59]
	;; [unrolled: 1-line block ×4, first 2 shown]
	v_fma_f64 v[60:61], -v[56:57], v[66:67], 1.0
	v_fmac_f64_e32 v[66:67], v[60:61], v[66:67]
	v_fma_f64 v[60:61], -v[56:57], v[66:67], 1.0
	v_fmac_f64_e32 v[66:67], v[60:61], v[66:67]
	v_mul_f64 v[60:61], v[62:63], v[66:67]
	v_mul_f64 v[64:65], v[56:57], v[60:61]
	v_fma_f64 v[68:69], v[60:61], v[56:57], -v[64:65]
	v_fmac_f64_e32 v[68:69], v[60:61], v[46:47]
	v_add_f64 v[70:71], v[64:65], v[68:69]
	v_add_f64 v[72:73], v[62:63], -v[70:71]
	v_add_f64 v[62:63], v[62:63], -v[72:73]
	;; [unrolled: 1-line block ×4, first 2 shown]
	v_add_f64 v[58:59], v[58:59], v[62:63]
	v_add_f64 v[62:63], v[64:65], -v[68:69]
	v_add_f64 v[58:59], v[62:63], v[58:59]
	v_add_f64 v[62:63], v[72:73], v[58:59]
	v_add_f64 v[64:65], v[72:73], -v[62:63]
	v_add_f64 v[58:59], v[58:59], v[64:65]
	v_mul_f64 v[64:65], v[66:67], v[62:63]
	v_mul_f64 v[68:69], v[56:57], v[64:65]
	v_fma_f64 v[56:57], v[64:65], v[56:57], -v[68:69]
	v_fmac_f64_e32 v[56:57], v[64:65], v[46:47]
	v_add_f64 v[46:47], v[68:69], v[56:57]
	v_add_f64 v[70:71], v[62:63], -v[46:47]
	v_add_f64 v[62:63], v[62:63], -v[70:71]
	;; [unrolled: 1-line block ×4, first 2 shown]
	v_add_f64 v[46:47], v[58:59], v[46:47]
	v_add_f64 v[56:57], v[68:69], -v[56:57]
	v_add_f64 v[46:47], v[56:57], v[46:47]
	v_add_f64 v[56:57], v[60:61], v[64:65]
	;; [unrolled: 1-line block ×3, first 2 shown]
	v_add_f64 v[58:59], v[56:57], -v[60:61]
	v_mul_f64 v[46:47], v[66:67], v[46:47]
	v_add_f64 v[58:59], v[64:65], -v[58:59]
	v_add_f64 v[46:47], v[58:59], v[46:47]
	v_add_f64 v[58:59], v[56:57], v[46:47]
	v_add_f64 v[56:57], v[58:59], -v[56:57]
	v_add_f64 v[46:47], v[46:47], -v[56:57]
	v_mul_f64 v[56:57], v[58:59], v[58:59]
	v_mov_b64_e32 v[60:61], v[24:25]
	v_fmac_f64_e32 v[60:61], s[42:43], v[56:57]
	v_mov_b64_e32 v[62:63], v[26:27]
	v_fmac_f64_e32 v[62:63], v[56:57], v[60:61]
	;; [unrolled: 2-line block ×6, first 2 shown]
	v_cvt_f64_i32_e32 v[60:61], v74
	v_mul_f64 v[64:65], v[60:61], s[44:45]
	v_fma_f64 v[66:67], v[60:61], s[44:45], -v[64:65]
	v_fmac_f64_e32 v[66:67], s[46:47], v[60:61]
	v_add_f64 v[60:61], v[64:65], v[66:67]
	v_add_f64 v[64:65], v[60:61], -v[64:65]
	v_mul_f64 v[56:57], v[58:59], v[56:57]
	v_add_f64 v[64:65], v[66:67], -v[64:65]
	v_ldexp_f64 v[66:67], v[58:59], 1
	v_mul_f64 v[56:57], v[56:57], v[62:63]
	v_add_f64 v[58:59], v[66:67], v[56:57]
	v_add_f64 v[62:63], v[58:59], -v[66:67]
	v_ldexp_f64 v[46:47], v[46:47], 1
	v_add_f64 v[56:57], v[56:57], -v[62:63]
	v_add_f64 v[46:47], v[46:47], v[56:57]
	v_add_f64 v[56:57], v[58:59], v[46:47]
	v_add_f64 v[58:59], v[56:57], -v[58:59]
	v_add_f64 v[46:47], v[46:47], -v[58:59]
	v_add_f64 v[58:59], v[60:61], v[56:57]
	v_add_f64 v[62:63], v[58:59], -v[60:61]
	v_add_f64 v[66:67], v[58:59], -v[62:63]
	;; [unrolled: 1-line block ×4, first 2 shown]
	v_add_f64 v[56:57], v[56:57], v[60:61]
	v_add_f64 v[60:61], v[64:65], v[46:47]
	v_add_f64 v[62:63], v[60:61], -v[64:65]
	v_add_f64 v[56:57], v[60:61], v[56:57]
	v_add_f64 v[66:67], v[60:61], -v[62:63]
	;; [unrolled: 2-line block ×3, first 2 shown]
	v_add_f64 v[46:47], v[46:47], -v[62:63]
	v_add_f64 v[58:59], v[60:61], -v[58:59]
	v_add_f64 v[46:47], v[46:47], v[64:65]
	v_add_f64 v[56:57], v[56:57], -v[58:59]
	v_add_f64 v[46:47], v[46:47], v[56:57]
	v_add_f64 v[46:47], v[60:61], v[46:47]
	v_cmp_eq_f64_e64 s[10:11], s[48:49], v[44:45]
	s_nop 1
	v_cndmask_b32_e64 v46, v46, v44, s[10:11]
	v_cndmask_b32_e64 v47, v47, v45, s[10:11]
	v_cmp_ngt_f64_e64 s[10:11], -1.0, v[44:45]
	s_nop 1
	v_cndmask_b32_e64 v47, v53, v47, s[10:11]
	v_cmp_nge_f64_e64 s[10:11], -1.0, v[44:45]
	s_nop 1
	v_cndmask_b32_e64 v46, 0, v46, s[10:11]
	v_cmp_neq_f64_e64 s[10:11], -1.0, v[44:45]
	s_nop 1
	v_cndmask_b32_e64 v47, v54, v47, s[10:11]
	v_add_f64 v[44:45], v[42:43], v[46:47]
	s_branch .LBB88_17
.LBB88_24:                              ;   in Loop: Header=BB88_7 Depth=2
	s_or_b64 exec, exec, s[50:51]
	s_and_saveexec_b64 s[12:13], vcc
	s_cbranch_execz .LBB88_6
; %bb.25:                               ;   in Loop: Header=BB88_7 Depth=2
	v_cmp_gt_u32_e64 s[10:11], s21, v4
	s_and_saveexec_b64 s[50:51], s[10:11]
	s_cbranch_execz .LBB88_27
; %bb.26:                               ;   in Loop: Header=BB88_7 Depth=2
	ds_read_b64 v[42:43], v3
	v_lshl_add_u64 v[44:45], v[4:5], 3, v[38:39]
	s_waitcnt lgkmcnt(0)
	global_store_dwordx2 v[44:45], v[42:43], off
.LBB88_27:                              ;   in Loop: Header=BB88_7 Depth=2
	s_or_b64 exec, exec, s[50:51]
	v_cmp_gt_u32_e64 s[10:11], s21, v40
	s_and_b64 exec, exec, s[10:11]
	s_cbranch_execz .LBB88_6
; %bb.28:                               ;   in Loop: Header=BB88_7 Depth=2
	ds_read_b64 v[42:43], v49
	v_mov_b32_e32 v41, v5
	v_lshl_add_u64 v[40:41], v[40:41], 3, v[38:39]
	s_waitcnt lgkmcnt(0)
	global_store_dwordx2 v[40:41], v[42:43], off
	s_branch .LBB88_6
.LBB88_29:
	s_mov_b64 s[4:5], 0
.LBB88_30:
	s_andn2_b64 vcc, exec, s[4:5]
	s_cbranch_vccnz .LBB88_61
; %bb.31:
	s_load_dword s3, s[0:1], 0x3c
	s_add_u32 s4, s0, 48
	s_mov_b32 s25, 0
	s_addc_u32 s5, s1, 0
	v_mov_b64_e32 v[4:5], s[24:25]
	s_waitcnt lgkmcnt(0)
	s_lshr_b32 s0, s3, 16
	s_mul_hi_u32 s11, s0, s2
	s_mul_i32 s10, s0, s2
	v_cmp_ge_u64_e32 vcc, s[10:11], v[4:5]
	s_cbranch_vccnz .LBB88_61
; %bb.32:
	s_lshl_b32 s12, 1, s22
	s_load_dword s4, s[4:5], 0x0
	s_and_b32 s6, 0xffff, s0
	s_ashr_i32 s13, s12, 31
	s_cmp_lg_u32 s21, 0
	s_mov_b32 s26, s21
	v_and_b32_e32 v0, 0x3ff, v0
	s_cselect_b64 s[2:3], -1, 0
	s_lshl_b64 s[20:21], s[12:13], 1
	v_mov_b32_e32 v3, 0
	v_lshl_add_u32 v49, v0, 3, v48
	s_lshl_b32 s5, s20, 3
	s_add_i32 s58, s22, 1
	v_cndmask_b32_e64 v4, 0, 1, s[2:3]
	s_mov_b32 s22, 0x652b82fe
	s_mov_b32 s28, 0xfefa39ef
	;; [unrolled: 1-line block ×10, first 2 shown]
	v_mov_b32_e32 v1, v3
	v_lshl_add_u32 v50, s12, 3, v49
	v_cmp_eq_u32_e64 s[0:1], 0, v0
	v_add3_u32 v51, v48, s5, -8
	s_waitcnt lgkmcnt(0)
	s_mul_i32 s33, s4, s6
	v_cmp_ne_u32_e64 s[2:3], 1, v4
	s_movk_i32 s59, 0x1f8
	s_mov_b32 s23, 0x3ff71547
	s_mov_b32 s29, 0xbfe62e42
	;; [unrolled: 1-line block ×11, first 2 shown]
	v_mov_b32_e32 v4, 0xfca7ab0c
	v_mov_b32_e32 v5, 0x3e928af3
	;; [unrolled: 1-line block ×33, first 2 shown]
	s_branch .LBB88_34
.LBB88_33:                              ;   in Loop: Header=BB88_34 Depth=1
	s_add_u32 s10, s10, s33
	s_addc_u32 s11, s11, 0
	v_mov_b64_e32 v[34:35], s[24:25]
	v_cmp_ge_u64_e32 vcc, s[10:11], v[34:35]
	s_cbranch_vccnz .LBB88_61
.LBB88_34:                              ; =>This Loop Header: Depth=1
                                        ;     Child Loop BB88_37 Depth 2
                                        ;       Child Loop BB88_49 Depth 3
	s_and_b64 vcc, exec, s[2:3]
	s_cbranch_vccnz .LBB88_33
; %bb.35:                               ;   in Loop: Header=BB88_34 Depth=1
	v_lshl_add_u64 v[38:39], s[10:11], 0, v[2:3]
	v_mad_u64_u32 v[34:35], s[4:5], v38, s26, 0
	v_mov_b32_e32 v36, v35
	v_mad_u64_u32 v[36:37], s[4:5], v39, s26, v[36:37]
	v_mov_b32_e32 v35, v36
	v_lshlrev_b64 v[36:37], 3, v[34:35]
	v_lshl_add_u64 v[34:35], s[18:19], 0, v[36:37]
	v_lshl_add_u64 v[36:37], s[16:17], 0, v[36:37]
	v_cmp_gt_u64_e64 s[4:5], s[24:25], v[38:39]
	v_cmp_le_u64_e64 s[6:7], s[24:25], v[38:39]
	s_mov_b64 s[50:51], 0
	v_mov_b64_e32 v[42:43], s[14:15]
	s_branch .LBB88_37
.LBB88_36:                              ;   in Loop: Header=BB88_37 Depth=2
	s_or_b64 exec, exec, s[8:9]
	ds_read_b64 v[42:43], v51
	s_add_u32 s50, s50, s20
	s_addc_u32 s51, s51, s21
	v_mov_b64_e32 v[38:39], s[26:27]
	v_cmp_ge_u64_e32 vcc, s[50:51], v[38:39]
	s_waitcnt lgkmcnt(0)
	s_barrier
	s_cbranch_vccnz .LBB88_33
.LBB88_37:                              ;   Parent Loop BB88_34 Depth=1
                                        ; =>  This Loop Header: Depth=2
                                        ;       Child Loop BB88_49 Depth 3
	v_lshl_add_u64 v[40:41], s[50:51], 0, v[0:1]
	v_lshl_add_u64 v[38:39], v[40:41], 0, s[12:13]
	s_and_saveexec_b64 s[52:53], s[4:5]
	s_cbranch_execz .LBB88_46
; %bb.38:                               ;   in Loop: Header=BB88_37 Depth=2
	v_cmp_gt_u64_e32 vcc, s[26:27], v[40:41]
	v_mov_b64_e32 v[44:45], s[14:15]
	s_and_saveexec_b64 s[8:9], vcc
	s_cbranch_execz .LBB88_40
; %bb.39:                               ;   in Loop: Header=BB88_37 Depth=2
	v_lshl_add_u64 v[44:45], v[40:41], 3, v[34:35]
	global_load_dwordx2 v[44:45], v[44:45], off
.LBB88_40:                              ;   in Loop: Header=BB88_37 Depth=2
	s_or_b64 exec, exec, s[8:9]
	s_waitcnt vmcnt(0)
	ds_write_b64 v49, v[44:45]
	v_cmp_gt_u64_e32 vcc, s[26:27], v[38:39]
	v_mov_b64_e32 v[44:45], s[14:15]
	s_and_saveexec_b64 s[8:9], vcc
	s_cbranch_execz .LBB88_42
; %bb.41:                               ;   in Loop: Header=BB88_37 Depth=2
	v_lshl_add_u64 v[44:45], v[38:39], 3, v[34:35]
	global_load_dwordx2 v[44:45], v[44:45], off
.LBB88_42:                              ;   in Loop: Header=BB88_37 Depth=2
	s_or_b64 exec, exec, s[8:9]
	s_waitcnt vmcnt(0)
	ds_write_b64 v50, v[44:45]
	s_and_b64 exec, exec, s[0:1]
	s_cbranch_execz .LBB88_46
; %bb.43:                               ;   in Loop: Header=BB88_37 Depth=2
	ds_read_b64 v[44:45], v48
	v_max_f64 v[56:57], v[42:43], v[42:43]
	v_cmp_u_f64_e64 s[8:9], v[42:43], v[42:43]
	s_waitcnt lgkmcnt(0)
	v_max_f64 v[58:59], v[44:45], v[44:45]
	v_min_f64 v[46:47], v[58:59], v[56:57]
	v_cmp_u_f64_e32 vcc, v[44:45], v[44:45]
	v_max_f64 v[56:57], v[58:59], v[56:57]
	s_nop 0
	v_cndmask_b32_e32 v46, v46, v44, vcc
	v_cndmask_b32_e32 v47, v47, v45, vcc
	;; [unrolled: 1-line block ×4, first 2 shown]
	v_cndmask_b32_e64 v47, v47, v43, s[8:9]
	v_cndmask_b32_e64 v46, v46, v42, s[8:9]
	;; [unrolled: 1-line block ×4, first 2 shown]
	v_cmp_neq_f64_e32 vcc, v[46:47], v[42:43]
	v_cmp_class_f64_e64 s[8:9], v[46:47], s59
	s_or_b64 s[8:9], vcc, s[8:9]
	s_and_saveexec_b64 s[54:55], s[8:9]
	s_cbranch_execz .LBB88_45
; %bb.44:                               ;   in Loop: Header=BB88_37 Depth=2
	v_add_f64 v[44:45], v[46:47], -v[42:43]
	v_mul_f64 v[46:47], v[44:45], s[22:23]
	v_rndne_f64_e32 v[46:47], v[46:47]
	v_fma_f64 v[56:57], s[28:29], v[46:47], v[44:45]
	v_fmac_f64_e32 v[56:57], s[30:31], v[46:47]
	v_mov_b64_e32 v[58:59], v[4:5]
	v_fmac_f64_e32 v[58:59], s[34:35], v[56:57]
	v_mov_b64_e32 v[60:61], v[6:7]
	;; [unrolled: 2-line block ×9, first 2 shown]
	v_fmac_f64_e32 v[58:59], v[56:57], v[60:61]
	v_fma_f64 v[58:59], v[56:57], v[58:59], 1.0
	v_fma_f64 v[56:57], v[56:57], v[58:59], 1.0
	v_cvt_i32_f64_e32 v46, v[46:47]
	v_ldexp_f64 v[46:47], v[56:57], v46
	v_cmp_nlt_f64_e32 vcc, s[36:37], v[44:45]
	v_cmp_ngt_f64_e64 s[8:9], s[38:39], v[44:45]
	s_mov_b32 s44, s28
	v_cndmask_b32_e32 v47, v52, v47, vcc
	s_and_b64 vcc, s[8:9], vcc
	v_cndmask_b32_e64 v45, 0, v47, s[8:9]
	v_cndmask_b32_e32 v44, 0, v46, vcc
	v_add_f64 v[46:47], v[44:45], 1.0
	v_add_f64 v[56:57], v[46:47], -1.0
	v_add_f64 v[58:59], v[56:57], -v[46:47]
	v_add_f64 v[58:59], v[58:59], 1.0
	v_add_f64 v[56:57], v[44:45], -v[56:57]
	v_add_f64 v[56:57], v[56:57], v[58:59]
	v_frexp_mant_f64_e32 v[58:59], v[46:47]
	v_frexp_exp_i32_f64_e32 v55, v[46:47]
	v_cmp_gt_f64_e32 vcc, s[40:41], v[58:59]
	s_mov_b32 s46, s30
	s_nop 0
	v_subbrev_co_u32_e32 v55, vcc, 0, v55, vcc
	v_sub_u32_e32 v58, 0, v55
	v_ldexp_f64 v[46:47], v[46:47], v58
	v_ldexp_f64 v[56:57], v[56:57], v58
	v_add_f64 v[58:59], v[46:47], -1.0
	v_add_f64 v[64:65], v[46:47], 1.0
	v_add_f64 v[60:61], v[58:59], 1.0
	v_add_f64 v[66:67], v[64:65], -1.0
	v_add_f64 v[60:61], v[46:47], -v[60:61]
	v_add_f64 v[46:47], v[46:47], -v[66:67]
	v_add_f64 v[46:47], v[56:57], v[46:47]
	v_add_f64 v[60:61], v[56:57], v[60:61]
	;; [unrolled: 1-line block ×3, first 2 shown]
	v_rcp_f64_e32 v[66:67], v[56:57]
	v_add_f64 v[62:63], v[58:59], v[60:61]
	v_add_f64 v[58:59], v[62:63], -v[58:59]
	v_add_f64 v[58:59], v[60:61], -v[58:59]
	;; [unrolled: 1-line block ×4, first 2 shown]
	v_fma_f64 v[60:61], -v[56:57], v[66:67], 1.0
	v_fmac_f64_e32 v[66:67], v[60:61], v[66:67]
	v_fma_f64 v[60:61], -v[56:57], v[66:67], 1.0
	v_fmac_f64_e32 v[66:67], v[60:61], v[66:67]
	v_mul_f64 v[60:61], v[62:63], v[66:67]
	v_mul_f64 v[64:65], v[56:57], v[60:61]
	v_fma_f64 v[68:69], v[60:61], v[56:57], -v[64:65]
	v_fmac_f64_e32 v[68:69], v[60:61], v[46:47]
	v_add_f64 v[70:71], v[64:65], v[68:69]
	v_add_f64 v[72:73], v[62:63], -v[70:71]
	v_add_f64 v[62:63], v[62:63], -v[72:73]
	v_add_f64 v[64:65], v[70:71], -v[64:65]
	v_add_f64 v[62:63], v[62:63], -v[70:71]
	v_add_f64 v[58:59], v[58:59], v[62:63]
	v_add_f64 v[62:63], v[64:65], -v[68:69]
	v_add_f64 v[58:59], v[62:63], v[58:59]
	v_add_f64 v[62:63], v[72:73], v[58:59]
	v_add_f64 v[64:65], v[72:73], -v[62:63]
	v_add_f64 v[58:59], v[58:59], v[64:65]
	v_mul_f64 v[64:65], v[66:67], v[62:63]
	v_mul_f64 v[68:69], v[56:57], v[64:65]
	v_fma_f64 v[56:57], v[64:65], v[56:57], -v[68:69]
	v_fmac_f64_e32 v[56:57], v[64:65], v[46:47]
	v_add_f64 v[46:47], v[68:69], v[56:57]
	v_add_f64 v[70:71], v[62:63], -v[46:47]
	v_add_f64 v[62:63], v[62:63], -v[70:71]
	;; [unrolled: 1-line block ×4, first 2 shown]
	v_add_f64 v[46:47], v[58:59], v[46:47]
	v_add_f64 v[56:57], v[68:69], -v[56:57]
	v_add_f64 v[46:47], v[56:57], v[46:47]
	v_add_f64 v[56:57], v[60:61], v[64:65]
	;; [unrolled: 1-line block ×3, first 2 shown]
	v_add_f64 v[58:59], v[56:57], -v[60:61]
	v_mul_f64 v[46:47], v[66:67], v[46:47]
	v_add_f64 v[58:59], v[64:65], -v[58:59]
	v_add_f64 v[46:47], v[58:59], v[46:47]
	v_add_f64 v[58:59], v[56:57], v[46:47]
	v_add_f64 v[56:57], v[58:59], -v[56:57]
	v_add_f64 v[46:47], v[46:47], -v[56:57]
	v_mul_f64 v[56:57], v[58:59], v[58:59]
	v_mov_b64_e32 v[60:61], v[22:23]
	v_fmac_f64_e32 v[60:61], s[42:43], v[56:57]
	v_mov_b64_e32 v[62:63], v[24:25]
	v_fmac_f64_e32 v[62:63], v[56:57], v[60:61]
	v_mov_b64_e32 v[60:61], v[26:27]
	v_fmac_f64_e32 v[60:61], v[56:57], v[62:63]
	v_mov_b64_e32 v[62:63], v[28:29]
	v_fmac_f64_e32 v[62:63], v[56:57], v[60:61]
	v_mov_b64_e32 v[60:61], v[30:31]
	v_fmac_f64_e32 v[60:61], v[56:57], v[62:63]
	v_mov_b64_e32 v[62:63], v[32:33]
	v_fmac_f64_e32 v[62:63], v[56:57], v[60:61]
	v_cvt_f64_i32_e32 v[60:61], v55
	v_mul_f64 v[64:65], v[60:61], s[44:45]
	v_fma_f64 v[66:67], v[60:61], s[44:45], -v[64:65]
	v_fmac_f64_e32 v[66:67], s[46:47], v[60:61]
	v_add_f64 v[60:61], v[64:65], v[66:67]
	v_add_f64 v[64:65], v[60:61], -v[64:65]
	v_mul_f64 v[56:57], v[58:59], v[56:57]
	v_add_f64 v[64:65], v[66:67], -v[64:65]
	v_ldexp_f64 v[66:67], v[58:59], 1
	v_mul_f64 v[56:57], v[56:57], v[62:63]
	v_add_f64 v[58:59], v[66:67], v[56:57]
	v_add_f64 v[62:63], v[58:59], -v[66:67]
	v_ldexp_f64 v[46:47], v[46:47], 1
	v_add_f64 v[56:57], v[56:57], -v[62:63]
	v_add_f64 v[46:47], v[46:47], v[56:57]
	v_add_f64 v[56:57], v[58:59], v[46:47]
	v_add_f64 v[58:59], v[56:57], -v[58:59]
	v_add_f64 v[46:47], v[46:47], -v[58:59]
	v_add_f64 v[58:59], v[60:61], v[56:57]
	v_add_f64 v[62:63], v[58:59], -v[60:61]
	v_add_f64 v[66:67], v[58:59], -v[62:63]
	;; [unrolled: 1-line block ×4, first 2 shown]
	v_add_f64 v[56:57], v[56:57], v[60:61]
	v_add_f64 v[60:61], v[64:65], v[46:47]
	v_add_f64 v[62:63], v[60:61], -v[64:65]
	v_add_f64 v[56:57], v[60:61], v[56:57]
	v_add_f64 v[66:67], v[60:61], -v[62:63]
	;; [unrolled: 2-line block ×3, first 2 shown]
	v_add_f64 v[46:47], v[46:47], -v[62:63]
	v_add_f64 v[58:59], v[60:61], -v[58:59]
	v_add_f64 v[46:47], v[46:47], v[64:65]
	v_add_f64 v[56:57], v[56:57], -v[58:59]
	v_add_f64 v[46:47], v[46:47], v[56:57]
	v_add_f64 v[46:47], v[60:61], v[46:47]
	v_cmp_eq_f64_e32 vcc, s[48:49], v[44:45]
	s_nop 1
	v_cndmask_b32_e32 v46, v46, v44, vcc
	v_cndmask_b32_e32 v47, v47, v45, vcc
	v_cmp_ngt_f64_e32 vcc, -1.0, v[44:45]
	s_nop 1
	v_cndmask_b32_e32 v47, v53, v47, vcc
	v_cmp_nge_f64_e32 vcc, -1.0, v[44:45]
	s_nop 1
	v_cndmask_b32_e32 v46, 0, v46, vcc
	v_cmp_neq_f64_e32 vcc, -1.0, v[44:45]
	s_nop 1
	v_cndmask_b32_e32 v47, v54, v47, vcc
	v_add_f64 v[44:45], v[42:43], v[46:47]
.LBB88_45:                              ;   in Loop: Header=BB88_37 Depth=2
	s_or_b64 exec, exec, s[54:55]
	ds_write_b64 v48, v[44:45]
.LBB88_46:                              ;   in Loop: Header=BB88_37 Depth=2
	s_or_b64 exec, exec, s[52:53]
	s_mov_b64 s[52:53], 0
	v_mov_b32_e32 v46, 0
	s_waitcnt lgkmcnt(0)
	s_barrier
	s_branch .LBB88_49
.LBB88_47:                              ;   in Loop: Header=BB88_49 Depth=3
	s_or_b64 exec, exec, s[56:57]
	ds_write_b64 v56, v[44:45]
.LBB88_48:                              ;   in Loop: Header=BB88_49 Depth=3
	s_or_b64 exec, exec, s[54:55]
	v_cmp_eq_u32_e32 vcc, s58, v55
	s_or_b64 s[52:53], vcc, s[52:53]
	v_mov_b32_e32 v46, v55
	s_waitcnt lgkmcnt(0)
	s_barrier
	s_andn2_b64 exec, exec, s[52:53]
	s_cbranch_execz .LBB88_56
.LBB88_49:                              ;   Parent Loop BB88_34 Depth=1
                                        ;     Parent Loop BB88_37 Depth=2
                                        ; =>    This Inner Loop Header: Depth=3
	v_add_u32_e32 v55, 1, v46
	s_and_saveexec_b64 s[8:9], s[6:7]
	s_xor_b64 s[8:9], exec, s[8:9]
; %bb.50:                               ;   in Loop: Header=BB88_49 Depth=3
	v_add_u32_e32 v55, 1, v46
                                        ; implicit-def: $vgpr46
; %bb.51:                               ;   in Loop: Header=BB88_49 Depth=3
	s_andn2_saveexec_b64 s[54:55], s[8:9]
	s_cbranch_execz .LBB88_48
; %bb.52:                               ;   in Loop: Header=BB88_49 Depth=3
	v_lshlrev_b32_e64 v42, v46, 1
	v_ashrrev_i32_e32 v43, 31, v42
	v_cmp_ge_u64_e32 vcc, v[0:1], v[42:43]
	v_mov_b64_e32 v[44:45], v[0:1]
	s_and_saveexec_b64 s[8:9], vcc
	s_cbranch_execz .LBB88_54
; %bb.53:                               ;   in Loop: Header=BB88_49 Depth=3
	v_cvt_f32_u32_e32 v43, v42
	v_sub_u32_e32 v44, 0, v42
	v_rcp_iflag_f32_e32 v43, v43
	s_nop 0
	v_mul_f32_e32 v43, 0x4f7ffffe, v43
	v_cvt_u32_f32_e32 v43, v43
	v_mul_lo_u32 v44, v44, v43
	v_mul_hi_u32 v44, v43, v44
	v_add_u32_e32 v43, v43, v44
	v_mul_hi_u32 v43, v0, v43
	v_mul_lo_u32 v43, v43, v42
	v_sub_u32_e32 v43, v0, v43
	v_sub_u32_e32 v44, v43, v42
	v_cmp_ge_u32_e32 vcc, v43, v42
	s_nop 1
	v_cndmask_b32_e32 v43, v43, v44, vcc
	v_sub_u32_e32 v44, v43, v42
	v_cmp_ge_u32_e32 vcc, v43, v42
	s_nop 1
	v_cndmask_b32_e32 v44, v43, v44, vcc
.LBB88_54:                              ;   in Loop: Header=BB88_49 Depth=3
	s_or_b64 exec, exec, s[8:9]
	v_lshrrev_b32_e32 v43, v46, v0
	v_lshl_or_b32 v42, v43, v55, v42
	v_lshl_add_u32 v42, v42, 3, v48
	v_lshl_add_u32 v56, v44, 3, v42
	v_add_u32_e32 v42, -8, v42
	ds_read_b64 v[42:43], v42
	ds_read_b64 v[44:45], v56
	s_waitcnt lgkmcnt(1)
	v_max_f64 v[58:59], v[42:43], v[42:43]
	s_waitcnt lgkmcnt(0)
	v_max_f64 v[60:61], v[44:45], v[44:45]
	v_min_f64 v[46:47], v[60:61], v[58:59]
	v_cmp_u_f64_e32 vcc, v[44:45], v[44:45]
	v_max_f64 v[58:59], v[60:61], v[58:59]
	v_cmp_u_f64_e64 s[8:9], v[42:43], v[42:43]
	v_cndmask_b32_e32 v46, v46, v44, vcc
	v_cndmask_b32_e32 v47, v47, v45, vcc
	v_cndmask_b32_e32 v57, v58, v44, vcc
	v_cndmask_b32_e32 v58, v59, v45, vcc
	v_cndmask_b32_e64 v47, v47, v43, s[8:9]
	v_cndmask_b32_e64 v46, v46, v42, s[8:9]
	;; [unrolled: 1-line block ×4, first 2 shown]
	v_cmp_neq_f64_e32 vcc, v[46:47], v[42:43]
	v_cmp_class_f64_e64 s[8:9], v[46:47], s59
	s_or_b64 s[8:9], vcc, s[8:9]
	s_and_saveexec_b64 s[56:57], s[8:9]
	s_cbranch_execz .LBB88_47
; %bb.55:                               ;   in Loop: Header=BB88_49 Depth=3
	v_add_f64 v[44:45], v[46:47], -v[42:43]
	v_mul_f64 v[46:47], v[44:45], s[22:23]
	v_rndne_f64_e32 v[46:47], v[46:47]
	v_fma_f64 v[58:59], s[28:29], v[46:47], v[44:45]
	v_fmac_f64_e32 v[58:59], s[30:31], v[46:47]
	v_mov_b64_e32 v[60:61], v[4:5]
	v_fmac_f64_e32 v[60:61], s[34:35], v[58:59]
	v_mov_b64_e32 v[62:63], v[6:7]
	;; [unrolled: 2-line block ×9, first 2 shown]
	v_fmac_f64_e32 v[60:61], v[58:59], v[62:63]
	v_fma_f64 v[60:61], v[58:59], v[60:61], 1.0
	v_fma_f64 v[58:59], v[58:59], v[60:61], 1.0
	v_cvt_i32_f64_e32 v46, v[46:47]
	v_ldexp_f64 v[46:47], v[58:59], v46
	v_cmp_nlt_f64_e32 vcc, s[36:37], v[44:45]
	v_cmp_ngt_f64_e64 s[8:9], s[38:39], v[44:45]
	s_mov_b32 s44, s28
	v_cndmask_b32_e32 v47, v52, v47, vcc
	s_and_b64 vcc, s[8:9], vcc
	v_cndmask_b32_e64 v45, 0, v47, s[8:9]
	v_cndmask_b32_e32 v44, 0, v46, vcc
	v_add_f64 v[46:47], v[44:45], 1.0
	v_add_f64 v[58:59], v[46:47], -1.0
	v_add_f64 v[60:61], v[58:59], -v[46:47]
	v_add_f64 v[60:61], v[60:61], 1.0
	v_add_f64 v[58:59], v[44:45], -v[58:59]
	v_add_f64 v[58:59], v[58:59], v[60:61]
	v_frexp_mant_f64_e32 v[60:61], v[46:47]
	v_frexp_exp_i32_f64_e32 v57, v[46:47]
	v_cmp_gt_f64_e32 vcc, s[40:41], v[60:61]
	s_mov_b32 s46, s30
	s_nop 0
	v_subbrev_co_u32_e32 v57, vcc, 0, v57, vcc
	v_sub_u32_e32 v60, 0, v57
	v_ldexp_f64 v[46:47], v[46:47], v60
	v_ldexp_f64 v[58:59], v[58:59], v60
	v_add_f64 v[60:61], v[46:47], -1.0
	v_add_f64 v[66:67], v[46:47], 1.0
	v_add_f64 v[62:63], v[60:61], 1.0
	v_add_f64 v[68:69], v[66:67], -1.0
	v_add_f64 v[62:63], v[46:47], -v[62:63]
	v_add_f64 v[46:47], v[46:47], -v[68:69]
	v_add_f64 v[46:47], v[58:59], v[46:47]
	v_add_f64 v[62:63], v[58:59], v[62:63]
	;; [unrolled: 1-line block ×3, first 2 shown]
	v_rcp_f64_e32 v[68:69], v[58:59]
	v_add_f64 v[64:65], v[60:61], v[62:63]
	v_add_f64 v[60:61], v[64:65], -v[60:61]
	v_add_f64 v[60:61], v[62:63], -v[60:61]
	;; [unrolled: 1-line block ×4, first 2 shown]
	v_fma_f64 v[62:63], -v[58:59], v[68:69], 1.0
	v_fmac_f64_e32 v[68:69], v[62:63], v[68:69]
	v_fma_f64 v[62:63], -v[58:59], v[68:69], 1.0
	v_fmac_f64_e32 v[68:69], v[62:63], v[68:69]
	v_mul_f64 v[62:63], v[64:65], v[68:69]
	v_mul_f64 v[66:67], v[58:59], v[62:63]
	v_fma_f64 v[70:71], v[62:63], v[58:59], -v[66:67]
	v_fmac_f64_e32 v[70:71], v[62:63], v[46:47]
	v_add_f64 v[72:73], v[66:67], v[70:71]
	v_add_f64 v[74:75], v[64:65], -v[72:73]
	v_add_f64 v[64:65], v[64:65], -v[74:75]
	;; [unrolled: 1-line block ×4, first 2 shown]
	v_add_f64 v[60:61], v[60:61], v[64:65]
	v_add_f64 v[64:65], v[66:67], -v[70:71]
	v_add_f64 v[60:61], v[64:65], v[60:61]
	v_add_f64 v[64:65], v[74:75], v[60:61]
	v_add_f64 v[66:67], v[74:75], -v[64:65]
	v_add_f64 v[60:61], v[60:61], v[66:67]
	v_mul_f64 v[66:67], v[68:69], v[64:65]
	v_mul_f64 v[70:71], v[58:59], v[66:67]
	v_fma_f64 v[58:59], v[66:67], v[58:59], -v[70:71]
	v_fmac_f64_e32 v[58:59], v[66:67], v[46:47]
	v_add_f64 v[46:47], v[70:71], v[58:59]
	v_add_f64 v[72:73], v[64:65], -v[46:47]
	v_add_f64 v[64:65], v[64:65], -v[72:73]
	;; [unrolled: 1-line block ×4, first 2 shown]
	v_add_f64 v[46:47], v[60:61], v[46:47]
	v_add_f64 v[58:59], v[70:71], -v[58:59]
	v_add_f64 v[46:47], v[58:59], v[46:47]
	v_add_f64 v[58:59], v[62:63], v[66:67]
	;; [unrolled: 1-line block ×3, first 2 shown]
	v_add_f64 v[60:61], v[58:59], -v[62:63]
	v_mul_f64 v[46:47], v[68:69], v[46:47]
	v_add_f64 v[60:61], v[66:67], -v[60:61]
	v_add_f64 v[46:47], v[60:61], v[46:47]
	v_add_f64 v[60:61], v[58:59], v[46:47]
	v_add_f64 v[58:59], v[60:61], -v[58:59]
	v_add_f64 v[46:47], v[46:47], -v[58:59]
	v_mul_f64 v[58:59], v[60:61], v[60:61]
	v_mov_b64_e32 v[62:63], v[22:23]
	v_fmac_f64_e32 v[62:63], s[42:43], v[58:59]
	v_mov_b64_e32 v[64:65], v[24:25]
	v_fmac_f64_e32 v[64:65], v[58:59], v[62:63]
	;; [unrolled: 2-line block ×6, first 2 shown]
	v_cvt_f64_i32_e32 v[62:63], v57
	v_mul_f64 v[66:67], v[62:63], s[44:45]
	v_fma_f64 v[68:69], v[62:63], s[44:45], -v[66:67]
	v_fmac_f64_e32 v[68:69], s[46:47], v[62:63]
	v_add_f64 v[62:63], v[66:67], v[68:69]
	v_add_f64 v[66:67], v[62:63], -v[66:67]
	v_mul_f64 v[58:59], v[60:61], v[58:59]
	v_add_f64 v[66:67], v[68:69], -v[66:67]
	v_ldexp_f64 v[68:69], v[60:61], 1
	v_mul_f64 v[58:59], v[58:59], v[64:65]
	v_add_f64 v[60:61], v[68:69], v[58:59]
	v_add_f64 v[64:65], v[60:61], -v[68:69]
	v_ldexp_f64 v[46:47], v[46:47], 1
	v_add_f64 v[58:59], v[58:59], -v[64:65]
	v_add_f64 v[46:47], v[46:47], v[58:59]
	v_add_f64 v[58:59], v[60:61], v[46:47]
	v_add_f64 v[60:61], v[58:59], -v[60:61]
	v_add_f64 v[46:47], v[46:47], -v[60:61]
	v_add_f64 v[60:61], v[62:63], v[58:59]
	v_add_f64 v[64:65], v[60:61], -v[62:63]
	v_add_f64 v[68:69], v[60:61], -v[64:65]
	;; [unrolled: 1-line block ×4, first 2 shown]
	v_add_f64 v[58:59], v[58:59], v[62:63]
	v_add_f64 v[62:63], v[66:67], v[46:47]
	v_add_f64 v[64:65], v[62:63], -v[66:67]
	v_add_f64 v[58:59], v[62:63], v[58:59]
	v_add_f64 v[68:69], v[62:63], -v[64:65]
	;; [unrolled: 2-line block ×3, first 2 shown]
	v_add_f64 v[46:47], v[46:47], -v[64:65]
	v_add_f64 v[60:61], v[62:63], -v[60:61]
	v_add_f64 v[46:47], v[46:47], v[66:67]
	v_add_f64 v[58:59], v[58:59], -v[60:61]
	v_add_f64 v[46:47], v[46:47], v[58:59]
	v_add_f64 v[46:47], v[62:63], v[46:47]
	v_cmp_eq_f64_e32 vcc, s[48:49], v[44:45]
	s_nop 1
	v_cndmask_b32_e32 v46, v46, v44, vcc
	v_cndmask_b32_e32 v47, v47, v45, vcc
	v_cmp_ngt_f64_e32 vcc, -1.0, v[44:45]
	s_nop 1
	v_cndmask_b32_e32 v47, v53, v47, vcc
	v_cmp_nge_f64_e32 vcc, -1.0, v[44:45]
	s_nop 1
	v_cndmask_b32_e32 v46, 0, v46, vcc
	v_cmp_neq_f64_e32 vcc, -1.0, v[44:45]
	s_nop 1
	v_cndmask_b32_e32 v47, v54, v47, vcc
	v_add_f64 v[44:45], v[42:43], v[46:47]
	s_branch .LBB88_47
.LBB88_56:                              ;   in Loop: Header=BB88_37 Depth=2
	s_or_b64 exec, exec, s[52:53]
	s_and_saveexec_b64 s[8:9], s[4:5]
	s_cbranch_execz .LBB88_36
; %bb.57:                               ;   in Loop: Header=BB88_37 Depth=2
	v_cmp_gt_u64_e32 vcc, s[26:27], v[40:41]
	s_and_saveexec_b64 s[52:53], vcc
	s_cbranch_execz .LBB88_59
; %bb.58:                               ;   in Loop: Header=BB88_37 Depth=2
	ds_read_b64 v[42:43], v49
	v_lshl_add_u64 v[40:41], v[40:41], 3, v[36:37]
	s_waitcnt lgkmcnt(0)
	global_store_dwordx2 v[40:41], v[42:43], off
.LBB88_59:                              ;   in Loop: Header=BB88_37 Depth=2
	s_or_b64 exec, exec, s[52:53]
	v_cmp_gt_u64_e32 vcc, s[26:27], v[38:39]
	s_and_b64 exec, exec, vcc
	s_cbranch_execz .LBB88_36
; %bb.60:                               ;   in Loop: Header=BB88_37 Depth=2
	ds_read_b64 v[40:41], v50
	v_lshl_add_u64 v[38:39], v[38:39], 3, v[36:37]
	s_waitcnt lgkmcnt(0)
	global_store_dwordx2 v[38:39], v[40:41], off
	s_branch .LBB88_36
.LBB88_61:
	s_endpgm
	.section	.rodata,"a",@progbits
	.p2align	6, 0x0
	.amdhsa_kernel _ZN2at6native32tensor_kernel_scan_innermost_dimIdZZZNS0_31launch_logcumsumexp_cuda_kernelERKNS_10TensorBaseES4_lENKUlvE_clEvENKUlvE_clEvEUlddE_EEvPT_PKS8_jjjS8_T0_
		.amdhsa_group_segment_fixed_size 0
		.amdhsa_private_segment_fixed_size 0
		.amdhsa_kernarg_size 304
		.amdhsa_user_sgpr_count 2
		.amdhsa_user_sgpr_dispatch_ptr 0
		.amdhsa_user_sgpr_queue_ptr 0
		.amdhsa_user_sgpr_kernarg_segment_ptr 1
		.amdhsa_user_sgpr_dispatch_id 0
		.amdhsa_user_sgpr_kernarg_preload_length 0
		.amdhsa_user_sgpr_kernarg_preload_offset 0
		.amdhsa_user_sgpr_private_segment_size 0
		.amdhsa_uses_dynamic_stack 0
		.amdhsa_enable_private_segment 0
		.amdhsa_system_sgpr_workgroup_id_x 1
		.amdhsa_system_sgpr_workgroup_id_y 0
		.amdhsa_system_sgpr_workgroup_id_z 0
		.amdhsa_system_sgpr_workgroup_info 0
		.amdhsa_system_vgpr_workitem_id 1
		.amdhsa_next_free_vgpr 76
		.amdhsa_next_free_sgpr 60
		.amdhsa_accum_offset 76
		.amdhsa_reserve_vcc 1
		.amdhsa_float_round_mode_32 0
		.amdhsa_float_round_mode_16_64 0
		.amdhsa_float_denorm_mode_32 3
		.amdhsa_float_denorm_mode_16_64 3
		.amdhsa_dx10_clamp 1
		.amdhsa_ieee_mode 1
		.amdhsa_fp16_overflow 0
		.amdhsa_tg_split 0
		.amdhsa_exception_fp_ieee_invalid_op 0
		.amdhsa_exception_fp_denorm_src 0
		.amdhsa_exception_fp_ieee_div_zero 0
		.amdhsa_exception_fp_ieee_overflow 0
		.amdhsa_exception_fp_ieee_underflow 0
		.amdhsa_exception_fp_ieee_inexact 0
		.amdhsa_exception_int_div_zero 0
	.end_amdhsa_kernel
	.section	.text._ZN2at6native32tensor_kernel_scan_innermost_dimIdZZZNS0_31launch_logcumsumexp_cuda_kernelERKNS_10TensorBaseES4_lENKUlvE_clEvENKUlvE_clEvEUlddE_EEvPT_PKS8_jjjS8_T0_,"axG",@progbits,_ZN2at6native32tensor_kernel_scan_innermost_dimIdZZZNS0_31launch_logcumsumexp_cuda_kernelERKNS_10TensorBaseES4_lENKUlvE_clEvENKUlvE_clEvEUlddE_EEvPT_PKS8_jjjS8_T0_,comdat
.Lfunc_end88:
	.size	_ZN2at6native32tensor_kernel_scan_innermost_dimIdZZZNS0_31launch_logcumsumexp_cuda_kernelERKNS_10TensorBaseES4_lENKUlvE_clEvENKUlvE_clEvEUlddE_EEvPT_PKS8_jjjS8_T0_, .Lfunc_end88-_ZN2at6native32tensor_kernel_scan_innermost_dimIdZZZNS0_31launch_logcumsumexp_cuda_kernelERKNS_10TensorBaseES4_lENKUlvE_clEvENKUlvE_clEvEUlddE_EEvPT_PKS8_jjjS8_T0_
                                        ; -- End function
	.section	.AMDGPU.csdata,"",@progbits
; Kernel info:
; codeLenInByte = 7400
; NumSgprs: 66
; NumVgprs: 76
; NumAgprs: 0
; TotalNumVgprs: 76
; ScratchSize: 0
; MemoryBound: 0
; FloatMode: 240
; IeeeMode: 1
; LDSByteSize: 0 bytes/workgroup (compile time only)
; SGPRBlocks: 8
; VGPRBlocks: 9
; NumSGPRsForWavesPerEU: 66
; NumVGPRsForWavesPerEU: 76
; AccumOffset: 76
; Occupancy: 6
; WaveLimiterHint : 0
; COMPUTE_PGM_RSRC2:SCRATCH_EN: 0
; COMPUTE_PGM_RSRC2:USER_SGPR: 2
; COMPUTE_PGM_RSRC2:TRAP_HANDLER: 0
; COMPUTE_PGM_RSRC2:TGID_X_EN: 1
; COMPUTE_PGM_RSRC2:TGID_Y_EN: 0
; COMPUTE_PGM_RSRC2:TGID_Z_EN: 0
; COMPUTE_PGM_RSRC2:TIDIG_COMP_CNT: 1
; COMPUTE_PGM_RSRC3_GFX90A:ACCUM_OFFSET: 18
; COMPUTE_PGM_RSRC3_GFX90A:TG_SPLIT: 0
	.section	.text._ZN2at6native28tensor_kernel_scan_outer_dimIdjZZZNS0_31launch_logcumsumexp_cuda_kernelERKNS_10TensorBaseES4_lENKUlvE_clEvENKUlvE_clEvEUlddE_EEvPT_PKS8_jjjS8_T1_,"axG",@progbits,_ZN2at6native28tensor_kernel_scan_outer_dimIdjZZZNS0_31launch_logcumsumexp_cuda_kernelERKNS_10TensorBaseES4_lENKUlvE_clEvENKUlvE_clEvEUlddE_EEvPT_PKS8_jjjS8_T1_,comdat
	.globl	_ZN2at6native28tensor_kernel_scan_outer_dimIdjZZZNS0_31launch_logcumsumexp_cuda_kernelERKNS_10TensorBaseES4_lENKUlvE_clEvENKUlvE_clEvEUlddE_EEvPT_PKS8_jjjS8_T1_ ; -- Begin function _ZN2at6native28tensor_kernel_scan_outer_dimIdjZZZNS0_31launch_logcumsumexp_cuda_kernelERKNS_10TensorBaseES4_lENKUlvE_clEvENKUlvE_clEvEUlddE_EEvPT_PKS8_jjjS8_T1_
	.p2align	8
	.type	_ZN2at6native28tensor_kernel_scan_outer_dimIdjZZZNS0_31launch_logcumsumexp_cuda_kernelERKNS_10TensorBaseES4_lENKUlvE_clEvENKUlvE_clEvEUlddE_EEvPT_PKS8_jjjS8_T1_,@function
_ZN2at6native28tensor_kernel_scan_outer_dimIdjZZZNS0_31launch_logcumsumexp_cuda_kernelERKNS_10TensorBaseES4_lENKUlvE_clEvENKUlvE_clEvEUlddE_EEvPT_PKS8_jjjS8_T1_: ; @_ZN2at6native28tensor_kernel_scan_outer_dimIdjZZZNS0_31launch_logcumsumexp_cuda_kernelERKNS_10TensorBaseES4_lENKUlvE_clEvENKUlvE_clEvEUlddE_EEvPT_PKS8_jjjS8_T1_
; %bb.0:
	s_load_dwordx4 s[8:11], s[0:1], 0x10
	s_waitcnt lgkmcnt(0)
	s_cmp_ge_u32 s2, s8
	s_cbranch_scc1 .LBB89_11
; %bb.1:
	s_load_dword s11, s[0:1], 0x30
	s_load_dword s4, s[0:1], 0x3c
	s_load_dwordx4 s[12:15], s[0:1], 0x0
	s_load_dwordx2 s[16:17], s[0:1], 0x20
	s_add_u32 s18, s0, 48
	s_addc_u32 s19, s1, 0
	s_waitcnt lgkmcnt(0)
	s_and_b32 s33, s4, 0xffff
	s_mul_i32 s3, s3, s33
	s_cmp_lg_u32 s10, 0
	v_add_u32_e32 v40, s3, v0
	s_mul_i32 s3, s2, s10
	s_cselect_b64 s[4:5], -1, 0
	s_mov_b32 s21, 0
	s_mov_b32 s20, s9
	s_mul_i32 s6, s3, s9
	s_mul_i32 s3, s11, s10
	v_cndmask_b32_e64 v0, 0, 1, s[4:5]
	s_mov_b32 s24, 0x652b82fe
	s_mov_b32 s26, 0xfefa39ef
	;; [unrolled: 1-line block ×9, first 2 shown]
	v_cmp_gt_u32_e64 s[0:1], s9, v40
	s_mul_i32 s3, s3, s9
	s_lshl_b64 s[22:23], s[20:21], 3
	v_cmp_ne_u32_e64 s[4:5], 1, v0
	v_mov_b32_e32 v1, 0
	s_movk_i32 s56, 0x1f8
	s_mov_b32 s25, 0x3ff71547
	s_mov_b32 s27, 0xbfe62e42
	;; [unrolled: 1-line block ×11, first 2 shown]
	v_mov_b32_e32 v2, 0xfca7ab0c
	v_mov_b32_e32 v3, 0x3e928af3
	;; [unrolled: 1-line block ×32, first 2 shown]
	s_mov_b32 s20, s6
	s_branch .LBB89_3
.LBB89_2:                               ;   in Loop: Header=BB89_3 Depth=1
	s_or_b64 exec, exec, s[48:49]
	s_add_i32 s2, s11, s2
	s_add_i32 s20, s20, s3
	s_cmp_ge_u32 s2, s8
	s_cbranch_scc1 .LBB89_11
.LBB89_3:                               ; =>This Loop Header: Depth=1
                                        ;     Child Loop BB89_6 Depth 2
                                        ;       Child Loop BB89_9 Depth 3
	s_and_saveexec_b64 s[48:49], s[0:1]
	s_cbranch_execz .LBB89_2
; %bb.4:                                ;   in Loop: Header=BB89_3 Depth=1
	s_load_dword s57, s[18:19], 0x4
	s_lshl_b64 s[50:51], s[20:21], 3
	s_mov_b64 s[52:53], 0
	v_mov_b32_e32 v0, v40
	s_waitcnt lgkmcnt(0)
	s_mul_i32 s57, s57, s33
	s_branch .LBB89_6
.LBB89_5:                               ;   in Loop: Header=BB89_6 Depth=2
	v_add_u32_e32 v0, s57, v0
	v_cmp_le_u32_e32 vcc, s9, v0
	s_or_b64 s[52:53], vcc, s[52:53]
	s_andn2_b64 exec, exec, s[52:53]
	s_cbranch_execz .LBB89_2
.LBB89_6:                               ;   Parent Loop BB89_3 Depth=1
                                        ; =>  This Loop Header: Depth=2
                                        ;       Child Loop BB89_9 Depth 3
	s_and_b64 vcc, exec, s[4:5]
	s_cbranch_vccnz .LBB89_5
; %bb.7:                                ;   in Loop: Header=BB89_6 Depth=2
	v_lshl_add_u64 v[32:33], v[0:1], 3, s[50:51]
	v_mov_b64_e32 v[36:37], s[16:17]
	s_mov_b32 s58, s10
	s_branch .LBB89_9
.LBB89_8:                               ;   in Loop: Header=BB89_9 Depth=3
	s_or_b64 exec, exec, s[54:55]
	s_add_i32 s58, s58, -1
	v_lshl_add_u64 v[34:35], s[12:13], 0, v[32:33]
	s_cmp_eq_u32 s58, 0
	v_lshl_add_u64 v[32:33], v[32:33], 0, s[22:23]
	global_store_dwordx2 v[34:35], v[36:37], off
	s_cbranch_scc1 .LBB89_5
.LBB89_9:                               ;   Parent Loop BB89_3 Depth=1
                                        ;     Parent Loop BB89_6 Depth=2
                                        ; =>    This Inner Loop Header: Depth=3
	v_lshl_add_u64 v[34:35], s[14:15], 0, v[32:33]
	global_load_dwordx2 v[34:35], v[34:35], off
	v_max_f64 v[38:39], v[36:37], v[36:37]
	v_cmp_u_f64_e32 vcc, v[36:37], v[36:37]
	s_waitcnt vmcnt(0)
	v_max_f64 v[44:45], v[34:35], v[34:35]
	v_min_f64 v[46:47], v[38:39], v[44:45]
	v_max_f64 v[38:39], v[38:39], v[44:45]
	v_cndmask_b32_e32 v43, v46, v36, vcc
	v_cndmask_b32_e32 v44, v47, v37, vcc
	;; [unrolled: 1-line block ×4, first 2 shown]
	v_cmp_u_f64_e32 vcc, v[34:35], v[34:35]
	s_nop 1
	v_cndmask_b32_e32 v39, v44, v35, vcc
	v_cndmask_b32_e32 v38, v43, v34, vcc
	;; [unrolled: 1-line block ×4, first 2 shown]
	v_cmp_neq_f64_e32 vcc, v[38:39], v[34:35]
	v_cmp_class_f64_e64 s[6:7], v[38:39], s56
	s_or_b64 s[6:7], vcc, s[6:7]
	s_and_saveexec_b64 s[54:55], s[6:7]
	s_cbranch_execz .LBB89_8
; %bb.10:                               ;   in Loop: Header=BB89_9 Depth=3
	v_add_f64 v[36:37], v[38:39], -v[34:35]
	v_mul_f64 v[38:39], v[36:37], s[24:25]
	v_rndne_f64_e32 v[38:39], v[38:39]
	v_fma_f64 v[44:45], s[26:27], v[38:39], v[36:37]
	v_fmac_f64_e32 v[44:45], s[28:29], v[38:39]
	v_mov_b64_e32 v[46:47], v[2:3]
	v_fmac_f64_e32 v[46:47], s[30:31], v[44:45]
	v_mov_b64_e32 v[48:49], v[4:5]
	;; [unrolled: 2-line block ×9, first 2 shown]
	v_fmac_f64_e32 v[46:47], v[44:45], v[48:49]
	v_fma_f64 v[46:47], v[44:45], v[46:47], 1.0
	v_fma_f64 v[44:45], v[44:45], v[46:47], 1.0
	v_cvt_i32_f64_e32 v38, v[38:39]
	v_ldexp_f64 v[38:39], v[44:45], v38
	v_mov_b32_e32 v43, 0x7ff00000
	v_cmp_nlt_f64_e32 vcc, s[34:35], v[36:37]
	v_cmp_ngt_f64_e64 s[6:7], s[36:37], v[36:37]
	s_mov_b32 s42, s26
	v_cndmask_b32_e32 v39, v43, v39, vcc
	s_and_b64 vcc, s[6:7], vcc
	v_cndmask_b32_e64 v37, 0, v39, s[6:7]
	v_cndmask_b32_e32 v36, 0, v38, vcc
	v_add_f64 v[38:39], v[36:37], 1.0
	v_add_f64 v[44:45], v[38:39], -1.0
	v_add_f64 v[46:47], v[44:45], -v[38:39]
	v_add_f64 v[46:47], v[46:47], 1.0
	v_add_f64 v[44:45], v[36:37], -v[44:45]
	v_add_f64 v[44:45], v[44:45], v[46:47]
	v_frexp_mant_f64_e32 v[46:47], v[38:39]
	v_frexp_exp_i32_f64_e32 v43, v[38:39]
	v_cmp_gt_f64_e32 vcc, s[38:39], v[46:47]
	s_mov_b32 s44, s28
	s_nop 0
	v_subbrev_co_u32_e32 v43, vcc, 0, v43, vcc
	v_sub_u32_e32 v46, 0, v43
	v_ldexp_f64 v[38:39], v[38:39], v46
	v_ldexp_f64 v[44:45], v[44:45], v46
	v_add_f64 v[46:47], v[38:39], -1.0
	v_add_f64 v[52:53], v[38:39], 1.0
	v_add_f64 v[48:49], v[46:47], 1.0
	v_add_f64 v[54:55], v[52:53], -1.0
	v_add_f64 v[48:49], v[38:39], -v[48:49]
	v_add_f64 v[38:39], v[38:39], -v[54:55]
	v_add_f64 v[38:39], v[44:45], v[38:39]
	v_add_f64 v[48:49], v[44:45], v[48:49]
	;; [unrolled: 1-line block ×3, first 2 shown]
	v_rcp_f64_e32 v[54:55], v[44:45]
	v_add_f64 v[50:51], v[46:47], v[48:49]
	v_add_f64 v[46:47], v[50:51], -v[46:47]
	v_add_f64 v[46:47], v[48:49], -v[46:47]
	;; [unrolled: 1-line block ×4, first 2 shown]
	v_fma_f64 v[48:49], -v[44:45], v[54:55], 1.0
	v_fmac_f64_e32 v[54:55], v[48:49], v[54:55]
	v_fma_f64 v[48:49], -v[44:45], v[54:55], 1.0
	v_fmac_f64_e32 v[54:55], v[48:49], v[54:55]
	v_mul_f64 v[48:49], v[50:51], v[54:55]
	v_mul_f64 v[52:53], v[44:45], v[48:49]
	v_fma_f64 v[56:57], v[48:49], v[44:45], -v[52:53]
	v_fmac_f64_e32 v[56:57], v[48:49], v[38:39]
	v_add_f64 v[58:59], v[52:53], v[56:57]
	v_add_f64 v[60:61], v[50:51], -v[58:59]
	v_add_f64 v[50:51], v[50:51], -v[60:61]
	v_add_f64 v[52:53], v[58:59], -v[52:53]
	v_add_f64 v[50:51], v[50:51], -v[58:59]
	v_add_f64 v[46:47], v[46:47], v[50:51]
	v_add_f64 v[50:51], v[52:53], -v[56:57]
	v_add_f64 v[46:47], v[50:51], v[46:47]
	v_add_f64 v[50:51], v[60:61], v[46:47]
	v_add_f64 v[52:53], v[60:61], -v[50:51]
	v_add_f64 v[46:47], v[46:47], v[52:53]
	v_mul_f64 v[52:53], v[54:55], v[50:51]
	v_mul_f64 v[56:57], v[44:45], v[52:53]
	v_fma_f64 v[44:45], v[52:53], v[44:45], -v[56:57]
	v_fmac_f64_e32 v[44:45], v[52:53], v[38:39]
	v_add_f64 v[38:39], v[56:57], v[44:45]
	v_add_f64 v[58:59], v[50:51], -v[38:39]
	v_add_f64 v[50:51], v[50:51], -v[58:59]
	;; [unrolled: 1-line block ×4, first 2 shown]
	v_add_f64 v[38:39], v[46:47], v[38:39]
	v_add_f64 v[44:45], v[56:57], -v[44:45]
	v_add_f64 v[38:39], v[44:45], v[38:39]
	v_add_f64 v[44:45], v[48:49], v[52:53]
	;; [unrolled: 1-line block ×3, first 2 shown]
	v_add_f64 v[46:47], v[44:45], -v[48:49]
	v_mul_f64 v[38:39], v[54:55], v[38:39]
	v_add_f64 v[46:47], v[52:53], -v[46:47]
	v_add_f64 v[38:39], v[46:47], v[38:39]
	v_add_f64 v[46:47], v[44:45], v[38:39]
	v_add_f64 v[44:45], v[46:47], -v[44:45]
	v_add_f64 v[38:39], v[38:39], -v[44:45]
	v_mul_f64 v[44:45], v[46:47], v[46:47]
	v_mov_b64_e32 v[48:49], v[20:21]
	v_fmac_f64_e32 v[48:49], s[40:41], v[44:45]
	v_mov_b64_e32 v[50:51], v[22:23]
	v_fmac_f64_e32 v[50:51], v[44:45], v[48:49]
	;; [unrolled: 2-line block ×6, first 2 shown]
	v_cvt_f64_i32_e32 v[48:49], v43
	v_mul_f64 v[52:53], v[48:49], s[42:43]
	v_fma_f64 v[54:55], v[48:49], s[42:43], -v[52:53]
	v_fmac_f64_e32 v[54:55], s[44:45], v[48:49]
	v_add_f64 v[48:49], v[52:53], v[54:55]
	v_add_f64 v[52:53], v[48:49], -v[52:53]
	v_mul_f64 v[44:45], v[46:47], v[44:45]
	v_add_f64 v[52:53], v[54:55], -v[52:53]
	v_ldexp_f64 v[54:55], v[46:47], 1
	v_mul_f64 v[44:45], v[44:45], v[50:51]
	v_add_f64 v[46:47], v[54:55], v[44:45]
	v_add_f64 v[50:51], v[46:47], -v[54:55]
	v_ldexp_f64 v[38:39], v[38:39], 1
	v_add_f64 v[44:45], v[44:45], -v[50:51]
	v_add_f64 v[38:39], v[38:39], v[44:45]
	v_add_f64 v[44:45], v[46:47], v[38:39]
	v_add_f64 v[46:47], v[44:45], -v[46:47]
	v_add_f64 v[38:39], v[38:39], -v[46:47]
	v_add_f64 v[46:47], v[48:49], v[44:45]
	v_add_f64 v[50:51], v[46:47], -v[48:49]
	v_add_f64 v[54:55], v[46:47], -v[50:51]
	;; [unrolled: 1-line block ×4, first 2 shown]
	v_add_f64 v[44:45], v[44:45], v[48:49]
	v_add_f64 v[48:49], v[52:53], v[38:39]
	v_add_f64 v[50:51], v[48:49], -v[52:53]
	v_add_f64 v[44:45], v[48:49], v[44:45]
	v_add_f64 v[54:55], v[48:49], -v[50:51]
	;; [unrolled: 2-line block ×3, first 2 shown]
	v_add_f64 v[38:39], v[38:39], -v[50:51]
	v_add_f64 v[46:47], v[48:49], -v[46:47]
	v_add_f64 v[38:39], v[38:39], v[52:53]
	v_add_f64 v[44:45], v[44:45], -v[46:47]
	v_add_f64 v[38:39], v[38:39], v[44:45]
	v_add_f64 v[38:39], v[48:49], v[38:39]
	v_cmp_eq_f64_e32 vcc, s[46:47], v[36:37]
	s_nop 1
	v_cndmask_b32_e32 v38, v38, v36, vcc
	v_cndmask_b32_e32 v39, v39, v37, vcc
	v_cmp_ngt_f64_e32 vcc, -1.0, v[36:37]
	s_nop 1
	v_cndmask_b32_e32 v39, v41, v39, vcc
	v_cmp_nge_f64_e32 vcc, -1.0, v[36:37]
	s_nop 1
	v_cndmask_b32_e32 v38, 0, v38, vcc
	v_cmp_neq_f64_e32 vcc, -1.0, v[36:37]
	s_nop 1
	v_cndmask_b32_e32 v39, v42, v39, vcc
	v_add_f64 v[36:37], v[34:35], v[38:39]
	s_branch .LBB89_8
.LBB89_11:
	s_endpgm
	.section	.rodata,"a",@progbits
	.p2align	6, 0x0
	.amdhsa_kernel _ZN2at6native28tensor_kernel_scan_outer_dimIdjZZZNS0_31launch_logcumsumexp_cuda_kernelERKNS_10TensorBaseES4_lENKUlvE_clEvENKUlvE_clEvEUlddE_EEvPT_PKS8_jjjS8_T1_
		.amdhsa_group_segment_fixed_size 0
		.amdhsa_private_segment_fixed_size 0
		.amdhsa_kernarg_size 304
		.amdhsa_user_sgpr_count 2
		.amdhsa_user_sgpr_dispatch_ptr 0
		.amdhsa_user_sgpr_queue_ptr 0
		.amdhsa_user_sgpr_kernarg_segment_ptr 1
		.amdhsa_user_sgpr_dispatch_id 0
		.amdhsa_user_sgpr_kernarg_preload_length 0
		.amdhsa_user_sgpr_kernarg_preload_offset 0
		.amdhsa_user_sgpr_private_segment_size 0
		.amdhsa_uses_dynamic_stack 0
		.amdhsa_enable_private_segment 0
		.amdhsa_system_sgpr_workgroup_id_x 1
		.amdhsa_system_sgpr_workgroup_id_y 1
		.amdhsa_system_sgpr_workgroup_id_z 0
		.amdhsa_system_sgpr_workgroup_info 0
		.amdhsa_system_vgpr_workitem_id 0
		.amdhsa_next_free_vgpr 62
		.amdhsa_next_free_sgpr 59
		.amdhsa_accum_offset 64
		.amdhsa_reserve_vcc 1
		.amdhsa_float_round_mode_32 0
		.amdhsa_float_round_mode_16_64 0
		.amdhsa_float_denorm_mode_32 3
		.amdhsa_float_denorm_mode_16_64 3
		.amdhsa_dx10_clamp 1
		.amdhsa_ieee_mode 1
		.amdhsa_fp16_overflow 0
		.amdhsa_tg_split 0
		.amdhsa_exception_fp_ieee_invalid_op 0
		.amdhsa_exception_fp_denorm_src 0
		.amdhsa_exception_fp_ieee_div_zero 0
		.amdhsa_exception_fp_ieee_overflow 0
		.amdhsa_exception_fp_ieee_underflow 0
		.amdhsa_exception_fp_ieee_inexact 0
		.amdhsa_exception_int_div_zero 0
	.end_amdhsa_kernel
	.section	.text._ZN2at6native28tensor_kernel_scan_outer_dimIdjZZZNS0_31launch_logcumsumexp_cuda_kernelERKNS_10TensorBaseES4_lENKUlvE_clEvENKUlvE_clEvEUlddE_EEvPT_PKS8_jjjS8_T1_,"axG",@progbits,_ZN2at6native28tensor_kernel_scan_outer_dimIdjZZZNS0_31launch_logcumsumexp_cuda_kernelERKNS_10TensorBaseES4_lENKUlvE_clEvENKUlvE_clEvEUlddE_EEvPT_PKS8_jjjS8_T1_,comdat
.Lfunc_end89:
	.size	_ZN2at6native28tensor_kernel_scan_outer_dimIdjZZZNS0_31launch_logcumsumexp_cuda_kernelERKNS_10TensorBaseES4_lENKUlvE_clEvENKUlvE_clEvEUlddE_EEvPT_PKS8_jjjS8_T1_, .Lfunc_end89-_ZN2at6native28tensor_kernel_scan_outer_dimIdjZZZNS0_31launch_logcumsumexp_cuda_kernelERKNS_10TensorBaseES4_lENKUlvE_clEvENKUlvE_clEvEUlddE_EEvPT_PKS8_jjjS8_T1_
                                        ; -- End function
	.section	.AMDGPU.csdata,"",@progbits
; Kernel info:
; codeLenInByte = 1916
; NumSgprs: 65
; NumVgprs: 62
; NumAgprs: 0
; TotalNumVgprs: 62
; ScratchSize: 0
; MemoryBound: 0
; FloatMode: 240
; IeeeMode: 1
; LDSByteSize: 0 bytes/workgroup (compile time only)
; SGPRBlocks: 8
; VGPRBlocks: 7
; NumSGPRsForWavesPerEU: 65
; NumVGPRsForWavesPerEU: 62
; AccumOffset: 64
; Occupancy: 8
; WaveLimiterHint : 0
; COMPUTE_PGM_RSRC2:SCRATCH_EN: 0
; COMPUTE_PGM_RSRC2:USER_SGPR: 2
; COMPUTE_PGM_RSRC2:TRAP_HANDLER: 0
; COMPUTE_PGM_RSRC2:TGID_X_EN: 1
; COMPUTE_PGM_RSRC2:TGID_Y_EN: 1
; COMPUTE_PGM_RSRC2:TGID_Z_EN: 0
; COMPUTE_PGM_RSRC2:TIDIG_COMP_CNT: 0
; COMPUTE_PGM_RSRC3_GFX90A:ACCUM_OFFSET: 15
; COMPUTE_PGM_RSRC3_GFX90A:TG_SPLIT: 0
	.section	.text._ZN2at6native28tensor_kernel_scan_outer_dimIdmZZZNS0_31launch_logcumsumexp_cuda_kernelERKNS_10TensorBaseES4_lENKUlvE_clEvENKUlvE_clEvEUlddE_EEvPT_PKS8_jjjS8_T1_,"axG",@progbits,_ZN2at6native28tensor_kernel_scan_outer_dimIdmZZZNS0_31launch_logcumsumexp_cuda_kernelERKNS_10TensorBaseES4_lENKUlvE_clEvENKUlvE_clEvEUlddE_EEvPT_PKS8_jjjS8_T1_,comdat
	.globl	_ZN2at6native28tensor_kernel_scan_outer_dimIdmZZZNS0_31launch_logcumsumexp_cuda_kernelERKNS_10TensorBaseES4_lENKUlvE_clEvENKUlvE_clEvEUlddE_EEvPT_PKS8_jjjS8_T1_ ; -- Begin function _ZN2at6native28tensor_kernel_scan_outer_dimIdmZZZNS0_31launch_logcumsumexp_cuda_kernelERKNS_10TensorBaseES4_lENKUlvE_clEvENKUlvE_clEvEUlddE_EEvPT_PKS8_jjjS8_T1_
	.p2align	8
	.type	_ZN2at6native28tensor_kernel_scan_outer_dimIdmZZZNS0_31launch_logcumsumexp_cuda_kernelERKNS_10TensorBaseES4_lENKUlvE_clEvENKUlvE_clEvEUlddE_EEvPT_PKS8_jjjS8_T1_,@function
_ZN2at6native28tensor_kernel_scan_outer_dimIdmZZZNS0_31launch_logcumsumexp_cuda_kernelERKNS_10TensorBaseES4_lENKUlvE_clEvENKUlvE_clEvEUlddE_EEvPT_PKS8_jjjS8_T1_: ; @_ZN2at6native28tensor_kernel_scan_outer_dimIdmZZZNS0_31launch_logcumsumexp_cuda_kernelERKNS_10TensorBaseES4_lENKUlvE_clEvENKUlvE_clEvEUlddE_EEvPT_PKS8_jjjS8_T1_
; %bb.0:
	s_load_dwordx4 s[8:11], s[0:1], 0x10
	s_waitcnt lgkmcnt(0)
	s_cmp_ge_u32 s2, s8
	s_cbranch_scc1 .LBB90_11
; %bb.1:
	s_load_dword s11, s[0:1], 0x30
	s_load_dword s4, s[0:1], 0x3c
	s_load_dwordx4 s[12:15], s[0:1], 0x0
	s_load_dwordx2 s[16:17], s[0:1], 0x20
	s_add_u32 s18, s0, 48
	s_addc_u32 s19, s1, 0
	s_waitcnt lgkmcnt(0)
	s_and_b32 s33, s4, 0xffff
	s_cmp_lg_u32 s10, 0
	s_mul_i32 s3, s3, s33
	s_cselect_b64 s[24:25], -1, 0
	v_add_u32_e32 v40, s3, v0
	s_mov_b32 s5, 0
	s_mov_b32 s4, s9
	s_mul_hi_u32 s7, s10, s9
	s_mul_i32 s6, s10, s9
	v_cndmask_b32_e64 v0, 0, 1, s[24:25]
	s_mov_b32 s24, 0x652b82fe
	s_mov_b32 s26, 0xfefa39ef
	;; [unrolled: 1-line block ×9, first 2 shown]
	v_cmp_gt_u32_e64 s[0:1], s9, v40
	s_lshl_b64 s[20:21], s[6:7], 3
	s_lshl_b64 s[22:23], s[4:5], 3
	v_cmp_ne_u32_e64 s[4:5], 1, v0
	v_mov_b32_e32 v1, 0
	s_movk_i32 s3, 0x1f8
	s_mov_b32 s25, 0x3ff71547
	s_mov_b32 s27, 0xbfe62e42
	;; [unrolled: 1-line block ×11, first 2 shown]
	v_mov_b32_e32 v2, 0xfca7ab0c
	v_mov_b32_e32 v3, 0x3e928af3
	;; [unrolled: 1-line block ×32, first 2 shown]
	s_branch .LBB90_3
.LBB90_2:                               ;   in Loop: Header=BB90_3 Depth=1
	s_or_b64 exec, exec, s[48:49]
	s_add_i32 s2, s2, s11
	s_cmp_ge_u32 s2, s8
	s_cbranch_scc1 .LBB90_11
.LBB90_3:                               ; =>This Loop Header: Depth=1
                                        ;     Child Loop BB90_6 Depth 2
                                        ;       Child Loop BB90_9 Depth 3
	s_and_saveexec_b64 s[48:49], s[0:1]
	s_cbranch_execz .LBB90_2
; %bb.4:                                ;   in Loop: Header=BB90_3 Depth=1
	s_load_dword s56, s[18:19], 0x4
	s_mul_i32 s6, s21, s2
	s_mul_hi_u32 s7, s20, s2
	s_mul_i32 s50, s20, s2
	s_add_i32 s51, s7, s6
	s_waitcnt lgkmcnt(0)
	s_mul_i32 s56, s56, s33
	s_mov_b64 s[52:53], 0
	v_mov_b32_e32 v0, v40
	s_branch .LBB90_6
.LBB90_5:                               ;   in Loop: Header=BB90_6 Depth=2
	v_add_u32_e32 v0, s56, v0
	v_cmp_le_u32_e32 vcc, s9, v0
	s_or_b64 s[52:53], vcc, s[52:53]
	s_andn2_b64 exec, exec, s[52:53]
	s_cbranch_execz .LBB90_2
.LBB90_6:                               ;   Parent Loop BB90_3 Depth=1
                                        ; =>  This Loop Header: Depth=2
                                        ;       Child Loop BB90_9 Depth 3
	s_and_b64 vcc, exec, s[4:5]
	s_cbranch_vccnz .LBB90_5
; %bb.7:                                ;   in Loop: Header=BB90_6 Depth=2
	v_lshl_add_u64 v[32:33], v[0:1], 3, s[50:51]
	v_mov_b64_e32 v[36:37], s[16:17]
	s_mov_b32 s57, s10
	s_branch .LBB90_9
.LBB90_8:                               ;   in Loop: Header=BB90_9 Depth=3
	s_or_b64 exec, exec, s[54:55]
	s_add_i32 s57, s57, -1
	v_lshl_add_u64 v[34:35], s[12:13], 0, v[32:33]
	s_cmp_eq_u32 s57, 0
	v_lshl_add_u64 v[32:33], v[32:33], 0, s[22:23]
	global_store_dwordx2 v[34:35], v[36:37], off
	s_cbranch_scc1 .LBB90_5
.LBB90_9:                               ;   Parent Loop BB90_3 Depth=1
                                        ;     Parent Loop BB90_6 Depth=2
                                        ; =>    This Inner Loop Header: Depth=3
	v_lshl_add_u64 v[34:35], s[14:15], 0, v[32:33]
	global_load_dwordx2 v[34:35], v[34:35], off
	v_max_f64 v[38:39], v[36:37], v[36:37]
	v_cmp_u_f64_e32 vcc, v[36:37], v[36:37]
	s_waitcnt vmcnt(0)
	v_max_f64 v[44:45], v[34:35], v[34:35]
	v_min_f64 v[46:47], v[38:39], v[44:45]
	v_max_f64 v[38:39], v[38:39], v[44:45]
	v_cndmask_b32_e32 v43, v46, v36, vcc
	v_cndmask_b32_e32 v44, v47, v37, vcc
	v_cndmask_b32_e32 v45, v38, v36, vcc
	v_cndmask_b32_e32 v46, v39, v37, vcc
	v_cmp_u_f64_e32 vcc, v[34:35], v[34:35]
	s_nop 1
	v_cndmask_b32_e32 v39, v44, v35, vcc
	v_cndmask_b32_e32 v38, v43, v34, vcc
	;; [unrolled: 1-line block ×4, first 2 shown]
	v_cmp_neq_f64_e32 vcc, v[38:39], v[34:35]
	v_cmp_class_f64_e64 s[6:7], v[38:39], s3
	s_or_b64 s[6:7], vcc, s[6:7]
	s_and_saveexec_b64 s[54:55], s[6:7]
	s_cbranch_execz .LBB90_8
; %bb.10:                               ;   in Loop: Header=BB90_9 Depth=3
	v_add_f64 v[36:37], v[38:39], -v[34:35]
	v_mul_f64 v[38:39], v[36:37], s[24:25]
	v_rndne_f64_e32 v[38:39], v[38:39]
	v_fma_f64 v[44:45], s[26:27], v[38:39], v[36:37]
	v_fmac_f64_e32 v[44:45], s[28:29], v[38:39]
	v_mov_b64_e32 v[46:47], v[2:3]
	v_fmac_f64_e32 v[46:47], s[30:31], v[44:45]
	v_mov_b64_e32 v[48:49], v[4:5]
	;; [unrolled: 2-line block ×9, first 2 shown]
	v_fmac_f64_e32 v[46:47], v[44:45], v[48:49]
	v_fma_f64 v[46:47], v[44:45], v[46:47], 1.0
	v_fma_f64 v[44:45], v[44:45], v[46:47], 1.0
	v_cvt_i32_f64_e32 v38, v[38:39]
	v_ldexp_f64 v[38:39], v[44:45], v38
	v_mov_b32_e32 v43, 0x7ff00000
	v_cmp_nlt_f64_e32 vcc, s[34:35], v[36:37]
	v_cmp_ngt_f64_e64 s[6:7], s[36:37], v[36:37]
	s_mov_b32 s42, s26
	v_cndmask_b32_e32 v39, v43, v39, vcc
	s_and_b64 vcc, s[6:7], vcc
	v_cndmask_b32_e64 v37, 0, v39, s[6:7]
	v_cndmask_b32_e32 v36, 0, v38, vcc
	v_add_f64 v[38:39], v[36:37], 1.0
	v_add_f64 v[44:45], v[38:39], -1.0
	v_add_f64 v[46:47], v[44:45], -v[38:39]
	v_add_f64 v[46:47], v[46:47], 1.0
	v_add_f64 v[44:45], v[36:37], -v[44:45]
	v_add_f64 v[44:45], v[44:45], v[46:47]
	v_frexp_mant_f64_e32 v[46:47], v[38:39]
	v_frexp_exp_i32_f64_e32 v43, v[38:39]
	v_cmp_gt_f64_e32 vcc, s[38:39], v[46:47]
	s_mov_b32 s44, s28
	s_nop 0
	v_subbrev_co_u32_e32 v43, vcc, 0, v43, vcc
	v_sub_u32_e32 v46, 0, v43
	v_ldexp_f64 v[38:39], v[38:39], v46
	v_ldexp_f64 v[44:45], v[44:45], v46
	v_add_f64 v[46:47], v[38:39], -1.0
	v_add_f64 v[52:53], v[38:39], 1.0
	v_add_f64 v[48:49], v[46:47], 1.0
	v_add_f64 v[54:55], v[52:53], -1.0
	v_add_f64 v[48:49], v[38:39], -v[48:49]
	v_add_f64 v[38:39], v[38:39], -v[54:55]
	v_add_f64 v[38:39], v[44:45], v[38:39]
	v_add_f64 v[48:49], v[44:45], v[48:49]
	;; [unrolled: 1-line block ×3, first 2 shown]
	v_rcp_f64_e32 v[54:55], v[44:45]
	v_add_f64 v[50:51], v[46:47], v[48:49]
	v_add_f64 v[46:47], v[50:51], -v[46:47]
	v_add_f64 v[46:47], v[48:49], -v[46:47]
	;; [unrolled: 1-line block ×4, first 2 shown]
	v_fma_f64 v[48:49], -v[44:45], v[54:55], 1.0
	v_fmac_f64_e32 v[54:55], v[48:49], v[54:55]
	v_fma_f64 v[48:49], -v[44:45], v[54:55], 1.0
	v_fmac_f64_e32 v[54:55], v[48:49], v[54:55]
	v_mul_f64 v[48:49], v[50:51], v[54:55]
	v_mul_f64 v[52:53], v[44:45], v[48:49]
	v_fma_f64 v[56:57], v[48:49], v[44:45], -v[52:53]
	v_fmac_f64_e32 v[56:57], v[48:49], v[38:39]
	v_add_f64 v[58:59], v[52:53], v[56:57]
	v_add_f64 v[60:61], v[50:51], -v[58:59]
	v_add_f64 v[50:51], v[50:51], -v[60:61]
	;; [unrolled: 1-line block ×4, first 2 shown]
	v_add_f64 v[46:47], v[46:47], v[50:51]
	v_add_f64 v[50:51], v[52:53], -v[56:57]
	v_add_f64 v[46:47], v[50:51], v[46:47]
	v_add_f64 v[50:51], v[60:61], v[46:47]
	v_add_f64 v[52:53], v[60:61], -v[50:51]
	v_add_f64 v[46:47], v[46:47], v[52:53]
	v_mul_f64 v[52:53], v[54:55], v[50:51]
	v_mul_f64 v[56:57], v[44:45], v[52:53]
	v_fma_f64 v[44:45], v[52:53], v[44:45], -v[56:57]
	v_fmac_f64_e32 v[44:45], v[52:53], v[38:39]
	v_add_f64 v[38:39], v[56:57], v[44:45]
	v_add_f64 v[58:59], v[50:51], -v[38:39]
	v_add_f64 v[50:51], v[50:51], -v[58:59]
	;; [unrolled: 1-line block ×4, first 2 shown]
	v_add_f64 v[38:39], v[46:47], v[38:39]
	v_add_f64 v[44:45], v[56:57], -v[44:45]
	v_add_f64 v[38:39], v[44:45], v[38:39]
	v_add_f64 v[44:45], v[48:49], v[52:53]
	;; [unrolled: 1-line block ×3, first 2 shown]
	v_add_f64 v[46:47], v[44:45], -v[48:49]
	v_mul_f64 v[38:39], v[54:55], v[38:39]
	v_add_f64 v[46:47], v[52:53], -v[46:47]
	v_add_f64 v[38:39], v[46:47], v[38:39]
	v_add_f64 v[46:47], v[44:45], v[38:39]
	v_add_f64 v[44:45], v[46:47], -v[44:45]
	v_add_f64 v[38:39], v[38:39], -v[44:45]
	v_mul_f64 v[44:45], v[46:47], v[46:47]
	v_mov_b64_e32 v[48:49], v[20:21]
	v_fmac_f64_e32 v[48:49], s[40:41], v[44:45]
	v_mov_b64_e32 v[50:51], v[22:23]
	v_fmac_f64_e32 v[50:51], v[44:45], v[48:49]
	;; [unrolled: 2-line block ×6, first 2 shown]
	v_cvt_f64_i32_e32 v[48:49], v43
	v_mul_f64 v[52:53], v[48:49], s[42:43]
	v_fma_f64 v[54:55], v[48:49], s[42:43], -v[52:53]
	v_fmac_f64_e32 v[54:55], s[44:45], v[48:49]
	v_add_f64 v[48:49], v[52:53], v[54:55]
	v_add_f64 v[52:53], v[48:49], -v[52:53]
	v_mul_f64 v[44:45], v[46:47], v[44:45]
	v_add_f64 v[52:53], v[54:55], -v[52:53]
	v_ldexp_f64 v[54:55], v[46:47], 1
	v_mul_f64 v[44:45], v[44:45], v[50:51]
	v_add_f64 v[46:47], v[54:55], v[44:45]
	v_add_f64 v[50:51], v[46:47], -v[54:55]
	v_ldexp_f64 v[38:39], v[38:39], 1
	v_add_f64 v[44:45], v[44:45], -v[50:51]
	v_add_f64 v[38:39], v[38:39], v[44:45]
	v_add_f64 v[44:45], v[46:47], v[38:39]
	v_add_f64 v[46:47], v[44:45], -v[46:47]
	v_add_f64 v[38:39], v[38:39], -v[46:47]
	v_add_f64 v[46:47], v[48:49], v[44:45]
	v_add_f64 v[50:51], v[46:47], -v[48:49]
	v_add_f64 v[54:55], v[46:47], -v[50:51]
	;; [unrolled: 1-line block ×4, first 2 shown]
	v_add_f64 v[44:45], v[44:45], v[48:49]
	v_add_f64 v[48:49], v[52:53], v[38:39]
	v_add_f64 v[50:51], v[48:49], -v[52:53]
	v_add_f64 v[44:45], v[48:49], v[44:45]
	v_add_f64 v[54:55], v[48:49], -v[50:51]
	;; [unrolled: 2-line block ×3, first 2 shown]
	v_add_f64 v[38:39], v[38:39], -v[50:51]
	v_add_f64 v[46:47], v[48:49], -v[46:47]
	v_add_f64 v[38:39], v[38:39], v[52:53]
	v_add_f64 v[44:45], v[44:45], -v[46:47]
	v_add_f64 v[38:39], v[38:39], v[44:45]
	v_add_f64 v[38:39], v[48:49], v[38:39]
	v_cmp_eq_f64_e32 vcc, s[46:47], v[36:37]
	s_nop 1
	v_cndmask_b32_e32 v38, v38, v36, vcc
	v_cndmask_b32_e32 v39, v39, v37, vcc
	v_cmp_ngt_f64_e32 vcc, -1.0, v[36:37]
	s_nop 1
	v_cndmask_b32_e32 v39, v41, v39, vcc
	v_cmp_nge_f64_e32 vcc, -1.0, v[36:37]
	s_nop 1
	v_cndmask_b32_e32 v38, 0, v38, vcc
	v_cmp_neq_f64_e32 vcc, -1.0, v[36:37]
	s_nop 1
	v_cndmask_b32_e32 v39, v42, v39, vcc
	v_add_f64 v[36:37], v[34:35], v[38:39]
	s_branch .LBB90_8
.LBB90_11:
	s_endpgm
	.section	.rodata,"a",@progbits
	.p2align	6, 0x0
	.amdhsa_kernel _ZN2at6native28tensor_kernel_scan_outer_dimIdmZZZNS0_31launch_logcumsumexp_cuda_kernelERKNS_10TensorBaseES4_lENKUlvE_clEvENKUlvE_clEvEUlddE_EEvPT_PKS8_jjjS8_T1_
		.amdhsa_group_segment_fixed_size 0
		.amdhsa_private_segment_fixed_size 0
		.amdhsa_kernarg_size 304
		.amdhsa_user_sgpr_count 2
		.amdhsa_user_sgpr_dispatch_ptr 0
		.amdhsa_user_sgpr_queue_ptr 0
		.amdhsa_user_sgpr_kernarg_segment_ptr 1
		.amdhsa_user_sgpr_dispatch_id 0
		.amdhsa_user_sgpr_kernarg_preload_length 0
		.amdhsa_user_sgpr_kernarg_preload_offset 0
		.amdhsa_user_sgpr_private_segment_size 0
		.amdhsa_uses_dynamic_stack 0
		.amdhsa_enable_private_segment 0
		.amdhsa_system_sgpr_workgroup_id_x 1
		.amdhsa_system_sgpr_workgroup_id_y 1
		.amdhsa_system_sgpr_workgroup_id_z 0
		.amdhsa_system_sgpr_workgroup_info 0
		.amdhsa_system_vgpr_workitem_id 0
		.amdhsa_next_free_vgpr 62
		.amdhsa_next_free_sgpr 58
		.amdhsa_accum_offset 64
		.amdhsa_reserve_vcc 1
		.amdhsa_float_round_mode_32 0
		.amdhsa_float_round_mode_16_64 0
		.amdhsa_float_denorm_mode_32 3
		.amdhsa_float_denorm_mode_16_64 3
		.amdhsa_dx10_clamp 1
		.amdhsa_ieee_mode 1
		.amdhsa_fp16_overflow 0
		.amdhsa_tg_split 0
		.amdhsa_exception_fp_ieee_invalid_op 0
		.amdhsa_exception_fp_denorm_src 0
		.amdhsa_exception_fp_ieee_div_zero 0
		.amdhsa_exception_fp_ieee_overflow 0
		.amdhsa_exception_fp_ieee_underflow 0
		.amdhsa_exception_fp_ieee_inexact 0
		.amdhsa_exception_int_div_zero 0
	.end_amdhsa_kernel
	.section	.text._ZN2at6native28tensor_kernel_scan_outer_dimIdmZZZNS0_31launch_logcumsumexp_cuda_kernelERKNS_10TensorBaseES4_lENKUlvE_clEvENKUlvE_clEvEUlddE_EEvPT_PKS8_jjjS8_T1_,"axG",@progbits,_ZN2at6native28tensor_kernel_scan_outer_dimIdmZZZNS0_31launch_logcumsumexp_cuda_kernelERKNS_10TensorBaseES4_lENKUlvE_clEvENKUlvE_clEvEUlddE_EEvPT_PKS8_jjjS8_T1_,comdat
.Lfunc_end90:
	.size	_ZN2at6native28tensor_kernel_scan_outer_dimIdmZZZNS0_31launch_logcumsumexp_cuda_kernelERKNS_10TensorBaseES4_lENKUlvE_clEvENKUlvE_clEvEUlddE_EEvPT_PKS8_jjjS8_T1_, .Lfunc_end90-_ZN2at6native28tensor_kernel_scan_outer_dimIdmZZZNS0_31launch_logcumsumexp_cuda_kernelERKNS_10TensorBaseES4_lENKUlvE_clEvENKUlvE_clEvEUlddE_EEvPT_PKS8_jjjS8_T1_
                                        ; -- End function
	.section	.AMDGPU.csdata,"",@progbits
; Kernel info:
; codeLenInByte = 1916
; NumSgprs: 64
; NumVgprs: 62
; NumAgprs: 0
; TotalNumVgprs: 62
; ScratchSize: 0
; MemoryBound: 0
; FloatMode: 240
; IeeeMode: 1
; LDSByteSize: 0 bytes/workgroup (compile time only)
; SGPRBlocks: 7
; VGPRBlocks: 7
; NumSGPRsForWavesPerEU: 64
; NumVGPRsForWavesPerEU: 62
; AccumOffset: 64
; Occupancy: 8
; WaveLimiterHint : 0
; COMPUTE_PGM_RSRC2:SCRATCH_EN: 0
; COMPUTE_PGM_RSRC2:USER_SGPR: 2
; COMPUTE_PGM_RSRC2:TRAP_HANDLER: 0
; COMPUTE_PGM_RSRC2:TGID_X_EN: 1
; COMPUTE_PGM_RSRC2:TGID_Y_EN: 1
; COMPUTE_PGM_RSRC2:TGID_Z_EN: 0
; COMPUTE_PGM_RSRC2:TIDIG_COMP_CNT: 0
; COMPUTE_PGM_RSRC3_GFX90A:ACCUM_OFFSET: 15
; COMPUTE_PGM_RSRC3_GFX90A:TG_SPLIT: 0
	.section	.text._ZN7rocprim17ROCPRIM_400000_NS6detail31init_lookback_scan_state_kernelINS1_19lookback_scan_stateIfLb0ELb1EEENS1_16block_id_wrapperIjLb0EEEEEvT_jT0_jPNS7_10value_typeE,"axG",@progbits,_ZN7rocprim17ROCPRIM_400000_NS6detail31init_lookback_scan_state_kernelINS1_19lookback_scan_stateIfLb0ELb1EEENS1_16block_id_wrapperIjLb0EEEEEvT_jT0_jPNS7_10value_typeE,comdat
	.protected	_ZN7rocprim17ROCPRIM_400000_NS6detail31init_lookback_scan_state_kernelINS1_19lookback_scan_stateIfLb0ELb1EEENS1_16block_id_wrapperIjLb0EEEEEvT_jT0_jPNS7_10value_typeE ; -- Begin function _ZN7rocprim17ROCPRIM_400000_NS6detail31init_lookback_scan_state_kernelINS1_19lookback_scan_stateIfLb0ELb1EEENS1_16block_id_wrapperIjLb0EEEEEvT_jT0_jPNS7_10value_typeE
	.globl	_ZN7rocprim17ROCPRIM_400000_NS6detail31init_lookback_scan_state_kernelINS1_19lookback_scan_stateIfLb0ELb1EEENS1_16block_id_wrapperIjLb0EEEEEvT_jT0_jPNS7_10value_typeE
	.p2align	8
	.type	_ZN7rocprim17ROCPRIM_400000_NS6detail31init_lookback_scan_state_kernelINS1_19lookback_scan_stateIfLb0ELb1EEENS1_16block_id_wrapperIjLb0EEEEEvT_jT0_jPNS7_10value_typeE,@function
_ZN7rocprim17ROCPRIM_400000_NS6detail31init_lookback_scan_state_kernelINS1_19lookback_scan_stateIfLb0ELb1EEENS1_16block_id_wrapperIjLb0EEEEEvT_jT0_jPNS7_10value_typeE: ; @_ZN7rocprim17ROCPRIM_400000_NS6detail31init_lookback_scan_state_kernelINS1_19lookback_scan_stateIfLb0ELb1EEENS1_16block_id_wrapperIjLb0EEEEEvT_jT0_jPNS7_10value_typeE
; %bb.0:
	s_load_dword s3, s[0:1], 0x2c
	s_load_dwordx2 s[6:7], s[0:1], 0x18
	s_load_dwordx2 s[4:5], s[0:1], 0x0
	s_load_dword s8, s[0:1], 0x8
	s_waitcnt lgkmcnt(0)
	s_and_b32 s3, s3, 0xffff
	s_mul_i32 s2, s2, s3
	s_cmp_eq_u64 s[6:7], 0
	v_add_u32_e32 v0, s2, v0
	s_cbranch_scc1 .LBB91_6
; %bb.1:
	s_load_dword s2, s[0:1], 0x10
	s_mov_b32 s3, 0
	s_waitcnt lgkmcnt(0)
	s_cmp_lt_u32 s2, s8
	s_cselect_b32 s0, s2, 0
	v_cmp_eq_u32_e32 vcc, s0, v0
	s_and_saveexec_b64 s[0:1], vcc
	s_cbranch_execz .LBB91_5
; %bb.2:
	s_add_i32 s2, s2, 64
	s_lshl_b64 s[2:3], s[2:3], 3
	s_add_u32 s2, s4, s2
	s_addc_u32 s3, s5, s3
	v_mov_b32_e32 v4, 0
	global_load_dwordx2 v[2:3], v4, s[2:3] sc1
	s_waitcnt vmcnt(0)
	v_and_b32_e32 v5, 0xff, v3
	v_cmp_ne_u64_e32 vcc, 0, v[4:5]
	s_cbranch_vccnz .LBB91_4
.LBB91_3:                               ; =>This Inner Loop Header: Depth=1
	global_load_dwordx2 v[2:3], v4, s[2:3] sc1
	s_waitcnt vmcnt(0)
	v_and_b32_e32 v5, 0xff, v3
	v_cmp_eq_u64_e32 vcc, 0, v[4:5]
	s_cbranch_vccnz .LBB91_3
.LBB91_4:
	v_mov_b32_e32 v1, 0
	global_store_dword v1, v2, s[6:7]
.LBB91_5:
	s_or_b64 exec, exec, s[0:1]
.LBB91_6:
	v_cmp_gt_u32_e32 vcc, s8, v0
	s_and_saveexec_b64 s[0:1], vcc
	s_cbranch_execnz .LBB91_9
; %bb.7:
	s_or_b64 exec, exec, s[0:1]
	v_cmp_gt_u32_e32 vcc, 64, v0
	s_and_saveexec_b64 s[0:1], vcc
	s_cbranch_execnz .LBB91_10
.LBB91_8:
	s_endpgm
.LBB91_9:
	v_add_u32_e32 v2, 64, v0
	v_mov_b32_e32 v3, 0
	v_lshl_add_u64 v[4:5], v[2:3], 3, s[4:5]
	v_mov_b32_e32 v2, v3
	global_store_dwordx2 v[4:5], v[2:3], off
	s_or_b64 exec, exec, s[0:1]
	v_cmp_gt_u32_e32 vcc, 64, v0
	s_and_saveexec_b64 s[0:1], vcc
	s_cbranch_execz .LBB91_8
.LBB91_10:
	v_mov_b32_e32 v1, 0
	v_lshl_add_u64 v[2:3], v[0:1], 3, s[4:5]
	v_mov_b32_e32 v5, 0xff
	v_mov_b32_e32 v4, v1
	global_store_dwordx2 v[2:3], v[4:5], off
	s_endpgm
	.section	.rodata,"a",@progbits
	.p2align	6, 0x0
	.amdhsa_kernel _ZN7rocprim17ROCPRIM_400000_NS6detail31init_lookback_scan_state_kernelINS1_19lookback_scan_stateIfLb0ELb1EEENS1_16block_id_wrapperIjLb0EEEEEvT_jT0_jPNS7_10value_typeE
		.amdhsa_group_segment_fixed_size 0
		.amdhsa_private_segment_fixed_size 0
		.amdhsa_kernarg_size 288
		.amdhsa_user_sgpr_count 2
		.amdhsa_user_sgpr_dispatch_ptr 0
		.amdhsa_user_sgpr_queue_ptr 0
		.amdhsa_user_sgpr_kernarg_segment_ptr 1
		.amdhsa_user_sgpr_dispatch_id 0
		.amdhsa_user_sgpr_kernarg_preload_length 0
		.amdhsa_user_sgpr_kernarg_preload_offset 0
		.amdhsa_user_sgpr_private_segment_size 0
		.amdhsa_uses_dynamic_stack 0
		.amdhsa_enable_private_segment 0
		.amdhsa_system_sgpr_workgroup_id_x 1
		.amdhsa_system_sgpr_workgroup_id_y 0
		.amdhsa_system_sgpr_workgroup_id_z 0
		.amdhsa_system_sgpr_workgroup_info 0
		.amdhsa_system_vgpr_workitem_id 0
		.amdhsa_next_free_vgpr 6
		.amdhsa_next_free_sgpr 9
		.amdhsa_accum_offset 8
		.amdhsa_reserve_vcc 1
		.amdhsa_float_round_mode_32 0
		.amdhsa_float_round_mode_16_64 0
		.amdhsa_float_denorm_mode_32 3
		.amdhsa_float_denorm_mode_16_64 3
		.amdhsa_dx10_clamp 1
		.amdhsa_ieee_mode 1
		.amdhsa_fp16_overflow 0
		.amdhsa_tg_split 0
		.amdhsa_exception_fp_ieee_invalid_op 0
		.amdhsa_exception_fp_denorm_src 0
		.amdhsa_exception_fp_ieee_div_zero 0
		.amdhsa_exception_fp_ieee_overflow 0
		.amdhsa_exception_fp_ieee_underflow 0
		.amdhsa_exception_fp_ieee_inexact 0
		.amdhsa_exception_int_div_zero 0
	.end_amdhsa_kernel
	.section	.text._ZN7rocprim17ROCPRIM_400000_NS6detail31init_lookback_scan_state_kernelINS1_19lookback_scan_stateIfLb0ELb1EEENS1_16block_id_wrapperIjLb0EEEEEvT_jT0_jPNS7_10value_typeE,"axG",@progbits,_ZN7rocprim17ROCPRIM_400000_NS6detail31init_lookback_scan_state_kernelINS1_19lookback_scan_stateIfLb0ELb1EEENS1_16block_id_wrapperIjLb0EEEEEvT_jT0_jPNS7_10value_typeE,comdat
.Lfunc_end91:
	.size	_ZN7rocprim17ROCPRIM_400000_NS6detail31init_lookback_scan_state_kernelINS1_19lookback_scan_stateIfLb0ELb1EEENS1_16block_id_wrapperIjLb0EEEEEvT_jT0_jPNS7_10value_typeE, .Lfunc_end91-_ZN7rocprim17ROCPRIM_400000_NS6detail31init_lookback_scan_state_kernelINS1_19lookback_scan_stateIfLb0ELb1EEENS1_16block_id_wrapperIjLb0EEEEEvT_jT0_jPNS7_10value_typeE
                                        ; -- End function
	.section	.AMDGPU.csdata,"",@progbits
; Kernel info:
; codeLenInByte = 300
; NumSgprs: 15
; NumVgprs: 6
; NumAgprs: 0
; TotalNumVgprs: 6
; ScratchSize: 0
; MemoryBound: 0
; FloatMode: 240
; IeeeMode: 1
; LDSByteSize: 0 bytes/workgroup (compile time only)
; SGPRBlocks: 1
; VGPRBlocks: 0
; NumSGPRsForWavesPerEU: 15
; NumVGPRsForWavesPerEU: 6
; AccumOffset: 8
; Occupancy: 8
; WaveLimiterHint : 0
; COMPUTE_PGM_RSRC2:SCRATCH_EN: 0
; COMPUTE_PGM_RSRC2:USER_SGPR: 2
; COMPUTE_PGM_RSRC2:TRAP_HANDLER: 0
; COMPUTE_PGM_RSRC2:TGID_X_EN: 1
; COMPUTE_PGM_RSRC2:TGID_Y_EN: 0
; COMPUTE_PGM_RSRC2:TGID_Z_EN: 0
; COMPUTE_PGM_RSRC2:TIDIG_COMP_CNT: 0
; COMPUTE_PGM_RSRC3_GFX90A:ACCUM_OFFSET: 1
; COMPUTE_PGM_RSRC3_GFX90A:TG_SPLIT: 0
	.section	.text._ZN7rocprim17ROCPRIM_400000_NS6detail17trampoline_kernelINS0_14default_configENS1_20scan_config_selectorIfEEZZNS1_9scan_implILNS1_25lookback_scan_determinismE0ELb0ELb0ES3_PKfPffZZZN2at6native31launch_logcumsumexp_cuda_kernelERKNSB_10TensorBaseESF_lENKUlvE_clEvENKUlvE0_clEvEUlffE_fEEDaPvRmT3_T4_T5_mT6_P12ihipStream_tbENKUlT_T0_E_clISt17integral_constantIbLb0EESW_EEDaSR_SS_EUlSR_E_NS1_11comp_targetILNS1_3genE0ELNS1_11target_archE4294967295ELNS1_3gpuE0ELNS1_3repE0EEENS1_30default_config_static_selectorELNS0_4arch9wavefront6targetE1EEEvT1_,"axG",@progbits,_ZN7rocprim17ROCPRIM_400000_NS6detail17trampoline_kernelINS0_14default_configENS1_20scan_config_selectorIfEEZZNS1_9scan_implILNS1_25lookback_scan_determinismE0ELb0ELb0ES3_PKfPffZZZN2at6native31launch_logcumsumexp_cuda_kernelERKNSB_10TensorBaseESF_lENKUlvE_clEvENKUlvE0_clEvEUlffE_fEEDaPvRmT3_T4_T5_mT6_P12ihipStream_tbENKUlT_T0_E_clISt17integral_constantIbLb0EESW_EEDaSR_SS_EUlSR_E_NS1_11comp_targetILNS1_3genE0ELNS1_11target_archE4294967295ELNS1_3gpuE0ELNS1_3repE0EEENS1_30default_config_static_selectorELNS0_4arch9wavefront6targetE1EEEvT1_,comdat
	.globl	_ZN7rocprim17ROCPRIM_400000_NS6detail17trampoline_kernelINS0_14default_configENS1_20scan_config_selectorIfEEZZNS1_9scan_implILNS1_25lookback_scan_determinismE0ELb0ELb0ES3_PKfPffZZZN2at6native31launch_logcumsumexp_cuda_kernelERKNSB_10TensorBaseESF_lENKUlvE_clEvENKUlvE0_clEvEUlffE_fEEDaPvRmT3_T4_T5_mT6_P12ihipStream_tbENKUlT_T0_E_clISt17integral_constantIbLb0EESW_EEDaSR_SS_EUlSR_E_NS1_11comp_targetILNS1_3genE0ELNS1_11target_archE4294967295ELNS1_3gpuE0ELNS1_3repE0EEENS1_30default_config_static_selectorELNS0_4arch9wavefront6targetE1EEEvT1_ ; -- Begin function _ZN7rocprim17ROCPRIM_400000_NS6detail17trampoline_kernelINS0_14default_configENS1_20scan_config_selectorIfEEZZNS1_9scan_implILNS1_25lookback_scan_determinismE0ELb0ELb0ES3_PKfPffZZZN2at6native31launch_logcumsumexp_cuda_kernelERKNSB_10TensorBaseESF_lENKUlvE_clEvENKUlvE0_clEvEUlffE_fEEDaPvRmT3_T4_T5_mT6_P12ihipStream_tbENKUlT_T0_E_clISt17integral_constantIbLb0EESW_EEDaSR_SS_EUlSR_E_NS1_11comp_targetILNS1_3genE0ELNS1_11target_archE4294967295ELNS1_3gpuE0ELNS1_3repE0EEENS1_30default_config_static_selectorELNS0_4arch9wavefront6targetE1EEEvT1_
	.p2align	8
	.type	_ZN7rocprim17ROCPRIM_400000_NS6detail17trampoline_kernelINS0_14default_configENS1_20scan_config_selectorIfEEZZNS1_9scan_implILNS1_25lookback_scan_determinismE0ELb0ELb0ES3_PKfPffZZZN2at6native31launch_logcumsumexp_cuda_kernelERKNSB_10TensorBaseESF_lENKUlvE_clEvENKUlvE0_clEvEUlffE_fEEDaPvRmT3_T4_T5_mT6_P12ihipStream_tbENKUlT_T0_E_clISt17integral_constantIbLb0EESW_EEDaSR_SS_EUlSR_E_NS1_11comp_targetILNS1_3genE0ELNS1_11target_archE4294967295ELNS1_3gpuE0ELNS1_3repE0EEENS1_30default_config_static_selectorELNS0_4arch9wavefront6targetE1EEEvT1_,@function
_ZN7rocprim17ROCPRIM_400000_NS6detail17trampoline_kernelINS0_14default_configENS1_20scan_config_selectorIfEEZZNS1_9scan_implILNS1_25lookback_scan_determinismE0ELb0ELb0ES3_PKfPffZZZN2at6native31launch_logcumsumexp_cuda_kernelERKNSB_10TensorBaseESF_lENKUlvE_clEvENKUlvE0_clEvEUlffE_fEEDaPvRmT3_T4_T5_mT6_P12ihipStream_tbENKUlT_T0_E_clISt17integral_constantIbLb0EESW_EEDaSR_SS_EUlSR_E_NS1_11comp_targetILNS1_3genE0ELNS1_11target_archE4294967295ELNS1_3gpuE0ELNS1_3repE0EEENS1_30default_config_static_selectorELNS0_4arch9wavefront6targetE1EEEvT1_: ; @_ZN7rocprim17ROCPRIM_400000_NS6detail17trampoline_kernelINS0_14default_configENS1_20scan_config_selectorIfEEZZNS1_9scan_implILNS1_25lookback_scan_determinismE0ELb0ELb0ES3_PKfPffZZZN2at6native31launch_logcumsumexp_cuda_kernelERKNSB_10TensorBaseESF_lENKUlvE_clEvENKUlvE0_clEvEUlffE_fEEDaPvRmT3_T4_T5_mT6_P12ihipStream_tbENKUlT_T0_E_clISt17integral_constantIbLb0EESW_EEDaSR_SS_EUlSR_E_NS1_11comp_targetILNS1_3genE0ELNS1_11target_archE4294967295ELNS1_3gpuE0ELNS1_3repE0EEENS1_30default_config_static_selectorELNS0_4arch9wavefront6targetE1EEEvT1_
; %bb.0:
	.section	.rodata,"a",@progbits
	.p2align	6, 0x0
	.amdhsa_kernel _ZN7rocprim17ROCPRIM_400000_NS6detail17trampoline_kernelINS0_14default_configENS1_20scan_config_selectorIfEEZZNS1_9scan_implILNS1_25lookback_scan_determinismE0ELb0ELb0ES3_PKfPffZZZN2at6native31launch_logcumsumexp_cuda_kernelERKNSB_10TensorBaseESF_lENKUlvE_clEvENKUlvE0_clEvEUlffE_fEEDaPvRmT3_T4_T5_mT6_P12ihipStream_tbENKUlT_T0_E_clISt17integral_constantIbLb0EESW_EEDaSR_SS_EUlSR_E_NS1_11comp_targetILNS1_3genE0ELNS1_11target_archE4294967295ELNS1_3gpuE0ELNS1_3repE0EEENS1_30default_config_static_selectorELNS0_4arch9wavefront6targetE1EEEvT1_
		.amdhsa_group_segment_fixed_size 0
		.amdhsa_private_segment_fixed_size 0
		.amdhsa_kernarg_size 96
		.amdhsa_user_sgpr_count 2
		.amdhsa_user_sgpr_dispatch_ptr 0
		.amdhsa_user_sgpr_queue_ptr 0
		.amdhsa_user_sgpr_kernarg_segment_ptr 1
		.amdhsa_user_sgpr_dispatch_id 0
		.amdhsa_user_sgpr_kernarg_preload_length 0
		.amdhsa_user_sgpr_kernarg_preload_offset 0
		.amdhsa_user_sgpr_private_segment_size 0
		.amdhsa_uses_dynamic_stack 0
		.amdhsa_enable_private_segment 0
		.amdhsa_system_sgpr_workgroup_id_x 1
		.amdhsa_system_sgpr_workgroup_id_y 0
		.amdhsa_system_sgpr_workgroup_id_z 0
		.amdhsa_system_sgpr_workgroup_info 0
		.amdhsa_system_vgpr_workitem_id 0
		.amdhsa_next_free_vgpr 1
		.amdhsa_next_free_sgpr 0
		.amdhsa_accum_offset 4
		.amdhsa_reserve_vcc 0
		.amdhsa_float_round_mode_32 0
		.amdhsa_float_round_mode_16_64 0
		.amdhsa_float_denorm_mode_32 3
		.amdhsa_float_denorm_mode_16_64 3
		.amdhsa_dx10_clamp 1
		.amdhsa_ieee_mode 1
		.amdhsa_fp16_overflow 0
		.amdhsa_tg_split 0
		.amdhsa_exception_fp_ieee_invalid_op 0
		.amdhsa_exception_fp_denorm_src 0
		.amdhsa_exception_fp_ieee_div_zero 0
		.amdhsa_exception_fp_ieee_overflow 0
		.amdhsa_exception_fp_ieee_underflow 0
		.amdhsa_exception_fp_ieee_inexact 0
		.amdhsa_exception_int_div_zero 0
	.end_amdhsa_kernel
	.section	.text._ZN7rocprim17ROCPRIM_400000_NS6detail17trampoline_kernelINS0_14default_configENS1_20scan_config_selectorIfEEZZNS1_9scan_implILNS1_25lookback_scan_determinismE0ELb0ELb0ES3_PKfPffZZZN2at6native31launch_logcumsumexp_cuda_kernelERKNSB_10TensorBaseESF_lENKUlvE_clEvENKUlvE0_clEvEUlffE_fEEDaPvRmT3_T4_T5_mT6_P12ihipStream_tbENKUlT_T0_E_clISt17integral_constantIbLb0EESW_EEDaSR_SS_EUlSR_E_NS1_11comp_targetILNS1_3genE0ELNS1_11target_archE4294967295ELNS1_3gpuE0ELNS1_3repE0EEENS1_30default_config_static_selectorELNS0_4arch9wavefront6targetE1EEEvT1_,"axG",@progbits,_ZN7rocprim17ROCPRIM_400000_NS6detail17trampoline_kernelINS0_14default_configENS1_20scan_config_selectorIfEEZZNS1_9scan_implILNS1_25lookback_scan_determinismE0ELb0ELb0ES3_PKfPffZZZN2at6native31launch_logcumsumexp_cuda_kernelERKNSB_10TensorBaseESF_lENKUlvE_clEvENKUlvE0_clEvEUlffE_fEEDaPvRmT3_T4_T5_mT6_P12ihipStream_tbENKUlT_T0_E_clISt17integral_constantIbLb0EESW_EEDaSR_SS_EUlSR_E_NS1_11comp_targetILNS1_3genE0ELNS1_11target_archE4294967295ELNS1_3gpuE0ELNS1_3repE0EEENS1_30default_config_static_selectorELNS0_4arch9wavefront6targetE1EEEvT1_,comdat
.Lfunc_end92:
	.size	_ZN7rocprim17ROCPRIM_400000_NS6detail17trampoline_kernelINS0_14default_configENS1_20scan_config_selectorIfEEZZNS1_9scan_implILNS1_25lookback_scan_determinismE0ELb0ELb0ES3_PKfPffZZZN2at6native31launch_logcumsumexp_cuda_kernelERKNSB_10TensorBaseESF_lENKUlvE_clEvENKUlvE0_clEvEUlffE_fEEDaPvRmT3_T4_T5_mT6_P12ihipStream_tbENKUlT_T0_E_clISt17integral_constantIbLb0EESW_EEDaSR_SS_EUlSR_E_NS1_11comp_targetILNS1_3genE0ELNS1_11target_archE4294967295ELNS1_3gpuE0ELNS1_3repE0EEENS1_30default_config_static_selectorELNS0_4arch9wavefront6targetE1EEEvT1_, .Lfunc_end92-_ZN7rocprim17ROCPRIM_400000_NS6detail17trampoline_kernelINS0_14default_configENS1_20scan_config_selectorIfEEZZNS1_9scan_implILNS1_25lookback_scan_determinismE0ELb0ELb0ES3_PKfPffZZZN2at6native31launch_logcumsumexp_cuda_kernelERKNSB_10TensorBaseESF_lENKUlvE_clEvENKUlvE0_clEvEUlffE_fEEDaPvRmT3_T4_T5_mT6_P12ihipStream_tbENKUlT_T0_E_clISt17integral_constantIbLb0EESW_EEDaSR_SS_EUlSR_E_NS1_11comp_targetILNS1_3genE0ELNS1_11target_archE4294967295ELNS1_3gpuE0ELNS1_3repE0EEENS1_30default_config_static_selectorELNS0_4arch9wavefront6targetE1EEEvT1_
                                        ; -- End function
	.section	.AMDGPU.csdata,"",@progbits
; Kernel info:
; codeLenInByte = 0
; NumSgprs: 6
; NumVgprs: 0
; NumAgprs: 0
; TotalNumVgprs: 0
; ScratchSize: 0
; MemoryBound: 0
; FloatMode: 240
; IeeeMode: 1
; LDSByteSize: 0 bytes/workgroup (compile time only)
; SGPRBlocks: 0
; VGPRBlocks: 0
; NumSGPRsForWavesPerEU: 6
; NumVGPRsForWavesPerEU: 1
; AccumOffset: 4
; Occupancy: 8
; WaveLimiterHint : 0
; COMPUTE_PGM_RSRC2:SCRATCH_EN: 0
; COMPUTE_PGM_RSRC2:USER_SGPR: 2
; COMPUTE_PGM_RSRC2:TRAP_HANDLER: 0
; COMPUTE_PGM_RSRC2:TGID_X_EN: 1
; COMPUTE_PGM_RSRC2:TGID_Y_EN: 0
; COMPUTE_PGM_RSRC2:TGID_Z_EN: 0
; COMPUTE_PGM_RSRC2:TIDIG_COMP_CNT: 0
; COMPUTE_PGM_RSRC3_GFX90A:ACCUM_OFFSET: 0
; COMPUTE_PGM_RSRC3_GFX90A:TG_SPLIT: 0
	.text
	.p2align	2                               ; -- Begin function _ZZZN7rocprim17ROCPRIM_400000_NS6detail9scan_implILNS1_25lookback_scan_determinismE0ELb0ELb0ENS0_14default_configEPKfPffZZZN2at6native31launch_logcumsumexp_cuda_kernelERKNS8_10TensorBaseESC_lENKUlvE_clEvENKUlvE0_clEvEUlffE_fEEDaPvRmT3_T4_T5_mT6_P12ihipStream_tbENKUlT_T0_E_clISt17integral_constantIbLb0EEST_EEDaSO_SP_ENKUlSO_E_clINS1_13target_configIS4_NS1_20scan_config_selectorIfEENS1_11comp_targetILNS1_3genE5ELNS1_11target_archE942ELNS1_3gpuE9ELNS1_3repE0EEELNS0_4arch9wavefront6targetE1EEEEEDaSO_
	.type	_ZZZN7rocprim17ROCPRIM_400000_NS6detail9scan_implILNS1_25lookback_scan_determinismE0ELb0ELb0ENS0_14default_configEPKfPffZZZN2at6native31launch_logcumsumexp_cuda_kernelERKNS8_10TensorBaseESC_lENKUlvE_clEvENKUlvE0_clEvEUlffE_fEEDaPvRmT3_T4_T5_mT6_P12ihipStream_tbENKUlT_T0_E_clISt17integral_constantIbLb0EEST_EEDaSO_SP_ENKUlSO_E_clINS1_13target_configIS4_NS1_20scan_config_selectorIfEENS1_11comp_targetILNS1_3genE5ELNS1_11target_archE942ELNS1_3gpuE9ELNS1_3repE0EEELNS0_4arch9wavefront6targetE1EEEEEDaSO_,@function
_ZZZN7rocprim17ROCPRIM_400000_NS6detail9scan_implILNS1_25lookback_scan_determinismE0ELb0ELb0ENS0_14default_configEPKfPffZZZN2at6native31launch_logcumsumexp_cuda_kernelERKNS8_10TensorBaseESC_lENKUlvE_clEvENKUlvE0_clEvEUlffE_fEEDaPvRmT3_T4_T5_mT6_P12ihipStream_tbENKUlT_T0_E_clISt17integral_constantIbLb0EEST_EEDaSO_SP_ENKUlSO_E_clINS1_13target_configIS4_NS1_20scan_config_selectorIfEENS1_11comp_targetILNS1_3genE5ELNS1_11target_archE942ELNS1_3gpuE9ELNS1_3repE0EEELNS0_4arch9wavefront6targetE1EEEEEDaSO_: ; @_ZZZN7rocprim17ROCPRIM_400000_NS6detail9scan_implILNS1_25lookback_scan_determinismE0ELb0ELb0ENS0_14default_configEPKfPffZZZN2at6native31launch_logcumsumexp_cuda_kernelERKNS8_10TensorBaseESC_lENKUlvE_clEvENKUlvE0_clEvEUlffE_fEEDaPvRmT3_T4_T5_mT6_P12ihipStream_tbENKUlT_T0_E_clISt17integral_constantIbLb0EEST_EEDaSO_SP_ENKUlSO_E_clINS1_13target_configIS4_NS1_20scan_config_selectorIfEENS1_11comp_targetILNS1_3genE5ELNS1_11target_archE942ELNS1_3gpuE9ELNS1_3repE0EEELNS0_4arch9wavefront6targetE1EEEEEDaSO_
; %bb.0:
	s_waitcnt vmcnt(0) expcnt(0) lgkmcnt(0)
	s_or_saveexec_b64 s[0:1], -1
	scratch_store_dword off, v40, s32       ; 4-byte Folded Spill
	s_mov_b64 exec, s[0:1]
	v_writelane_b32 v40, s30, 0
	s_nop 1
	v_writelane_b32 v40, s31, 1
	flat_load_dwordx4 v[10:13], v[0:1]
	flat_load_dwordx3 v[96:98], v[0:1] offset:40
	flat_load_dwordx4 v[14:17], v[0:1] offset:16
	flat_load_dwordx4 v[2:5], v[0:1] offset:56
	;; [unrolled: 1-line block ×3, first 2 shown]
	s_movk_i32 s0, 0x1800
	s_mov_b32 s63, 0
	v_and_b32_e32 v0, 0x3ff, v31
	s_mul_i32 s62, s12, 0x1800
	s_waitcnt vmcnt(0) lgkmcnt(0)
	v_lshl_add_u64 v[10:11], v[12:13], 2, v[10:11]
	v_add_u32_e32 v1, -1, v98
	v_mul_lo_u32 v20, v1, s0
	v_sub_co_u32_e32 v98, vcc, v16, v20
	v_cmp_ne_u32_e64 s[0:1], s12, v1
	v_lshl_add_u64 v[18:19], s[62:63], 2, v[10:11]
	v_subbrev_co_u32_e32 v99, vcc, 0, v17, vcc
	v_lshlrev_b32_e32 v10, 2, v0
	s_and_saveexec_b64 s[2:3], s[0:1]
	s_xor_b64 s[2:3], exec, s[2:3]
	s_cbranch_execz .LBB93_2
; %bb.1:
	v_mov_b32_e32 v11, 0
	v_lshl_add_u64 v[16:17], v[18:19], 0, v[10:11]
	v_add_co_u32_e32 v18, vcc, 0x1000, v16
	s_nop 1
	v_addc_co_u32_e32 v19, vcc, 0, v17, vcc
	flat_load_dword v1, v[16:17]
	flat_load_dword v11, v[16:17] offset:1024
	flat_load_dword v22, v[16:17] offset:2048
	;; [unrolled: 1-line block ×3, first 2 shown]
	flat_load_dword v24, v[18:19]
	flat_load_dword v25, v[18:19] offset:1024
	flat_load_dword v26, v[18:19] offset:2048
	;; [unrolled: 1-line block ×3, first 2 shown]
	v_add_co_u32_e32 v18, vcc, 0x2000, v16
	s_nop 1
	v_addc_co_u32_e32 v19, vcc, 0, v17, vcc
	v_add_co_u32_e32 v20, vcc, 0x3000, v16
	s_nop 1
	v_addc_co_u32_e32 v21, vcc, 0, v17, vcc
	flat_load_dword v28, v[18:19]
	flat_load_dword v29, v[18:19] offset:1024
	flat_load_dword v30, v[18:19] offset:2048
	;; [unrolled: 1-line block ×3, first 2 shown]
	flat_load_dword v32, v[20:21]
	flat_load_dword v33, v[20:21] offset:1024
	flat_load_dword v34, v[20:21] offset:2048
	;; [unrolled: 1-line block ×3, first 2 shown]
	v_add_co_u32_e32 v18, vcc, 0x4000, v16
	s_nop 1
	v_addc_co_u32_e32 v19, vcc, 0, v17, vcc
	v_add_co_u32_e32 v16, vcc, 0x5000, v16
	s_nop 1
	v_addc_co_u32_e32 v17, vcc, 0, v17, vcc
	flat_load_dword v20, v[18:19]
	flat_load_dword v21, v[18:19] offset:1024
	flat_load_dword v36, v[18:19] offset:2048
	;; [unrolled: 1-line block ×3, first 2 shown]
	flat_load_dword v38, v[16:17]
	flat_load_dword v39, v[16:17] offset:1024
	flat_load_dword v48, v[16:17] offset:2048
	;; [unrolled: 1-line block ×3, first 2 shown]
                                        ; implicit-def: $vgpr18_vgpr19
	s_waitcnt vmcnt(0) lgkmcnt(0)
	ds_write2st64_b32 v10, v1, v11 offset1:4
	ds_write2st64_b32 v10, v22, v23 offset0:8 offset1:12
	ds_write2st64_b32 v10, v24, v25 offset0:16 offset1:20
	;; [unrolled: 1-line block ×11, first 2 shown]
	s_waitcnt lgkmcnt(0)
	s_barrier
.LBB93_2:
	s_andn2_saveexec_b64 s[2:3], s[2:3]
	s_cbranch_execz .LBB93_52
; %bb.3:
	flat_load_dword v1, v[18:19]
	v_cmp_lt_u32_e32 vcc, v0, v98
	s_waitcnt vmcnt(0) lgkmcnt(0)
	v_mov_b32_e32 v16, v1
	s_and_saveexec_b64 s[4:5], vcc
	s_cbranch_execz .LBB93_5
; %bb.4:
	v_mov_b32_e32 v11, 0
	v_lshl_add_u64 v[16:17], v[18:19], 0, v[10:11]
	flat_load_dword v16, v[16:17]
.LBB93_5:
	s_or_b64 exec, exec, s[4:5]
	v_add_u32_e32 v11, 0x100, v0
	v_cmp_lt_u32_e32 vcc, v11, v98
	v_mov_b32_e32 v17, v1
	s_and_saveexec_b64 s[4:5], vcc
	s_cbranch_execz .LBB93_7
; %bb.6:
	v_mov_b32_e32 v11, 0
	v_lshl_add_u64 v[20:21], v[18:19], 0, v[10:11]
	flat_load_dword v17, v[20:21] offset:1024
.LBB93_7:
	s_or_b64 exec, exec, s[4:5]
	v_add_u32_e32 v11, 0x200, v0
	v_cmp_lt_u32_e32 vcc, v11, v98
	v_mov_b32_e32 v20, v1
	s_and_saveexec_b64 s[4:5], vcc
	s_cbranch_execz .LBB93_9
; %bb.8:
	v_mov_b32_e32 v11, 0
	v_lshl_add_u64 v[20:21], v[18:19], 0, v[10:11]
	flat_load_dword v20, v[20:21] offset:2048
.LBB93_9:
	;; [unrolled: 11-line block ×3, first 2 shown]
	s_or_b64 exec, exec, s[4:5]
	v_or_b32_e32 v22, 0x400, v0
	v_cmp_lt_u32_e32 vcc, v22, v98
	v_mov_b32_e32 v21, v1
	s_and_saveexec_b64 s[4:5], vcc
	s_cbranch_execz .LBB93_13
; %bb.12:
	v_lshlrev_b32_e32 v22, 2, v22
	v_mov_b32_e32 v23, 0
	v_lshl_add_u64 v[22:23], v[18:19], 0, v[22:23]
	flat_load_dword v21, v[22:23]
.LBB93_13:
	s_or_b64 exec, exec, s[4:5]
	v_add_u32_e32 v23, 0x500, v0
	v_cmp_lt_u32_e32 vcc, v23, v98
	v_mov_b32_e32 v22, v1
	s_and_saveexec_b64 s[4:5], vcc
	s_cbranch_execz .LBB93_15
; %bb.14:
	v_lshlrev_b32_e32 v22, 2, v23
	v_mov_b32_e32 v23, 0
	v_lshl_add_u64 v[22:23], v[18:19], 0, v[22:23]
	flat_load_dword v22, v[22:23]
.LBB93_15:
	s_or_b64 exec, exec, s[4:5]
	v_add_u32_e32 v24, 0x600, v0
	v_cmp_lt_u32_e32 vcc, v24, v98
	v_mov_b32_e32 v23, v1
	s_and_saveexec_b64 s[4:5], vcc
	s_cbranch_execz .LBB93_17
; %bb.16:
	v_lshlrev_b32_e32 v24, 2, v24
	v_mov_b32_e32 v25, 0
	v_lshl_add_u64 v[24:25], v[18:19], 0, v[24:25]
	flat_load_dword v23, v[24:25]
.LBB93_17:
	s_or_b64 exec, exec, s[4:5]
	v_add_u32_e32 v25, 0x700, v0
	v_cmp_lt_u32_e32 vcc, v25, v98
	v_mov_b32_e32 v24, v1
	s_and_saveexec_b64 s[4:5], vcc
	s_cbranch_execz .LBB93_19
; %bb.18:
	v_lshlrev_b32_e32 v24, 2, v25
	v_mov_b32_e32 v25, 0
	v_lshl_add_u64 v[24:25], v[18:19], 0, v[24:25]
	flat_load_dword v24, v[24:25]
.LBB93_19:
	s_or_b64 exec, exec, s[4:5]
	v_or_b32_e32 v26, 0x800, v0
	v_cmp_lt_u32_e32 vcc, v26, v98
	v_mov_b32_e32 v25, v1
	s_and_saveexec_b64 s[4:5], vcc
	s_cbranch_execz .LBB93_21
; %bb.20:
	v_lshlrev_b32_e32 v26, 2, v26
	v_mov_b32_e32 v27, 0
	v_lshl_add_u64 v[26:27], v[18:19], 0, v[26:27]
	flat_load_dword v25, v[26:27]
.LBB93_21:
	s_or_b64 exec, exec, s[4:5]
	v_add_u32_e32 v27, 0x900, v0
	v_cmp_lt_u32_e32 vcc, v27, v98
	v_mov_b32_e32 v26, v1
	s_and_saveexec_b64 s[4:5], vcc
	s_cbranch_execz .LBB93_23
; %bb.22:
	v_lshlrev_b32_e32 v26, 2, v27
	v_mov_b32_e32 v27, 0
	v_lshl_add_u64 v[26:27], v[18:19], 0, v[26:27]
	flat_load_dword v26, v[26:27]
.LBB93_23:
	s_or_b64 exec, exec, s[4:5]
	v_add_u32_e32 v28, 0xa00, v0
	v_cmp_lt_u32_e32 vcc, v28, v98
	v_mov_b32_e32 v27, v1
	s_and_saveexec_b64 s[4:5], vcc
	s_cbranch_execz .LBB93_25
; %bb.24:
	v_lshlrev_b32_e32 v28, 2, v28
	v_mov_b32_e32 v29, 0
	v_lshl_add_u64 v[28:29], v[18:19], 0, v[28:29]
	flat_load_dword v27, v[28:29]
.LBB93_25:
	s_or_b64 exec, exec, s[4:5]
	v_add_u32_e32 v29, 0xb00, v0
	v_cmp_lt_u32_e32 vcc, v29, v98
	v_mov_b32_e32 v28, v1
	s_and_saveexec_b64 s[4:5], vcc
	s_cbranch_execz .LBB93_27
; %bb.26:
	v_lshlrev_b32_e32 v28, 2, v29
	v_mov_b32_e32 v29, 0
	v_lshl_add_u64 v[28:29], v[18:19], 0, v[28:29]
	flat_load_dword v28, v[28:29]
.LBB93_27:
	s_or_b64 exec, exec, s[4:5]
	v_or_b32_e32 v30, 0xc00, v0
	v_cmp_lt_u32_e32 vcc, v30, v98
	v_mov_b32_e32 v29, v1
	s_and_saveexec_b64 s[4:5], vcc
	s_cbranch_execz .LBB93_29
; %bb.28:
	v_lshlrev_b32_e32 v30, 2, v30
	v_mov_b32_e32 v31, 0
	v_lshl_add_u64 v[30:31], v[18:19], 0, v[30:31]
	flat_load_dword v29, v[30:31]
.LBB93_29:
	s_or_b64 exec, exec, s[4:5]
	v_add_u32_e32 v31, 0xd00, v0
	v_cmp_lt_u32_e32 vcc, v31, v98
	v_mov_b32_e32 v30, v1
	s_and_saveexec_b64 s[4:5], vcc
	s_cbranch_execz .LBB93_31
; %bb.30:
	v_lshlrev_b32_e32 v30, 2, v31
	v_mov_b32_e32 v31, 0
	v_lshl_add_u64 v[30:31], v[18:19], 0, v[30:31]
	flat_load_dword v30, v[30:31]
.LBB93_31:
	s_or_b64 exec, exec, s[4:5]
	v_add_u32_e32 v32, 0xe00, v0
	v_cmp_lt_u32_e32 vcc, v32, v98
	v_mov_b32_e32 v31, v1
	s_and_saveexec_b64 s[4:5], vcc
	s_cbranch_execz .LBB93_33
; %bb.32:
	v_lshlrev_b32_e32 v32, 2, v32
	v_mov_b32_e32 v33, 0
	v_lshl_add_u64 v[32:33], v[18:19], 0, v[32:33]
	flat_load_dword v31, v[32:33]
.LBB93_33:
	s_or_b64 exec, exec, s[4:5]
	v_add_u32_e32 v33, 0xf00, v0
	v_cmp_lt_u32_e32 vcc, v33, v98
	v_mov_b32_e32 v32, v1
	s_and_saveexec_b64 s[4:5], vcc
	s_cbranch_execz .LBB93_35
; %bb.34:
	v_lshlrev_b32_e32 v32, 2, v33
	v_mov_b32_e32 v33, 0
	v_lshl_add_u64 v[32:33], v[18:19], 0, v[32:33]
	flat_load_dword v32, v[32:33]
.LBB93_35:
	s_or_b64 exec, exec, s[4:5]
	v_or_b32_e32 v34, 0x1000, v0
	v_cmp_lt_u32_e32 vcc, v34, v98
	v_mov_b32_e32 v33, v1
	s_and_saveexec_b64 s[4:5], vcc
	s_cbranch_execz .LBB93_37
; %bb.36:
	v_lshlrev_b32_e32 v34, 2, v34
	v_mov_b32_e32 v35, 0
	v_lshl_add_u64 v[34:35], v[18:19], 0, v[34:35]
	flat_load_dword v33, v[34:35]
.LBB93_37:
	s_or_b64 exec, exec, s[4:5]
	v_add_u32_e32 v35, 0x1100, v0
	v_cmp_lt_u32_e32 vcc, v35, v98
	v_mov_b32_e32 v34, v1
	s_and_saveexec_b64 s[4:5], vcc
	s_cbranch_execz .LBB93_39
; %bb.38:
	v_lshlrev_b32_e32 v34, 2, v35
	v_mov_b32_e32 v35, 0
	v_lshl_add_u64 v[34:35], v[18:19], 0, v[34:35]
	flat_load_dword v34, v[34:35]
.LBB93_39:
	s_or_b64 exec, exec, s[4:5]
	v_add_u32_e32 v36, 0x1200, v0
	v_cmp_lt_u32_e32 vcc, v36, v98
	v_mov_b32_e32 v35, v1
	s_and_saveexec_b64 s[4:5], vcc
	s_cbranch_execz .LBB93_41
; %bb.40:
	v_lshlrev_b32_e32 v36, 2, v36
	v_mov_b32_e32 v37, 0
	v_lshl_add_u64 v[36:37], v[18:19], 0, v[36:37]
	flat_load_dword v35, v[36:37]
.LBB93_41:
	s_or_b64 exec, exec, s[4:5]
	v_add_u32_e32 v37, 0x1300, v0
	v_cmp_lt_u32_e32 vcc, v37, v98
	v_mov_b32_e32 v36, v1
	s_and_saveexec_b64 s[4:5], vcc
	s_cbranch_execz .LBB93_43
; %bb.42:
	v_lshlrev_b32_e32 v36, 2, v37
	v_mov_b32_e32 v37, 0
	v_lshl_add_u64 v[36:37], v[18:19], 0, v[36:37]
	flat_load_dword v36, v[36:37]
.LBB93_43:
	s_or_b64 exec, exec, s[4:5]
	v_or_b32_e32 v38, 0x1400, v0
	v_cmp_lt_u32_e32 vcc, v38, v98
	v_mov_b32_e32 v37, v1
	s_and_saveexec_b64 s[4:5], vcc
	s_cbranch_execz .LBB93_45
; %bb.44:
	v_lshlrev_b32_e32 v38, 2, v38
	v_mov_b32_e32 v39, 0
	v_lshl_add_u64 v[38:39], v[18:19], 0, v[38:39]
	flat_load_dword v37, v[38:39]
.LBB93_45:
	s_or_b64 exec, exec, s[4:5]
	v_add_u32_e32 v39, 0x1500, v0
	v_cmp_lt_u32_e32 vcc, v39, v98
	v_mov_b32_e32 v38, v1
	s_and_saveexec_b64 s[4:5], vcc
	s_cbranch_execz .LBB93_47
; %bb.46:
	v_lshlrev_b32_e32 v38, 2, v39
	v_mov_b32_e32 v39, 0
	v_lshl_add_u64 v[38:39], v[18:19], 0, v[38:39]
	flat_load_dword v38, v[38:39]
.LBB93_47:
	s_or_b64 exec, exec, s[4:5]
	v_add_u32_e32 v48, 0x1600, v0
	;; [unrolled: 12-line block ×3, first 2 shown]
	v_cmp_lt_u32_e32 vcc, v48, v98
	s_and_saveexec_b64 s[4:5], vcc
	s_cbranch_execz .LBB93_51
; %bb.50:
	v_lshlrev_b32_e32 v48, 2, v48
	v_mov_b32_e32 v49, 0
	v_lshl_add_u64 v[18:19], v[18:19], 0, v[48:49]
	flat_load_dword v1, v[18:19]
.LBB93_51:
	s_or_b64 exec, exec, s[4:5]
	s_waitcnt vmcnt(0) lgkmcnt(0)
	ds_write2st64_b32 v10, v16, v17 offset1:4
	ds_write2st64_b32 v10, v20, v11 offset0:8 offset1:12
	ds_write2st64_b32 v10, v21, v22 offset0:16 offset1:20
	;; [unrolled: 1-line block ×11, first 2 shown]
	s_waitcnt lgkmcnt(0)
	s_barrier
.LBB93_52:
	s_or_b64 exec, exec, s[2:3]
	v_mul_u32_u24_e32 v100, 24, v0
	v_lshlrev_b32_e32 v1, 2, v100
	ds_read_b128 v[16:19], v1
	ds_read_b128 v[36:39], v1 offset:16
	ds_read_b128 v[32:35], v1 offset:32
	;; [unrolled: 1-line block ×5, first 2 shown]
	s_cmp_lg_u32 s12, 0
	s_waitcnt lgkmcnt(5)
	v_cmp_u_f32_e64 s[2:3], v17, v17
	v_max_f32_e32 v11, v17, v17
	s_waitcnt lgkmcnt(0)
	s_barrier
	s_cbranch_scc0 .LBB93_265
; %bb.53:
	v_max_f32_e32 v119, v16, v16
	v_min_f32_e32 v48, v119, v11
	v_cmp_u_f32_e64 s[50:51], v16, v16
	s_movk_i32 s6, 0x1f8
	v_mov_b32_e32 v128, v16
	v_cndmask_b32_e64 v48, v48, v16, s[50:51]
	v_cndmask_b32_e64 v49, v48, v17, s[2:3]
	v_max_f32_e32 v48, v119, v11
	v_cndmask_b32_e64 v48, v48, v16, s[50:51]
	v_cndmask_b32_e64 v48, v48, v17, s[2:3]
	v_cmp_neq_f32_e32 vcc, v49, v48
	v_cmp_class_f32_e64 s[4:5], v49, s6
	s_or_b64 s[8:9], vcc, s[4:5]
	s_and_saveexec_b64 s[4:5], s[8:9]
	s_cbranch_execz .LBB93_55
; %bb.54:
	v_sub_f32_e32 v49, v49, v48
	s_mov_b32 s7, 0x3fb8aa3b
	v_mul_f32_e32 v50, 0x3fb8aa3b, v49
	v_fma_f32 v51, v49, s7, -v50
	v_rndne_f32_e32 v52, v50
	v_fmamk_f32 v51, v49, 0x32a5705f, v51
	v_sub_f32_e32 v50, v50, v52
	v_add_f32_e32 v50, v50, v51
	v_exp_f32_e32 v50, v50
	v_cvt_i32_f32_e32 v51, v52
	s_mov_b32 s7, 0xc2ce8ed0
	v_cmp_ngt_f32_e32 vcc, s7, v49
	s_mov_b32 s7, 0x42b17218
	v_ldexp_f32 v50, v50, v51
	v_cndmask_b32_e32 v50, 0, v50, vcc
	v_mov_b32_e32 v51, 0x7f800000
	v_cmp_nlt_f32_e32 vcc, s7, v49
	s_mov_b32 s7, 0x3f2aaaab
	s_mov_b32 s8, 0x7f800000
	v_cndmask_b32_e32 v82, v51, v50, vcc
	v_add_f32_e32 v49, 1.0, v82
	v_add_f32_e32 v50, -1.0, v49
	v_sub_f32_e32 v51, v50, v49
	v_add_f32_e32 v51, 1.0, v51
	v_sub_f32_e32 v50, v82, v50
	v_add_f32_e32 v52, v50, v51
	v_frexp_mant_f32_e32 v53, v49
	v_cvt_f64_f32_e32 v[50:51], v49
	v_frexp_exp_i32_f64_e32 v50, v[50:51]
	v_cmp_gt_f32_e32 vcc, s7, v53
	s_mov_b32 s7, 0x3f317218
	s_nop 0
	v_subbrev_co_u32_e32 v66, vcc, 0, v50, vcc
	v_sub_u32_e32 v50, 0, v66
	v_ldexp_f32 v49, v49, v50
	v_ldexp_f32 v50, v52, v50
	v_add_f32_e32 v52, -1.0, v49
	v_add_f32_e32 v51, 1.0, v52
	v_sub_f32_e32 v51, v49, v51
	v_add_f32_e32 v53, v50, v51
	v_add_f32_e32 v51, 1.0, v49
	v_add_f32_e32 v54, -1.0, v51
	v_sub_f32_e32 v49, v49, v54
	v_add_f32_e32 v49, v50, v49
	v_add_f32_e32 v67, v51, v49
	v_rcp_f32_e32 v68, v67
	v_sub_f32_e32 v50, v51, v67
	v_add_f32_e32 v51, v52, v53
	v_add_f32_e32 v49, v49, v50
	v_mul_f32_e32 v70, v51, v68
	v_sub_f32_e32 v50, v52, v51
	v_mul_f32_e32 v52, v67, v70
	v_fma_f32 v54, v70, v67, -v52
	v_fmac_f32_e32 v54, v70, v49
	v_add_f32_e32 v69, v53, v50
	v_add_f32_e32 v50, v52, v54
	v_sub_f32_e32 v53, v51, v50
	v_pk_add_f32 v[64:65], v[50:51], v[52:53] neg_lo:[0,1] neg_hi:[0,1]
	v_mov_b32_e32 v55, v50
	v_pk_add_f32 v[50:51], v[64:65], v[54:55] neg_lo:[0,1] neg_hi:[0,1]
	v_cmp_eq_f32_e32 vcc, s8, v82
	v_add_f32_e32 v51, v69, v51
	v_add_f32_e32 v50, v50, v51
	;; [unrolled: 1-line block ×3, first 2 shown]
	v_mul_f32_e32 v69, v68, v51
	v_mul_f32_e32 v52, v67, v69
	v_fma_f32 v54, v69, v67, -v52
	v_fmac_f32_e32 v54, v69, v49
	v_sub_f32_e32 v49, v53, v51
	v_add_f32_e32 v49, v50, v49
	v_add_f32_e32 v50, v52, v54
	v_sub_f32_e32 v53, v51, v50
	v_pk_add_f32 v[64:65], v[50:51], v[52:53] neg_lo:[0,1] neg_hi:[0,1]
	v_mov_b32_e32 v55, v50
	v_pk_add_f32 v[50:51], v[64:65], v[54:55] neg_lo:[0,1] neg_hi:[0,1]
	v_cvt_f32_i32_e32 v52, v66
	v_add_f32_e32 v49, v49, v51
	v_add_f32_e32 v49, v50, v49
	;; [unrolled: 1-line block ×4, first 2 shown]
	v_sub_f32_e32 v51, v50, v70
	v_mul_f32_e32 v49, v68, v49
	v_sub_f32_e32 v51, v69, v51
	v_add_f32_e32 v49, v51, v49
	v_add_f32_e32 v53, v50, v49
	v_mul_f32_e32 v54, v53, v53
	v_mov_b32_e32 v51, 0x3ecc95a3
	v_fmac_f32_e32 v51, 0x3e9b6dac, v54
	v_sub_f32_e32 v50, v53, v50
	v_fmaak_f32 v51, v54, v51, 0x3f2aaada
	v_sub_f32_e32 v49, v49, v50
	v_ldexp_f32 v55, v53, 1
	v_mul_f32_e32 v53, v53, v54
	v_mov_b32_e32 v50, 0x3f317218
	v_pk_mul_f32 v[50:51], v[52:53], v[50:51]
	v_ldexp_f32 v49, v49, 1
	v_fma_f32 v53, v52, s7, -v50
	v_fmamk_f32 v54, v52, 0xb102e308, v53
	v_pk_add_f32 v[52:53], v[50:51], v[54:55]
	v_mov_b32_e32 v64, v50
	v_sub_f32_e32 v55, v53, v55
	v_sub_f32_e32 v55, v51, v55
	v_add_f32_e32 v65, v49, v55
	v_pk_add_f32 v[50:51], v[52:53], v[50:51] neg_lo:[0,1] neg_hi:[0,1]
	v_pk_add_f32 v[66:67], v[52:53], v[64:65]
	v_mov_b32_e32 v55, v52
	v_mov_b32_e32 v51, v67
	v_pk_add_f32 v[68:69], v[54:55], v[50:51] neg_lo:[0,1] neg_hi:[0,1]
	v_pk_add_f32 v[50:51], v[54:55], v[50:51]
	v_mov_b32_e32 v64, v65
	v_mov_b32_e32 v54, v51
	v_pk_add_f32 v[70:71], v[54:55], v[52:53] neg_lo:[0,1] neg_hi:[0,1]
	v_mov_b32_e32 v50, v67
	v_mov_b32_e32 v49, v70
	v_pk_add_f32 v[80:81], v[66:67], v[48:49] neg_lo:[0,1] neg_hi:[0,1]
	v_mov_b32_e32 v66, v53
	v_mov_b32_e32 v67, v70
	;; [unrolled: 1-line block ×3, first 2 shown]
	v_pk_add_f32 v[50:51], v[50:51], v[66:67] neg_lo:[0,1] neg_hi:[0,1]
	v_mov_b32_e32 v65, v52
	v_pk_add_f32 v[50:51], v[64:65], v[50:51] neg_lo:[0,1] neg_hi:[0,1]
	v_mov_b32_e32 v80, v68
	v_pk_add_f32 v[52:53], v[80:81], v[50:51]
	s_mov_b32 s7, 0x33800000
	v_mov_b32_e32 v64, v53
	v_pk_add_f32 v[64:65], v[52:53], v[64:65]
	v_cmp_lt_f32_e64 s[8:9], |v82|, s7
	v_pk_add_f32 v[54:55], v[54:55], v[64:65]
	v_mov_b32_e32 v51, v64
	v_mov_b32_e32 v53, v54
	v_pk_add_f32 v[66:67], v[52:53], v[68:69] neg_lo:[0,1] neg_hi:[0,1]
	s_or_b64 vcc, vcc, s[8:9]
	v_sub_f32_e32 v49, v52, v66
	v_pk_add_f32 v[50:51], v[50:51], v[66:67] neg_lo:[0,1] neg_hi:[0,1]
	v_sub_f32_e32 v49, v68, v49
	v_add_f32_e32 v49, v50, v49
	v_add_f32_e32 v49, v49, v51
	;; [unrolled: 1-line block ×3, first 2 shown]
	v_cndmask_b32_e32 v49, v49, v82, vcc
	v_add_f32_e32 v128, v48, v49
.LBB93_55:
	s_or_b64 exec, exec, s[4:5]
	v_max_f32_e32 v68, v18, v18
	v_max_f32_e32 v48, v128, v128
	v_min_f32_e32 v49, v48, v68
	v_cmp_u_f32_e32 vcc, v128, v128
	v_max_f32_e32 v48, v48, v68
	v_cmp_u_f32_e64 s[4:5], v18, v18
	v_cndmask_b32_e32 v49, v49, v128, vcc
	v_cndmask_b32_e32 v48, v48, v128, vcc
	v_cndmask_b32_e64 v49, v49, v18, s[4:5]
	v_cndmask_b32_e64 v48, v48, v18, s[4:5]
	v_cmp_neq_f32_e32 vcc, v49, v48
	v_cmp_class_f32_e64 s[6:7], v49, s6
	s_or_b64 s[8:9], vcc, s[6:7]
	s_and_saveexec_b64 s[6:7], s[8:9]
	s_cbranch_execz .LBB93_57
; %bb.56:
	v_sub_f32_e32 v49, v49, v48
	s_mov_b32 s8, 0x3fb8aa3b
	v_mul_f32_e32 v50, 0x3fb8aa3b, v49
	v_fma_f32 v51, v49, s8, -v50
	v_rndne_f32_e32 v52, v50
	v_fmamk_f32 v51, v49, 0x32a5705f, v51
	v_sub_f32_e32 v50, v50, v52
	v_add_f32_e32 v50, v50, v51
	v_exp_f32_e32 v50, v50
	v_cvt_i32_f32_e32 v51, v52
	s_mov_b32 s8, 0xc2ce8ed0
	v_cmp_ngt_f32_e32 vcc, s8, v49
	s_mov_b32 s8, 0x42b17218
	v_ldexp_f32 v50, v50, v51
	v_cndmask_b32_e32 v50, 0, v50, vcc
	v_mov_b32_e32 v51, 0x7f800000
	v_cmp_nlt_f32_e32 vcc, s8, v49
	s_mov_b32 s8, 0x3f2aaaab
	s_mov_b32 s9, 0x7f800000
	v_cndmask_b32_e32 v69, v51, v50, vcc
	v_add_f32_e32 v49, 1.0, v69
	v_add_f32_e32 v50, -1.0, v49
	v_sub_f32_e32 v51, v50, v49
	v_add_f32_e32 v51, 1.0, v51
	v_sub_f32_e32 v50, v69, v50
	v_add_f32_e32 v52, v50, v51
	v_frexp_mant_f32_e32 v53, v49
	v_cvt_f64_f32_e32 v[50:51], v49
	v_frexp_exp_i32_f64_e32 v50, v[50:51]
	v_cmp_gt_f32_e32 vcc, s8, v53
	s_mov_b32 s8, 0x3f317218
	s_nop 0
	v_subbrev_co_u32_e32 v66, vcc, 0, v50, vcc
	v_sub_u32_e32 v50, 0, v66
	v_ldexp_f32 v49, v49, v50
	v_ldexp_f32 v50, v52, v50
	v_add_f32_e32 v52, -1.0, v49
	v_add_f32_e32 v51, 1.0, v52
	v_sub_f32_e32 v51, v49, v51
	v_add_f32_e32 v53, v50, v51
	v_add_f32_e32 v51, 1.0, v49
	v_add_f32_e32 v54, -1.0, v51
	v_sub_f32_e32 v49, v49, v54
	v_add_f32_e32 v49, v50, v49
	v_add_f32_e32 v67, v51, v49
	v_rcp_f32_e32 v70, v67
	v_sub_f32_e32 v50, v51, v67
	v_add_f32_e32 v51, v52, v53
	v_add_f32_e32 v49, v49, v50
	v_mul_f32_e32 v80, v51, v70
	v_sub_f32_e32 v50, v52, v51
	v_mul_f32_e32 v52, v67, v80
	v_fma_f32 v54, v80, v67, -v52
	v_fmac_f32_e32 v54, v80, v49
	v_add_f32_e32 v71, v53, v50
	v_add_f32_e32 v50, v52, v54
	v_sub_f32_e32 v53, v51, v50
	v_pk_add_f32 v[64:65], v[50:51], v[52:53] neg_lo:[0,1] neg_hi:[0,1]
	v_mov_b32_e32 v55, v50
	v_pk_add_f32 v[50:51], v[64:65], v[54:55] neg_lo:[0,1] neg_hi:[0,1]
	v_cmp_eq_f32_e32 vcc, s9, v69
	v_add_f32_e32 v51, v71, v51
	v_add_f32_e32 v50, v50, v51
	;; [unrolled: 1-line block ×3, first 2 shown]
	v_mul_f32_e32 v71, v70, v51
	v_mul_f32_e32 v52, v67, v71
	v_fma_f32 v54, v71, v67, -v52
	v_fmac_f32_e32 v54, v71, v49
	v_sub_f32_e32 v49, v53, v51
	v_add_f32_e32 v49, v50, v49
	v_add_f32_e32 v50, v52, v54
	v_sub_f32_e32 v53, v51, v50
	v_pk_add_f32 v[64:65], v[50:51], v[52:53] neg_lo:[0,1] neg_hi:[0,1]
	v_mov_b32_e32 v55, v50
	v_pk_add_f32 v[50:51], v[64:65], v[54:55] neg_lo:[0,1] neg_hi:[0,1]
	v_cvt_f32_i32_e32 v52, v66
	v_add_f32_e32 v49, v49, v51
	v_add_f32_e32 v49, v50, v49
	v_add_f32_e32 v50, v80, v71
	v_add_f32_e32 v49, v53, v49
	v_sub_f32_e32 v51, v50, v80
	v_mul_f32_e32 v49, v70, v49
	v_sub_f32_e32 v51, v71, v51
	v_add_f32_e32 v49, v51, v49
	v_add_f32_e32 v53, v50, v49
	v_mul_f32_e32 v54, v53, v53
	v_mov_b32_e32 v51, 0x3ecc95a3
	v_fmac_f32_e32 v51, 0x3e9b6dac, v54
	v_sub_f32_e32 v50, v53, v50
	v_fmaak_f32 v51, v54, v51, 0x3f2aaada
	v_sub_f32_e32 v49, v49, v50
	v_ldexp_f32 v55, v53, 1
	v_mul_f32_e32 v53, v53, v54
	v_mov_b32_e32 v50, 0x3f317218
	v_pk_mul_f32 v[50:51], v[52:53], v[50:51]
	v_ldexp_f32 v49, v49, 1
	v_fma_f32 v53, v52, s8, -v50
	v_fmamk_f32 v54, v52, 0xb102e308, v53
	v_pk_add_f32 v[52:53], v[50:51], v[54:55]
	v_mov_b32_e32 v64, v50
	v_sub_f32_e32 v55, v53, v55
	v_sub_f32_e32 v55, v51, v55
	v_add_f32_e32 v65, v49, v55
	v_pk_add_f32 v[50:51], v[52:53], v[50:51] neg_lo:[0,1] neg_hi:[0,1]
	v_pk_add_f32 v[66:67], v[52:53], v[64:65]
	v_mov_b32_e32 v55, v52
	v_mov_b32_e32 v51, v67
	v_pk_add_f32 v[70:71], v[54:55], v[50:51] neg_lo:[0,1] neg_hi:[0,1]
	v_pk_add_f32 v[50:51], v[54:55], v[50:51]
	v_mov_b32_e32 v64, v65
	v_mov_b32_e32 v54, v51
	v_pk_add_f32 v[80:81], v[54:55], v[52:53] neg_lo:[0,1] neg_hi:[0,1]
	v_mov_b32_e32 v50, v67
	v_mov_b32_e32 v49, v80
	v_pk_add_f32 v[82:83], v[66:67], v[48:49] neg_lo:[0,1] neg_hi:[0,1]
	v_mov_b32_e32 v66, v53
	v_mov_b32_e32 v67, v80
	;; [unrolled: 1-line block ×3, first 2 shown]
	v_pk_add_f32 v[50:51], v[50:51], v[66:67] neg_lo:[0,1] neg_hi:[0,1]
	v_mov_b32_e32 v65, v52
	v_pk_add_f32 v[50:51], v[64:65], v[50:51] neg_lo:[0,1] neg_hi:[0,1]
	v_mov_b32_e32 v82, v70
	v_pk_add_f32 v[52:53], v[82:83], v[50:51]
	s_mov_b32 s8, 0x33800000
	v_mov_b32_e32 v64, v53
	v_pk_add_f32 v[64:65], v[52:53], v[64:65]
	v_cmp_lt_f32_e64 s[8:9], |v69|, s8
	v_pk_add_f32 v[54:55], v[54:55], v[64:65]
	v_mov_b32_e32 v51, v64
	v_mov_b32_e32 v53, v54
	v_pk_add_f32 v[66:67], v[52:53], v[70:71] neg_lo:[0,1] neg_hi:[0,1]
	s_or_b64 vcc, vcc, s[8:9]
	v_sub_f32_e32 v49, v52, v66
	v_pk_add_f32 v[50:51], v[50:51], v[66:67] neg_lo:[0,1] neg_hi:[0,1]
	v_sub_f32_e32 v49, v70, v49
	v_add_f32_e32 v49, v50, v49
	v_add_f32_e32 v49, v49, v51
	;; [unrolled: 1-line block ×3, first 2 shown]
	v_cndmask_b32_e32 v49, v49, v69, vcc
	v_add_f32_e32 v128, v48, v49
.LBB93_57:
	s_or_b64 exec, exec, s[6:7]
	v_max_f32_e32 v69, v19, v19
	v_max_f32_e32 v48, v128, v128
	v_min_f32_e32 v49, v48, v69
	v_cmp_u_f32_e32 vcc, v128, v128
	v_max_f32_e32 v48, v48, v69
	v_cmp_u_f32_e64 s[6:7], v19, v19
	v_cndmask_b32_e32 v49, v49, v128, vcc
	v_cndmask_b32_e32 v48, v48, v128, vcc
	v_cndmask_b32_e64 v49, v49, v19, s[6:7]
	v_cndmask_b32_e64 v48, v48, v19, s[6:7]
	s_movk_i32 s10, 0x1f8
	v_cmp_neq_f32_e32 vcc, v49, v48
	v_cmp_class_f32_e64 s[8:9], v49, s10
	s_or_b64 s[14:15], vcc, s[8:9]
	s_and_saveexec_b64 s[8:9], s[14:15]
	s_cbranch_execz .LBB93_59
; %bb.58:
	v_sub_f32_e32 v49, v49, v48
	s_mov_b32 s11, 0x3fb8aa3b
	v_mul_f32_e32 v50, 0x3fb8aa3b, v49
	v_fma_f32 v51, v49, s11, -v50
	v_rndne_f32_e32 v52, v50
	v_fmamk_f32 v51, v49, 0x32a5705f, v51
	v_sub_f32_e32 v50, v50, v52
	v_add_f32_e32 v50, v50, v51
	v_exp_f32_e32 v50, v50
	v_cvt_i32_f32_e32 v51, v52
	s_mov_b32 s11, 0xc2ce8ed0
	v_cmp_ngt_f32_e32 vcc, s11, v49
	s_mov_b32 s11, 0x42b17218
	v_ldexp_f32 v50, v50, v51
	v_cndmask_b32_e32 v50, 0, v50, vcc
	v_mov_b32_e32 v51, 0x7f800000
	v_cmp_nlt_f32_e32 vcc, s11, v49
	s_mov_b32 s11, 0x3f2aaaab
	s_mov_b32 s13, 0x7f800000
	v_cndmask_b32_e32 v84, v51, v50, vcc
	v_add_f32_e32 v49, 1.0, v84
	v_add_f32_e32 v50, -1.0, v49
	v_sub_f32_e32 v51, v50, v49
	v_add_f32_e32 v51, 1.0, v51
	v_sub_f32_e32 v50, v84, v50
	v_add_f32_e32 v52, v50, v51
	v_frexp_mant_f32_e32 v53, v49
	v_cvt_f64_f32_e32 v[50:51], v49
	v_frexp_exp_i32_f64_e32 v50, v[50:51]
	v_cmp_gt_f32_e32 vcc, s11, v53
	s_mov_b32 s11, 0x3f317218
	s_nop 0
	v_subbrev_co_u32_e32 v66, vcc, 0, v50, vcc
	v_sub_u32_e32 v50, 0, v66
	v_ldexp_f32 v49, v49, v50
	v_ldexp_f32 v50, v52, v50
	v_add_f32_e32 v52, -1.0, v49
	v_add_f32_e32 v51, 1.0, v52
	v_sub_f32_e32 v51, v49, v51
	v_add_f32_e32 v53, v50, v51
	v_add_f32_e32 v51, 1.0, v49
	v_add_f32_e32 v54, -1.0, v51
	v_sub_f32_e32 v49, v49, v54
	v_add_f32_e32 v49, v50, v49
	v_add_f32_e32 v67, v51, v49
	v_rcp_f32_e32 v70, v67
	v_sub_f32_e32 v50, v51, v67
	v_add_f32_e32 v51, v52, v53
	v_add_f32_e32 v49, v49, v50
	v_mul_f32_e32 v80, v51, v70
	v_sub_f32_e32 v50, v52, v51
	v_mul_f32_e32 v52, v67, v80
	v_fma_f32 v54, v80, v67, -v52
	v_fmac_f32_e32 v54, v80, v49
	v_add_f32_e32 v71, v53, v50
	v_add_f32_e32 v50, v52, v54
	v_sub_f32_e32 v53, v51, v50
	v_pk_add_f32 v[64:65], v[50:51], v[52:53] neg_lo:[0,1] neg_hi:[0,1]
	v_mov_b32_e32 v55, v50
	v_pk_add_f32 v[50:51], v[64:65], v[54:55] neg_lo:[0,1] neg_hi:[0,1]
	v_cmp_eq_f32_e32 vcc, s13, v84
	v_add_f32_e32 v51, v71, v51
	v_add_f32_e32 v50, v50, v51
	;; [unrolled: 1-line block ×3, first 2 shown]
	v_mul_f32_e32 v71, v70, v51
	v_mul_f32_e32 v52, v67, v71
	v_fma_f32 v54, v71, v67, -v52
	v_fmac_f32_e32 v54, v71, v49
	v_sub_f32_e32 v49, v53, v51
	v_add_f32_e32 v49, v50, v49
	v_add_f32_e32 v50, v52, v54
	v_sub_f32_e32 v53, v51, v50
	v_pk_add_f32 v[64:65], v[50:51], v[52:53] neg_lo:[0,1] neg_hi:[0,1]
	v_mov_b32_e32 v55, v50
	v_pk_add_f32 v[50:51], v[64:65], v[54:55] neg_lo:[0,1] neg_hi:[0,1]
	v_cvt_f32_i32_e32 v52, v66
	v_add_f32_e32 v49, v49, v51
	v_add_f32_e32 v49, v50, v49
	;; [unrolled: 1-line block ×4, first 2 shown]
	v_sub_f32_e32 v51, v50, v80
	v_mul_f32_e32 v49, v70, v49
	v_sub_f32_e32 v51, v71, v51
	v_add_f32_e32 v49, v51, v49
	v_add_f32_e32 v53, v50, v49
	v_mul_f32_e32 v54, v53, v53
	v_mov_b32_e32 v51, 0x3ecc95a3
	v_fmac_f32_e32 v51, 0x3e9b6dac, v54
	v_sub_f32_e32 v50, v53, v50
	v_fmaak_f32 v51, v54, v51, 0x3f2aaada
	v_sub_f32_e32 v49, v49, v50
	v_ldexp_f32 v55, v53, 1
	v_mul_f32_e32 v53, v53, v54
	v_mov_b32_e32 v50, 0x3f317218
	v_pk_mul_f32 v[50:51], v[52:53], v[50:51]
	v_ldexp_f32 v49, v49, 1
	v_fma_f32 v53, v52, s11, -v50
	v_fmamk_f32 v54, v52, 0xb102e308, v53
	v_pk_add_f32 v[52:53], v[50:51], v[54:55]
	v_mov_b32_e32 v64, v50
	v_sub_f32_e32 v55, v53, v55
	v_sub_f32_e32 v55, v51, v55
	v_add_f32_e32 v65, v49, v55
	v_pk_add_f32 v[50:51], v[52:53], v[50:51] neg_lo:[0,1] neg_hi:[0,1]
	v_pk_add_f32 v[66:67], v[52:53], v[64:65]
	v_mov_b32_e32 v55, v52
	v_mov_b32_e32 v51, v67
	v_pk_add_f32 v[70:71], v[54:55], v[50:51] neg_lo:[0,1] neg_hi:[0,1]
	v_pk_add_f32 v[50:51], v[54:55], v[50:51]
	v_mov_b32_e32 v64, v65
	v_mov_b32_e32 v54, v51
	v_pk_add_f32 v[80:81], v[54:55], v[52:53] neg_lo:[0,1] neg_hi:[0,1]
	v_mov_b32_e32 v50, v67
	v_mov_b32_e32 v49, v80
	v_pk_add_f32 v[82:83], v[66:67], v[48:49] neg_lo:[0,1] neg_hi:[0,1]
	v_mov_b32_e32 v66, v53
	v_mov_b32_e32 v67, v80
	;; [unrolled: 1-line block ×3, first 2 shown]
	v_pk_add_f32 v[50:51], v[50:51], v[66:67] neg_lo:[0,1] neg_hi:[0,1]
	v_mov_b32_e32 v65, v52
	v_pk_add_f32 v[50:51], v[64:65], v[50:51] neg_lo:[0,1] neg_hi:[0,1]
	v_mov_b32_e32 v82, v70
	v_pk_add_f32 v[52:53], v[82:83], v[50:51]
	s_mov_b32 s11, 0x33800000
	v_mov_b32_e32 v64, v53
	v_pk_add_f32 v[64:65], v[52:53], v[64:65]
	v_cmp_lt_f32_e64 s[14:15], |v84|, s11
	v_pk_add_f32 v[54:55], v[54:55], v[64:65]
	v_mov_b32_e32 v51, v64
	v_mov_b32_e32 v53, v54
	v_pk_add_f32 v[66:67], v[52:53], v[70:71] neg_lo:[0,1] neg_hi:[0,1]
	s_or_b64 vcc, vcc, s[14:15]
	v_sub_f32_e32 v49, v52, v66
	v_pk_add_f32 v[50:51], v[50:51], v[66:67] neg_lo:[0,1] neg_hi:[0,1]
	v_sub_f32_e32 v49, v70, v49
	v_add_f32_e32 v49, v50, v49
	v_add_f32_e32 v49, v49, v51
	;; [unrolled: 1-line block ×3, first 2 shown]
	v_cndmask_b32_e32 v49, v49, v84, vcc
	v_add_f32_e32 v128, v48, v49
.LBB93_59:
	s_or_b64 exec, exec, s[8:9]
	v_max_f32_e32 v70, v36, v36
	v_max_f32_e32 v48, v128, v128
	v_min_f32_e32 v49, v48, v70
	v_cmp_u_f32_e32 vcc, v128, v128
	v_max_f32_e32 v48, v48, v70
	v_cmp_u_f32_e64 s[8:9], v36, v36
	v_cndmask_b32_e32 v49, v49, v128, vcc
	v_cndmask_b32_e32 v48, v48, v128, vcc
	v_cndmask_b32_e64 v49, v49, v36, s[8:9]
	v_cndmask_b32_e64 v48, v48, v36, s[8:9]
	v_cmp_neq_f32_e32 vcc, v49, v48
	v_cmp_class_f32_e64 s[10:11], v49, s10
	s_or_b64 s[14:15], vcc, s[10:11]
	s_and_saveexec_b64 s[10:11], s[14:15]
	s_cbranch_execz .LBB93_61
; %bb.60:
	v_sub_f32_e32 v49, v49, v48
	s_mov_b32 s13, 0x3fb8aa3b
	v_mul_f32_e32 v50, 0x3fb8aa3b, v49
	v_fma_f32 v51, v49, s13, -v50
	v_rndne_f32_e32 v52, v50
	v_fmamk_f32 v51, v49, 0x32a5705f, v51
	v_sub_f32_e32 v50, v50, v52
	v_add_f32_e32 v50, v50, v51
	v_exp_f32_e32 v50, v50
	v_cvt_i32_f32_e32 v51, v52
	s_mov_b32 s13, 0xc2ce8ed0
	v_cmp_ngt_f32_e32 vcc, s13, v49
	s_mov_b32 s13, 0x42b17218
	v_ldexp_f32 v50, v50, v51
	v_cndmask_b32_e32 v50, 0, v50, vcc
	v_mov_b32_e32 v51, 0x7f800000
	v_cmp_nlt_f32_e32 vcc, s13, v49
	s_mov_b32 s13, 0x3f2aaaab
	s_mov_b32 s14, 0x7f800000
	v_cndmask_b32_e32 v71, v51, v50, vcc
	v_add_f32_e32 v49, 1.0, v71
	v_add_f32_e32 v50, -1.0, v49
	v_sub_f32_e32 v51, v50, v49
	v_add_f32_e32 v51, 1.0, v51
	v_sub_f32_e32 v50, v71, v50
	v_add_f32_e32 v52, v50, v51
	v_frexp_mant_f32_e32 v53, v49
	v_cvt_f64_f32_e32 v[50:51], v49
	v_frexp_exp_i32_f64_e32 v50, v[50:51]
	v_cmp_gt_f32_e32 vcc, s13, v53
	s_mov_b32 s13, 0x3f317218
	s_nop 0
	v_subbrev_co_u32_e32 v66, vcc, 0, v50, vcc
	v_sub_u32_e32 v50, 0, v66
	v_ldexp_f32 v49, v49, v50
	v_ldexp_f32 v50, v52, v50
	v_add_f32_e32 v52, -1.0, v49
	v_add_f32_e32 v51, 1.0, v52
	v_sub_f32_e32 v51, v49, v51
	v_add_f32_e32 v53, v50, v51
	v_add_f32_e32 v51, 1.0, v49
	v_add_f32_e32 v54, -1.0, v51
	v_sub_f32_e32 v49, v49, v54
	v_add_f32_e32 v49, v50, v49
	v_add_f32_e32 v67, v51, v49
	v_rcp_f32_e32 v80, v67
	v_sub_f32_e32 v50, v51, v67
	v_add_f32_e32 v51, v52, v53
	v_add_f32_e32 v49, v49, v50
	v_mul_f32_e32 v82, v51, v80
	v_sub_f32_e32 v50, v52, v51
	v_mul_f32_e32 v52, v67, v82
	v_fma_f32 v54, v82, v67, -v52
	v_fmac_f32_e32 v54, v82, v49
	v_add_f32_e32 v81, v53, v50
	v_add_f32_e32 v50, v52, v54
	v_sub_f32_e32 v53, v51, v50
	v_pk_add_f32 v[64:65], v[50:51], v[52:53] neg_lo:[0,1] neg_hi:[0,1]
	v_mov_b32_e32 v55, v50
	v_pk_add_f32 v[50:51], v[64:65], v[54:55] neg_lo:[0,1] neg_hi:[0,1]
	v_cmp_eq_f32_e32 vcc, s14, v71
	v_add_f32_e32 v51, v81, v51
	v_add_f32_e32 v50, v50, v51
	;; [unrolled: 1-line block ×3, first 2 shown]
	v_mul_f32_e32 v81, v80, v51
	v_mul_f32_e32 v52, v67, v81
	v_fma_f32 v54, v81, v67, -v52
	v_fmac_f32_e32 v54, v81, v49
	v_sub_f32_e32 v49, v53, v51
	v_add_f32_e32 v49, v50, v49
	v_add_f32_e32 v50, v52, v54
	v_sub_f32_e32 v53, v51, v50
	v_pk_add_f32 v[64:65], v[50:51], v[52:53] neg_lo:[0,1] neg_hi:[0,1]
	v_mov_b32_e32 v55, v50
	v_pk_add_f32 v[50:51], v[64:65], v[54:55] neg_lo:[0,1] neg_hi:[0,1]
	v_cvt_f32_i32_e32 v52, v66
	v_add_f32_e32 v49, v49, v51
	v_add_f32_e32 v49, v50, v49
	;; [unrolled: 1-line block ×4, first 2 shown]
	v_sub_f32_e32 v51, v50, v82
	v_mul_f32_e32 v49, v80, v49
	v_sub_f32_e32 v51, v81, v51
	v_add_f32_e32 v49, v51, v49
	v_add_f32_e32 v53, v50, v49
	v_mul_f32_e32 v54, v53, v53
	v_mov_b32_e32 v51, 0x3ecc95a3
	v_fmac_f32_e32 v51, 0x3e9b6dac, v54
	v_sub_f32_e32 v50, v53, v50
	v_fmaak_f32 v51, v54, v51, 0x3f2aaada
	v_sub_f32_e32 v49, v49, v50
	v_ldexp_f32 v55, v53, 1
	v_mul_f32_e32 v53, v53, v54
	v_mov_b32_e32 v50, 0x3f317218
	v_pk_mul_f32 v[50:51], v[52:53], v[50:51]
	v_ldexp_f32 v49, v49, 1
	v_fma_f32 v53, v52, s13, -v50
	v_fmamk_f32 v54, v52, 0xb102e308, v53
	v_pk_add_f32 v[52:53], v[50:51], v[54:55]
	v_mov_b32_e32 v64, v50
	v_sub_f32_e32 v55, v53, v55
	v_sub_f32_e32 v55, v51, v55
	v_add_f32_e32 v65, v49, v55
	v_pk_add_f32 v[50:51], v[52:53], v[50:51] neg_lo:[0,1] neg_hi:[0,1]
	v_pk_add_f32 v[66:67], v[52:53], v[64:65]
	v_mov_b32_e32 v55, v52
	v_mov_b32_e32 v51, v67
	v_pk_add_f32 v[80:81], v[54:55], v[50:51] neg_lo:[0,1] neg_hi:[0,1]
	v_pk_add_f32 v[50:51], v[54:55], v[50:51]
	v_mov_b32_e32 v64, v65
	v_mov_b32_e32 v54, v51
	v_pk_add_f32 v[82:83], v[54:55], v[52:53] neg_lo:[0,1] neg_hi:[0,1]
	v_mov_b32_e32 v50, v67
	v_mov_b32_e32 v49, v82
	v_pk_add_f32 v[84:85], v[66:67], v[48:49] neg_lo:[0,1] neg_hi:[0,1]
	v_mov_b32_e32 v66, v53
	v_mov_b32_e32 v67, v82
	;; [unrolled: 1-line block ×3, first 2 shown]
	v_pk_add_f32 v[50:51], v[50:51], v[66:67] neg_lo:[0,1] neg_hi:[0,1]
	v_mov_b32_e32 v65, v52
	v_pk_add_f32 v[50:51], v[64:65], v[50:51] neg_lo:[0,1] neg_hi:[0,1]
	v_mov_b32_e32 v84, v80
	v_pk_add_f32 v[52:53], v[84:85], v[50:51]
	s_mov_b32 s13, 0x33800000
	v_mov_b32_e32 v64, v53
	v_pk_add_f32 v[64:65], v[52:53], v[64:65]
	v_cmp_lt_f32_e64 s[14:15], |v71|, s13
	v_pk_add_f32 v[54:55], v[54:55], v[64:65]
	v_mov_b32_e32 v51, v64
	v_mov_b32_e32 v53, v54
	v_pk_add_f32 v[66:67], v[52:53], v[80:81] neg_lo:[0,1] neg_hi:[0,1]
	s_or_b64 vcc, vcc, s[14:15]
	v_sub_f32_e32 v49, v52, v66
	v_pk_add_f32 v[50:51], v[50:51], v[66:67] neg_lo:[0,1] neg_hi:[0,1]
	v_sub_f32_e32 v49, v80, v49
	v_add_f32_e32 v49, v50, v49
	v_add_f32_e32 v49, v49, v51
	;; [unrolled: 1-line block ×3, first 2 shown]
	v_cndmask_b32_e32 v49, v49, v71, vcc
	v_add_f32_e32 v128, v48, v49
.LBB93_61:
	s_or_b64 exec, exec, s[10:11]
	v_max_f32_e32 v71, v37, v37
	v_max_f32_e32 v48, v128, v128
	v_min_f32_e32 v49, v48, v71
	v_cmp_u_f32_e32 vcc, v128, v128
	v_max_f32_e32 v48, v48, v71
	v_cmp_u_f32_e64 s[10:11], v37, v37
	v_cndmask_b32_e32 v49, v49, v128, vcc
	v_cndmask_b32_e32 v48, v48, v128, vcc
	v_cndmask_b32_e64 v49, v49, v37, s[10:11]
	v_cndmask_b32_e64 v48, v48, v37, s[10:11]
	s_movk_i32 s13, 0x1f8
	v_cmp_neq_f32_e32 vcc, v49, v48
	v_cmp_class_f32_e64 s[14:15], v49, s13
	s_or_b64 s[16:17], vcc, s[14:15]
	s_and_saveexec_b64 s[14:15], s[16:17]
	s_cbranch_execz .LBB93_63
; %bb.62:
	v_sub_f32_e32 v49, v49, v48
	s_mov_b32 s16, 0x3fb8aa3b
	v_mul_f32_e32 v50, 0x3fb8aa3b, v49
	v_fma_f32 v51, v49, s16, -v50
	v_rndne_f32_e32 v52, v50
	v_fmamk_f32 v51, v49, 0x32a5705f, v51
	v_sub_f32_e32 v50, v50, v52
	v_add_f32_e32 v50, v50, v51
	v_exp_f32_e32 v50, v50
	v_cvt_i32_f32_e32 v51, v52
	s_mov_b32 s16, 0xc2ce8ed0
	v_cmp_ngt_f32_e32 vcc, s16, v49
	s_mov_b32 s16, 0x42b17218
	v_ldexp_f32 v50, v50, v51
	v_cndmask_b32_e32 v50, 0, v50, vcc
	v_mov_b32_e32 v51, 0x7f800000
	v_cmp_nlt_f32_e32 vcc, s16, v49
	s_mov_b32 s16, 0x3f2aaaab
	s_mov_b32 s17, 0x7f800000
	v_cndmask_b32_e32 v86, v51, v50, vcc
	v_add_f32_e32 v49, 1.0, v86
	v_add_f32_e32 v50, -1.0, v49
	v_sub_f32_e32 v51, v50, v49
	v_add_f32_e32 v51, 1.0, v51
	v_sub_f32_e32 v50, v86, v50
	v_add_f32_e32 v52, v50, v51
	v_frexp_mant_f32_e32 v53, v49
	v_cvt_f64_f32_e32 v[50:51], v49
	v_frexp_exp_i32_f64_e32 v50, v[50:51]
	v_cmp_gt_f32_e32 vcc, s16, v53
	s_mov_b32 s16, 0x3f317218
	s_nop 0
	v_subbrev_co_u32_e32 v66, vcc, 0, v50, vcc
	v_sub_u32_e32 v50, 0, v66
	v_ldexp_f32 v49, v49, v50
	v_ldexp_f32 v50, v52, v50
	v_add_f32_e32 v52, -1.0, v49
	v_add_f32_e32 v51, 1.0, v52
	v_sub_f32_e32 v51, v49, v51
	v_add_f32_e32 v53, v50, v51
	v_add_f32_e32 v51, 1.0, v49
	v_add_f32_e32 v54, -1.0, v51
	v_sub_f32_e32 v49, v49, v54
	v_add_f32_e32 v49, v50, v49
	v_add_f32_e32 v67, v51, v49
	v_rcp_f32_e32 v80, v67
	v_sub_f32_e32 v50, v51, v67
	v_add_f32_e32 v51, v52, v53
	v_add_f32_e32 v49, v49, v50
	v_mul_f32_e32 v82, v51, v80
	v_sub_f32_e32 v50, v52, v51
	v_mul_f32_e32 v52, v67, v82
	v_fma_f32 v54, v82, v67, -v52
	v_fmac_f32_e32 v54, v82, v49
	v_add_f32_e32 v81, v53, v50
	v_add_f32_e32 v50, v52, v54
	v_sub_f32_e32 v53, v51, v50
	v_pk_add_f32 v[64:65], v[50:51], v[52:53] neg_lo:[0,1] neg_hi:[0,1]
	v_mov_b32_e32 v55, v50
	v_pk_add_f32 v[50:51], v[64:65], v[54:55] neg_lo:[0,1] neg_hi:[0,1]
	v_cmp_eq_f32_e32 vcc, s17, v86
	v_add_f32_e32 v51, v81, v51
	v_add_f32_e32 v50, v50, v51
	;; [unrolled: 1-line block ×3, first 2 shown]
	v_mul_f32_e32 v81, v80, v51
	v_mul_f32_e32 v52, v67, v81
	v_fma_f32 v54, v81, v67, -v52
	v_fmac_f32_e32 v54, v81, v49
	v_sub_f32_e32 v49, v53, v51
	v_add_f32_e32 v49, v50, v49
	v_add_f32_e32 v50, v52, v54
	v_sub_f32_e32 v53, v51, v50
	v_pk_add_f32 v[64:65], v[50:51], v[52:53] neg_lo:[0,1] neg_hi:[0,1]
	v_mov_b32_e32 v55, v50
	v_pk_add_f32 v[50:51], v[64:65], v[54:55] neg_lo:[0,1] neg_hi:[0,1]
	v_cvt_f32_i32_e32 v52, v66
	v_add_f32_e32 v49, v49, v51
	v_add_f32_e32 v49, v50, v49
	;; [unrolled: 1-line block ×4, first 2 shown]
	v_sub_f32_e32 v51, v50, v82
	v_mul_f32_e32 v49, v80, v49
	v_sub_f32_e32 v51, v81, v51
	v_add_f32_e32 v49, v51, v49
	v_add_f32_e32 v53, v50, v49
	v_mul_f32_e32 v54, v53, v53
	v_mov_b32_e32 v51, 0x3ecc95a3
	v_fmac_f32_e32 v51, 0x3e9b6dac, v54
	v_sub_f32_e32 v50, v53, v50
	v_fmaak_f32 v51, v54, v51, 0x3f2aaada
	v_sub_f32_e32 v49, v49, v50
	v_ldexp_f32 v55, v53, 1
	v_mul_f32_e32 v53, v53, v54
	v_mov_b32_e32 v50, 0x3f317218
	v_pk_mul_f32 v[50:51], v[52:53], v[50:51]
	v_ldexp_f32 v49, v49, 1
	v_fma_f32 v53, v52, s16, -v50
	v_fmamk_f32 v54, v52, 0xb102e308, v53
	v_pk_add_f32 v[52:53], v[50:51], v[54:55]
	v_mov_b32_e32 v64, v50
	v_sub_f32_e32 v55, v53, v55
	v_sub_f32_e32 v55, v51, v55
	v_add_f32_e32 v65, v49, v55
	v_pk_add_f32 v[50:51], v[52:53], v[50:51] neg_lo:[0,1] neg_hi:[0,1]
	v_pk_add_f32 v[66:67], v[52:53], v[64:65]
	v_mov_b32_e32 v55, v52
	v_mov_b32_e32 v51, v67
	v_pk_add_f32 v[80:81], v[54:55], v[50:51] neg_lo:[0,1] neg_hi:[0,1]
	v_pk_add_f32 v[50:51], v[54:55], v[50:51]
	v_mov_b32_e32 v64, v65
	v_mov_b32_e32 v54, v51
	v_pk_add_f32 v[82:83], v[54:55], v[52:53] neg_lo:[0,1] neg_hi:[0,1]
	v_mov_b32_e32 v50, v67
	v_mov_b32_e32 v49, v82
	v_pk_add_f32 v[84:85], v[66:67], v[48:49] neg_lo:[0,1] neg_hi:[0,1]
	v_mov_b32_e32 v66, v53
	v_mov_b32_e32 v67, v82
	;; [unrolled: 1-line block ×3, first 2 shown]
	v_pk_add_f32 v[50:51], v[50:51], v[66:67] neg_lo:[0,1] neg_hi:[0,1]
	v_mov_b32_e32 v65, v52
	v_pk_add_f32 v[50:51], v[64:65], v[50:51] neg_lo:[0,1] neg_hi:[0,1]
	v_mov_b32_e32 v84, v80
	v_pk_add_f32 v[52:53], v[84:85], v[50:51]
	s_mov_b32 s16, 0x33800000
	v_mov_b32_e32 v64, v53
	v_pk_add_f32 v[64:65], v[52:53], v[64:65]
	v_cmp_lt_f32_e64 s[16:17], |v86|, s16
	v_pk_add_f32 v[54:55], v[54:55], v[64:65]
	v_mov_b32_e32 v51, v64
	v_mov_b32_e32 v53, v54
	v_pk_add_f32 v[66:67], v[52:53], v[80:81] neg_lo:[0,1] neg_hi:[0,1]
	s_or_b64 vcc, vcc, s[16:17]
	v_sub_f32_e32 v49, v52, v66
	v_pk_add_f32 v[50:51], v[50:51], v[66:67] neg_lo:[0,1] neg_hi:[0,1]
	v_sub_f32_e32 v49, v80, v49
	v_add_f32_e32 v49, v50, v49
	v_add_f32_e32 v49, v49, v51
	;; [unrolled: 1-line block ×3, first 2 shown]
	v_cndmask_b32_e32 v49, v49, v86, vcc
	v_add_f32_e32 v128, v48, v49
.LBB93_63:
	s_or_b64 exec, exec, s[14:15]
	v_max_f32_e32 v80, v38, v38
	v_max_f32_e32 v48, v128, v128
	v_min_f32_e32 v49, v48, v80
	v_cmp_u_f32_e32 vcc, v128, v128
	v_max_f32_e32 v48, v48, v80
	v_cmp_u_f32_e64 s[58:59], v38, v38
	v_cndmask_b32_e32 v49, v49, v128, vcc
	v_cndmask_b32_e32 v48, v48, v128, vcc
	v_cndmask_b32_e64 v49, v49, v38, s[58:59]
	v_cndmask_b32_e64 v48, v48, v38, s[58:59]
	v_cmp_neq_f32_e32 vcc, v49, v48
	v_cmp_class_f32_e64 s[14:15], v49, s13
	s_or_b64 s[16:17], vcc, s[14:15]
	s_and_saveexec_b64 s[14:15], s[16:17]
	s_cbranch_execz .LBB93_65
; %bb.64:
	v_sub_f32_e32 v49, v49, v48
	s_mov_b32 s13, 0x3fb8aa3b
	v_mul_f32_e32 v50, 0x3fb8aa3b, v49
	v_fma_f32 v51, v49, s13, -v50
	v_rndne_f32_e32 v52, v50
	v_fmamk_f32 v51, v49, 0x32a5705f, v51
	v_sub_f32_e32 v50, v50, v52
	v_add_f32_e32 v50, v50, v51
	v_exp_f32_e32 v50, v50
	v_cvt_i32_f32_e32 v51, v52
	s_mov_b32 s13, 0xc2ce8ed0
	v_cmp_ngt_f32_e32 vcc, s13, v49
	s_mov_b32 s13, 0x42b17218
	v_ldexp_f32 v50, v50, v51
	v_cndmask_b32_e32 v50, 0, v50, vcc
	v_mov_b32_e32 v51, 0x7f800000
	v_cmp_nlt_f32_e32 vcc, s13, v49
	s_mov_b32 s13, 0x3f2aaaab
	s_mov_b32 s16, 0x7f800000
	v_cndmask_b32_e32 v81, v51, v50, vcc
	v_add_f32_e32 v49, 1.0, v81
	v_add_f32_e32 v50, -1.0, v49
	v_sub_f32_e32 v51, v50, v49
	v_add_f32_e32 v51, 1.0, v51
	v_sub_f32_e32 v50, v81, v50
	v_add_f32_e32 v52, v50, v51
	v_frexp_mant_f32_e32 v53, v49
	v_cvt_f64_f32_e32 v[50:51], v49
	v_frexp_exp_i32_f64_e32 v50, v[50:51]
	v_cmp_gt_f32_e32 vcc, s13, v53
	s_mov_b32 s13, 0x3f317218
	s_nop 0
	v_subbrev_co_u32_e32 v66, vcc, 0, v50, vcc
	v_sub_u32_e32 v50, 0, v66
	v_ldexp_f32 v49, v49, v50
	v_ldexp_f32 v50, v52, v50
	v_add_f32_e32 v52, -1.0, v49
	v_add_f32_e32 v51, 1.0, v52
	v_sub_f32_e32 v51, v49, v51
	v_add_f32_e32 v53, v50, v51
	v_add_f32_e32 v51, 1.0, v49
	v_add_f32_e32 v54, -1.0, v51
	v_sub_f32_e32 v49, v49, v54
	v_add_f32_e32 v49, v50, v49
	v_add_f32_e32 v67, v51, v49
	v_rcp_f32_e32 v82, v67
	v_sub_f32_e32 v50, v51, v67
	v_add_f32_e32 v51, v52, v53
	v_add_f32_e32 v49, v49, v50
	v_mul_f32_e32 v84, v51, v82
	v_sub_f32_e32 v50, v52, v51
	v_mul_f32_e32 v52, v67, v84
	v_fma_f32 v54, v84, v67, -v52
	v_fmac_f32_e32 v54, v84, v49
	v_add_f32_e32 v83, v53, v50
	v_add_f32_e32 v50, v52, v54
	v_sub_f32_e32 v53, v51, v50
	v_pk_add_f32 v[64:65], v[50:51], v[52:53] neg_lo:[0,1] neg_hi:[0,1]
	v_mov_b32_e32 v55, v50
	v_pk_add_f32 v[50:51], v[64:65], v[54:55] neg_lo:[0,1] neg_hi:[0,1]
	v_cmp_eq_f32_e32 vcc, s16, v81
	v_add_f32_e32 v51, v83, v51
	v_add_f32_e32 v50, v50, v51
	;; [unrolled: 1-line block ×3, first 2 shown]
	v_mul_f32_e32 v83, v82, v51
	v_mul_f32_e32 v52, v67, v83
	v_fma_f32 v54, v83, v67, -v52
	v_fmac_f32_e32 v54, v83, v49
	v_sub_f32_e32 v49, v53, v51
	v_add_f32_e32 v49, v50, v49
	v_add_f32_e32 v50, v52, v54
	v_sub_f32_e32 v53, v51, v50
	v_pk_add_f32 v[64:65], v[50:51], v[52:53] neg_lo:[0,1] neg_hi:[0,1]
	v_mov_b32_e32 v55, v50
	v_pk_add_f32 v[50:51], v[64:65], v[54:55] neg_lo:[0,1] neg_hi:[0,1]
	v_cvt_f32_i32_e32 v52, v66
	v_add_f32_e32 v49, v49, v51
	v_add_f32_e32 v49, v50, v49
	;; [unrolled: 1-line block ×4, first 2 shown]
	v_sub_f32_e32 v51, v50, v84
	v_mul_f32_e32 v49, v82, v49
	v_sub_f32_e32 v51, v83, v51
	v_add_f32_e32 v49, v51, v49
	v_add_f32_e32 v53, v50, v49
	v_mul_f32_e32 v54, v53, v53
	v_mov_b32_e32 v51, 0x3ecc95a3
	v_fmac_f32_e32 v51, 0x3e9b6dac, v54
	v_sub_f32_e32 v50, v53, v50
	v_fmaak_f32 v51, v54, v51, 0x3f2aaada
	v_sub_f32_e32 v49, v49, v50
	v_ldexp_f32 v55, v53, 1
	v_mul_f32_e32 v53, v53, v54
	v_mov_b32_e32 v50, 0x3f317218
	v_pk_mul_f32 v[50:51], v[52:53], v[50:51]
	v_ldexp_f32 v49, v49, 1
	v_fma_f32 v53, v52, s13, -v50
	v_fmamk_f32 v54, v52, 0xb102e308, v53
	v_pk_add_f32 v[52:53], v[50:51], v[54:55]
	v_mov_b32_e32 v64, v50
	v_sub_f32_e32 v55, v53, v55
	v_sub_f32_e32 v55, v51, v55
	v_add_f32_e32 v65, v49, v55
	v_pk_add_f32 v[50:51], v[52:53], v[50:51] neg_lo:[0,1] neg_hi:[0,1]
	v_pk_add_f32 v[66:67], v[52:53], v[64:65]
	v_mov_b32_e32 v55, v52
	v_mov_b32_e32 v51, v67
	v_pk_add_f32 v[82:83], v[54:55], v[50:51] neg_lo:[0,1] neg_hi:[0,1]
	v_pk_add_f32 v[50:51], v[54:55], v[50:51]
	v_mov_b32_e32 v64, v65
	v_mov_b32_e32 v54, v51
	v_pk_add_f32 v[84:85], v[54:55], v[52:53] neg_lo:[0,1] neg_hi:[0,1]
	v_mov_b32_e32 v50, v67
	v_mov_b32_e32 v49, v84
	v_pk_add_f32 v[86:87], v[66:67], v[48:49] neg_lo:[0,1] neg_hi:[0,1]
	v_mov_b32_e32 v66, v53
	v_mov_b32_e32 v67, v84
	;; [unrolled: 1-line block ×3, first 2 shown]
	v_pk_add_f32 v[50:51], v[50:51], v[66:67] neg_lo:[0,1] neg_hi:[0,1]
	v_mov_b32_e32 v65, v52
	v_pk_add_f32 v[50:51], v[64:65], v[50:51] neg_lo:[0,1] neg_hi:[0,1]
	v_mov_b32_e32 v86, v82
	v_pk_add_f32 v[52:53], v[86:87], v[50:51]
	s_mov_b32 s13, 0x33800000
	v_mov_b32_e32 v64, v53
	v_pk_add_f32 v[64:65], v[52:53], v[64:65]
	v_cmp_lt_f32_e64 s[16:17], |v81|, s13
	v_pk_add_f32 v[54:55], v[54:55], v[64:65]
	v_mov_b32_e32 v51, v64
	v_mov_b32_e32 v53, v54
	v_pk_add_f32 v[66:67], v[52:53], v[82:83] neg_lo:[0,1] neg_hi:[0,1]
	s_or_b64 vcc, vcc, s[16:17]
	v_sub_f32_e32 v49, v52, v66
	v_pk_add_f32 v[50:51], v[50:51], v[66:67] neg_lo:[0,1] neg_hi:[0,1]
	v_sub_f32_e32 v49, v82, v49
	v_add_f32_e32 v49, v50, v49
	v_add_f32_e32 v49, v49, v51
	v_add_f32_e32 v49, v54, v49
	v_cndmask_b32_e32 v49, v49, v81, vcc
	v_add_f32_e32 v128, v48, v49
.LBB93_65:
	s_or_b64 exec, exec, s[14:15]
	v_max_f32_e32 v81, v39, v39
	v_max_f32_e32 v48, v128, v128
	v_min_f32_e32 v49, v48, v81
	v_cmp_u_f32_e32 vcc, v128, v128
	v_max_f32_e32 v48, v48, v81
	v_cmp_u_f32_e64 s[14:15], v39, v39
	v_cndmask_b32_e32 v49, v49, v128, vcc
	v_cndmask_b32_e32 v48, v48, v128, vcc
	v_cndmask_b32_e64 v49, v49, v39, s[14:15]
	v_cndmask_b32_e64 v48, v48, v39, s[14:15]
	s_movk_i32 s13, 0x1f8
	v_cmp_neq_f32_e32 vcc, v49, v48
	v_cmp_class_f32_e64 s[16:17], v49, s13
	s_or_b64 s[18:19], vcc, s[16:17]
	s_and_saveexec_b64 s[16:17], s[18:19]
	s_cbranch_execz .LBB93_67
; %bb.66:
	v_sub_f32_e32 v49, v49, v48
	s_mov_b32 s18, 0x3fb8aa3b
	v_mul_f32_e32 v50, 0x3fb8aa3b, v49
	v_fma_f32 v51, v49, s18, -v50
	v_rndne_f32_e32 v52, v50
	v_fmamk_f32 v51, v49, 0x32a5705f, v51
	v_sub_f32_e32 v50, v50, v52
	v_add_f32_e32 v50, v50, v51
	v_exp_f32_e32 v50, v50
	v_cvt_i32_f32_e32 v51, v52
	s_mov_b32 s18, 0xc2ce8ed0
	v_cmp_ngt_f32_e32 vcc, s18, v49
	s_mov_b32 s18, 0x42b17218
	v_ldexp_f32 v50, v50, v51
	v_cndmask_b32_e32 v50, 0, v50, vcc
	v_mov_b32_e32 v51, 0x7f800000
	v_cmp_nlt_f32_e32 vcc, s18, v49
	s_mov_b32 s18, 0x3f2aaaab
	s_mov_b32 s19, 0x7f800000
	v_cndmask_b32_e32 v101, v51, v50, vcc
	v_add_f32_e32 v49, 1.0, v101
	v_add_f32_e32 v50, -1.0, v49
	v_sub_f32_e32 v51, v50, v49
	v_add_f32_e32 v51, 1.0, v51
	v_sub_f32_e32 v50, v101, v50
	v_add_f32_e32 v52, v50, v51
	v_frexp_mant_f32_e32 v53, v49
	v_cvt_f64_f32_e32 v[50:51], v49
	v_frexp_exp_i32_f64_e32 v50, v[50:51]
	v_cmp_gt_f32_e32 vcc, s18, v53
	s_mov_b32 s18, 0x3f317218
	s_nop 0
	v_subbrev_co_u32_e32 v66, vcc, 0, v50, vcc
	v_sub_u32_e32 v50, 0, v66
	v_ldexp_f32 v49, v49, v50
	v_ldexp_f32 v50, v52, v50
	v_add_f32_e32 v52, -1.0, v49
	v_add_f32_e32 v51, 1.0, v52
	v_sub_f32_e32 v51, v49, v51
	v_add_f32_e32 v53, v50, v51
	v_add_f32_e32 v51, 1.0, v49
	v_add_f32_e32 v54, -1.0, v51
	v_sub_f32_e32 v49, v49, v54
	v_add_f32_e32 v49, v50, v49
	v_add_f32_e32 v67, v51, v49
	v_rcp_f32_e32 v82, v67
	v_sub_f32_e32 v50, v51, v67
	v_add_f32_e32 v51, v52, v53
	v_add_f32_e32 v49, v49, v50
	v_mul_f32_e32 v84, v51, v82
	v_sub_f32_e32 v50, v52, v51
	v_mul_f32_e32 v52, v67, v84
	v_fma_f32 v54, v84, v67, -v52
	v_fmac_f32_e32 v54, v84, v49
	v_add_f32_e32 v83, v53, v50
	v_add_f32_e32 v50, v52, v54
	v_sub_f32_e32 v53, v51, v50
	v_pk_add_f32 v[64:65], v[50:51], v[52:53] neg_lo:[0,1] neg_hi:[0,1]
	v_mov_b32_e32 v55, v50
	v_pk_add_f32 v[50:51], v[64:65], v[54:55] neg_lo:[0,1] neg_hi:[0,1]
	v_cmp_eq_f32_e32 vcc, s19, v101
	v_add_f32_e32 v51, v83, v51
	v_add_f32_e32 v50, v50, v51
	;; [unrolled: 1-line block ×3, first 2 shown]
	v_mul_f32_e32 v83, v82, v51
	v_mul_f32_e32 v52, v67, v83
	v_fma_f32 v54, v83, v67, -v52
	v_fmac_f32_e32 v54, v83, v49
	v_sub_f32_e32 v49, v53, v51
	v_add_f32_e32 v49, v50, v49
	v_add_f32_e32 v50, v52, v54
	v_sub_f32_e32 v53, v51, v50
	v_pk_add_f32 v[64:65], v[50:51], v[52:53] neg_lo:[0,1] neg_hi:[0,1]
	v_mov_b32_e32 v55, v50
	v_pk_add_f32 v[50:51], v[64:65], v[54:55] neg_lo:[0,1] neg_hi:[0,1]
	v_cvt_f32_i32_e32 v52, v66
	v_add_f32_e32 v49, v49, v51
	v_add_f32_e32 v49, v50, v49
	;; [unrolled: 1-line block ×4, first 2 shown]
	v_sub_f32_e32 v51, v50, v84
	v_mul_f32_e32 v49, v82, v49
	v_sub_f32_e32 v51, v83, v51
	v_add_f32_e32 v49, v51, v49
	v_add_f32_e32 v53, v50, v49
	v_mul_f32_e32 v54, v53, v53
	v_mov_b32_e32 v51, 0x3ecc95a3
	v_fmac_f32_e32 v51, 0x3e9b6dac, v54
	v_sub_f32_e32 v50, v53, v50
	v_fmaak_f32 v51, v54, v51, 0x3f2aaada
	v_sub_f32_e32 v49, v49, v50
	v_ldexp_f32 v55, v53, 1
	v_mul_f32_e32 v53, v53, v54
	v_mov_b32_e32 v50, 0x3f317218
	v_pk_mul_f32 v[50:51], v[52:53], v[50:51]
	v_ldexp_f32 v49, v49, 1
	v_fma_f32 v53, v52, s18, -v50
	v_fmamk_f32 v54, v52, 0xb102e308, v53
	v_pk_add_f32 v[52:53], v[50:51], v[54:55]
	v_mov_b32_e32 v64, v50
	v_sub_f32_e32 v55, v53, v55
	v_sub_f32_e32 v55, v51, v55
	v_add_f32_e32 v65, v49, v55
	v_pk_add_f32 v[50:51], v[52:53], v[50:51] neg_lo:[0,1] neg_hi:[0,1]
	v_pk_add_f32 v[66:67], v[52:53], v[64:65]
	v_mov_b32_e32 v55, v52
	v_mov_b32_e32 v51, v67
	v_pk_add_f32 v[82:83], v[54:55], v[50:51] neg_lo:[0,1] neg_hi:[0,1]
	v_pk_add_f32 v[50:51], v[54:55], v[50:51]
	v_mov_b32_e32 v64, v65
	v_mov_b32_e32 v54, v51
	v_pk_add_f32 v[84:85], v[54:55], v[52:53] neg_lo:[0,1] neg_hi:[0,1]
	v_mov_b32_e32 v50, v67
	v_mov_b32_e32 v49, v84
	v_pk_add_f32 v[86:87], v[66:67], v[48:49] neg_lo:[0,1] neg_hi:[0,1]
	v_mov_b32_e32 v66, v53
	v_mov_b32_e32 v67, v84
	;; [unrolled: 1-line block ×3, first 2 shown]
	v_pk_add_f32 v[50:51], v[50:51], v[66:67] neg_lo:[0,1] neg_hi:[0,1]
	v_mov_b32_e32 v65, v52
	v_pk_add_f32 v[50:51], v[64:65], v[50:51] neg_lo:[0,1] neg_hi:[0,1]
	v_mov_b32_e32 v86, v82
	v_pk_add_f32 v[52:53], v[86:87], v[50:51]
	s_mov_b32 s18, 0x33800000
	v_mov_b32_e32 v64, v53
	v_pk_add_f32 v[64:65], v[52:53], v[64:65]
	v_cmp_lt_f32_e64 s[18:19], |v101|, s18
	v_pk_add_f32 v[54:55], v[54:55], v[64:65]
	v_mov_b32_e32 v51, v64
	v_mov_b32_e32 v53, v54
	v_pk_add_f32 v[66:67], v[52:53], v[82:83] neg_lo:[0,1] neg_hi:[0,1]
	s_or_b64 vcc, vcc, s[18:19]
	v_sub_f32_e32 v49, v52, v66
	v_pk_add_f32 v[50:51], v[50:51], v[66:67] neg_lo:[0,1] neg_hi:[0,1]
	v_sub_f32_e32 v49, v82, v49
	v_add_f32_e32 v49, v50, v49
	v_add_f32_e32 v49, v49, v51
	;; [unrolled: 1-line block ×3, first 2 shown]
	v_cndmask_b32_e32 v49, v49, v101, vcc
	v_add_f32_e32 v128, v48, v49
.LBB93_67:
	s_or_b64 exec, exec, s[16:17]
	v_max_f32_e32 v82, v32, v32
	v_max_f32_e32 v48, v128, v128
	v_min_f32_e32 v49, v48, v82
	v_cmp_u_f32_e32 vcc, v128, v128
	v_max_f32_e32 v48, v48, v82
	v_cmp_u_f32_e64 s[16:17], v32, v32
	v_cndmask_b32_e32 v49, v49, v128, vcc
	v_cndmask_b32_e32 v48, v48, v128, vcc
	v_cndmask_b32_e64 v49, v49, v32, s[16:17]
	v_cndmask_b32_e64 v48, v48, v32, s[16:17]
	v_cmp_neq_f32_e32 vcc, v49, v48
	v_cmp_class_f32_e64 s[18:19], v49, s13
	s_or_b64 s[20:21], vcc, s[18:19]
	s_and_saveexec_b64 s[18:19], s[20:21]
	s_cbranch_execz .LBB93_69
; %bb.68:
	v_sub_f32_e32 v49, v49, v48
	s_mov_b32 s13, 0x3fb8aa3b
	v_mul_f32_e32 v50, 0x3fb8aa3b, v49
	v_fma_f32 v51, v49, s13, -v50
	v_rndne_f32_e32 v52, v50
	v_fmamk_f32 v51, v49, 0x32a5705f, v51
	v_sub_f32_e32 v50, v50, v52
	v_add_f32_e32 v50, v50, v51
	v_exp_f32_e32 v50, v50
	v_cvt_i32_f32_e32 v51, v52
	s_mov_b32 s13, 0xc2ce8ed0
	v_cmp_ngt_f32_e32 vcc, s13, v49
	s_mov_b32 s13, 0x42b17218
	v_ldexp_f32 v50, v50, v51
	v_cndmask_b32_e32 v50, 0, v50, vcc
	v_mov_b32_e32 v51, 0x7f800000
	v_cmp_nlt_f32_e32 vcc, s13, v49
	s_mov_b32 s13, 0x3f2aaaab
	s_mov_b32 s20, 0x7f800000
	v_cndmask_b32_e32 v83, v51, v50, vcc
	v_add_f32_e32 v49, 1.0, v83
	v_add_f32_e32 v50, -1.0, v49
	v_sub_f32_e32 v51, v50, v49
	v_add_f32_e32 v51, 1.0, v51
	v_sub_f32_e32 v50, v83, v50
	v_add_f32_e32 v52, v50, v51
	v_frexp_mant_f32_e32 v53, v49
	v_cvt_f64_f32_e32 v[50:51], v49
	v_frexp_exp_i32_f64_e32 v50, v[50:51]
	v_cmp_gt_f32_e32 vcc, s13, v53
	s_mov_b32 s13, 0x3f317218
	s_nop 0
	v_subbrev_co_u32_e32 v66, vcc, 0, v50, vcc
	v_sub_u32_e32 v50, 0, v66
	v_ldexp_f32 v49, v49, v50
	v_ldexp_f32 v50, v52, v50
	v_add_f32_e32 v52, -1.0, v49
	v_add_f32_e32 v51, 1.0, v52
	v_sub_f32_e32 v51, v49, v51
	v_add_f32_e32 v53, v50, v51
	v_add_f32_e32 v51, 1.0, v49
	v_add_f32_e32 v54, -1.0, v51
	v_sub_f32_e32 v49, v49, v54
	v_add_f32_e32 v49, v50, v49
	v_add_f32_e32 v67, v51, v49
	v_rcp_f32_e32 v84, v67
	v_sub_f32_e32 v50, v51, v67
	v_add_f32_e32 v51, v52, v53
	v_add_f32_e32 v49, v49, v50
	v_mul_f32_e32 v86, v51, v84
	v_sub_f32_e32 v50, v52, v51
	v_mul_f32_e32 v52, v67, v86
	v_fma_f32 v54, v86, v67, -v52
	v_fmac_f32_e32 v54, v86, v49
	v_add_f32_e32 v85, v53, v50
	v_add_f32_e32 v50, v52, v54
	v_sub_f32_e32 v53, v51, v50
	v_pk_add_f32 v[64:65], v[50:51], v[52:53] neg_lo:[0,1] neg_hi:[0,1]
	v_mov_b32_e32 v55, v50
	v_pk_add_f32 v[50:51], v[64:65], v[54:55] neg_lo:[0,1] neg_hi:[0,1]
	v_cmp_eq_f32_e32 vcc, s20, v83
	v_add_f32_e32 v51, v85, v51
	v_add_f32_e32 v50, v50, v51
	;; [unrolled: 1-line block ×3, first 2 shown]
	v_mul_f32_e32 v85, v84, v51
	v_mul_f32_e32 v52, v67, v85
	v_fma_f32 v54, v85, v67, -v52
	v_fmac_f32_e32 v54, v85, v49
	v_sub_f32_e32 v49, v53, v51
	v_add_f32_e32 v49, v50, v49
	v_add_f32_e32 v50, v52, v54
	v_sub_f32_e32 v53, v51, v50
	v_pk_add_f32 v[64:65], v[50:51], v[52:53] neg_lo:[0,1] neg_hi:[0,1]
	v_mov_b32_e32 v55, v50
	v_pk_add_f32 v[50:51], v[64:65], v[54:55] neg_lo:[0,1] neg_hi:[0,1]
	v_cvt_f32_i32_e32 v52, v66
	v_add_f32_e32 v49, v49, v51
	v_add_f32_e32 v49, v50, v49
	;; [unrolled: 1-line block ×4, first 2 shown]
	v_sub_f32_e32 v51, v50, v86
	v_mul_f32_e32 v49, v84, v49
	v_sub_f32_e32 v51, v85, v51
	v_add_f32_e32 v49, v51, v49
	v_add_f32_e32 v53, v50, v49
	v_mul_f32_e32 v54, v53, v53
	v_mov_b32_e32 v51, 0x3ecc95a3
	v_fmac_f32_e32 v51, 0x3e9b6dac, v54
	v_sub_f32_e32 v50, v53, v50
	v_fmaak_f32 v51, v54, v51, 0x3f2aaada
	v_sub_f32_e32 v49, v49, v50
	v_ldexp_f32 v55, v53, 1
	v_mul_f32_e32 v53, v53, v54
	v_mov_b32_e32 v50, 0x3f317218
	v_pk_mul_f32 v[50:51], v[52:53], v[50:51]
	v_ldexp_f32 v49, v49, 1
	v_fma_f32 v53, v52, s13, -v50
	v_fmamk_f32 v54, v52, 0xb102e308, v53
	v_pk_add_f32 v[52:53], v[50:51], v[54:55]
	v_mov_b32_e32 v64, v50
	v_sub_f32_e32 v55, v53, v55
	v_sub_f32_e32 v55, v51, v55
	v_add_f32_e32 v65, v49, v55
	v_pk_add_f32 v[50:51], v[52:53], v[50:51] neg_lo:[0,1] neg_hi:[0,1]
	v_pk_add_f32 v[66:67], v[52:53], v[64:65]
	v_mov_b32_e32 v55, v52
	v_mov_b32_e32 v51, v67
	v_pk_add_f32 v[84:85], v[54:55], v[50:51] neg_lo:[0,1] neg_hi:[0,1]
	v_pk_add_f32 v[50:51], v[54:55], v[50:51]
	v_mov_b32_e32 v64, v65
	v_mov_b32_e32 v54, v51
	v_pk_add_f32 v[86:87], v[54:55], v[52:53] neg_lo:[0,1] neg_hi:[0,1]
	v_mov_b32_e32 v50, v67
	v_mov_b32_e32 v49, v86
	v_pk_add_f32 v[102:103], v[66:67], v[48:49] neg_lo:[0,1] neg_hi:[0,1]
	v_mov_b32_e32 v66, v53
	v_mov_b32_e32 v67, v86
	;; [unrolled: 1-line block ×3, first 2 shown]
	v_pk_add_f32 v[50:51], v[50:51], v[66:67] neg_lo:[0,1] neg_hi:[0,1]
	v_mov_b32_e32 v65, v52
	v_pk_add_f32 v[50:51], v[64:65], v[50:51] neg_lo:[0,1] neg_hi:[0,1]
	v_mov_b32_e32 v102, v84
	v_pk_add_f32 v[52:53], v[102:103], v[50:51]
	s_mov_b32 s13, 0x33800000
	v_mov_b32_e32 v64, v53
	v_pk_add_f32 v[64:65], v[52:53], v[64:65]
	v_cmp_lt_f32_e64 s[20:21], |v83|, s13
	v_pk_add_f32 v[54:55], v[54:55], v[64:65]
	v_mov_b32_e32 v51, v64
	v_mov_b32_e32 v53, v54
	v_pk_add_f32 v[66:67], v[52:53], v[84:85] neg_lo:[0,1] neg_hi:[0,1]
	s_or_b64 vcc, vcc, s[20:21]
	v_sub_f32_e32 v49, v52, v66
	v_pk_add_f32 v[50:51], v[50:51], v[66:67] neg_lo:[0,1] neg_hi:[0,1]
	v_sub_f32_e32 v49, v84, v49
	v_add_f32_e32 v49, v50, v49
	v_add_f32_e32 v49, v49, v51
	;; [unrolled: 1-line block ×3, first 2 shown]
	v_cndmask_b32_e32 v49, v49, v83, vcc
	v_add_f32_e32 v128, v48, v49
.LBB93_69:
	s_or_b64 exec, exec, s[18:19]
	v_max_f32_e32 v83, v33, v33
	v_max_f32_e32 v48, v128, v128
	v_min_f32_e32 v49, v48, v83
	v_cmp_u_f32_e32 vcc, v128, v128
	v_max_f32_e32 v48, v48, v83
	v_cmp_u_f32_e64 s[18:19], v33, v33
	v_cndmask_b32_e32 v49, v49, v128, vcc
	v_cndmask_b32_e32 v48, v48, v128, vcc
	v_cndmask_b32_e64 v49, v49, v33, s[18:19]
	v_cndmask_b32_e64 v48, v48, v33, s[18:19]
	s_movk_i32 s13, 0x1f8
	v_cmp_neq_f32_e32 vcc, v49, v48
	v_cmp_class_f32_e64 s[20:21], v49, s13
	s_or_b64 s[22:23], vcc, s[20:21]
	s_and_saveexec_b64 s[20:21], s[22:23]
	s_cbranch_execz .LBB93_71
; %bb.70:
	v_sub_f32_e32 v49, v49, v48
	s_mov_b32 s22, 0x3fb8aa3b
	v_mul_f32_e32 v50, 0x3fb8aa3b, v49
	v_fma_f32 v51, v49, s22, -v50
	v_rndne_f32_e32 v52, v50
	v_fmamk_f32 v51, v49, 0x32a5705f, v51
	v_sub_f32_e32 v50, v50, v52
	v_add_f32_e32 v50, v50, v51
	v_exp_f32_e32 v50, v50
	v_cvt_i32_f32_e32 v51, v52
	s_mov_b32 s22, 0xc2ce8ed0
	v_cmp_ngt_f32_e32 vcc, s22, v49
	s_mov_b32 s22, 0x42b17218
	v_ldexp_f32 v50, v50, v51
	v_cndmask_b32_e32 v50, 0, v50, vcc
	v_mov_b32_e32 v51, 0x7f800000
	v_cmp_nlt_f32_e32 vcc, s22, v49
	s_mov_b32 s22, 0x3f2aaaab
	s_mov_b32 s23, 0x7f800000
	v_cndmask_b32_e32 v101, v51, v50, vcc
	v_add_f32_e32 v49, 1.0, v101
	v_add_f32_e32 v50, -1.0, v49
	v_sub_f32_e32 v51, v50, v49
	v_add_f32_e32 v51, 1.0, v51
	v_sub_f32_e32 v50, v101, v50
	v_add_f32_e32 v52, v50, v51
	v_frexp_mant_f32_e32 v53, v49
	v_cvt_f64_f32_e32 v[50:51], v49
	v_frexp_exp_i32_f64_e32 v50, v[50:51]
	v_cmp_gt_f32_e32 vcc, s22, v53
	s_mov_b32 s22, 0x3f317218
	s_nop 0
	v_subbrev_co_u32_e32 v66, vcc, 0, v50, vcc
	v_sub_u32_e32 v50, 0, v66
	v_ldexp_f32 v49, v49, v50
	v_ldexp_f32 v50, v52, v50
	v_add_f32_e32 v52, -1.0, v49
	v_add_f32_e32 v51, 1.0, v52
	v_sub_f32_e32 v51, v49, v51
	v_add_f32_e32 v53, v50, v51
	v_add_f32_e32 v51, 1.0, v49
	v_add_f32_e32 v54, -1.0, v51
	v_sub_f32_e32 v49, v49, v54
	v_add_f32_e32 v49, v50, v49
	v_add_f32_e32 v67, v51, v49
	v_rcp_f32_e32 v84, v67
	v_sub_f32_e32 v50, v51, v67
	v_add_f32_e32 v51, v52, v53
	v_add_f32_e32 v49, v49, v50
	v_mul_f32_e32 v86, v51, v84
	v_sub_f32_e32 v50, v52, v51
	v_mul_f32_e32 v52, v67, v86
	v_fma_f32 v54, v86, v67, -v52
	v_fmac_f32_e32 v54, v86, v49
	v_add_f32_e32 v85, v53, v50
	v_add_f32_e32 v50, v52, v54
	v_sub_f32_e32 v53, v51, v50
	v_pk_add_f32 v[64:65], v[50:51], v[52:53] neg_lo:[0,1] neg_hi:[0,1]
	v_mov_b32_e32 v55, v50
	v_pk_add_f32 v[50:51], v[64:65], v[54:55] neg_lo:[0,1] neg_hi:[0,1]
	v_cmp_eq_f32_e32 vcc, s23, v101
	v_add_f32_e32 v51, v85, v51
	v_add_f32_e32 v50, v50, v51
	;; [unrolled: 1-line block ×3, first 2 shown]
	v_mul_f32_e32 v85, v84, v51
	v_mul_f32_e32 v52, v67, v85
	v_fma_f32 v54, v85, v67, -v52
	v_fmac_f32_e32 v54, v85, v49
	v_sub_f32_e32 v49, v53, v51
	v_add_f32_e32 v49, v50, v49
	v_add_f32_e32 v50, v52, v54
	v_sub_f32_e32 v53, v51, v50
	v_pk_add_f32 v[64:65], v[50:51], v[52:53] neg_lo:[0,1] neg_hi:[0,1]
	v_mov_b32_e32 v55, v50
	v_pk_add_f32 v[50:51], v[64:65], v[54:55] neg_lo:[0,1] neg_hi:[0,1]
	v_cvt_f32_i32_e32 v52, v66
	v_add_f32_e32 v49, v49, v51
	v_add_f32_e32 v49, v50, v49
	;; [unrolled: 1-line block ×4, first 2 shown]
	v_sub_f32_e32 v51, v50, v86
	v_mul_f32_e32 v49, v84, v49
	v_sub_f32_e32 v51, v85, v51
	v_add_f32_e32 v49, v51, v49
	v_add_f32_e32 v53, v50, v49
	v_mul_f32_e32 v54, v53, v53
	v_mov_b32_e32 v51, 0x3ecc95a3
	v_fmac_f32_e32 v51, 0x3e9b6dac, v54
	v_sub_f32_e32 v50, v53, v50
	v_fmaak_f32 v51, v54, v51, 0x3f2aaada
	v_sub_f32_e32 v49, v49, v50
	v_ldexp_f32 v55, v53, 1
	v_mul_f32_e32 v53, v53, v54
	v_mov_b32_e32 v50, 0x3f317218
	v_pk_mul_f32 v[50:51], v[52:53], v[50:51]
	v_ldexp_f32 v49, v49, 1
	v_fma_f32 v53, v52, s22, -v50
	v_fmamk_f32 v54, v52, 0xb102e308, v53
	v_pk_add_f32 v[52:53], v[50:51], v[54:55]
	v_mov_b32_e32 v64, v50
	v_sub_f32_e32 v55, v53, v55
	v_sub_f32_e32 v55, v51, v55
	v_add_f32_e32 v65, v49, v55
	v_pk_add_f32 v[50:51], v[52:53], v[50:51] neg_lo:[0,1] neg_hi:[0,1]
	v_pk_add_f32 v[66:67], v[52:53], v[64:65]
	v_mov_b32_e32 v55, v52
	v_mov_b32_e32 v51, v67
	v_pk_add_f32 v[84:85], v[54:55], v[50:51] neg_lo:[0,1] neg_hi:[0,1]
	v_pk_add_f32 v[50:51], v[54:55], v[50:51]
	v_mov_b32_e32 v64, v65
	v_mov_b32_e32 v54, v51
	v_pk_add_f32 v[86:87], v[54:55], v[52:53] neg_lo:[0,1] neg_hi:[0,1]
	v_mov_b32_e32 v50, v67
	v_mov_b32_e32 v49, v86
	v_pk_add_f32 v[102:103], v[66:67], v[48:49] neg_lo:[0,1] neg_hi:[0,1]
	v_mov_b32_e32 v66, v53
	v_mov_b32_e32 v67, v86
	;; [unrolled: 1-line block ×3, first 2 shown]
	v_pk_add_f32 v[50:51], v[50:51], v[66:67] neg_lo:[0,1] neg_hi:[0,1]
	v_mov_b32_e32 v65, v52
	v_pk_add_f32 v[50:51], v[64:65], v[50:51] neg_lo:[0,1] neg_hi:[0,1]
	v_mov_b32_e32 v102, v84
	v_pk_add_f32 v[52:53], v[102:103], v[50:51]
	s_mov_b32 s22, 0x33800000
	v_mov_b32_e32 v64, v53
	v_pk_add_f32 v[64:65], v[52:53], v[64:65]
	v_cmp_lt_f32_e64 s[22:23], |v101|, s22
	v_pk_add_f32 v[54:55], v[54:55], v[64:65]
	v_mov_b32_e32 v51, v64
	v_mov_b32_e32 v53, v54
	v_pk_add_f32 v[66:67], v[52:53], v[84:85] neg_lo:[0,1] neg_hi:[0,1]
	s_or_b64 vcc, vcc, s[22:23]
	v_sub_f32_e32 v49, v52, v66
	v_pk_add_f32 v[50:51], v[50:51], v[66:67] neg_lo:[0,1] neg_hi:[0,1]
	v_sub_f32_e32 v49, v84, v49
	v_add_f32_e32 v49, v50, v49
	v_add_f32_e32 v49, v49, v51
	;; [unrolled: 1-line block ×3, first 2 shown]
	v_cndmask_b32_e32 v49, v49, v101, vcc
	v_add_f32_e32 v128, v48, v49
.LBB93_71:
	s_or_b64 exec, exec, s[20:21]
	v_max_f32_e32 v84, v34, v34
	v_max_f32_e32 v48, v128, v128
	v_min_f32_e32 v49, v48, v84
	v_cmp_u_f32_e32 vcc, v128, v128
	v_max_f32_e32 v48, v48, v84
	v_cmp_u_f32_e64 s[20:21], v34, v34
	v_cndmask_b32_e32 v49, v49, v128, vcc
	v_cndmask_b32_e32 v48, v48, v128, vcc
	v_cndmask_b32_e64 v49, v49, v34, s[20:21]
	v_cndmask_b32_e64 v48, v48, v34, s[20:21]
	v_cmp_neq_f32_e32 vcc, v49, v48
	v_cmp_class_f32_e64 s[22:23], v49, s13
	s_or_b64 s[24:25], vcc, s[22:23]
	s_and_saveexec_b64 s[22:23], s[24:25]
	s_cbranch_execz .LBB93_73
; %bb.72:
	v_sub_f32_e32 v49, v49, v48
	s_mov_b32 s13, 0x3fb8aa3b
	v_mul_f32_e32 v50, 0x3fb8aa3b, v49
	v_fma_f32 v51, v49, s13, -v50
	v_rndne_f32_e32 v52, v50
	v_fmamk_f32 v51, v49, 0x32a5705f, v51
	v_sub_f32_e32 v50, v50, v52
	v_add_f32_e32 v50, v50, v51
	v_exp_f32_e32 v50, v50
	v_cvt_i32_f32_e32 v51, v52
	s_mov_b32 s13, 0xc2ce8ed0
	v_cmp_ngt_f32_e32 vcc, s13, v49
	s_mov_b32 s13, 0x42b17218
	v_ldexp_f32 v50, v50, v51
	v_cndmask_b32_e32 v50, 0, v50, vcc
	v_mov_b32_e32 v51, 0x7f800000
	v_cmp_nlt_f32_e32 vcc, s13, v49
	s_mov_b32 s13, 0x3f2aaaab
	s_mov_b32 s24, 0x7f800000
	v_cndmask_b32_e32 v85, v51, v50, vcc
	v_add_f32_e32 v49, 1.0, v85
	v_add_f32_e32 v50, -1.0, v49
	v_sub_f32_e32 v51, v50, v49
	v_add_f32_e32 v51, 1.0, v51
	v_sub_f32_e32 v50, v85, v50
	v_add_f32_e32 v52, v50, v51
	v_frexp_mant_f32_e32 v53, v49
	v_cvt_f64_f32_e32 v[50:51], v49
	v_frexp_exp_i32_f64_e32 v50, v[50:51]
	v_cmp_gt_f32_e32 vcc, s13, v53
	s_mov_b32 s13, 0x3f317218
	s_nop 0
	v_subbrev_co_u32_e32 v66, vcc, 0, v50, vcc
	v_sub_u32_e32 v50, 0, v66
	v_ldexp_f32 v49, v49, v50
	v_ldexp_f32 v50, v52, v50
	v_add_f32_e32 v52, -1.0, v49
	v_add_f32_e32 v51, 1.0, v52
	v_sub_f32_e32 v51, v49, v51
	v_add_f32_e32 v53, v50, v51
	v_add_f32_e32 v51, 1.0, v49
	v_add_f32_e32 v54, -1.0, v51
	v_sub_f32_e32 v49, v49, v54
	v_add_f32_e32 v49, v50, v49
	v_add_f32_e32 v67, v51, v49
	v_rcp_f32_e32 v86, v67
	v_sub_f32_e32 v50, v51, v67
	v_add_f32_e32 v51, v52, v53
	v_add_f32_e32 v49, v49, v50
	v_mul_f32_e32 v101, v51, v86
	v_sub_f32_e32 v50, v52, v51
	v_mul_f32_e32 v52, v67, v101
	v_fma_f32 v54, v101, v67, -v52
	v_fmac_f32_e32 v54, v101, v49
	v_add_f32_e32 v87, v53, v50
	v_add_f32_e32 v50, v52, v54
	v_sub_f32_e32 v53, v51, v50
	v_pk_add_f32 v[64:65], v[50:51], v[52:53] neg_lo:[0,1] neg_hi:[0,1]
	v_mov_b32_e32 v55, v50
	v_pk_add_f32 v[50:51], v[64:65], v[54:55] neg_lo:[0,1] neg_hi:[0,1]
	v_cmp_eq_f32_e32 vcc, s24, v85
	v_add_f32_e32 v51, v87, v51
	v_add_f32_e32 v50, v50, v51
	;; [unrolled: 1-line block ×3, first 2 shown]
	v_mul_f32_e32 v87, v86, v51
	v_mul_f32_e32 v52, v67, v87
	v_fma_f32 v54, v87, v67, -v52
	v_fmac_f32_e32 v54, v87, v49
	v_sub_f32_e32 v49, v53, v51
	v_add_f32_e32 v49, v50, v49
	v_add_f32_e32 v50, v52, v54
	v_sub_f32_e32 v53, v51, v50
	v_pk_add_f32 v[64:65], v[50:51], v[52:53] neg_lo:[0,1] neg_hi:[0,1]
	v_mov_b32_e32 v55, v50
	v_pk_add_f32 v[50:51], v[64:65], v[54:55] neg_lo:[0,1] neg_hi:[0,1]
	v_cvt_f32_i32_e32 v52, v66
	v_add_f32_e32 v49, v49, v51
	v_add_f32_e32 v49, v50, v49
	;; [unrolled: 1-line block ×4, first 2 shown]
	v_sub_f32_e32 v51, v50, v101
	v_mul_f32_e32 v49, v86, v49
	v_sub_f32_e32 v51, v87, v51
	v_add_f32_e32 v49, v51, v49
	v_add_f32_e32 v53, v50, v49
	v_mul_f32_e32 v54, v53, v53
	v_mov_b32_e32 v51, 0x3ecc95a3
	v_fmac_f32_e32 v51, 0x3e9b6dac, v54
	v_sub_f32_e32 v50, v53, v50
	v_fmaak_f32 v51, v54, v51, 0x3f2aaada
	v_sub_f32_e32 v49, v49, v50
	v_ldexp_f32 v55, v53, 1
	v_mul_f32_e32 v53, v53, v54
	v_mov_b32_e32 v50, 0x3f317218
	v_pk_mul_f32 v[50:51], v[52:53], v[50:51]
	v_ldexp_f32 v49, v49, 1
	v_fma_f32 v53, v52, s13, -v50
	v_fmamk_f32 v54, v52, 0xb102e308, v53
	v_pk_add_f32 v[52:53], v[50:51], v[54:55]
	v_mov_b32_e32 v64, v50
	v_sub_f32_e32 v55, v53, v55
	v_sub_f32_e32 v55, v51, v55
	v_add_f32_e32 v65, v49, v55
	v_pk_add_f32 v[50:51], v[52:53], v[50:51] neg_lo:[0,1] neg_hi:[0,1]
	v_pk_add_f32 v[66:67], v[52:53], v[64:65]
	v_mov_b32_e32 v55, v52
	v_mov_b32_e32 v51, v67
	v_pk_add_f32 v[86:87], v[54:55], v[50:51] neg_lo:[0,1] neg_hi:[0,1]
	v_pk_add_f32 v[50:51], v[54:55], v[50:51]
	v_mov_b32_e32 v64, v65
	v_mov_b32_e32 v54, v51
	v_pk_add_f32 v[102:103], v[54:55], v[52:53] neg_lo:[0,1] neg_hi:[0,1]
	v_mov_b32_e32 v50, v67
	v_mov_b32_e32 v49, v102
	v_pk_add_f32 v[112:113], v[66:67], v[48:49] neg_lo:[0,1] neg_hi:[0,1]
	v_mov_b32_e32 v66, v53
	v_mov_b32_e32 v67, v102
	v_mov_b32_e32 v87, v51
	v_pk_add_f32 v[50:51], v[50:51], v[66:67] neg_lo:[0,1] neg_hi:[0,1]
	v_mov_b32_e32 v65, v52
	v_pk_add_f32 v[50:51], v[64:65], v[50:51] neg_lo:[0,1] neg_hi:[0,1]
	v_mov_b32_e32 v112, v86
	v_pk_add_f32 v[52:53], v[112:113], v[50:51]
	s_mov_b32 s13, 0x33800000
	v_mov_b32_e32 v64, v53
	v_pk_add_f32 v[64:65], v[52:53], v[64:65]
	v_cmp_lt_f32_e64 s[24:25], |v85|, s13
	v_pk_add_f32 v[54:55], v[54:55], v[64:65]
	v_mov_b32_e32 v51, v64
	v_mov_b32_e32 v53, v54
	v_pk_add_f32 v[66:67], v[52:53], v[86:87] neg_lo:[0,1] neg_hi:[0,1]
	s_or_b64 vcc, vcc, s[24:25]
	v_sub_f32_e32 v49, v52, v66
	v_pk_add_f32 v[50:51], v[50:51], v[66:67] neg_lo:[0,1] neg_hi:[0,1]
	v_sub_f32_e32 v49, v86, v49
	v_add_f32_e32 v49, v50, v49
	v_add_f32_e32 v49, v49, v51
	;; [unrolled: 1-line block ×3, first 2 shown]
	v_cndmask_b32_e32 v49, v49, v85, vcc
	v_add_f32_e32 v128, v48, v49
.LBB93_73:
	s_or_b64 exec, exec, s[22:23]
	v_max_f32_e32 v85, v35, v35
	v_max_f32_e32 v48, v128, v128
	v_min_f32_e32 v49, v48, v85
	v_cmp_u_f32_e32 vcc, v128, v128
	v_max_f32_e32 v48, v48, v85
	v_cmp_u_f32_e64 s[22:23], v35, v35
	v_cndmask_b32_e32 v49, v49, v128, vcc
	v_cndmask_b32_e32 v48, v48, v128, vcc
	v_cndmask_b32_e64 v49, v49, v35, s[22:23]
	v_cndmask_b32_e64 v48, v48, v35, s[22:23]
	s_movk_i32 s13, 0x1f8
	v_cmp_neq_f32_e32 vcc, v49, v48
	v_cmp_class_f32_e64 s[24:25], v49, s13
	s_or_b64 s[26:27], vcc, s[24:25]
	s_and_saveexec_b64 s[24:25], s[26:27]
	s_cbranch_execz .LBB93_75
; %bb.74:
	v_sub_f32_e32 v49, v49, v48
	s_mov_b32 s26, 0x3fb8aa3b
	v_mul_f32_e32 v50, 0x3fb8aa3b, v49
	v_fma_f32 v51, v49, s26, -v50
	v_rndne_f32_e32 v52, v50
	v_fmamk_f32 v51, v49, 0x32a5705f, v51
	v_sub_f32_e32 v50, v50, v52
	v_add_f32_e32 v50, v50, v51
	v_exp_f32_e32 v50, v50
	v_cvt_i32_f32_e32 v51, v52
	s_mov_b32 s26, 0xc2ce8ed0
	v_cmp_ngt_f32_e32 vcc, s26, v49
	s_mov_b32 s26, 0x42b17218
	v_ldexp_f32 v50, v50, v51
	v_cndmask_b32_e32 v50, 0, v50, vcc
	v_mov_b32_e32 v51, 0x7f800000
	v_cmp_nlt_f32_e32 vcc, s26, v49
	s_mov_b32 s26, 0x3f2aaaab
	s_mov_b32 s27, 0x7f800000
	v_cndmask_b32_e32 v101, v51, v50, vcc
	v_add_f32_e32 v49, 1.0, v101
	v_add_f32_e32 v50, -1.0, v49
	v_sub_f32_e32 v51, v50, v49
	v_add_f32_e32 v51, 1.0, v51
	v_sub_f32_e32 v50, v101, v50
	v_add_f32_e32 v52, v50, v51
	v_frexp_mant_f32_e32 v53, v49
	v_cvt_f64_f32_e32 v[50:51], v49
	v_frexp_exp_i32_f64_e32 v50, v[50:51]
	v_cmp_gt_f32_e32 vcc, s26, v53
	s_mov_b32 s26, 0x3f317218
	s_nop 0
	v_subbrev_co_u32_e32 v66, vcc, 0, v50, vcc
	v_sub_u32_e32 v50, 0, v66
	v_ldexp_f32 v49, v49, v50
	v_ldexp_f32 v50, v52, v50
	v_add_f32_e32 v52, -1.0, v49
	v_add_f32_e32 v51, 1.0, v52
	v_sub_f32_e32 v51, v49, v51
	v_add_f32_e32 v53, v50, v51
	v_add_f32_e32 v51, 1.0, v49
	v_add_f32_e32 v54, -1.0, v51
	v_sub_f32_e32 v49, v49, v54
	v_add_f32_e32 v49, v50, v49
	v_add_f32_e32 v67, v51, v49
	v_rcp_f32_e32 v86, v67
	v_sub_f32_e32 v50, v51, v67
	v_add_f32_e32 v51, v52, v53
	v_add_f32_e32 v49, v49, v50
	v_mul_f32_e32 v102, v51, v86
	v_sub_f32_e32 v50, v52, v51
	v_mul_f32_e32 v52, v67, v102
	v_fma_f32 v54, v102, v67, -v52
	v_fmac_f32_e32 v54, v102, v49
	v_add_f32_e32 v87, v53, v50
	v_add_f32_e32 v50, v52, v54
	v_sub_f32_e32 v53, v51, v50
	v_pk_add_f32 v[64:65], v[50:51], v[52:53] neg_lo:[0,1] neg_hi:[0,1]
	v_mov_b32_e32 v55, v50
	v_pk_add_f32 v[50:51], v[64:65], v[54:55] neg_lo:[0,1] neg_hi:[0,1]
	v_cmp_eq_f32_e32 vcc, s27, v101
	v_add_f32_e32 v51, v87, v51
	v_add_f32_e32 v50, v50, v51
	;; [unrolled: 1-line block ×3, first 2 shown]
	v_mul_f32_e32 v87, v86, v51
	v_mul_f32_e32 v52, v67, v87
	v_fma_f32 v54, v87, v67, -v52
	v_fmac_f32_e32 v54, v87, v49
	v_sub_f32_e32 v49, v53, v51
	v_add_f32_e32 v49, v50, v49
	v_add_f32_e32 v50, v52, v54
	v_sub_f32_e32 v53, v51, v50
	v_pk_add_f32 v[64:65], v[50:51], v[52:53] neg_lo:[0,1] neg_hi:[0,1]
	v_mov_b32_e32 v55, v50
	v_pk_add_f32 v[50:51], v[64:65], v[54:55] neg_lo:[0,1] neg_hi:[0,1]
	v_cvt_f32_i32_e32 v52, v66
	v_add_f32_e32 v49, v49, v51
	v_add_f32_e32 v49, v50, v49
	;; [unrolled: 1-line block ×4, first 2 shown]
	v_sub_f32_e32 v51, v50, v102
	v_mul_f32_e32 v49, v86, v49
	v_sub_f32_e32 v51, v87, v51
	v_add_f32_e32 v49, v51, v49
	v_add_f32_e32 v53, v50, v49
	v_mul_f32_e32 v54, v53, v53
	v_mov_b32_e32 v51, 0x3ecc95a3
	v_fmac_f32_e32 v51, 0x3e9b6dac, v54
	v_sub_f32_e32 v50, v53, v50
	v_fmaak_f32 v51, v54, v51, 0x3f2aaada
	v_sub_f32_e32 v49, v49, v50
	v_ldexp_f32 v55, v53, 1
	v_mul_f32_e32 v53, v53, v54
	v_mov_b32_e32 v50, 0x3f317218
	v_pk_mul_f32 v[50:51], v[52:53], v[50:51]
	v_ldexp_f32 v49, v49, 1
	v_fma_f32 v53, v52, s26, -v50
	v_fmamk_f32 v54, v52, 0xb102e308, v53
	v_pk_add_f32 v[52:53], v[50:51], v[54:55]
	v_mov_b32_e32 v64, v50
	v_sub_f32_e32 v55, v53, v55
	v_sub_f32_e32 v55, v51, v55
	v_add_f32_e32 v65, v49, v55
	v_pk_add_f32 v[50:51], v[52:53], v[50:51] neg_lo:[0,1] neg_hi:[0,1]
	v_pk_add_f32 v[66:67], v[52:53], v[64:65]
	v_mov_b32_e32 v55, v52
	v_mov_b32_e32 v51, v67
	v_pk_add_f32 v[86:87], v[54:55], v[50:51] neg_lo:[0,1] neg_hi:[0,1]
	v_pk_add_f32 v[50:51], v[54:55], v[50:51]
	v_mov_b32_e32 v64, v65
	v_mov_b32_e32 v54, v51
	v_pk_add_f32 v[102:103], v[54:55], v[52:53] neg_lo:[0,1] neg_hi:[0,1]
	v_mov_b32_e32 v50, v67
	v_mov_b32_e32 v49, v102
	v_pk_add_f32 v[112:113], v[66:67], v[48:49] neg_lo:[0,1] neg_hi:[0,1]
	v_mov_b32_e32 v66, v53
	v_mov_b32_e32 v67, v102
	;; [unrolled: 1-line block ×3, first 2 shown]
	v_pk_add_f32 v[50:51], v[50:51], v[66:67] neg_lo:[0,1] neg_hi:[0,1]
	v_mov_b32_e32 v65, v52
	v_pk_add_f32 v[50:51], v[64:65], v[50:51] neg_lo:[0,1] neg_hi:[0,1]
	v_mov_b32_e32 v112, v86
	v_pk_add_f32 v[52:53], v[112:113], v[50:51]
	s_mov_b32 s26, 0x33800000
	v_mov_b32_e32 v64, v53
	v_pk_add_f32 v[64:65], v[52:53], v[64:65]
	v_cmp_lt_f32_e64 s[26:27], |v101|, s26
	v_pk_add_f32 v[54:55], v[54:55], v[64:65]
	v_mov_b32_e32 v51, v64
	v_mov_b32_e32 v53, v54
	v_pk_add_f32 v[66:67], v[52:53], v[86:87] neg_lo:[0,1] neg_hi:[0,1]
	s_or_b64 vcc, vcc, s[26:27]
	v_sub_f32_e32 v49, v52, v66
	v_pk_add_f32 v[50:51], v[50:51], v[66:67] neg_lo:[0,1] neg_hi:[0,1]
	v_sub_f32_e32 v49, v86, v49
	v_add_f32_e32 v49, v50, v49
	v_add_f32_e32 v49, v49, v51
	;; [unrolled: 1-line block ×3, first 2 shown]
	v_cndmask_b32_e32 v49, v49, v101, vcc
	v_add_f32_e32 v128, v48, v49
.LBB93_75:
	s_or_b64 exec, exec, s[24:25]
	v_max_f32_e32 v86, v28, v28
	v_max_f32_e32 v48, v128, v128
	v_min_f32_e32 v49, v48, v86
	v_cmp_u_f32_e32 vcc, v128, v128
	v_max_f32_e32 v48, v48, v86
	v_cmp_u_f32_e64 s[24:25], v28, v28
	v_cndmask_b32_e32 v49, v49, v128, vcc
	v_cndmask_b32_e32 v48, v48, v128, vcc
	v_cndmask_b32_e64 v49, v49, v28, s[24:25]
	v_cndmask_b32_e64 v48, v48, v28, s[24:25]
	v_cmp_neq_f32_e32 vcc, v49, v48
	v_cmp_class_f32_e64 s[26:27], v49, s13
	s_or_b64 s[28:29], vcc, s[26:27]
	s_and_saveexec_b64 s[26:27], s[28:29]
	s_cbranch_execz .LBB93_77
; %bb.76:
	v_sub_f32_e32 v49, v49, v48
	s_mov_b32 s13, 0x3fb8aa3b
	v_mul_f32_e32 v50, 0x3fb8aa3b, v49
	v_fma_f32 v51, v49, s13, -v50
	v_rndne_f32_e32 v52, v50
	v_fmamk_f32 v51, v49, 0x32a5705f, v51
	v_sub_f32_e32 v50, v50, v52
	v_add_f32_e32 v50, v50, v51
	v_exp_f32_e32 v50, v50
	v_cvt_i32_f32_e32 v51, v52
	s_mov_b32 s13, 0xc2ce8ed0
	v_cmp_ngt_f32_e32 vcc, s13, v49
	s_mov_b32 s13, 0x42b17218
	v_ldexp_f32 v50, v50, v51
	v_cndmask_b32_e32 v50, 0, v50, vcc
	v_mov_b32_e32 v51, 0x7f800000
	v_cmp_nlt_f32_e32 vcc, s13, v49
	s_mov_b32 s13, 0x3f2aaaab
	s_mov_b32 s28, 0x7f800000
	v_cndmask_b32_e32 v87, v51, v50, vcc
	v_add_f32_e32 v49, 1.0, v87
	v_add_f32_e32 v50, -1.0, v49
	v_sub_f32_e32 v51, v50, v49
	v_add_f32_e32 v51, 1.0, v51
	v_sub_f32_e32 v50, v87, v50
	v_add_f32_e32 v52, v50, v51
	v_frexp_mant_f32_e32 v53, v49
	v_cvt_f64_f32_e32 v[50:51], v49
	v_frexp_exp_i32_f64_e32 v50, v[50:51]
	v_cmp_gt_f32_e32 vcc, s13, v53
	s_mov_b32 s13, 0x3f317218
	s_nop 0
	v_subbrev_co_u32_e32 v66, vcc, 0, v50, vcc
	v_sub_u32_e32 v50, 0, v66
	v_ldexp_f32 v49, v49, v50
	v_ldexp_f32 v50, v52, v50
	v_add_f32_e32 v52, -1.0, v49
	v_add_f32_e32 v51, 1.0, v52
	v_sub_f32_e32 v51, v49, v51
	v_add_f32_e32 v53, v50, v51
	v_add_f32_e32 v51, 1.0, v49
	v_add_f32_e32 v54, -1.0, v51
	v_sub_f32_e32 v49, v49, v54
	v_add_f32_e32 v49, v50, v49
	v_add_f32_e32 v67, v51, v49
	v_rcp_f32_e32 v101, v67
	v_sub_f32_e32 v50, v51, v67
	v_add_f32_e32 v51, v52, v53
	v_add_f32_e32 v49, v49, v50
	v_mul_f32_e32 v103, v51, v101
	v_sub_f32_e32 v50, v52, v51
	v_mul_f32_e32 v52, v67, v103
	v_fma_f32 v54, v103, v67, -v52
	v_fmac_f32_e32 v54, v103, v49
	v_add_f32_e32 v102, v53, v50
	v_add_f32_e32 v50, v52, v54
	v_sub_f32_e32 v53, v51, v50
	v_pk_add_f32 v[64:65], v[50:51], v[52:53] neg_lo:[0,1] neg_hi:[0,1]
	v_mov_b32_e32 v55, v50
	v_pk_add_f32 v[50:51], v[64:65], v[54:55] neg_lo:[0,1] neg_hi:[0,1]
	v_cmp_eq_f32_e32 vcc, s28, v87
	v_add_f32_e32 v51, v102, v51
	v_add_f32_e32 v50, v50, v51
	;; [unrolled: 1-line block ×3, first 2 shown]
	v_mul_f32_e32 v102, v101, v51
	v_mul_f32_e32 v52, v67, v102
	v_fma_f32 v54, v102, v67, -v52
	v_fmac_f32_e32 v54, v102, v49
	v_sub_f32_e32 v49, v53, v51
	v_add_f32_e32 v49, v50, v49
	v_add_f32_e32 v50, v52, v54
	v_sub_f32_e32 v53, v51, v50
	v_pk_add_f32 v[64:65], v[50:51], v[52:53] neg_lo:[0,1] neg_hi:[0,1]
	v_mov_b32_e32 v55, v50
	v_pk_add_f32 v[50:51], v[64:65], v[54:55] neg_lo:[0,1] neg_hi:[0,1]
	v_cvt_f32_i32_e32 v52, v66
	v_add_f32_e32 v49, v49, v51
	v_add_f32_e32 v49, v50, v49
	;; [unrolled: 1-line block ×4, first 2 shown]
	v_sub_f32_e32 v51, v50, v103
	v_mul_f32_e32 v49, v101, v49
	v_sub_f32_e32 v51, v102, v51
	v_add_f32_e32 v49, v51, v49
	v_add_f32_e32 v53, v50, v49
	v_mul_f32_e32 v54, v53, v53
	v_mov_b32_e32 v51, 0x3ecc95a3
	v_fmac_f32_e32 v51, 0x3e9b6dac, v54
	v_sub_f32_e32 v50, v53, v50
	v_fmaak_f32 v51, v54, v51, 0x3f2aaada
	v_sub_f32_e32 v49, v49, v50
	v_ldexp_f32 v55, v53, 1
	v_mul_f32_e32 v53, v53, v54
	v_mov_b32_e32 v50, 0x3f317218
	v_pk_mul_f32 v[50:51], v[52:53], v[50:51]
	v_ldexp_f32 v49, v49, 1
	v_fma_f32 v53, v52, s13, -v50
	v_fmamk_f32 v54, v52, 0xb102e308, v53
	v_pk_add_f32 v[52:53], v[50:51], v[54:55]
	v_mov_b32_e32 v64, v50
	v_sub_f32_e32 v55, v53, v55
	v_sub_f32_e32 v55, v51, v55
	v_add_f32_e32 v65, v49, v55
	v_pk_add_f32 v[50:51], v[52:53], v[50:51] neg_lo:[0,1] neg_hi:[0,1]
	v_pk_add_f32 v[66:67], v[52:53], v[64:65]
	v_mov_b32_e32 v55, v52
	v_mov_b32_e32 v51, v67
	v_pk_add_f32 v[102:103], v[54:55], v[50:51] neg_lo:[0,1] neg_hi:[0,1]
	v_pk_add_f32 v[50:51], v[54:55], v[50:51]
	v_mov_b32_e32 v64, v65
	v_mov_b32_e32 v54, v51
	v_pk_add_f32 v[112:113], v[54:55], v[52:53] neg_lo:[0,1] neg_hi:[0,1]
	v_mov_b32_e32 v50, v67
	v_mov_b32_e32 v49, v112
	v_pk_add_f32 v[114:115], v[66:67], v[48:49] neg_lo:[0,1] neg_hi:[0,1]
	v_mov_b32_e32 v66, v53
	v_mov_b32_e32 v67, v112
	;; [unrolled: 1-line block ×3, first 2 shown]
	v_pk_add_f32 v[50:51], v[50:51], v[66:67] neg_lo:[0,1] neg_hi:[0,1]
	v_mov_b32_e32 v65, v52
	v_pk_add_f32 v[50:51], v[64:65], v[50:51] neg_lo:[0,1] neg_hi:[0,1]
	v_mov_b32_e32 v114, v102
	v_pk_add_f32 v[52:53], v[114:115], v[50:51]
	s_mov_b32 s13, 0x33800000
	v_mov_b32_e32 v64, v53
	v_pk_add_f32 v[64:65], v[52:53], v[64:65]
	v_cmp_lt_f32_e64 s[28:29], |v87|, s13
	v_pk_add_f32 v[54:55], v[54:55], v[64:65]
	v_mov_b32_e32 v51, v64
	v_mov_b32_e32 v53, v54
	v_pk_add_f32 v[66:67], v[52:53], v[102:103] neg_lo:[0,1] neg_hi:[0,1]
	s_or_b64 vcc, vcc, s[28:29]
	v_sub_f32_e32 v49, v52, v66
	v_pk_add_f32 v[50:51], v[50:51], v[66:67] neg_lo:[0,1] neg_hi:[0,1]
	v_sub_f32_e32 v49, v102, v49
	v_add_f32_e32 v49, v50, v49
	v_add_f32_e32 v49, v49, v51
	;; [unrolled: 1-line block ×3, first 2 shown]
	v_cndmask_b32_e32 v49, v49, v87, vcc
	v_add_f32_e32 v128, v48, v49
.LBB93_77:
	s_or_b64 exec, exec, s[26:27]
	v_max_f32_e32 v87, v29, v29
	v_max_f32_e32 v48, v128, v128
	v_min_f32_e32 v49, v48, v87
	v_cmp_u_f32_e32 vcc, v128, v128
	v_max_f32_e32 v48, v48, v87
	v_cmp_u_f32_e64 s[26:27], v29, v29
	v_cndmask_b32_e32 v49, v49, v128, vcc
	v_cndmask_b32_e32 v48, v48, v128, vcc
	v_cndmask_b32_e64 v49, v49, v29, s[26:27]
	v_cndmask_b32_e64 v48, v48, v29, s[26:27]
	s_movk_i32 s13, 0x1f8
	v_cmp_neq_f32_e32 vcc, v49, v48
	v_cmp_class_f32_e64 s[28:29], v49, s13
	s_or_b64 vcc, vcc, s[28:29]
	s_and_saveexec_b64 s[28:29], vcc
	s_cbranch_execz .LBB93_79
; %bb.78:
	v_sub_f32_e32 v49, v49, v48
	s_mov_b32 s30, 0x3fb8aa3b
	v_mul_f32_e32 v50, 0x3fb8aa3b, v49
	v_fma_f32 v51, v49, s30, -v50
	v_rndne_f32_e32 v52, v50
	v_fmamk_f32 v51, v49, 0x32a5705f, v51
	v_sub_f32_e32 v50, v50, v52
	v_add_f32_e32 v50, v50, v51
	v_exp_f32_e32 v50, v50
	v_cvt_i32_f32_e32 v51, v52
	s_mov_b32 s30, 0xc2ce8ed0
	v_cmp_ngt_f32_e32 vcc, s30, v49
	s_mov_b32 s30, 0x42b17218
	v_ldexp_f32 v50, v50, v51
	v_cndmask_b32_e32 v50, 0, v50, vcc
	v_mov_b32_e32 v51, 0x7f800000
	v_cmp_nlt_f32_e32 vcc, s30, v49
	s_mov_b32 s30, 0x3f2aaaab
	s_mov_b32 s31, 0x7f800000
	v_cndmask_b32_e32 v101, v51, v50, vcc
	v_add_f32_e32 v49, 1.0, v101
	v_add_f32_e32 v50, -1.0, v49
	v_sub_f32_e32 v51, v50, v49
	v_add_f32_e32 v51, 1.0, v51
	v_sub_f32_e32 v50, v101, v50
	v_add_f32_e32 v52, v50, v51
	v_frexp_mant_f32_e32 v53, v49
	v_cvt_f64_f32_e32 v[50:51], v49
	v_frexp_exp_i32_f64_e32 v50, v[50:51]
	v_cmp_gt_f32_e32 vcc, s30, v53
	s_mov_b32 s30, 0x3f317218
	s_nop 0
	v_subbrev_co_u32_e32 v66, vcc, 0, v50, vcc
	v_sub_u32_e32 v50, 0, v66
	v_ldexp_f32 v49, v49, v50
	v_ldexp_f32 v50, v52, v50
	v_add_f32_e32 v52, -1.0, v49
	v_add_f32_e32 v51, 1.0, v52
	v_sub_f32_e32 v51, v49, v51
	v_add_f32_e32 v53, v50, v51
	v_add_f32_e32 v51, 1.0, v49
	v_add_f32_e32 v54, -1.0, v51
	v_sub_f32_e32 v49, v49, v54
	v_add_f32_e32 v49, v50, v49
	v_add_f32_e32 v67, v51, v49
	v_rcp_f32_e32 v102, v67
	v_sub_f32_e32 v50, v51, v67
	v_add_f32_e32 v51, v52, v53
	v_add_f32_e32 v49, v49, v50
	v_mul_f32_e32 v112, v51, v102
	v_sub_f32_e32 v50, v52, v51
	v_mul_f32_e32 v52, v67, v112
	v_fma_f32 v54, v112, v67, -v52
	v_fmac_f32_e32 v54, v112, v49
	v_add_f32_e32 v103, v53, v50
	v_add_f32_e32 v50, v52, v54
	v_sub_f32_e32 v53, v51, v50
	v_pk_add_f32 v[64:65], v[50:51], v[52:53] neg_lo:[0,1] neg_hi:[0,1]
	v_mov_b32_e32 v55, v50
	v_pk_add_f32 v[50:51], v[64:65], v[54:55] neg_lo:[0,1] neg_hi:[0,1]
	v_cmp_eq_f32_e32 vcc, s31, v101
	v_add_f32_e32 v51, v103, v51
	v_add_f32_e32 v50, v50, v51
	;; [unrolled: 1-line block ×3, first 2 shown]
	v_mul_f32_e32 v103, v102, v51
	v_mul_f32_e32 v52, v67, v103
	v_fma_f32 v54, v103, v67, -v52
	v_fmac_f32_e32 v54, v103, v49
	v_sub_f32_e32 v49, v53, v51
	v_add_f32_e32 v49, v50, v49
	v_add_f32_e32 v50, v52, v54
	v_sub_f32_e32 v53, v51, v50
	v_pk_add_f32 v[64:65], v[50:51], v[52:53] neg_lo:[0,1] neg_hi:[0,1]
	v_mov_b32_e32 v55, v50
	v_pk_add_f32 v[50:51], v[64:65], v[54:55] neg_lo:[0,1] neg_hi:[0,1]
	v_cvt_f32_i32_e32 v52, v66
	v_add_f32_e32 v49, v49, v51
	v_add_f32_e32 v49, v50, v49
	;; [unrolled: 1-line block ×4, first 2 shown]
	v_sub_f32_e32 v51, v50, v112
	v_mul_f32_e32 v49, v102, v49
	v_sub_f32_e32 v51, v103, v51
	v_add_f32_e32 v49, v51, v49
	v_add_f32_e32 v53, v50, v49
	v_mul_f32_e32 v54, v53, v53
	v_mov_b32_e32 v51, 0x3ecc95a3
	v_fmac_f32_e32 v51, 0x3e9b6dac, v54
	v_sub_f32_e32 v50, v53, v50
	v_fmaak_f32 v51, v54, v51, 0x3f2aaada
	v_sub_f32_e32 v49, v49, v50
	v_ldexp_f32 v55, v53, 1
	v_mul_f32_e32 v53, v53, v54
	v_mov_b32_e32 v50, 0x3f317218
	v_pk_mul_f32 v[50:51], v[52:53], v[50:51]
	v_ldexp_f32 v49, v49, 1
	v_fma_f32 v53, v52, s30, -v50
	v_fmamk_f32 v54, v52, 0xb102e308, v53
	v_pk_add_f32 v[52:53], v[50:51], v[54:55]
	v_mov_b32_e32 v64, v50
	v_sub_f32_e32 v55, v53, v55
	v_sub_f32_e32 v55, v51, v55
	v_add_f32_e32 v65, v49, v55
	v_pk_add_f32 v[50:51], v[52:53], v[50:51] neg_lo:[0,1] neg_hi:[0,1]
	v_pk_add_f32 v[66:67], v[52:53], v[64:65]
	v_mov_b32_e32 v55, v52
	v_mov_b32_e32 v51, v67
	v_pk_add_f32 v[102:103], v[54:55], v[50:51] neg_lo:[0,1] neg_hi:[0,1]
	v_pk_add_f32 v[50:51], v[54:55], v[50:51]
	v_mov_b32_e32 v64, v65
	v_mov_b32_e32 v54, v51
	v_pk_add_f32 v[112:113], v[54:55], v[52:53] neg_lo:[0,1] neg_hi:[0,1]
	v_mov_b32_e32 v50, v67
	v_mov_b32_e32 v49, v112
	v_pk_add_f32 v[114:115], v[66:67], v[48:49] neg_lo:[0,1] neg_hi:[0,1]
	v_mov_b32_e32 v66, v53
	v_mov_b32_e32 v67, v112
	;; [unrolled: 1-line block ×3, first 2 shown]
	v_pk_add_f32 v[50:51], v[50:51], v[66:67] neg_lo:[0,1] neg_hi:[0,1]
	v_mov_b32_e32 v65, v52
	v_pk_add_f32 v[50:51], v[64:65], v[50:51] neg_lo:[0,1] neg_hi:[0,1]
	v_mov_b32_e32 v114, v102
	v_pk_add_f32 v[52:53], v[114:115], v[50:51]
	s_mov_b32 s30, 0x33800000
	v_mov_b32_e32 v64, v53
	v_pk_add_f32 v[64:65], v[52:53], v[64:65]
	v_cmp_lt_f32_e64 s[30:31], |v101|, s30
	v_pk_add_f32 v[54:55], v[54:55], v[64:65]
	v_mov_b32_e32 v51, v64
	v_mov_b32_e32 v53, v54
	v_pk_add_f32 v[66:67], v[52:53], v[102:103] neg_lo:[0,1] neg_hi:[0,1]
	s_or_b64 vcc, vcc, s[30:31]
	v_sub_f32_e32 v49, v52, v66
	v_pk_add_f32 v[50:51], v[50:51], v[66:67] neg_lo:[0,1] neg_hi:[0,1]
	v_sub_f32_e32 v49, v102, v49
	v_add_f32_e32 v49, v50, v49
	v_add_f32_e32 v49, v49, v51
	;; [unrolled: 1-line block ×3, first 2 shown]
	v_cndmask_b32_e32 v49, v49, v101, vcc
	v_add_f32_e32 v128, v48, v49
.LBB93_79:
	s_or_b64 exec, exec, s[28:29]
	v_max_f32_e32 v101, v30, v30
	v_max_f32_e32 v48, v128, v128
	v_min_f32_e32 v49, v48, v101
	v_cmp_u_f32_e32 vcc, v128, v128
	v_max_f32_e32 v48, v48, v101
	v_cmp_u_f32_e64 s[28:29], v30, v30
	v_cndmask_b32_e32 v49, v49, v128, vcc
	v_cndmask_b32_e32 v48, v48, v128, vcc
	v_cndmask_b32_e64 v49, v49, v30, s[28:29]
	v_cndmask_b32_e64 v48, v48, v30, s[28:29]
	v_cmp_neq_f32_e32 vcc, v49, v48
	v_cmp_class_f32_e64 s[30:31], v49, s13
	s_or_b64 vcc, vcc, s[30:31]
	s_and_saveexec_b64 s[30:31], vcc
	s_cbranch_execz .LBB93_81
; %bb.80:
	v_sub_f32_e32 v49, v49, v48
	s_mov_b32 s13, 0x3fb8aa3b
	v_mul_f32_e32 v50, 0x3fb8aa3b, v49
	v_fma_f32 v51, v49, s13, -v50
	v_rndne_f32_e32 v52, v50
	v_fmamk_f32 v51, v49, 0x32a5705f, v51
	v_sub_f32_e32 v50, v50, v52
	v_add_f32_e32 v50, v50, v51
	v_exp_f32_e32 v50, v50
	v_cvt_i32_f32_e32 v51, v52
	s_mov_b32 s13, 0xc2ce8ed0
	v_cmp_ngt_f32_e32 vcc, s13, v49
	s_mov_b32 s13, 0x42b17218
	v_ldexp_f32 v50, v50, v51
	v_cndmask_b32_e32 v50, 0, v50, vcc
	v_mov_b32_e32 v51, 0x7f800000
	v_cmp_nlt_f32_e32 vcc, s13, v49
	s_mov_b32 s13, 0x3f2aaaab
	s_mov_b32 s34, 0x7f800000
	v_cndmask_b32_e32 v116, v51, v50, vcc
	v_add_f32_e32 v49, 1.0, v116
	v_add_f32_e32 v50, -1.0, v49
	v_sub_f32_e32 v51, v50, v49
	v_add_f32_e32 v51, 1.0, v51
	v_sub_f32_e32 v50, v116, v50
	v_add_f32_e32 v52, v50, v51
	v_frexp_mant_f32_e32 v53, v49
	v_cvt_f64_f32_e32 v[50:51], v49
	v_frexp_exp_i32_f64_e32 v50, v[50:51]
	v_cmp_gt_f32_e32 vcc, s13, v53
	s_mov_b32 s13, 0x3f317218
	s_nop 0
	v_subbrev_co_u32_e32 v66, vcc, 0, v50, vcc
	v_sub_u32_e32 v50, 0, v66
	v_ldexp_f32 v49, v49, v50
	v_ldexp_f32 v50, v52, v50
	v_add_f32_e32 v52, -1.0, v49
	v_add_f32_e32 v51, 1.0, v52
	v_sub_f32_e32 v51, v49, v51
	v_add_f32_e32 v53, v50, v51
	v_add_f32_e32 v51, 1.0, v49
	v_add_f32_e32 v54, -1.0, v51
	v_sub_f32_e32 v49, v49, v54
	v_add_f32_e32 v49, v50, v49
	v_add_f32_e32 v67, v51, v49
	v_rcp_f32_e32 v102, v67
	v_sub_f32_e32 v50, v51, v67
	v_add_f32_e32 v51, v52, v53
	v_add_f32_e32 v49, v49, v50
	v_mul_f32_e32 v112, v51, v102
	v_sub_f32_e32 v50, v52, v51
	v_mul_f32_e32 v52, v67, v112
	v_fma_f32 v54, v112, v67, -v52
	v_fmac_f32_e32 v54, v112, v49
	v_add_f32_e32 v103, v53, v50
	v_add_f32_e32 v50, v52, v54
	v_sub_f32_e32 v53, v51, v50
	v_pk_add_f32 v[64:65], v[50:51], v[52:53] neg_lo:[0,1] neg_hi:[0,1]
	v_mov_b32_e32 v55, v50
	v_pk_add_f32 v[50:51], v[64:65], v[54:55] neg_lo:[0,1] neg_hi:[0,1]
	v_cmp_eq_f32_e32 vcc, s34, v116
	v_add_f32_e32 v51, v103, v51
	v_add_f32_e32 v50, v50, v51
	;; [unrolled: 1-line block ×3, first 2 shown]
	v_mul_f32_e32 v103, v102, v51
	v_mul_f32_e32 v52, v67, v103
	v_fma_f32 v54, v103, v67, -v52
	v_fmac_f32_e32 v54, v103, v49
	v_sub_f32_e32 v49, v53, v51
	v_add_f32_e32 v49, v50, v49
	v_add_f32_e32 v50, v52, v54
	v_sub_f32_e32 v53, v51, v50
	v_pk_add_f32 v[64:65], v[50:51], v[52:53] neg_lo:[0,1] neg_hi:[0,1]
	v_mov_b32_e32 v55, v50
	v_pk_add_f32 v[50:51], v[64:65], v[54:55] neg_lo:[0,1] neg_hi:[0,1]
	v_cvt_f32_i32_e32 v52, v66
	v_add_f32_e32 v49, v49, v51
	v_add_f32_e32 v49, v50, v49
	v_add_f32_e32 v50, v112, v103
	v_add_f32_e32 v49, v53, v49
	v_sub_f32_e32 v51, v50, v112
	v_mul_f32_e32 v49, v102, v49
	v_sub_f32_e32 v51, v103, v51
	v_add_f32_e32 v49, v51, v49
	v_add_f32_e32 v53, v50, v49
	v_mul_f32_e32 v54, v53, v53
	v_mov_b32_e32 v51, 0x3ecc95a3
	v_fmac_f32_e32 v51, 0x3e9b6dac, v54
	v_sub_f32_e32 v50, v53, v50
	v_fmaak_f32 v51, v54, v51, 0x3f2aaada
	v_sub_f32_e32 v49, v49, v50
	v_ldexp_f32 v55, v53, 1
	v_mul_f32_e32 v53, v53, v54
	v_mov_b32_e32 v50, 0x3f317218
	v_pk_mul_f32 v[50:51], v[52:53], v[50:51]
	v_ldexp_f32 v49, v49, 1
	v_fma_f32 v53, v52, s13, -v50
	v_fmamk_f32 v54, v52, 0xb102e308, v53
	v_pk_add_f32 v[52:53], v[50:51], v[54:55]
	v_mov_b32_e32 v64, v50
	v_sub_f32_e32 v55, v53, v55
	v_sub_f32_e32 v55, v51, v55
	v_add_f32_e32 v65, v49, v55
	v_pk_add_f32 v[50:51], v[52:53], v[50:51] neg_lo:[0,1] neg_hi:[0,1]
	v_pk_add_f32 v[66:67], v[52:53], v[64:65]
	v_mov_b32_e32 v55, v52
	v_mov_b32_e32 v51, v67
	v_pk_add_f32 v[102:103], v[54:55], v[50:51] neg_lo:[0,1] neg_hi:[0,1]
	v_pk_add_f32 v[50:51], v[54:55], v[50:51]
	v_mov_b32_e32 v64, v65
	v_mov_b32_e32 v54, v51
	v_pk_add_f32 v[112:113], v[54:55], v[52:53] neg_lo:[0,1] neg_hi:[0,1]
	v_mov_b32_e32 v50, v67
	v_mov_b32_e32 v49, v112
	v_pk_add_f32 v[114:115], v[66:67], v[48:49] neg_lo:[0,1] neg_hi:[0,1]
	v_mov_b32_e32 v66, v53
	v_mov_b32_e32 v67, v112
	v_mov_b32_e32 v103, v51
	v_pk_add_f32 v[50:51], v[50:51], v[66:67] neg_lo:[0,1] neg_hi:[0,1]
	v_mov_b32_e32 v65, v52
	v_pk_add_f32 v[50:51], v[64:65], v[50:51] neg_lo:[0,1] neg_hi:[0,1]
	v_mov_b32_e32 v114, v102
	v_pk_add_f32 v[52:53], v[114:115], v[50:51]
	s_mov_b32 s13, 0x33800000
	v_mov_b32_e32 v64, v53
	v_pk_add_f32 v[64:65], v[52:53], v[64:65]
	v_cmp_lt_f32_e64 s[34:35], |v116|, s13
	v_pk_add_f32 v[54:55], v[54:55], v[64:65]
	v_mov_b32_e32 v51, v64
	v_mov_b32_e32 v53, v54
	v_pk_add_f32 v[66:67], v[52:53], v[102:103] neg_lo:[0,1] neg_hi:[0,1]
	s_or_b64 vcc, vcc, s[34:35]
	v_sub_f32_e32 v49, v52, v66
	v_pk_add_f32 v[50:51], v[50:51], v[66:67] neg_lo:[0,1] neg_hi:[0,1]
	v_sub_f32_e32 v49, v102, v49
	v_add_f32_e32 v49, v50, v49
	v_add_f32_e32 v49, v49, v51
	;; [unrolled: 1-line block ×3, first 2 shown]
	v_cndmask_b32_e32 v49, v49, v116, vcc
	v_add_f32_e32 v128, v48, v49
.LBB93_81:
	s_or_b64 exec, exec, s[30:31]
	v_max_f32_e32 v102, v31, v31
	v_max_f32_e32 v48, v128, v128
	v_min_f32_e32 v49, v48, v102
	v_cmp_u_f32_e32 vcc, v128, v128
	v_max_f32_e32 v48, v48, v102
	v_cmp_u_f32_e64 s[30:31], v31, v31
	v_cndmask_b32_e32 v49, v49, v128, vcc
	v_cndmask_b32_e32 v48, v48, v128, vcc
	v_cndmask_b32_e64 v49, v49, v31, s[30:31]
	v_cndmask_b32_e64 v48, v48, v31, s[30:31]
	s_movk_i32 s13, 0x1f8
	v_cmp_neq_f32_e32 vcc, v49, v48
	v_cmp_class_f32_e64 s[34:35], v49, s13
	s_or_b64 vcc, vcc, s[34:35]
	s_and_saveexec_b64 s[34:35], vcc
	s_cbranch_execz .LBB93_83
; %bb.82:
	v_sub_f32_e32 v49, v49, v48
	s_mov_b32 s36, 0x3fb8aa3b
	v_mul_f32_e32 v50, 0x3fb8aa3b, v49
	v_fma_f32 v51, v49, s36, -v50
	v_rndne_f32_e32 v52, v50
	v_fmamk_f32 v51, v49, 0x32a5705f, v51
	v_sub_f32_e32 v50, v50, v52
	v_add_f32_e32 v50, v50, v51
	v_exp_f32_e32 v50, v50
	v_cvt_i32_f32_e32 v51, v52
	s_mov_b32 s36, 0xc2ce8ed0
	v_cmp_ngt_f32_e32 vcc, s36, v49
	s_mov_b32 s36, 0x42b17218
	v_ldexp_f32 v50, v50, v51
	v_cndmask_b32_e32 v50, 0, v50, vcc
	v_mov_b32_e32 v51, 0x7f800000
	v_cmp_nlt_f32_e32 vcc, s36, v49
	s_mov_b32 s36, 0x3f2aaaab
	s_mov_b32 s37, 0x7f800000
	v_cndmask_b32_e32 v103, v51, v50, vcc
	v_add_f32_e32 v49, 1.0, v103
	v_add_f32_e32 v50, -1.0, v49
	v_sub_f32_e32 v51, v50, v49
	v_add_f32_e32 v51, 1.0, v51
	v_sub_f32_e32 v50, v103, v50
	v_add_f32_e32 v52, v50, v51
	v_frexp_mant_f32_e32 v53, v49
	v_cvt_f64_f32_e32 v[50:51], v49
	v_frexp_exp_i32_f64_e32 v50, v[50:51]
	v_cmp_gt_f32_e32 vcc, s36, v53
	s_mov_b32 s36, 0x3f317218
	s_nop 0
	v_subbrev_co_u32_e32 v66, vcc, 0, v50, vcc
	v_sub_u32_e32 v50, 0, v66
	v_ldexp_f32 v49, v49, v50
	v_ldexp_f32 v50, v52, v50
	v_add_f32_e32 v52, -1.0, v49
	v_add_f32_e32 v51, 1.0, v52
	v_sub_f32_e32 v51, v49, v51
	v_add_f32_e32 v53, v50, v51
	v_add_f32_e32 v51, 1.0, v49
	v_add_f32_e32 v54, -1.0, v51
	v_sub_f32_e32 v49, v49, v54
	v_add_f32_e32 v49, v50, v49
	v_add_f32_e32 v67, v51, v49
	v_rcp_f32_e32 v112, v67
	v_sub_f32_e32 v50, v51, v67
	v_add_f32_e32 v51, v52, v53
	v_add_f32_e32 v49, v49, v50
	v_mul_f32_e32 v114, v51, v112
	v_sub_f32_e32 v50, v52, v51
	v_mul_f32_e32 v52, v67, v114
	v_fma_f32 v54, v114, v67, -v52
	v_fmac_f32_e32 v54, v114, v49
	v_add_f32_e32 v113, v53, v50
	v_add_f32_e32 v50, v52, v54
	v_sub_f32_e32 v53, v51, v50
	v_pk_add_f32 v[64:65], v[50:51], v[52:53] neg_lo:[0,1] neg_hi:[0,1]
	v_mov_b32_e32 v55, v50
	v_pk_add_f32 v[50:51], v[64:65], v[54:55] neg_lo:[0,1] neg_hi:[0,1]
	v_cmp_eq_f32_e32 vcc, s37, v103
	v_add_f32_e32 v51, v113, v51
	v_add_f32_e32 v50, v50, v51
	;; [unrolled: 1-line block ×3, first 2 shown]
	v_mul_f32_e32 v113, v112, v51
	v_mul_f32_e32 v52, v67, v113
	v_fma_f32 v54, v113, v67, -v52
	v_fmac_f32_e32 v54, v113, v49
	v_sub_f32_e32 v49, v53, v51
	v_add_f32_e32 v49, v50, v49
	v_add_f32_e32 v50, v52, v54
	v_sub_f32_e32 v53, v51, v50
	v_pk_add_f32 v[64:65], v[50:51], v[52:53] neg_lo:[0,1] neg_hi:[0,1]
	v_mov_b32_e32 v55, v50
	v_pk_add_f32 v[50:51], v[64:65], v[54:55] neg_lo:[0,1] neg_hi:[0,1]
	v_cvt_f32_i32_e32 v52, v66
	v_add_f32_e32 v49, v49, v51
	v_add_f32_e32 v49, v50, v49
	v_add_f32_e32 v50, v114, v113
	v_add_f32_e32 v49, v53, v49
	v_sub_f32_e32 v51, v50, v114
	v_mul_f32_e32 v49, v112, v49
	v_sub_f32_e32 v51, v113, v51
	v_add_f32_e32 v49, v51, v49
	v_add_f32_e32 v53, v50, v49
	v_mul_f32_e32 v54, v53, v53
	v_mov_b32_e32 v51, 0x3ecc95a3
	v_fmac_f32_e32 v51, 0x3e9b6dac, v54
	v_sub_f32_e32 v50, v53, v50
	v_fmaak_f32 v51, v54, v51, 0x3f2aaada
	v_sub_f32_e32 v49, v49, v50
	v_ldexp_f32 v55, v53, 1
	v_mul_f32_e32 v53, v53, v54
	v_mov_b32_e32 v50, 0x3f317218
	v_pk_mul_f32 v[50:51], v[52:53], v[50:51]
	v_ldexp_f32 v49, v49, 1
	v_fma_f32 v53, v52, s36, -v50
	v_fmamk_f32 v54, v52, 0xb102e308, v53
	v_pk_add_f32 v[52:53], v[50:51], v[54:55]
	v_mov_b32_e32 v64, v50
	v_sub_f32_e32 v55, v53, v55
	v_sub_f32_e32 v55, v51, v55
	v_add_f32_e32 v65, v49, v55
	v_pk_add_f32 v[50:51], v[52:53], v[50:51] neg_lo:[0,1] neg_hi:[0,1]
	v_pk_add_f32 v[66:67], v[52:53], v[64:65]
	v_mov_b32_e32 v55, v52
	v_mov_b32_e32 v51, v67
	v_pk_add_f32 v[112:113], v[54:55], v[50:51] neg_lo:[0,1] neg_hi:[0,1]
	v_pk_add_f32 v[50:51], v[54:55], v[50:51]
	v_mov_b32_e32 v64, v65
	v_mov_b32_e32 v54, v51
	v_pk_add_f32 v[114:115], v[54:55], v[52:53] neg_lo:[0,1] neg_hi:[0,1]
	v_mov_b32_e32 v50, v67
	v_mov_b32_e32 v49, v114
	v_pk_add_f32 v[116:117], v[66:67], v[48:49] neg_lo:[0,1] neg_hi:[0,1]
	v_mov_b32_e32 v66, v53
	v_mov_b32_e32 v67, v114
	;; [unrolled: 1-line block ×3, first 2 shown]
	v_pk_add_f32 v[50:51], v[50:51], v[66:67] neg_lo:[0,1] neg_hi:[0,1]
	v_mov_b32_e32 v65, v52
	v_pk_add_f32 v[50:51], v[64:65], v[50:51] neg_lo:[0,1] neg_hi:[0,1]
	v_mov_b32_e32 v116, v112
	v_pk_add_f32 v[52:53], v[116:117], v[50:51]
	s_mov_b32 s36, 0x33800000
	v_mov_b32_e32 v64, v53
	v_pk_add_f32 v[64:65], v[52:53], v[64:65]
	v_cmp_lt_f32_e64 s[36:37], |v103|, s36
	v_pk_add_f32 v[54:55], v[54:55], v[64:65]
	v_mov_b32_e32 v51, v64
	v_mov_b32_e32 v53, v54
	v_pk_add_f32 v[66:67], v[52:53], v[112:113] neg_lo:[0,1] neg_hi:[0,1]
	s_or_b64 vcc, vcc, s[36:37]
	v_sub_f32_e32 v49, v52, v66
	v_pk_add_f32 v[50:51], v[50:51], v[66:67] neg_lo:[0,1] neg_hi:[0,1]
	v_sub_f32_e32 v49, v112, v49
	v_add_f32_e32 v49, v50, v49
	v_add_f32_e32 v49, v49, v51
	;; [unrolled: 1-line block ×3, first 2 shown]
	v_cndmask_b32_e32 v49, v49, v103, vcc
	v_add_f32_e32 v128, v48, v49
.LBB93_83:
	s_or_b64 exec, exec, s[34:35]
	v_max_f32_e32 v103, v24, v24
	v_max_f32_e32 v48, v128, v128
	v_min_f32_e32 v49, v48, v103
	v_cmp_u_f32_e32 vcc, v128, v128
	v_max_f32_e32 v48, v48, v103
	v_cmp_u_f32_e64 s[34:35], v24, v24
	v_cndmask_b32_e32 v49, v49, v128, vcc
	v_cndmask_b32_e32 v48, v48, v128, vcc
	v_cndmask_b32_e64 v49, v49, v24, s[34:35]
	v_cndmask_b32_e64 v48, v48, v24, s[34:35]
	v_cmp_neq_f32_e32 vcc, v49, v48
	v_cmp_class_f32_e64 s[36:37], v49, s13
	s_or_b64 vcc, vcc, s[36:37]
	s_and_saveexec_b64 s[36:37], vcc
	s_cbranch_execz .LBB93_85
; %bb.84:
	v_sub_f32_e32 v49, v49, v48
	s_mov_b32 s13, 0x3fb8aa3b
	v_mul_f32_e32 v50, 0x3fb8aa3b, v49
	v_fma_f32 v51, v49, s13, -v50
	v_rndne_f32_e32 v52, v50
	v_fmamk_f32 v51, v49, 0x32a5705f, v51
	v_sub_f32_e32 v50, v50, v52
	v_add_f32_e32 v50, v50, v51
	v_exp_f32_e32 v50, v50
	v_cvt_i32_f32_e32 v51, v52
	s_mov_b32 s13, 0xc2ce8ed0
	v_cmp_ngt_f32_e32 vcc, s13, v49
	s_mov_b32 s13, 0x42b17218
	v_ldexp_f32 v50, v50, v51
	v_cndmask_b32_e32 v50, 0, v50, vcc
	v_mov_b32_e32 v51, 0x7f800000
	v_cmp_nlt_f32_e32 vcc, s13, v49
	s_mov_b32 s13, 0x3f2aaaab
	s_mov_b32 s38, 0x7f800000
	v_cndmask_b32_e32 v118, v51, v50, vcc
	v_add_f32_e32 v49, 1.0, v118
	v_add_f32_e32 v50, -1.0, v49
	v_sub_f32_e32 v51, v50, v49
	v_add_f32_e32 v51, 1.0, v51
	v_sub_f32_e32 v50, v118, v50
	v_add_f32_e32 v52, v50, v51
	v_frexp_mant_f32_e32 v53, v49
	v_cvt_f64_f32_e32 v[50:51], v49
	v_frexp_exp_i32_f64_e32 v50, v[50:51]
	v_cmp_gt_f32_e32 vcc, s13, v53
	s_mov_b32 s13, 0x3f317218
	s_nop 0
	v_subbrev_co_u32_e32 v66, vcc, 0, v50, vcc
	v_sub_u32_e32 v50, 0, v66
	v_ldexp_f32 v49, v49, v50
	v_ldexp_f32 v50, v52, v50
	v_add_f32_e32 v52, -1.0, v49
	v_add_f32_e32 v51, 1.0, v52
	v_sub_f32_e32 v51, v49, v51
	v_add_f32_e32 v53, v50, v51
	v_add_f32_e32 v51, 1.0, v49
	v_add_f32_e32 v54, -1.0, v51
	v_sub_f32_e32 v49, v49, v54
	v_add_f32_e32 v49, v50, v49
	v_add_f32_e32 v67, v51, v49
	v_rcp_f32_e32 v112, v67
	v_sub_f32_e32 v50, v51, v67
	v_add_f32_e32 v51, v52, v53
	v_add_f32_e32 v49, v49, v50
	v_mul_f32_e32 v114, v51, v112
	v_sub_f32_e32 v50, v52, v51
	v_mul_f32_e32 v52, v67, v114
	v_fma_f32 v54, v114, v67, -v52
	v_fmac_f32_e32 v54, v114, v49
	v_add_f32_e32 v113, v53, v50
	v_add_f32_e32 v50, v52, v54
	v_sub_f32_e32 v53, v51, v50
	v_pk_add_f32 v[64:65], v[50:51], v[52:53] neg_lo:[0,1] neg_hi:[0,1]
	v_mov_b32_e32 v55, v50
	v_pk_add_f32 v[50:51], v[64:65], v[54:55] neg_lo:[0,1] neg_hi:[0,1]
	v_cmp_eq_f32_e32 vcc, s38, v118
	v_add_f32_e32 v51, v113, v51
	v_add_f32_e32 v50, v50, v51
	;; [unrolled: 1-line block ×3, first 2 shown]
	v_mul_f32_e32 v113, v112, v51
	v_mul_f32_e32 v52, v67, v113
	v_fma_f32 v54, v113, v67, -v52
	v_fmac_f32_e32 v54, v113, v49
	v_sub_f32_e32 v49, v53, v51
	v_add_f32_e32 v49, v50, v49
	v_add_f32_e32 v50, v52, v54
	v_sub_f32_e32 v53, v51, v50
	v_pk_add_f32 v[64:65], v[50:51], v[52:53] neg_lo:[0,1] neg_hi:[0,1]
	v_mov_b32_e32 v55, v50
	v_pk_add_f32 v[50:51], v[64:65], v[54:55] neg_lo:[0,1] neg_hi:[0,1]
	v_cvt_f32_i32_e32 v52, v66
	v_add_f32_e32 v49, v49, v51
	v_add_f32_e32 v49, v50, v49
	;; [unrolled: 1-line block ×4, first 2 shown]
	v_sub_f32_e32 v51, v50, v114
	v_mul_f32_e32 v49, v112, v49
	v_sub_f32_e32 v51, v113, v51
	v_add_f32_e32 v49, v51, v49
	v_add_f32_e32 v53, v50, v49
	v_mul_f32_e32 v54, v53, v53
	v_mov_b32_e32 v51, 0x3ecc95a3
	v_fmac_f32_e32 v51, 0x3e9b6dac, v54
	v_sub_f32_e32 v50, v53, v50
	v_fmaak_f32 v51, v54, v51, 0x3f2aaada
	v_sub_f32_e32 v49, v49, v50
	v_ldexp_f32 v55, v53, 1
	v_mul_f32_e32 v53, v53, v54
	v_mov_b32_e32 v50, 0x3f317218
	v_pk_mul_f32 v[50:51], v[52:53], v[50:51]
	v_ldexp_f32 v49, v49, 1
	v_fma_f32 v53, v52, s13, -v50
	v_fmamk_f32 v54, v52, 0xb102e308, v53
	v_pk_add_f32 v[52:53], v[50:51], v[54:55]
	v_mov_b32_e32 v64, v50
	v_sub_f32_e32 v55, v53, v55
	v_sub_f32_e32 v55, v51, v55
	v_add_f32_e32 v65, v49, v55
	v_pk_add_f32 v[50:51], v[52:53], v[50:51] neg_lo:[0,1] neg_hi:[0,1]
	v_pk_add_f32 v[66:67], v[52:53], v[64:65]
	v_mov_b32_e32 v55, v52
	v_mov_b32_e32 v51, v67
	v_pk_add_f32 v[112:113], v[54:55], v[50:51] neg_lo:[0,1] neg_hi:[0,1]
	v_pk_add_f32 v[50:51], v[54:55], v[50:51]
	v_mov_b32_e32 v64, v65
	v_mov_b32_e32 v54, v51
	v_pk_add_f32 v[114:115], v[54:55], v[52:53] neg_lo:[0,1] neg_hi:[0,1]
	v_mov_b32_e32 v50, v67
	v_mov_b32_e32 v49, v114
	v_pk_add_f32 v[116:117], v[66:67], v[48:49] neg_lo:[0,1] neg_hi:[0,1]
	v_mov_b32_e32 v66, v53
	v_mov_b32_e32 v67, v114
	;; [unrolled: 1-line block ×3, first 2 shown]
	v_pk_add_f32 v[50:51], v[50:51], v[66:67] neg_lo:[0,1] neg_hi:[0,1]
	v_mov_b32_e32 v65, v52
	v_pk_add_f32 v[50:51], v[64:65], v[50:51] neg_lo:[0,1] neg_hi:[0,1]
	v_mov_b32_e32 v116, v112
	v_pk_add_f32 v[52:53], v[116:117], v[50:51]
	s_mov_b32 s13, 0x33800000
	v_mov_b32_e32 v64, v53
	v_pk_add_f32 v[64:65], v[52:53], v[64:65]
	v_cmp_lt_f32_e64 s[38:39], |v118|, s13
	v_pk_add_f32 v[54:55], v[54:55], v[64:65]
	v_mov_b32_e32 v51, v64
	v_mov_b32_e32 v53, v54
	v_pk_add_f32 v[66:67], v[52:53], v[112:113] neg_lo:[0,1] neg_hi:[0,1]
	s_or_b64 vcc, vcc, s[38:39]
	v_sub_f32_e32 v49, v52, v66
	v_pk_add_f32 v[50:51], v[50:51], v[66:67] neg_lo:[0,1] neg_hi:[0,1]
	v_sub_f32_e32 v49, v112, v49
	v_add_f32_e32 v49, v50, v49
	v_add_f32_e32 v49, v49, v51
	;; [unrolled: 1-line block ×3, first 2 shown]
	v_cndmask_b32_e32 v49, v49, v118, vcc
	v_add_f32_e32 v128, v48, v49
.LBB93_85:
	s_or_b64 exec, exec, s[36:37]
	v_max_f32_e32 v112, v25, v25
	v_max_f32_e32 v48, v128, v128
	v_min_f32_e32 v49, v48, v112
	v_cmp_u_f32_e32 vcc, v128, v128
	v_max_f32_e32 v48, v48, v112
	v_cmp_u_f32_e64 s[36:37], v25, v25
	v_cndmask_b32_e32 v49, v49, v128, vcc
	v_cndmask_b32_e32 v48, v48, v128, vcc
	v_cndmask_b32_e64 v49, v49, v25, s[36:37]
	v_cndmask_b32_e64 v48, v48, v25, s[36:37]
	s_movk_i32 s13, 0x1f8
	v_cmp_neq_f32_e32 vcc, v49, v48
	v_cmp_class_f32_e64 s[38:39], v49, s13
	s_or_b64 vcc, vcc, s[38:39]
	s_and_saveexec_b64 s[38:39], vcc
	s_cbranch_execz .LBB93_87
; %bb.86:
	v_sub_f32_e32 v49, v49, v48
	s_mov_b32 s40, 0x3fb8aa3b
	v_mul_f32_e32 v50, 0x3fb8aa3b, v49
	v_fma_f32 v51, v49, s40, -v50
	v_rndne_f32_e32 v52, v50
	v_fmamk_f32 v51, v49, 0x32a5705f, v51
	v_sub_f32_e32 v50, v50, v52
	v_add_f32_e32 v50, v50, v51
	v_exp_f32_e32 v50, v50
	v_cvt_i32_f32_e32 v51, v52
	s_mov_b32 s40, 0xc2ce8ed0
	v_cmp_ngt_f32_e32 vcc, s40, v49
	s_mov_b32 s40, 0x42b17218
	v_ldexp_f32 v50, v50, v51
	v_cndmask_b32_e32 v50, 0, v50, vcc
	v_mov_b32_e32 v51, 0x7f800000
	v_cmp_nlt_f32_e32 vcc, s40, v49
	s_mov_b32 s40, 0x3f2aaaab
	s_mov_b32 s41, 0x7f800000
	v_cndmask_b32_e32 v113, v51, v50, vcc
	v_add_f32_e32 v49, 1.0, v113
	v_add_f32_e32 v50, -1.0, v49
	v_sub_f32_e32 v51, v50, v49
	v_add_f32_e32 v51, 1.0, v51
	v_sub_f32_e32 v50, v113, v50
	v_add_f32_e32 v52, v50, v51
	v_frexp_mant_f32_e32 v53, v49
	v_cvt_f64_f32_e32 v[50:51], v49
	v_frexp_exp_i32_f64_e32 v50, v[50:51]
	v_cmp_gt_f32_e32 vcc, s40, v53
	s_mov_b32 s40, 0x3f317218
	s_nop 0
	v_subbrev_co_u32_e32 v66, vcc, 0, v50, vcc
	v_sub_u32_e32 v50, 0, v66
	v_ldexp_f32 v49, v49, v50
	v_ldexp_f32 v50, v52, v50
	v_add_f32_e32 v52, -1.0, v49
	v_add_f32_e32 v51, 1.0, v52
	v_sub_f32_e32 v51, v49, v51
	v_add_f32_e32 v53, v50, v51
	v_add_f32_e32 v51, 1.0, v49
	v_add_f32_e32 v54, -1.0, v51
	v_sub_f32_e32 v49, v49, v54
	v_add_f32_e32 v49, v50, v49
	v_add_f32_e32 v67, v51, v49
	v_rcp_f32_e32 v114, v67
	v_sub_f32_e32 v50, v51, v67
	v_add_f32_e32 v51, v52, v53
	v_add_f32_e32 v49, v49, v50
	v_mul_f32_e32 v116, v51, v114
	v_sub_f32_e32 v50, v52, v51
	v_mul_f32_e32 v52, v67, v116
	v_fma_f32 v54, v116, v67, -v52
	v_fmac_f32_e32 v54, v116, v49
	v_add_f32_e32 v115, v53, v50
	v_add_f32_e32 v50, v52, v54
	v_sub_f32_e32 v53, v51, v50
	v_pk_add_f32 v[64:65], v[50:51], v[52:53] neg_lo:[0,1] neg_hi:[0,1]
	v_mov_b32_e32 v55, v50
	v_pk_add_f32 v[50:51], v[64:65], v[54:55] neg_lo:[0,1] neg_hi:[0,1]
	v_cmp_eq_f32_e32 vcc, s41, v113
	v_add_f32_e32 v51, v115, v51
	v_add_f32_e32 v50, v50, v51
	;; [unrolled: 1-line block ×3, first 2 shown]
	v_mul_f32_e32 v115, v114, v51
	v_mul_f32_e32 v52, v67, v115
	v_fma_f32 v54, v115, v67, -v52
	v_fmac_f32_e32 v54, v115, v49
	v_sub_f32_e32 v49, v53, v51
	v_add_f32_e32 v49, v50, v49
	v_add_f32_e32 v50, v52, v54
	v_sub_f32_e32 v53, v51, v50
	v_pk_add_f32 v[64:65], v[50:51], v[52:53] neg_lo:[0,1] neg_hi:[0,1]
	v_mov_b32_e32 v55, v50
	v_pk_add_f32 v[50:51], v[64:65], v[54:55] neg_lo:[0,1] neg_hi:[0,1]
	v_cvt_f32_i32_e32 v52, v66
	v_add_f32_e32 v49, v49, v51
	v_add_f32_e32 v49, v50, v49
	;; [unrolled: 1-line block ×4, first 2 shown]
	v_sub_f32_e32 v51, v50, v116
	v_mul_f32_e32 v49, v114, v49
	v_sub_f32_e32 v51, v115, v51
	v_add_f32_e32 v49, v51, v49
	v_add_f32_e32 v53, v50, v49
	v_mul_f32_e32 v54, v53, v53
	v_mov_b32_e32 v51, 0x3ecc95a3
	v_fmac_f32_e32 v51, 0x3e9b6dac, v54
	v_sub_f32_e32 v50, v53, v50
	v_fmaak_f32 v51, v54, v51, 0x3f2aaada
	v_sub_f32_e32 v49, v49, v50
	v_ldexp_f32 v55, v53, 1
	v_mul_f32_e32 v53, v53, v54
	v_mov_b32_e32 v50, 0x3f317218
	v_pk_mul_f32 v[50:51], v[52:53], v[50:51]
	v_ldexp_f32 v49, v49, 1
	v_fma_f32 v53, v52, s40, -v50
	v_fmamk_f32 v54, v52, 0xb102e308, v53
	v_pk_add_f32 v[52:53], v[50:51], v[54:55]
	v_mov_b32_e32 v64, v50
	v_sub_f32_e32 v55, v53, v55
	v_sub_f32_e32 v55, v51, v55
	v_add_f32_e32 v65, v49, v55
	v_pk_add_f32 v[50:51], v[52:53], v[50:51] neg_lo:[0,1] neg_hi:[0,1]
	v_pk_add_f32 v[66:67], v[52:53], v[64:65]
	v_mov_b32_e32 v55, v52
	v_mov_b32_e32 v51, v67
	v_pk_add_f32 v[114:115], v[54:55], v[50:51] neg_lo:[0,1] neg_hi:[0,1]
	v_pk_add_f32 v[50:51], v[54:55], v[50:51]
	v_mov_b32_e32 v64, v65
	v_mov_b32_e32 v54, v51
	v_pk_add_f32 v[116:117], v[54:55], v[52:53] neg_lo:[0,1] neg_hi:[0,1]
	v_mov_b32_e32 v50, v67
	v_mov_b32_e32 v49, v116
	v_pk_add_f32 v[128:129], v[66:67], v[48:49] neg_lo:[0,1] neg_hi:[0,1]
	v_mov_b32_e32 v66, v53
	v_mov_b32_e32 v67, v116
	;; [unrolled: 1-line block ×3, first 2 shown]
	v_pk_add_f32 v[50:51], v[50:51], v[66:67] neg_lo:[0,1] neg_hi:[0,1]
	v_mov_b32_e32 v65, v52
	v_pk_add_f32 v[50:51], v[64:65], v[50:51] neg_lo:[0,1] neg_hi:[0,1]
	v_mov_b32_e32 v128, v114
	v_pk_add_f32 v[52:53], v[128:129], v[50:51]
	s_mov_b32 s40, 0x33800000
	v_mov_b32_e32 v64, v53
	v_pk_add_f32 v[64:65], v[52:53], v[64:65]
	v_cmp_lt_f32_e64 s[40:41], |v113|, s40
	v_pk_add_f32 v[54:55], v[54:55], v[64:65]
	v_mov_b32_e32 v51, v64
	v_mov_b32_e32 v53, v54
	v_pk_add_f32 v[66:67], v[52:53], v[114:115] neg_lo:[0,1] neg_hi:[0,1]
	s_or_b64 vcc, vcc, s[40:41]
	v_sub_f32_e32 v49, v52, v66
	v_pk_add_f32 v[50:51], v[50:51], v[66:67] neg_lo:[0,1] neg_hi:[0,1]
	v_sub_f32_e32 v49, v114, v49
	v_add_f32_e32 v49, v50, v49
	v_add_f32_e32 v49, v49, v51
	;; [unrolled: 1-line block ×3, first 2 shown]
	v_cndmask_b32_e32 v49, v49, v113, vcc
	v_add_f32_e32 v128, v48, v49
.LBB93_87:
	s_or_b64 exec, exec, s[38:39]
	v_max_f32_e32 v113, v26, v26
	v_max_f32_e32 v48, v128, v128
	v_min_f32_e32 v49, v48, v113
	v_cmp_u_f32_e32 vcc, v128, v128
	v_max_f32_e32 v48, v48, v113
	v_cmp_u_f32_e64 s[38:39], v26, v26
	v_cndmask_b32_e32 v49, v49, v128, vcc
	v_cndmask_b32_e32 v48, v48, v128, vcc
	v_cndmask_b32_e64 v49, v49, v26, s[38:39]
	v_cndmask_b32_e64 v48, v48, v26, s[38:39]
	v_cmp_neq_f32_e32 vcc, v49, v48
	v_cmp_class_f32_e64 s[40:41], v49, s13
	s_or_b64 vcc, vcc, s[40:41]
	s_and_saveexec_b64 s[40:41], vcc
	s_cbranch_execz .LBB93_89
; %bb.88:
	v_sub_f32_e32 v49, v49, v48
	s_mov_b32 s13, 0x3fb8aa3b
	v_mul_f32_e32 v50, 0x3fb8aa3b, v49
	v_fma_f32 v51, v49, s13, -v50
	v_rndne_f32_e32 v52, v50
	v_fmamk_f32 v51, v49, 0x32a5705f, v51
	v_sub_f32_e32 v50, v50, v52
	v_add_f32_e32 v50, v50, v51
	v_exp_f32_e32 v50, v50
	v_cvt_i32_f32_e32 v51, v52
	s_mov_b32 s13, 0xc2ce8ed0
	v_cmp_ngt_f32_e32 vcc, s13, v49
	s_mov_b32 s13, 0x42b17218
	v_ldexp_f32 v50, v50, v51
	v_cndmask_b32_e32 v50, 0, v50, vcc
	v_mov_b32_e32 v51, 0x7f800000
	v_cmp_nlt_f32_e32 vcc, s13, v49
	s_mov_b32 s13, 0x3f2aaaab
	s_mov_b32 s42, 0x7f800000
	v_cndmask_b32_e32 v118, v51, v50, vcc
	v_add_f32_e32 v49, 1.0, v118
	v_add_f32_e32 v50, -1.0, v49
	v_sub_f32_e32 v51, v50, v49
	v_add_f32_e32 v51, 1.0, v51
	v_sub_f32_e32 v50, v118, v50
	v_add_f32_e32 v52, v50, v51
	v_frexp_mant_f32_e32 v53, v49
	v_cvt_f64_f32_e32 v[50:51], v49
	v_frexp_exp_i32_f64_e32 v50, v[50:51]
	v_cmp_gt_f32_e32 vcc, s13, v53
	s_mov_b32 s13, 0x3f317218
	s_nop 0
	v_subbrev_co_u32_e32 v66, vcc, 0, v50, vcc
	v_sub_u32_e32 v50, 0, v66
	v_ldexp_f32 v49, v49, v50
	v_ldexp_f32 v50, v52, v50
	v_add_f32_e32 v52, -1.0, v49
	v_add_f32_e32 v51, 1.0, v52
	v_sub_f32_e32 v51, v49, v51
	v_add_f32_e32 v53, v50, v51
	v_add_f32_e32 v51, 1.0, v49
	v_add_f32_e32 v54, -1.0, v51
	v_sub_f32_e32 v49, v49, v54
	v_add_f32_e32 v49, v50, v49
	v_add_f32_e32 v67, v51, v49
	v_rcp_f32_e32 v114, v67
	v_sub_f32_e32 v50, v51, v67
	v_add_f32_e32 v51, v52, v53
	v_add_f32_e32 v49, v49, v50
	v_mul_f32_e32 v116, v51, v114
	v_sub_f32_e32 v50, v52, v51
	v_mul_f32_e32 v52, v67, v116
	v_fma_f32 v54, v116, v67, -v52
	v_fmac_f32_e32 v54, v116, v49
	v_add_f32_e32 v115, v53, v50
	v_add_f32_e32 v50, v52, v54
	v_sub_f32_e32 v53, v51, v50
	v_pk_add_f32 v[64:65], v[50:51], v[52:53] neg_lo:[0,1] neg_hi:[0,1]
	v_mov_b32_e32 v55, v50
	v_pk_add_f32 v[50:51], v[64:65], v[54:55] neg_lo:[0,1] neg_hi:[0,1]
	v_cmp_eq_f32_e32 vcc, s42, v118
	v_add_f32_e32 v51, v115, v51
	v_add_f32_e32 v50, v50, v51
	;; [unrolled: 1-line block ×3, first 2 shown]
	v_mul_f32_e32 v115, v114, v51
	v_mul_f32_e32 v52, v67, v115
	v_fma_f32 v54, v115, v67, -v52
	v_fmac_f32_e32 v54, v115, v49
	v_sub_f32_e32 v49, v53, v51
	v_add_f32_e32 v49, v50, v49
	v_add_f32_e32 v50, v52, v54
	v_sub_f32_e32 v53, v51, v50
	v_pk_add_f32 v[64:65], v[50:51], v[52:53] neg_lo:[0,1] neg_hi:[0,1]
	v_mov_b32_e32 v55, v50
	v_pk_add_f32 v[50:51], v[64:65], v[54:55] neg_lo:[0,1] neg_hi:[0,1]
	v_cvt_f32_i32_e32 v52, v66
	v_add_f32_e32 v49, v49, v51
	v_add_f32_e32 v49, v50, v49
	;; [unrolled: 1-line block ×4, first 2 shown]
	v_sub_f32_e32 v51, v50, v116
	v_mul_f32_e32 v49, v114, v49
	v_sub_f32_e32 v51, v115, v51
	v_add_f32_e32 v49, v51, v49
	v_add_f32_e32 v53, v50, v49
	v_mul_f32_e32 v54, v53, v53
	v_mov_b32_e32 v51, 0x3ecc95a3
	v_fmac_f32_e32 v51, 0x3e9b6dac, v54
	v_sub_f32_e32 v50, v53, v50
	v_fmaak_f32 v51, v54, v51, 0x3f2aaada
	v_sub_f32_e32 v49, v49, v50
	v_ldexp_f32 v55, v53, 1
	v_mul_f32_e32 v53, v53, v54
	v_mov_b32_e32 v50, 0x3f317218
	v_pk_mul_f32 v[50:51], v[52:53], v[50:51]
	v_ldexp_f32 v49, v49, 1
	v_fma_f32 v53, v52, s13, -v50
	v_fmamk_f32 v54, v52, 0xb102e308, v53
	v_pk_add_f32 v[52:53], v[50:51], v[54:55]
	v_mov_b32_e32 v64, v50
	v_sub_f32_e32 v55, v53, v55
	v_sub_f32_e32 v55, v51, v55
	v_add_f32_e32 v65, v49, v55
	v_pk_add_f32 v[50:51], v[52:53], v[50:51] neg_lo:[0,1] neg_hi:[0,1]
	v_pk_add_f32 v[66:67], v[52:53], v[64:65]
	v_mov_b32_e32 v55, v52
	v_mov_b32_e32 v51, v67
	v_pk_add_f32 v[114:115], v[54:55], v[50:51] neg_lo:[0,1] neg_hi:[0,1]
	v_pk_add_f32 v[50:51], v[54:55], v[50:51]
	v_mov_b32_e32 v64, v65
	v_mov_b32_e32 v54, v51
	v_pk_add_f32 v[116:117], v[54:55], v[52:53] neg_lo:[0,1] neg_hi:[0,1]
	v_mov_b32_e32 v50, v67
	v_mov_b32_e32 v49, v116
	v_pk_add_f32 v[128:129], v[66:67], v[48:49] neg_lo:[0,1] neg_hi:[0,1]
	v_mov_b32_e32 v66, v53
	v_mov_b32_e32 v67, v116
	;; [unrolled: 1-line block ×3, first 2 shown]
	v_pk_add_f32 v[50:51], v[50:51], v[66:67] neg_lo:[0,1] neg_hi:[0,1]
	v_mov_b32_e32 v65, v52
	v_pk_add_f32 v[50:51], v[64:65], v[50:51] neg_lo:[0,1] neg_hi:[0,1]
	v_mov_b32_e32 v128, v114
	v_pk_add_f32 v[52:53], v[128:129], v[50:51]
	s_mov_b32 s13, 0x33800000
	v_mov_b32_e32 v64, v53
	v_pk_add_f32 v[64:65], v[52:53], v[64:65]
	v_cmp_lt_f32_e64 s[42:43], |v118|, s13
	v_pk_add_f32 v[54:55], v[54:55], v[64:65]
	v_mov_b32_e32 v51, v64
	v_mov_b32_e32 v53, v54
	v_pk_add_f32 v[66:67], v[52:53], v[114:115] neg_lo:[0,1] neg_hi:[0,1]
	s_or_b64 vcc, vcc, s[42:43]
	v_sub_f32_e32 v49, v52, v66
	v_pk_add_f32 v[50:51], v[50:51], v[66:67] neg_lo:[0,1] neg_hi:[0,1]
	v_sub_f32_e32 v49, v114, v49
	v_add_f32_e32 v49, v50, v49
	v_add_f32_e32 v49, v49, v51
	;; [unrolled: 1-line block ×3, first 2 shown]
	v_cndmask_b32_e32 v49, v49, v118, vcc
	v_add_f32_e32 v128, v48, v49
.LBB93_89:
	s_or_b64 exec, exec, s[40:41]
	v_max_f32_e32 v114, v27, v27
	v_max_f32_e32 v48, v128, v128
	v_min_f32_e32 v49, v48, v114
	v_cmp_u_f32_e32 vcc, v128, v128
	v_max_f32_e32 v48, v48, v114
	v_cmp_u_f32_e64 s[40:41], v27, v27
	v_cndmask_b32_e32 v49, v49, v128, vcc
	v_cndmask_b32_e32 v48, v48, v128, vcc
	v_cndmask_b32_e64 v49, v49, v27, s[40:41]
	v_cndmask_b32_e64 v48, v48, v27, s[40:41]
	s_movk_i32 s13, 0x1f8
	v_cmp_neq_f32_e32 vcc, v49, v48
	v_cmp_class_f32_e64 s[42:43], v49, s13
	s_or_b64 vcc, vcc, s[42:43]
	s_and_saveexec_b64 s[42:43], vcc
	s_cbranch_execz .LBB93_91
; %bb.90:
	v_sub_f32_e32 v49, v49, v48
	s_mov_b32 s44, 0x3fb8aa3b
	v_mul_f32_e32 v50, 0x3fb8aa3b, v49
	v_fma_f32 v51, v49, s44, -v50
	v_rndne_f32_e32 v52, v50
	v_fmamk_f32 v51, v49, 0x32a5705f, v51
	v_sub_f32_e32 v50, v50, v52
	v_add_f32_e32 v50, v50, v51
	v_exp_f32_e32 v50, v50
	v_cvt_i32_f32_e32 v51, v52
	s_mov_b32 s44, 0xc2ce8ed0
	v_cmp_ngt_f32_e32 vcc, s44, v49
	s_mov_b32 s44, 0x42b17218
	v_ldexp_f32 v50, v50, v51
	v_cndmask_b32_e32 v50, 0, v50, vcc
	v_mov_b32_e32 v51, 0x7f800000
	v_cmp_nlt_f32_e32 vcc, s44, v49
	s_mov_b32 s44, 0x3f2aaaab
	s_mov_b32 s45, 0x7f800000
	v_cndmask_b32_e32 v115, v51, v50, vcc
	v_add_f32_e32 v49, 1.0, v115
	v_add_f32_e32 v50, -1.0, v49
	v_sub_f32_e32 v51, v50, v49
	v_add_f32_e32 v51, 1.0, v51
	v_sub_f32_e32 v50, v115, v50
	v_add_f32_e32 v52, v50, v51
	v_frexp_mant_f32_e32 v53, v49
	v_cvt_f64_f32_e32 v[50:51], v49
	v_frexp_exp_i32_f64_e32 v50, v[50:51]
	v_cmp_gt_f32_e32 vcc, s44, v53
	s_mov_b32 s44, 0x3f317218
	s_nop 0
	v_subbrev_co_u32_e32 v66, vcc, 0, v50, vcc
	v_sub_u32_e32 v50, 0, v66
	v_ldexp_f32 v49, v49, v50
	v_ldexp_f32 v50, v52, v50
	v_add_f32_e32 v52, -1.0, v49
	v_add_f32_e32 v51, 1.0, v52
	v_sub_f32_e32 v51, v49, v51
	v_add_f32_e32 v53, v50, v51
	v_add_f32_e32 v51, 1.0, v49
	v_add_f32_e32 v54, -1.0, v51
	v_sub_f32_e32 v49, v49, v54
	v_add_f32_e32 v49, v50, v49
	v_add_f32_e32 v67, v51, v49
	v_rcp_f32_e32 v116, v67
	v_sub_f32_e32 v50, v51, v67
	v_add_f32_e32 v51, v52, v53
	v_add_f32_e32 v49, v49, v50
	v_mul_f32_e32 v118, v51, v116
	v_sub_f32_e32 v50, v52, v51
	v_mul_f32_e32 v52, v67, v118
	v_fma_f32 v54, v118, v67, -v52
	v_fmac_f32_e32 v54, v118, v49
	v_add_f32_e32 v117, v53, v50
	v_add_f32_e32 v50, v52, v54
	v_sub_f32_e32 v53, v51, v50
	v_pk_add_f32 v[64:65], v[50:51], v[52:53] neg_lo:[0,1] neg_hi:[0,1]
	v_mov_b32_e32 v55, v50
	v_pk_add_f32 v[50:51], v[64:65], v[54:55] neg_lo:[0,1] neg_hi:[0,1]
	v_cmp_eq_f32_e32 vcc, s45, v115
	v_add_f32_e32 v51, v117, v51
	v_add_f32_e32 v50, v50, v51
	;; [unrolled: 1-line block ×3, first 2 shown]
	v_mul_f32_e32 v117, v116, v51
	v_mul_f32_e32 v52, v67, v117
	v_fma_f32 v54, v117, v67, -v52
	v_fmac_f32_e32 v54, v117, v49
	v_sub_f32_e32 v49, v53, v51
	v_add_f32_e32 v49, v50, v49
	v_add_f32_e32 v50, v52, v54
	v_sub_f32_e32 v53, v51, v50
	v_pk_add_f32 v[64:65], v[50:51], v[52:53] neg_lo:[0,1] neg_hi:[0,1]
	v_mov_b32_e32 v55, v50
	v_pk_add_f32 v[50:51], v[64:65], v[54:55] neg_lo:[0,1] neg_hi:[0,1]
	v_cvt_f32_i32_e32 v52, v66
	v_add_f32_e32 v49, v49, v51
	v_add_f32_e32 v49, v50, v49
	v_add_f32_e32 v50, v118, v117
	v_add_f32_e32 v49, v53, v49
	v_sub_f32_e32 v51, v50, v118
	v_mul_f32_e32 v49, v116, v49
	v_sub_f32_e32 v51, v117, v51
	v_add_f32_e32 v49, v51, v49
	v_add_f32_e32 v53, v50, v49
	v_mul_f32_e32 v54, v53, v53
	v_mov_b32_e32 v51, 0x3ecc95a3
	v_fmac_f32_e32 v51, 0x3e9b6dac, v54
	v_sub_f32_e32 v50, v53, v50
	v_fmaak_f32 v51, v54, v51, 0x3f2aaada
	v_sub_f32_e32 v49, v49, v50
	v_ldexp_f32 v55, v53, 1
	v_mul_f32_e32 v53, v53, v54
	v_mov_b32_e32 v50, 0x3f317218
	v_pk_mul_f32 v[50:51], v[52:53], v[50:51]
	v_ldexp_f32 v49, v49, 1
	v_fma_f32 v53, v52, s44, -v50
	v_fmamk_f32 v54, v52, 0xb102e308, v53
	v_pk_add_f32 v[52:53], v[50:51], v[54:55]
	v_mov_b32_e32 v64, v50
	v_sub_f32_e32 v55, v53, v55
	v_sub_f32_e32 v55, v51, v55
	v_add_f32_e32 v65, v49, v55
	v_pk_add_f32 v[50:51], v[52:53], v[50:51] neg_lo:[0,1] neg_hi:[0,1]
	v_pk_add_f32 v[66:67], v[52:53], v[64:65]
	v_mov_b32_e32 v55, v52
	v_mov_b32_e32 v51, v67
	v_pk_add_f32 v[116:117], v[54:55], v[50:51] neg_lo:[0,1] neg_hi:[0,1]
	v_pk_add_f32 v[50:51], v[54:55], v[50:51]
	v_mov_b32_e32 v64, v65
	v_mov_b32_e32 v54, v51
	v_pk_add_f32 v[128:129], v[54:55], v[52:53] neg_lo:[0,1] neg_hi:[0,1]
	v_mov_b32_e32 v50, v67
	v_mov_b32_e32 v49, v128
	v_pk_add_f32 v[130:131], v[66:67], v[48:49] neg_lo:[0,1] neg_hi:[0,1]
	v_mov_b32_e32 v66, v53
	v_mov_b32_e32 v67, v128
	;; [unrolled: 1-line block ×3, first 2 shown]
	v_pk_add_f32 v[50:51], v[50:51], v[66:67] neg_lo:[0,1] neg_hi:[0,1]
	v_mov_b32_e32 v65, v52
	v_pk_add_f32 v[50:51], v[64:65], v[50:51] neg_lo:[0,1] neg_hi:[0,1]
	v_mov_b32_e32 v130, v116
	v_pk_add_f32 v[52:53], v[130:131], v[50:51]
	s_mov_b32 s44, 0x33800000
	v_mov_b32_e32 v64, v53
	v_pk_add_f32 v[64:65], v[52:53], v[64:65]
	v_cmp_lt_f32_e64 s[44:45], |v115|, s44
	v_pk_add_f32 v[54:55], v[54:55], v[64:65]
	v_mov_b32_e32 v51, v64
	v_mov_b32_e32 v53, v54
	v_pk_add_f32 v[66:67], v[52:53], v[116:117] neg_lo:[0,1] neg_hi:[0,1]
	s_or_b64 vcc, vcc, s[44:45]
	v_sub_f32_e32 v49, v52, v66
	v_pk_add_f32 v[50:51], v[50:51], v[66:67] neg_lo:[0,1] neg_hi:[0,1]
	v_sub_f32_e32 v49, v116, v49
	v_add_f32_e32 v49, v50, v49
	v_add_f32_e32 v49, v49, v51
	v_add_f32_e32 v49, v54, v49
	v_cndmask_b32_e32 v49, v49, v115, vcc
	v_add_f32_e32 v128, v48, v49
.LBB93_91:
	s_or_b64 exec, exec, s[42:43]
	v_max_f32_e32 v115, v20, v20
	v_max_f32_e32 v48, v128, v128
	v_min_f32_e32 v49, v48, v115
	v_cmp_u_f32_e32 vcc, v128, v128
	v_max_f32_e32 v48, v48, v115
	v_cmp_u_f32_e64 s[42:43], v20, v20
	v_cndmask_b32_e32 v49, v49, v128, vcc
	v_cndmask_b32_e32 v48, v48, v128, vcc
	v_cndmask_b32_e64 v49, v49, v20, s[42:43]
	v_cndmask_b32_e64 v48, v48, v20, s[42:43]
	v_cmp_neq_f32_e32 vcc, v49, v48
	v_cmp_class_f32_e64 s[44:45], v49, s13
	s_or_b64 vcc, vcc, s[44:45]
	s_and_saveexec_b64 s[44:45], vcc
	s_cbranch_execz .LBB93_93
; %bb.92:
	v_sub_f32_e32 v49, v49, v48
	s_mov_b32 s13, 0x3fb8aa3b
	v_mul_f32_e32 v50, 0x3fb8aa3b, v49
	v_fma_f32 v51, v49, s13, -v50
	v_rndne_f32_e32 v52, v50
	v_fmamk_f32 v51, v49, 0x32a5705f, v51
	v_sub_f32_e32 v50, v50, v52
	v_add_f32_e32 v50, v50, v51
	v_exp_f32_e32 v50, v50
	v_cvt_i32_f32_e32 v51, v52
	s_mov_b32 s13, 0xc2ce8ed0
	v_cmp_ngt_f32_e32 vcc, s13, v49
	s_mov_b32 s13, 0x42b17218
	v_ldexp_f32 v50, v50, v51
	v_cndmask_b32_e32 v50, 0, v50, vcc
	v_mov_b32_e32 v51, 0x7f800000
	v_cmp_nlt_f32_e32 vcc, s13, v49
	s_mov_b32 s13, 0x3f2aaaab
	s_mov_b32 s46, 0x7f800000
	v_cndmask_b32_e32 v118, v51, v50, vcc
	v_add_f32_e32 v49, 1.0, v118
	v_add_f32_e32 v50, -1.0, v49
	v_sub_f32_e32 v51, v50, v49
	v_add_f32_e32 v51, 1.0, v51
	v_sub_f32_e32 v50, v118, v50
	v_add_f32_e32 v52, v50, v51
	v_frexp_mant_f32_e32 v53, v49
	v_cvt_f64_f32_e32 v[50:51], v49
	v_frexp_exp_i32_f64_e32 v50, v[50:51]
	v_cmp_gt_f32_e32 vcc, s13, v53
	s_mov_b32 s13, 0x3f317218
	s_nop 0
	v_subbrev_co_u32_e32 v66, vcc, 0, v50, vcc
	v_sub_u32_e32 v50, 0, v66
	v_ldexp_f32 v49, v49, v50
	v_ldexp_f32 v50, v52, v50
	v_add_f32_e32 v52, -1.0, v49
	v_add_f32_e32 v51, 1.0, v52
	v_sub_f32_e32 v51, v49, v51
	v_add_f32_e32 v53, v50, v51
	v_add_f32_e32 v51, 1.0, v49
	v_add_f32_e32 v54, -1.0, v51
	v_sub_f32_e32 v49, v49, v54
	v_add_f32_e32 v49, v50, v49
	v_add_f32_e32 v67, v51, v49
	v_rcp_f32_e32 v116, v67
	v_sub_f32_e32 v50, v51, v67
	v_add_f32_e32 v51, v52, v53
	v_add_f32_e32 v49, v49, v50
	v_mul_f32_e32 v128, v51, v116
	v_sub_f32_e32 v50, v52, v51
	v_mul_f32_e32 v52, v67, v128
	v_fma_f32 v54, v128, v67, -v52
	v_fmac_f32_e32 v54, v128, v49
	v_add_f32_e32 v117, v53, v50
	v_add_f32_e32 v50, v52, v54
	v_sub_f32_e32 v53, v51, v50
	v_pk_add_f32 v[64:65], v[50:51], v[52:53] neg_lo:[0,1] neg_hi:[0,1]
	v_mov_b32_e32 v55, v50
	v_pk_add_f32 v[50:51], v[64:65], v[54:55] neg_lo:[0,1] neg_hi:[0,1]
	v_cmp_eq_f32_e32 vcc, s46, v118
	v_add_f32_e32 v51, v117, v51
	v_add_f32_e32 v50, v50, v51
	;; [unrolled: 1-line block ×3, first 2 shown]
	v_mul_f32_e32 v117, v116, v51
	v_mul_f32_e32 v52, v67, v117
	v_fma_f32 v54, v117, v67, -v52
	v_fmac_f32_e32 v54, v117, v49
	v_sub_f32_e32 v49, v53, v51
	v_add_f32_e32 v49, v50, v49
	v_add_f32_e32 v50, v52, v54
	v_sub_f32_e32 v53, v51, v50
	v_pk_add_f32 v[64:65], v[50:51], v[52:53] neg_lo:[0,1] neg_hi:[0,1]
	v_mov_b32_e32 v55, v50
	v_pk_add_f32 v[50:51], v[64:65], v[54:55] neg_lo:[0,1] neg_hi:[0,1]
	v_cvt_f32_i32_e32 v52, v66
	v_add_f32_e32 v49, v49, v51
	v_add_f32_e32 v49, v50, v49
	;; [unrolled: 1-line block ×4, first 2 shown]
	v_sub_f32_e32 v51, v50, v128
	v_mul_f32_e32 v49, v116, v49
	v_sub_f32_e32 v51, v117, v51
	v_add_f32_e32 v49, v51, v49
	v_add_f32_e32 v53, v50, v49
	v_mul_f32_e32 v54, v53, v53
	v_mov_b32_e32 v51, 0x3ecc95a3
	v_fmac_f32_e32 v51, 0x3e9b6dac, v54
	v_sub_f32_e32 v50, v53, v50
	v_fmaak_f32 v51, v54, v51, 0x3f2aaada
	v_sub_f32_e32 v49, v49, v50
	v_ldexp_f32 v55, v53, 1
	v_mul_f32_e32 v53, v53, v54
	v_mov_b32_e32 v50, 0x3f317218
	v_pk_mul_f32 v[50:51], v[52:53], v[50:51]
	v_ldexp_f32 v49, v49, 1
	v_fma_f32 v53, v52, s13, -v50
	v_fmamk_f32 v54, v52, 0xb102e308, v53
	v_pk_add_f32 v[52:53], v[50:51], v[54:55]
	v_mov_b32_e32 v64, v50
	v_sub_f32_e32 v55, v53, v55
	v_sub_f32_e32 v55, v51, v55
	v_add_f32_e32 v65, v49, v55
	v_pk_add_f32 v[50:51], v[52:53], v[50:51] neg_lo:[0,1] neg_hi:[0,1]
	v_pk_add_f32 v[66:67], v[52:53], v[64:65]
	v_mov_b32_e32 v55, v52
	v_mov_b32_e32 v51, v67
	v_pk_add_f32 v[116:117], v[54:55], v[50:51] neg_lo:[0,1] neg_hi:[0,1]
	v_pk_add_f32 v[50:51], v[54:55], v[50:51]
	v_mov_b32_e32 v64, v65
	v_mov_b32_e32 v54, v51
	v_pk_add_f32 v[128:129], v[54:55], v[52:53] neg_lo:[0,1] neg_hi:[0,1]
	v_mov_b32_e32 v50, v67
	v_mov_b32_e32 v49, v128
	v_pk_add_f32 v[130:131], v[66:67], v[48:49] neg_lo:[0,1] neg_hi:[0,1]
	v_mov_b32_e32 v66, v53
	v_mov_b32_e32 v67, v128
	;; [unrolled: 1-line block ×3, first 2 shown]
	v_pk_add_f32 v[50:51], v[50:51], v[66:67] neg_lo:[0,1] neg_hi:[0,1]
	v_mov_b32_e32 v65, v52
	v_pk_add_f32 v[50:51], v[64:65], v[50:51] neg_lo:[0,1] neg_hi:[0,1]
	v_mov_b32_e32 v130, v116
	v_pk_add_f32 v[52:53], v[130:131], v[50:51]
	s_mov_b32 s13, 0x33800000
	v_mov_b32_e32 v64, v53
	v_pk_add_f32 v[64:65], v[52:53], v[64:65]
	v_cmp_lt_f32_e64 s[46:47], |v118|, s13
	v_pk_add_f32 v[54:55], v[54:55], v[64:65]
	v_mov_b32_e32 v51, v64
	v_mov_b32_e32 v53, v54
	v_pk_add_f32 v[66:67], v[52:53], v[116:117] neg_lo:[0,1] neg_hi:[0,1]
	s_or_b64 vcc, vcc, s[46:47]
	v_sub_f32_e32 v49, v52, v66
	v_pk_add_f32 v[50:51], v[50:51], v[66:67] neg_lo:[0,1] neg_hi:[0,1]
	v_sub_f32_e32 v49, v116, v49
	v_add_f32_e32 v49, v50, v49
	v_add_f32_e32 v49, v49, v51
	;; [unrolled: 1-line block ×3, first 2 shown]
	v_cndmask_b32_e32 v49, v49, v118, vcc
	v_add_f32_e32 v128, v48, v49
.LBB93_93:
	s_or_b64 exec, exec, s[44:45]
	v_max_f32_e32 v116, v21, v21
	v_max_f32_e32 v48, v128, v128
	v_min_f32_e32 v49, v48, v116
	v_cmp_u_f32_e32 vcc, v128, v128
	v_max_f32_e32 v48, v48, v116
	v_cmp_u_f32_e64 s[44:45], v21, v21
	v_cndmask_b32_e32 v49, v49, v128, vcc
	v_cndmask_b32_e32 v48, v48, v128, vcc
	v_cndmask_b32_e64 v49, v49, v21, s[44:45]
	v_cndmask_b32_e64 v48, v48, v21, s[44:45]
	s_movk_i32 s13, 0x1f8
	v_cmp_neq_f32_e32 vcc, v49, v48
	v_cmp_class_f32_e64 s[46:47], v49, s13
	s_or_b64 vcc, vcc, s[46:47]
	s_and_saveexec_b64 s[46:47], vcc
	s_cbranch_execz .LBB93_95
; %bb.94:
	v_sub_f32_e32 v49, v49, v48
	s_mov_b32 s48, 0x3fb8aa3b
	v_mul_f32_e32 v50, 0x3fb8aa3b, v49
	v_fma_f32 v51, v49, s48, -v50
	v_rndne_f32_e32 v52, v50
	v_fmamk_f32 v51, v49, 0x32a5705f, v51
	v_sub_f32_e32 v50, v50, v52
	v_add_f32_e32 v50, v50, v51
	v_exp_f32_e32 v50, v50
	v_cvt_i32_f32_e32 v51, v52
	s_mov_b32 s48, 0xc2ce8ed0
	v_cmp_ngt_f32_e32 vcc, s48, v49
	s_mov_b32 s48, 0x42b17218
	v_ldexp_f32 v50, v50, v51
	v_cndmask_b32_e32 v50, 0, v50, vcc
	v_mov_b32_e32 v51, 0x7f800000
	v_cmp_nlt_f32_e32 vcc, s48, v49
	s_mov_b32 s48, 0x3f2aaaab
	s_mov_b32 s49, 0x7f800000
	v_cndmask_b32_e32 v117, v51, v50, vcc
	v_add_f32_e32 v49, 1.0, v117
	v_add_f32_e32 v50, -1.0, v49
	v_sub_f32_e32 v51, v50, v49
	v_add_f32_e32 v51, 1.0, v51
	v_sub_f32_e32 v50, v117, v50
	v_add_f32_e32 v52, v50, v51
	v_frexp_mant_f32_e32 v53, v49
	v_cvt_f64_f32_e32 v[50:51], v49
	v_frexp_exp_i32_f64_e32 v50, v[50:51]
	v_cmp_gt_f32_e32 vcc, s48, v53
	s_mov_b32 s48, 0x3f317218
	s_nop 0
	v_subbrev_co_u32_e32 v66, vcc, 0, v50, vcc
	v_sub_u32_e32 v50, 0, v66
	v_ldexp_f32 v49, v49, v50
	v_ldexp_f32 v50, v52, v50
	v_add_f32_e32 v52, -1.0, v49
	v_add_f32_e32 v51, 1.0, v52
	v_sub_f32_e32 v51, v49, v51
	v_add_f32_e32 v53, v50, v51
	v_add_f32_e32 v51, 1.0, v49
	v_add_f32_e32 v54, -1.0, v51
	v_sub_f32_e32 v49, v49, v54
	v_add_f32_e32 v49, v50, v49
	v_add_f32_e32 v67, v51, v49
	v_rcp_f32_e32 v118, v67
	v_sub_f32_e32 v50, v51, v67
	v_add_f32_e32 v51, v52, v53
	v_add_f32_e32 v49, v49, v50
	v_mul_f32_e32 v129, v51, v118
	v_sub_f32_e32 v50, v52, v51
	v_mul_f32_e32 v52, v67, v129
	v_fma_f32 v54, v129, v67, -v52
	v_fmac_f32_e32 v54, v129, v49
	v_add_f32_e32 v128, v53, v50
	v_add_f32_e32 v50, v52, v54
	v_sub_f32_e32 v53, v51, v50
	v_pk_add_f32 v[64:65], v[50:51], v[52:53] neg_lo:[0,1] neg_hi:[0,1]
	v_mov_b32_e32 v55, v50
	v_pk_add_f32 v[50:51], v[64:65], v[54:55] neg_lo:[0,1] neg_hi:[0,1]
	v_cmp_eq_f32_e32 vcc, s49, v117
	v_add_f32_e32 v51, v128, v51
	v_add_f32_e32 v50, v50, v51
	v_add_f32_e32 v51, v53, v50
	v_mul_f32_e32 v128, v118, v51
	v_mul_f32_e32 v52, v67, v128
	v_fma_f32 v54, v128, v67, -v52
	v_fmac_f32_e32 v54, v128, v49
	v_sub_f32_e32 v49, v53, v51
	v_add_f32_e32 v49, v50, v49
	v_add_f32_e32 v50, v52, v54
	v_sub_f32_e32 v53, v51, v50
	v_pk_add_f32 v[64:65], v[50:51], v[52:53] neg_lo:[0,1] neg_hi:[0,1]
	v_mov_b32_e32 v55, v50
	v_pk_add_f32 v[50:51], v[64:65], v[54:55] neg_lo:[0,1] neg_hi:[0,1]
	v_cvt_f32_i32_e32 v52, v66
	v_add_f32_e32 v49, v49, v51
	v_add_f32_e32 v49, v50, v49
	;; [unrolled: 1-line block ×4, first 2 shown]
	v_sub_f32_e32 v51, v50, v129
	v_mul_f32_e32 v49, v118, v49
	v_sub_f32_e32 v51, v128, v51
	v_add_f32_e32 v49, v51, v49
	v_add_f32_e32 v53, v50, v49
	v_mul_f32_e32 v54, v53, v53
	v_mov_b32_e32 v51, 0x3ecc95a3
	v_fmac_f32_e32 v51, 0x3e9b6dac, v54
	v_sub_f32_e32 v50, v53, v50
	v_fmaak_f32 v51, v54, v51, 0x3f2aaada
	v_sub_f32_e32 v49, v49, v50
	v_ldexp_f32 v55, v53, 1
	v_mul_f32_e32 v53, v53, v54
	v_mov_b32_e32 v50, 0x3f317218
	v_pk_mul_f32 v[50:51], v[52:53], v[50:51]
	v_ldexp_f32 v49, v49, 1
	v_fma_f32 v53, v52, s48, -v50
	v_fmamk_f32 v54, v52, 0xb102e308, v53
	v_pk_add_f32 v[52:53], v[50:51], v[54:55]
	v_mov_b32_e32 v64, v50
	v_sub_f32_e32 v55, v53, v55
	v_sub_f32_e32 v55, v51, v55
	v_add_f32_e32 v65, v49, v55
	v_pk_add_f32 v[50:51], v[52:53], v[50:51] neg_lo:[0,1] neg_hi:[0,1]
	v_pk_add_f32 v[66:67], v[52:53], v[64:65]
	v_mov_b32_e32 v55, v52
	v_mov_b32_e32 v51, v67
	v_pk_add_f32 v[128:129], v[54:55], v[50:51] neg_lo:[0,1] neg_hi:[0,1]
	v_pk_add_f32 v[50:51], v[54:55], v[50:51]
	v_mov_b32_e32 v64, v65
	v_mov_b32_e32 v54, v51
	v_pk_add_f32 v[130:131], v[54:55], v[52:53] neg_lo:[0,1] neg_hi:[0,1]
	v_mov_b32_e32 v50, v67
	v_mov_b32_e32 v49, v130
	v_pk_add_f32 v[132:133], v[66:67], v[48:49] neg_lo:[0,1] neg_hi:[0,1]
	v_mov_b32_e32 v66, v53
	v_mov_b32_e32 v67, v130
	;; [unrolled: 1-line block ×3, first 2 shown]
	v_pk_add_f32 v[50:51], v[50:51], v[66:67] neg_lo:[0,1] neg_hi:[0,1]
	v_mov_b32_e32 v65, v52
	v_pk_add_f32 v[50:51], v[64:65], v[50:51] neg_lo:[0,1] neg_hi:[0,1]
	v_mov_b32_e32 v132, v128
	v_pk_add_f32 v[52:53], v[132:133], v[50:51]
	s_mov_b32 s48, 0x33800000
	v_mov_b32_e32 v64, v53
	v_pk_add_f32 v[64:65], v[52:53], v[64:65]
	v_cmp_lt_f32_e64 s[48:49], |v117|, s48
	v_pk_add_f32 v[54:55], v[54:55], v[64:65]
	v_mov_b32_e32 v51, v64
	v_mov_b32_e32 v53, v54
	v_pk_add_f32 v[66:67], v[52:53], v[128:129] neg_lo:[0,1] neg_hi:[0,1]
	s_or_b64 vcc, vcc, s[48:49]
	v_sub_f32_e32 v49, v52, v66
	v_pk_add_f32 v[50:51], v[50:51], v[66:67] neg_lo:[0,1] neg_hi:[0,1]
	v_sub_f32_e32 v49, v128, v49
	v_add_f32_e32 v49, v50, v49
	v_add_f32_e32 v49, v49, v51
	;; [unrolled: 1-line block ×3, first 2 shown]
	v_cndmask_b32_e32 v49, v49, v117, vcc
	v_add_f32_e32 v128, v48, v49
.LBB93_95:
	s_or_b64 exec, exec, s[46:47]
	v_max_f32_e32 v117, v22, v22
	v_max_f32_e32 v48, v128, v128
	v_min_f32_e32 v49, v48, v117
	v_cmp_u_f32_e32 vcc, v128, v128
	v_max_f32_e32 v48, v48, v117
	v_cmp_u_f32_e64 s[46:47], v22, v22
	v_cndmask_b32_e32 v49, v49, v128, vcc
	v_cndmask_b32_e32 v48, v48, v128, vcc
	v_cndmask_b32_e64 v49, v49, v22, s[46:47]
	v_cndmask_b32_e64 v48, v48, v22, s[46:47]
	v_cmp_neq_f32_e32 vcc, v49, v48
	v_cmp_class_f32_e64 s[48:49], v49, s13
	s_or_b64 vcc, vcc, s[48:49]
	s_and_saveexec_b64 s[48:49], vcc
	s_cbranch_execz .LBB93_97
; %bb.96:
	v_sub_f32_e32 v49, v49, v48
	s_mov_b32 s13, 0x3fb8aa3b
	v_mul_f32_e32 v50, 0x3fb8aa3b, v49
	v_fma_f32 v51, v49, s13, -v50
	v_rndne_f32_e32 v52, v50
	v_fmamk_f32 v51, v49, 0x32a5705f, v51
	v_sub_f32_e32 v50, v50, v52
	v_add_f32_e32 v50, v50, v51
	v_exp_f32_e32 v50, v50
	v_cvt_i32_f32_e32 v51, v52
	s_mov_b32 s13, 0xc2ce8ed0
	v_cmp_ngt_f32_e32 vcc, s13, v49
	s_mov_b32 s13, 0x42b17218
	v_ldexp_f32 v50, v50, v51
	v_cndmask_b32_e32 v50, 0, v50, vcc
	v_mov_b32_e32 v51, 0x7f800000
	v_cmp_nlt_f32_e32 vcc, s13, v49
	s_mov_b32 s13, 0x3f2aaaab
	s_mov_b32 s52, 0x7f800000
	v_cndmask_b32_e32 v118, v51, v50, vcc
	v_add_f32_e32 v49, 1.0, v118
	v_add_f32_e32 v50, -1.0, v49
	v_sub_f32_e32 v51, v50, v49
	v_add_f32_e32 v51, 1.0, v51
	v_sub_f32_e32 v50, v118, v50
	v_add_f32_e32 v52, v50, v51
	v_frexp_mant_f32_e32 v53, v49
	v_cvt_f64_f32_e32 v[50:51], v49
	v_frexp_exp_i32_f64_e32 v50, v[50:51]
	v_cmp_gt_f32_e32 vcc, s13, v53
	s_mov_b32 s13, 0x3f317218
	s_nop 0
	v_subbrev_co_u32_e32 v66, vcc, 0, v50, vcc
	v_sub_u32_e32 v50, 0, v66
	v_ldexp_f32 v49, v49, v50
	v_ldexp_f32 v50, v52, v50
	v_add_f32_e32 v52, -1.0, v49
	v_add_f32_e32 v51, 1.0, v52
	v_sub_f32_e32 v51, v49, v51
	v_add_f32_e32 v53, v50, v51
	v_add_f32_e32 v51, 1.0, v49
	v_add_f32_e32 v54, -1.0, v51
	v_sub_f32_e32 v49, v49, v54
	v_add_f32_e32 v49, v50, v49
	v_add_f32_e32 v67, v51, v49
	v_rcp_f32_e32 v128, v67
	v_sub_f32_e32 v50, v51, v67
	v_add_f32_e32 v51, v52, v53
	v_add_f32_e32 v49, v49, v50
	v_mul_f32_e32 v130, v51, v128
	v_sub_f32_e32 v50, v52, v51
	v_mul_f32_e32 v52, v67, v130
	v_fma_f32 v54, v130, v67, -v52
	v_fmac_f32_e32 v54, v130, v49
	v_add_f32_e32 v129, v53, v50
	v_add_f32_e32 v50, v52, v54
	v_sub_f32_e32 v53, v51, v50
	v_pk_add_f32 v[64:65], v[50:51], v[52:53] neg_lo:[0,1] neg_hi:[0,1]
	v_mov_b32_e32 v55, v50
	v_pk_add_f32 v[50:51], v[64:65], v[54:55] neg_lo:[0,1] neg_hi:[0,1]
	v_cmp_eq_f32_e32 vcc, s52, v118
	v_add_f32_e32 v51, v129, v51
	v_add_f32_e32 v50, v50, v51
	;; [unrolled: 1-line block ×3, first 2 shown]
	v_mul_f32_e32 v129, v128, v51
	v_mul_f32_e32 v52, v67, v129
	v_fma_f32 v54, v129, v67, -v52
	v_fmac_f32_e32 v54, v129, v49
	v_sub_f32_e32 v49, v53, v51
	v_add_f32_e32 v49, v50, v49
	v_add_f32_e32 v50, v52, v54
	v_sub_f32_e32 v53, v51, v50
	v_pk_add_f32 v[64:65], v[50:51], v[52:53] neg_lo:[0,1] neg_hi:[0,1]
	v_mov_b32_e32 v55, v50
	v_pk_add_f32 v[50:51], v[64:65], v[54:55] neg_lo:[0,1] neg_hi:[0,1]
	v_cvt_f32_i32_e32 v52, v66
	v_add_f32_e32 v49, v49, v51
	v_add_f32_e32 v49, v50, v49
	;; [unrolled: 1-line block ×4, first 2 shown]
	v_sub_f32_e32 v51, v50, v130
	v_mul_f32_e32 v49, v128, v49
	v_sub_f32_e32 v51, v129, v51
	v_add_f32_e32 v49, v51, v49
	v_add_f32_e32 v53, v50, v49
	v_mul_f32_e32 v54, v53, v53
	v_mov_b32_e32 v51, 0x3ecc95a3
	v_fmac_f32_e32 v51, 0x3e9b6dac, v54
	v_sub_f32_e32 v50, v53, v50
	v_fmaak_f32 v51, v54, v51, 0x3f2aaada
	v_sub_f32_e32 v49, v49, v50
	v_ldexp_f32 v55, v53, 1
	v_mul_f32_e32 v53, v53, v54
	v_mov_b32_e32 v50, 0x3f317218
	v_pk_mul_f32 v[50:51], v[52:53], v[50:51]
	v_ldexp_f32 v49, v49, 1
	v_fma_f32 v53, v52, s13, -v50
	v_fmamk_f32 v54, v52, 0xb102e308, v53
	v_pk_add_f32 v[52:53], v[50:51], v[54:55]
	v_mov_b32_e32 v64, v50
	v_sub_f32_e32 v55, v53, v55
	v_sub_f32_e32 v55, v51, v55
	v_add_f32_e32 v65, v49, v55
	v_pk_add_f32 v[50:51], v[52:53], v[50:51] neg_lo:[0,1] neg_hi:[0,1]
	v_pk_add_f32 v[66:67], v[52:53], v[64:65]
	v_mov_b32_e32 v55, v52
	v_mov_b32_e32 v51, v67
	v_pk_add_f32 v[128:129], v[54:55], v[50:51] neg_lo:[0,1] neg_hi:[0,1]
	v_pk_add_f32 v[50:51], v[54:55], v[50:51]
	v_mov_b32_e32 v64, v65
	v_mov_b32_e32 v54, v51
	v_pk_add_f32 v[130:131], v[54:55], v[52:53] neg_lo:[0,1] neg_hi:[0,1]
	v_mov_b32_e32 v50, v67
	v_mov_b32_e32 v49, v130
	v_pk_add_f32 v[132:133], v[66:67], v[48:49] neg_lo:[0,1] neg_hi:[0,1]
	v_mov_b32_e32 v66, v53
	v_mov_b32_e32 v67, v130
	;; [unrolled: 1-line block ×3, first 2 shown]
	v_pk_add_f32 v[50:51], v[50:51], v[66:67] neg_lo:[0,1] neg_hi:[0,1]
	v_mov_b32_e32 v65, v52
	v_pk_add_f32 v[50:51], v[64:65], v[50:51] neg_lo:[0,1] neg_hi:[0,1]
	v_mov_b32_e32 v132, v128
	v_pk_add_f32 v[52:53], v[132:133], v[50:51]
	s_mov_b32 s13, 0x33800000
	v_mov_b32_e32 v64, v53
	v_pk_add_f32 v[64:65], v[52:53], v[64:65]
	v_cmp_lt_f32_e64 s[52:53], |v118|, s13
	v_pk_add_f32 v[54:55], v[54:55], v[64:65]
	v_mov_b32_e32 v51, v64
	v_mov_b32_e32 v53, v54
	v_pk_add_f32 v[66:67], v[52:53], v[128:129] neg_lo:[0,1] neg_hi:[0,1]
	s_or_b64 vcc, vcc, s[52:53]
	v_sub_f32_e32 v49, v52, v66
	v_pk_add_f32 v[50:51], v[50:51], v[66:67] neg_lo:[0,1] neg_hi:[0,1]
	v_sub_f32_e32 v49, v128, v49
	v_add_f32_e32 v49, v50, v49
	v_add_f32_e32 v49, v49, v51
	;; [unrolled: 1-line block ×3, first 2 shown]
	v_cndmask_b32_e32 v49, v49, v118, vcc
	v_add_f32_e32 v128, v48, v49
.LBB93_97:
	s_or_b64 exec, exec, s[48:49]
	v_max_f32_e32 v118, v23, v23
	v_max_f32_e32 v48, v128, v128
	v_min_f32_e32 v49, v48, v118
	v_cmp_u_f32_e32 vcc, v128, v128
	v_max_f32_e32 v48, v48, v118
	v_cmp_u_f32_e64 s[48:49], v23, v23
	v_cndmask_b32_e32 v49, v49, v128, vcc
	v_cndmask_b32_e32 v48, v48, v128, vcc
	v_cndmask_b32_e64 v49, v49, v23, s[48:49]
	v_cndmask_b32_e64 v48, v48, v23, s[48:49]
	s_movk_i32 s13, 0x1f8
	v_cmp_neq_f32_e32 vcc, v49, v48
	v_cmp_class_f32_e64 s[52:53], v49, s13
	s_or_b64 vcc, vcc, s[52:53]
	s_and_saveexec_b64 s[52:53], vcc
	s_cbranch_execz .LBB93_99
; %bb.98:
	v_sub_f32_e32 v49, v49, v48
	s_mov_b32 s13, 0x3fb8aa3b
	v_mul_f32_e32 v50, 0x3fb8aa3b, v49
	v_fma_f32 v51, v49, s13, -v50
	v_rndne_f32_e32 v52, v50
	v_fmamk_f32 v51, v49, 0x32a5705f, v51
	v_sub_f32_e32 v50, v50, v52
	v_add_f32_e32 v50, v50, v51
	v_exp_f32_e32 v50, v50
	v_cvt_i32_f32_e32 v51, v52
	s_mov_b32 s13, 0xc2ce8ed0
	v_cmp_ngt_f32_e32 vcc, s13, v49
	s_mov_b32 s13, 0x42b17218
	v_ldexp_f32 v50, v50, v51
	v_cndmask_b32_e32 v50, 0, v50, vcc
	v_mov_b32_e32 v51, 0x7f800000
	v_cmp_nlt_f32_e32 vcc, s13, v49
	s_mov_b32 s13, 0x3f2aaaab
	s_mov_b32 s54, 0x7f800000
	v_cndmask_b32_e32 v134, v51, v50, vcc
	v_add_f32_e32 v49, 1.0, v134
	v_add_f32_e32 v50, -1.0, v49
	v_sub_f32_e32 v51, v50, v49
	v_add_f32_e32 v51, 1.0, v51
	v_sub_f32_e32 v50, v134, v50
	v_add_f32_e32 v52, v50, v51
	v_frexp_mant_f32_e32 v53, v49
	v_cvt_f64_f32_e32 v[50:51], v49
	v_frexp_exp_i32_f64_e32 v50, v[50:51]
	v_cmp_gt_f32_e32 vcc, s13, v53
	s_mov_b32 s13, 0x3f317218
	s_nop 0
	v_subbrev_co_u32_e32 v66, vcc, 0, v50, vcc
	v_sub_u32_e32 v50, 0, v66
	v_ldexp_f32 v49, v49, v50
	v_ldexp_f32 v50, v52, v50
	v_add_f32_e32 v52, -1.0, v49
	v_add_f32_e32 v51, 1.0, v52
	v_sub_f32_e32 v51, v49, v51
	v_add_f32_e32 v53, v50, v51
	v_add_f32_e32 v51, 1.0, v49
	v_add_f32_e32 v54, -1.0, v51
	v_sub_f32_e32 v49, v49, v54
	v_add_f32_e32 v49, v50, v49
	v_add_f32_e32 v67, v51, v49
	v_rcp_f32_e32 v128, v67
	v_sub_f32_e32 v50, v51, v67
	v_add_f32_e32 v51, v52, v53
	v_add_f32_e32 v49, v49, v50
	v_mul_f32_e32 v130, v51, v128
	v_sub_f32_e32 v50, v52, v51
	v_mul_f32_e32 v52, v67, v130
	v_fma_f32 v54, v130, v67, -v52
	v_fmac_f32_e32 v54, v130, v49
	v_add_f32_e32 v129, v53, v50
	v_add_f32_e32 v50, v52, v54
	v_sub_f32_e32 v53, v51, v50
	v_pk_add_f32 v[64:65], v[50:51], v[52:53] neg_lo:[0,1] neg_hi:[0,1]
	v_mov_b32_e32 v55, v50
	v_pk_add_f32 v[50:51], v[64:65], v[54:55] neg_lo:[0,1] neg_hi:[0,1]
	v_cmp_eq_f32_e32 vcc, s54, v134
	v_add_f32_e32 v51, v129, v51
	v_add_f32_e32 v50, v50, v51
	;; [unrolled: 1-line block ×3, first 2 shown]
	v_mul_f32_e32 v129, v128, v51
	v_mul_f32_e32 v52, v67, v129
	v_fma_f32 v54, v129, v67, -v52
	v_fmac_f32_e32 v54, v129, v49
	v_sub_f32_e32 v49, v53, v51
	v_add_f32_e32 v49, v50, v49
	v_add_f32_e32 v50, v52, v54
	v_sub_f32_e32 v53, v51, v50
	v_pk_add_f32 v[64:65], v[50:51], v[52:53] neg_lo:[0,1] neg_hi:[0,1]
	v_mov_b32_e32 v55, v50
	v_pk_add_f32 v[50:51], v[64:65], v[54:55] neg_lo:[0,1] neg_hi:[0,1]
	v_cvt_f32_i32_e32 v52, v66
	v_add_f32_e32 v49, v49, v51
	v_add_f32_e32 v49, v50, v49
	;; [unrolled: 1-line block ×4, first 2 shown]
	v_sub_f32_e32 v51, v50, v130
	v_mul_f32_e32 v49, v128, v49
	v_sub_f32_e32 v51, v129, v51
	v_add_f32_e32 v49, v51, v49
	v_add_f32_e32 v53, v50, v49
	v_mul_f32_e32 v54, v53, v53
	v_mov_b32_e32 v51, 0x3ecc95a3
	v_fmac_f32_e32 v51, 0x3e9b6dac, v54
	v_sub_f32_e32 v50, v53, v50
	v_fmaak_f32 v51, v54, v51, 0x3f2aaada
	v_sub_f32_e32 v49, v49, v50
	v_ldexp_f32 v55, v53, 1
	v_mul_f32_e32 v53, v53, v54
	v_mov_b32_e32 v50, 0x3f317218
	v_pk_mul_f32 v[50:51], v[52:53], v[50:51]
	v_ldexp_f32 v49, v49, 1
	v_fma_f32 v53, v52, s13, -v50
	v_fmamk_f32 v54, v52, 0xb102e308, v53
	v_pk_add_f32 v[52:53], v[50:51], v[54:55]
	v_mov_b32_e32 v64, v50
	v_sub_f32_e32 v55, v53, v55
	v_sub_f32_e32 v55, v51, v55
	v_add_f32_e32 v65, v49, v55
	v_pk_add_f32 v[50:51], v[52:53], v[50:51] neg_lo:[0,1] neg_hi:[0,1]
	v_pk_add_f32 v[66:67], v[52:53], v[64:65]
	v_mov_b32_e32 v55, v52
	v_mov_b32_e32 v51, v67
	v_pk_add_f32 v[128:129], v[54:55], v[50:51] neg_lo:[0,1] neg_hi:[0,1]
	v_pk_add_f32 v[50:51], v[54:55], v[50:51]
	v_mov_b32_e32 v64, v65
	v_mov_b32_e32 v54, v51
	v_pk_add_f32 v[130:131], v[54:55], v[52:53] neg_lo:[0,1] neg_hi:[0,1]
	v_mov_b32_e32 v50, v67
	v_mov_b32_e32 v49, v130
	v_pk_add_f32 v[132:133], v[66:67], v[48:49] neg_lo:[0,1] neg_hi:[0,1]
	v_mov_b32_e32 v66, v53
	v_mov_b32_e32 v67, v130
	;; [unrolled: 1-line block ×3, first 2 shown]
	v_pk_add_f32 v[50:51], v[50:51], v[66:67] neg_lo:[0,1] neg_hi:[0,1]
	v_mov_b32_e32 v65, v52
	v_pk_add_f32 v[50:51], v[64:65], v[50:51] neg_lo:[0,1] neg_hi:[0,1]
	v_mov_b32_e32 v132, v128
	v_pk_add_f32 v[52:53], v[132:133], v[50:51]
	s_mov_b32 s13, 0x33800000
	v_mov_b32_e32 v64, v53
	v_pk_add_f32 v[64:65], v[52:53], v[64:65]
	v_cmp_lt_f32_e64 s[54:55], |v134|, s13
	v_pk_add_f32 v[54:55], v[54:55], v[64:65]
	v_mov_b32_e32 v51, v64
	v_mov_b32_e32 v53, v54
	v_pk_add_f32 v[66:67], v[52:53], v[128:129] neg_lo:[0,1] neg_hi:[0,1]
	s_or_b64 vcc, vcc, s[54:55]
	v_sub_f32_e32 v49, v52, v66
	v_pk_add_f32 v[50:51], v[50:51], v[66:67] neg_lo:[0,1] neg_hi:[0,1]
	v_sub_f32_e32 v49, v128, v49
	v_add_f32_e32 v49, v50, v49
	v_add_f32_e32 v49, v49, v51
	;; [unrolled: 1-line block ×3, first 2 shown]
	v_cndmask_b32_e32 v49, v49, v134, vcc
	v_add_f32_e32 v128, v48, v49
.LBB93_99:
	s_or_b64 exec, exec, s[52:53]
	v_lshrrev_b32_e32 v48, 5, v0
	v_add_lshl_u32 v48, v48, v0, 2
	v_cmp_gt_u32_e32 vcc, 64, v0
	ds_write_b32 v48, v128
	s_waitcnt lgkmcnt(0)
	s_barrier
	s_and_saveexec_b64 s[60:61], vcc
	s_cbranch_execz .LBB93_139
; %bb.100:
	v_lshrrev_b32_e32 v48, 3, v0
	v_add_lshl_u32 v50, v48, v10, 2
	ds_read2_b32 v[48:49], v50 offset1:1
	s_movk_i32 s13, 0x1f8
	s_waitcnt lgkmcnt(0)
	v_max_f32_e32 v52, v49, v49
	v_max_f32_e32 v51, v48, v48
	v_min_f32_e32 v53, v51, v52
	v_max_f32_e32 v54, v51, v52
	v_cmp_u_f32_e64 s[52:53], v48, v48
	v_cmp_u_f32_e64 s[54:55], v49, v49
	s_nop 0
	v_cndmask_b32_e64 v52, v53, v48, s[52:53]
	v_cndmask_b32_e64 v53, v54, v48, s[52:53]
	;; [unrolled: 1-line block ×4, first 2 shown]
	v_cmp_neq_f32_e64 s[54:55], v52, v49
	v_cmp_class_f32_e64 s[56:57], v52, s13
	s_or_b64 s[54:55], s[54:55], s[56:57]
	v_mov_b32_e32 v53, v48
	s_and_saveexec_b64 s[56:57], s[54:55]
	s_cbranch_execz .LBB93_102
; %bb.101:
	v_sub_f32_e32 v52, v52, v49
	s_mov_b32 s54, 0x3fb8aa3b
	v_mul_f32_e32 v53, 0x3fb8aa3b, v52
	v_fma_f32 v54, v52, s54, -v53
	v_rndne_f32_e32 v55, v53
	v_fmamk_f32 v54, v52, 0x32a5705f, v54
	v_sub_f32_e32 v53, v53, v55
	v_add_f32_e32 v53, v53, v54
	v_exp_f32_e32 v53, v53
	v_cvt_i32_f32_e32 v54, v55
	s_mov_b32 s54, 0xc2ce8ed0
	v_cmp_ngt_f32_e64 s[54:55], s54, v52
	s_mov_b32 s64, 0x7f800000
	v_ldexp_f32 v53, v53, v54
	v_cndmask_b32_e64 v53, 0, v53, s[54:55]
	s_mov_b32 s54, 0x42b17218
	v_mov_b32_e32 v54, 0x7f800000
	v_cmp_nlt_f32_e64 s[54:55], s54, v52
	s_nop 1
	v_cndmask_b32_e64 v129, v54, v53, s[54:55]
	v_add_f32_e32 v54, 1.0, v129
	v_add_f32_e32 v52, -1.0, v54
	v_sub_f32_e32 v53, v52, v54
	v_add_f32_e32 v53, 1.0, v53
	v_sub_f32_e32 v52, v129, v52
	v_add_f32_e32 v55, v52, v53
	v_frexp_mant_f32_e32 v64, v54
	s_mov_b32 s54, 0x3f2aaaab
	v_cvt_f64_f32_e32 v[52:53], v54
	v_frexp_exp_i32_f64_e32 v52, v[52:53]
	v_cmp_gt_f32_e64 s[54:55], s54, v64
	s_nop 1
	v_subbrev_co_u32_e64 v130, s[54:55], 0, v52, s[54:55]
	v_sub_u32_e32 v52, 0, v130
	v_ldexp_f32 v53, v54, v52
	v_add_f32_e32 v54, -1.0, v53
	v_add_f32_e32 v64, 1.0, v53
	v_ldexp_f32 v52, v55, v52
	v_add_f32_e32 v55, 1.0, v54
	v_add_f32_e32 v65, -1.0, v64
	v_sub_f32_e32 v55, v53, v55
	v_sub_f32_e32 v53, v53, v65
	v_add_f32_e32 v55, v52, v55
	v_add_f32_e32 v52, v52, v53
	;; [unrolled: 1-line block ×3, first 2 shown]
	v_rcp_f32_e32 v133, v131
	v_sub_f32_e32 v53, v64, v131
	v_add_f32_e32 v132, v52, v53
	v_add_f32_e32 v53, v54, v55
	v_mul_f32_e32 v135, v53, v133
	v_sub_f32_e32 v52, v54, v53
	v_mul_f32_e32 v54, v131, v135
	v_fma_f32 v64, v135, v131, -v54
	v_fmac_f32_e32 v64, v135, v132
	v_add_f32_e32 v134, v55, v52
	v_add_f32_e32 v52, v54, v64
	v_sub_f32_e32 v55, v53, v52
	v_pk_add_f32 v[66:67], v[52:53], v[54:55] neg_lo:[0,1] neg_hi:[0,1]
	v_mov_b32_e32 v65, v52
	v_pk_add_f32 v[52:53], v[66:67], v[64:65] neg_lo:[0,1] neg_hi:[0,1]
	s_mov_b32 s54, 0x3f317218
	v_add_f32_e32 v53, v134, v53
	v_add_f32_e32 v52, v52, v53
	;; [unrolled: 1-line block ×3, first 2 shown]
	v_mul_f32_e32 v134, v133, v53
	v_mul_f32_e32 v54, v131, v134
	v_fma_f32 v64, v134, v131, -v54
	v_fmac_f32_e32 v64, v134, v132
	v_sub_f32_e32 v55, v55, v53
	v_add_f32_e32 v131, v52, v55
	v_add_f32_e32 v52, v54, v64
	v_sub_f32_e32 v55, v53, v52
	v_pk_add_f32 v[66:67], v[52:53], v[54:55] neg_lo:[0,1] neg_hi:[0,1]
	v_mov_b32_e32 v65, v52
	v_pk_add_f32 v[52:53], v[66:67], v[64:65] neg_lo:[0,1] neg_hi:[0,1]
	v_cvt_f32_i32_e32 v54, v130
	v_add_f32_e32 v53, v131, v53
	v_add_f32_e32 v52, v52, v53
	;; [unrolled: 1-line block ×4, first 2 shown]
	v_sub_f32_e32 v53, v55, v135
	v_mul_f32_e32 v52, v133, v52
	v_sub_f32_e32 v53, v134, v53
	v_add_f32_e32 v52, v53, v52
	v_add_f32_e32 v64, v55, v52
	v_mul_f32_e32 v66, v64, v64
	v_mov_b32_e32 v53, 0x3ecc95a3
	v_sub_f32_e32 v55, v64, v55
	v_fmac_f32_e32 v53, 0x3e9b6dac, v66
	v_sub_f32_e32 v52, v52, v55
	v_fmaak_f32 v53, v66, v53, 0x3f2aaada
	v_ldexp_f32 v67, v52, 1
	v_mul_f32_e32 v55, v64, v66
	v_mov_b32_e32 v52, 0x3f317218
	v_pk_mul_f32 v[52:53], v[54:55], v[52:53]
	v_ldexp_f32 v65, v64, 1
	v_fma_f32 v55, v54, s54, -v52
	v_fmamk_f32 v64, v54, 0xb102e308, v55
	v_pk_add_f32 v[54:55], v[52:53], v[64:65]
	v_mov_b32_e32 v66, v52
	v_sub_f32_e32 v65, v55, v65
	v_sub_f32_e32 v65, v53, v65
	v_add_f32_e32 v67, v67, v65
	v_pk_add_f32 v[52:53], v[54:55], v[52:53] neg_lo:[0,1] neg_hi:[0,1]
	v_pk_add_f32 v[130:131], v[54:55], v[66:67]
	v_mov_b32_e32 v65, v54
	v_mov_b32_e32 v53, v131
	v_pk_add_f32 v[132:133], v[64:65], v[52:53] neg_lo:[0,1] neg_hi:[0,1]
	v_pk_add_f32 v[52:53], v[64:65], v[52:53]
	v_mov_b32_e32 v66, v67
	v_mov_b32_e32 v64, v53
	v_pk_add_f32 v[134:135], v[64:65], v[54:55] neg_lo:[0,1] neg_hi:[0,1]
	v_mov_b32_e32 v52, v131
	v_mov_b32_e32 v65, v134
	v_pk_add_f32 v[144:145], v[130:131], v[64:65] neg_lo:[0,1] neg_hi:[0,1]
	v_mov_b32_e32 v130, v55
	v_mov_b32_e32 v131, v134
	;; [unrolled: 1-line block ×3, first 2 shown]
	v_pk_add_f32 v[52:53], v[52:53], v[130:131] neg_lo:[0,1] neg_hi:[0,1]
	v_mov_b32_e32 v67, v54
	v_pk_add_f32 v[52:53], v[66:67], v[52:53] neg_lo:[0,1] neg_hi:[0,1]
	v_mov_b32_e32 v144, v132
	v_pk_add_f32 v[54:55], v[144:145], v[52:53]
	v_cmp_eq_f32_e64 s[54:55], s64, v129
	v_mov_b32_e32 v66, v55
	v_pk_add_f32 v[66:67], v[54:55], v[66:67]
	s_mov_b32 s64, 0x33800000
	v_pk_add_f32 v[64:65], v[64:65], v[66:67]
	v_mov_b32_e32 v53, v66
	v_mov_b32_e32 v55, v64
	v_pk_add_f32 v[130:131], v[54:55], v[132:133] neg_lo:[0,1] neg_hi:[0,1]
	v_cmp_lt_f32_e64 s[64:65], |v129|, s64
	v_sub_f32_e32 v54, v54, v130
	v_pk_add_f32 v[52:53], v[52:53], v[130:131] neg_lo:[0,1] neg_hi:[0,1]
	v_sub_f32_e32 v54, v132, v54
	v_add_f32_e32 v52, v52, v54
	v_add_f32_e32 v52, v52, v53
	;; [unrolled: 1-line block ×3, first 2 shown]
	s_or_b64 s[54:55], s[54:55], s[64:65]
	v_cndmask_b32_e64 v52, v52, v129, s[54:55]
	v_add_f32_e32 v53, v49, v52
.LBB93_102:
	s_or_b64 exec, exec, s[56:57]
	ds_read_b32 v49, v50 offset:8
	v_max_f32_e32 v52, v53, v53
	v_cmp_u_f32_e64 s[54:55], v53, v53
	s_waitcnt lgkmcnt(0)
	v_max_f32_e32 v54, v49, v49
	v_min_f32_e32 v55, v52, v54
	v_max_f32_e32 v54, v52, v54
	v_cndmask_b32_e64 v52, v55, v53, s[54:55]
	v_cmp_u_f32_e64 s[56:57], v49, v49
	v_cndmask_b32_e64 v54, v54, v53, s[54:55]
	s_nop 0
	v_cndmask_b32_e64 v52, v52, v49, s[56:57]
	v_cndmask_b32_e64 v49, v54, v49, s[56:57]
	v_cmp_neq_f32_e64 s[54:55], v52, v49
	v_cmp_class_f32_e64 s[56:57], v52, s13
	s_or_b64 s[54:55], s[54:55], s[56:57]
	s_and_saveexec_b64 s[56:57], s[54:55]
	s_cbranch_execz .LBB93_104
; %bb.103:
	v_sub_f32_e32 v52, v52, v49
	s_mov_b32 s13, 0x3fb8aa3b
	v_mul_f32_e32 v53, 0x3fb8aa3b, v52
	v_fma_f32 v54, v52, s13, -v53
	v_rndne_f32_e32 v55, v53
	v_fmamk_f32 v54, v52, 0x32a5705f, v54
	v_sub_f32_e32 v53, v53, v55
	v_add_f32_e32 v53, v53, v54
	v_exp_f32_e32 v53, v53
	v_cvt_i32_f32_e32 v54, v55
	s_mov_b32 s13, 0xc2ce8ed0
	v_cmp_ngt_f32_e64 s[54:55], s13, v52
	s_mov_b32 s13, 0x42b17218
	v_ldexp_f32 v53, v53, v54
	v_cndmask_b32_e64 v53, 0, v53, s[54:55]
	v_mov_b32_e32 v54, 0x7f800000
	v_cmp_nlt_f32_e64 s[54:55], s13, v52
	s_mov_b32 s13, 0x3f2aaaab
	s_mov_b32 s64, 0x7f800000
	v_cndmask_b32_e64 v129, v54, v53, s[54:55]
	v_add_f32_e32 v54, 1.0, v129
	v_add_f32_e32 v52, -1.0, v54
	v_sub_f32_e32 v53, v52, v54
	v_add_f32_e32 v53, 1.0, v53
	v_sub_f32_e32 v52, v129, v52
	v_add_f32_e32 v55, v52, v53
	v_frexp_mant_f32_e32 v64, v54
	v_cvt_f64_f32_e32 v[52:53], v54
	v_frexp_exp_i32_f64_e32 v52, v[52:53]
	v_cmp_gt_f32_e64 s[54:55], s13, v64
	s_mov_b32 s13, 0x3f317218
	s_nop 0
	v_subbrev_co_u32_e64 v130, s[54:55], 0, v52, s[54:55]
	v_sub_u32_e32 v52, 0, v130
	v_ldexp_f32 v53, v54, v52
	v_add_f32_e32 v54, -1.0, v53
	v_add_f32_e32 v64, 1.0, v53
	v_ldexp_f32 v52, v55, v52
	v_add_f32_e32 v55, 1.0, v54
	v_add_f32_e32 v65, -1.0, v64
	v_sub_f32_e32 v55, v53, v55
	v_sub_f32_e32 v53, v53, v65
	v_add_f32_e32 v55, v52, v55
	v_add_f32_e32 v52, v52, v53
	;; [unrolled: 1-line block ×3, first 2 shown]
	v_rcp_f32_e32 v133, v131
	v_sub_f32_e32 v53, v64, v131
	v_add_f32_e32 v132, v52, v53
	v_add_f32_e32 v53, v54, v55
	v_mul_f32_e32 v135, v53, v133
	v_sub_f32_e32 v52, v54, v53
	v_mul_f32_e32 v54, v131, v135
	v_fma_f32 v64, v135, v131, -v54
	v_fmac_f32_e32 v64, v135, v132
	v_add_f32_e32 v134, v55, v52
	v_add_f32_e32 v52, v54, v64
	v_sub_f32_e32 v55, v53, v52
	v_pk_add_f32 v[66:67], v[52:53], v[54:55] neg_lo:[0,1] neg_hi:[0,1]
	v_mov_b32_e32 v65, v52
	v_pk_add_f32 v[52:53], v[66:67], v[64:65] neg_lo:[0,1] neg_hi:[0,1]
	v_cmp_eq_f32_e64 s[54:55], s64, v129
	v_add_f32_e32 v53, v134, v53
	v_add_f32_e32 v52, v52, v53
	;; [unrolled: 1-line block ×3, first 2 shown]
	v_mul_f32_e32 v134, v133, v53
	v_mul_f32_e32 v54, v131, v134
	v_fma_f32 v64, v134, v131, -v54
	v_fmac_f32_e32 v64, v134, v132
	v_sub_f32_e32 v55, v55, v53
	v_add_f32_e32 v131, v52, v55
	v_add_f32_e32 v52, v54, v64
	v_sub_f32_e32 v55, v53, v52
	v_pk_add_f32 v[66:67], v[52:53], v[54:55] neg_lo:[0,1] neg_hi:[0,1]
	v_mov_b32_e32 v65, v52
	v_pk_add_f32 v[52:53], v[66:67], v[64:65] neg_lo:[0,1] neg_hi:[0,1]
	v_cvt_f32_i32_e32 v54, v130
	v_add_f32_e32 v53, v131, v53
	v_add_f32_e32 v52, v52, v53
	;; [unrolled: 1-line block ×4, first 2 shown]
	v_sub_f32_e32 v53, v55, v135
	v_mul_f32_e32 v52, v133, v52
	v_sub_f32_e32 v53, v134, v53
	v_add_f32_e32 v52, v53, v52
	v_add_f32_e32 v64, v55, v52
	v_mul_f32_e32 v66, v64, v64
	v_mov_b32_e32 v53, 0x3ecc95a3
	v_sub_f32_e32 v55, v64, v55
	v_fmac_f32_e32 v53, 0x3e9b6dac, v66
	v_sub_f32_e32 v52, v52, v55
	v_fmaak_f32 v53, v66, v53, 0x3f2aaada
	v_ldexp_f32 v67, v52, 1
	v_mul_f32_e32 v55, v64, v66
	v_mov_b32_e32 v52, 0x3f317218
	v_pk_mul_f32 v[52:53], v[54:55], v[52:53]
	v_ldexp_f32 v65, v64, 1
	v_fma_f32 v55, v54, s13, -v52
	v_fmamk_f32 v64, v54, 0xb102e308, v55
	v_pk_add_f32 v[54:55], v[52:53], v[64:65]
	v_mov_b32_e32 v66, v52
	v_sub_f32_e32 v65, v55, v65
	v_sub_f32_e32 v65, v53, v65
	v_add_f32_e32 v67, v67, v65
	v_pk_add_f32 v[52:53], v[54:55], v[52:53] neg_lo:[0,1] neg_hi:[0,1]
	v_pk_add_f32 v[130:131], v[54:55], v[66:67]
	v_mov_b32_e32 v65, v54
	v_mov_b32_e32 v53, v131
	v_pk_add_f32 v[132:133], v[64:65], v[52:53] neg_lo:[0,1] neg_hi:[0,1]
	v_pk_add_f32 v[52:53], v[64:65], v[52:53]
	v_mov_b32_e32 v66, v67
	v_mov_b32_e32 v64, v53
	v_pk_add_f32 v[134:135], v[64:65], v[54:55] neg_lo:[0,1] neg_hi:[0,1]
	v_mov_b32_e32 v52, v131
	v_mov_b32_e32 v65, v134
	v_pk_add_f32 v[144:145], v[130:131], v[64:65] neg_lo:[0,1] neg_hi:[0,1]
	v_mov_b32_e32 v130, v55
	v_mov_b32_e32 v131, v134
	;; [unrolled: 1-line block ×3, first 2 shown]
	v_pk_add_f32 v[52:53], v[52:53], v[130:131] neg_lo:[0,1] neg_hi:[0,1]
	v_mov_b32_e32 v67, v54
	v_pk_add_f32 v[52:53], v[66:67], v[52:53] neg_lo:[0,1] neg_hi:[0,1]
	v_mov_b32_e32 v144, v132
	v_pk_add_f32 v[54:55], v[144:145], v[52:53]
	s_mov_b32 s13, 0x33800000
	v_mov_b32_e32 v66, v55
	v_pk_add_f32 v[66:67], v[54:55], v[66:67]
	v_cmp_lt_f32_e64 s[64:65], |v129|, s13
	v_pk_add_f32 v[64:65], v[64:65], v[66:67]
	v_mov_b32_e32 v53, v66
	v_mov_b32_e32 v55, v64
	v_pk_add_f32 v[130:131], v[54:55], v[132:133] neg_lo:[0,1] neg_hi:[0,1]
	s_or_b64 s[54:55], s[54:55], s[64:65]
	v_sub_f32_e32 v54, v54, v130
	v_pk_add_f32 v[52:53], v[52:53], v[130:131] neg_lo:[0,1] neg_hi:[0,1]
	v_sub_f32_e32 v54, v132, v54
	v_add_f32_e32 v52, v52, v54
	v_add_f32_e32 v52, v52, v53
	;; [unrolled: 1-line block ×3, first 2 shown]
	v_cndmask_b32_e64 v52, v52, v129, s[54:55]
	v_add_f32_e32 v53, v49, v52
.LBB93_104:
	s_or_b64 exec, exec, s[56:57]
	ds_read_b32 v49, v50 offset:12
	v_max_f32_e32 v52, v53, v53
	v_cmp_u_f32_e64 s[54:55], v53, v53
	s_movk_i32 s13, 0x1f8
	s_waitcnt lgkmcnt(0)
	v_max_f32_e32 v54, v49, v49
	v_min_f32_e32 v55, v52, v54
	v_max_f32_e32 v54, v52, v54
	v_cndmask_b32_e64 v52, v55, v53, s[54:55]
	v_cmp_u_f32_e64 s[56:57], v49, v49
	v_cndmask_b32_e64 v54, v54, v53, s[54:55]
	s_nop 0
	v_cndmask_b32_e64 v52, v52, v49, s[56:57]
	v_cndmask_b32_e64 v49, v54, v49, s[56:57]
	v_cmp_neq_f32_e64 s[54:55], v52, v49
	v_cmp_class_f32_e64 s[56:57], v52, s13
	s_or_b64 s[54:55], s[54:55], s[56:57]
	s_and_saveexec_b64 s[56:57], s[54:55]
	s_cbranch_execz .LBB93_106
; %bb.105:
	v_sub_f32_e32 v52, v52, v49
	s_mov_b32 s13, 0x3fb8aa3b
	v_mul_f32_e32 v53, 0x3fb8aa3b, v52
	v_fma_f32 v54, v52, s13, -v53
	v_rndne_f32_e32 v55, v53
	v_fmamk_f32 v54, v52, 0x32a5705f, v54
	v_sub_f32_e32 v53, v53, v55
	v_add_f32_e32 v53, v53, v54
	v_exp_f32_e32 v53, v53
	v_cvt_i32_f32_e32 v54, v55
	s_mov_b32 s13, 0xc2ce8ed0
	v_cmp_ngt_f32_e64 s[54:55], s13, v52
	s_mov_b32 s13, 0x42b17218
	v_ldexp_f32 v53, v53, v54
	v_cndmask_b32_e64 v53, 0, v53, s[54:55]
	v_mov_b32_e32 v54, 0x7f800000
	v_cmp_nlt_f32_e64 s[54:55], s13, v52
	s_mov_b32 s13, 0x3f2aaaab
	s_mov_b32 s64, 0x7f800000
	v_cndmask_b32_e64 v129, v54, v53, s[54:55]
	v_add_f32_e32 v54, 1.0, v129
	v_add_f32_e32 v52, -1.0, v54
	v_sub_f32_e32 v53, v52, v54
	v_add_f32_e32 v53, 1.0, v53
	v_sub_f32_e32 v52, v129, v52
	v_add_f32_e32 v55, v52, v53
	v_frexp_mant_f32_e32 v64, v54
	v_cvt_f64_f32_e32 v[52:53], v54
	v_frexp_exp_i32_f64_e32 v52, v[52:53]
	v_cmp_gt_f32_e64 s[54:55], s13, v64
	s_mov_b32 s13, 0x3f317218
	s_nop 0
	v_subbrev_co_u32_e64 v130, s[54:55], 0, v52, s[54:55]
	v_sub_u32_e32 v52, 0, v130
	v_ldexp_f32 v53, v54, v52
	v_add_f32_e32 v54, -1.0, v53
	v_add_f32_e32 v64, 1.0, v53
	v_ldexp_f32 v52, v55, v52
	v_add_f32_e32 v55, 1.0, v54
	v_add_f32_e32 v65, -1.0, v64
	v_sub_f32_e32 v55, v53, v55
	v_sub_f32_e32 v53, v53, v65
	v_add_f32_e32 v55, v52, v55
	v_add_f32_e32 v52, v52, v53
	;; [unrolled: 1-line block ×3, first 2 shown]
	v_rcp_f32_e32 v133, v131
	v_sub_f32_e32 v53, v64, v131
	v_add_f32_e32 v132, v52, v53
	v_add_f32_e32 v53, v54, v55
	v_mul_f32_e32 v135, v53, v133
	v_sub_f32_e32 v52, v54, v53
	v_mul_f32_e32 v54, v131, v135
	v_fma_f32 v64, v135, v131, -v54
	v_fmac_f32_e32 v64, v135, v132
	v_add_f32_e32 v134, v55, v52
	v_add_f32_e32 v52, v54, v64
	v_sub_f32_e32 v55, v53, v52
	v_pk_add_f32 v[66:67], v[52:53], v[54:55] neg_lo:[0,1] neg_hi:[0,1]
	v_mov_b32_e32 v65, v52
	v_pk_add_f32 v[52:53], v[66:67], v[64:65] neg_lo:[0,1] neg_hi:[0,1]
	v_cmp_eq_f32_e64 s[54:55], s64, v129
	v_add_f32_e32 v53, v134, v53
	v_add_f32_e32 v52, v52, v53
	;; [unrolled: 1-line block ×3, first 2 shown]
	v_mul_f32_e32 v134, v133, v53
	v_mul_f32_e32 v54, v131, v134
	v_fma_f32 v64, v134, v131, -v54
	v_fmac_f32_e32 v64, v134, v132
	v_sub_f32_e32 v55, v55, v53
	v_add_f32_e32 v131, v52, v55
	v_add_f32_e32 v52, v54, v64
	v_sub_f32_e32 v55, v53, v52
	v_pk_add_f32 v[66:67], v[52:53], v[54:55] neg_lo:[0,1] neg_hi:[0,1]
	v_mov_b32_e32 v65, v52
	v_pk_add_f32 v[52:53], v[66:67], v[64:65] neg_lo:[0,1] neg_hi:[0,1]
	v_cvt_f32_i32_e32 v54, v130
	v_add_f32_e32 v53, v131, v53
	v_add_f32_e32 v52, v52, v53
	;; [unrolled: 1-line block ×4, first 2 shown]
	v_sub_f32_e32 v53, v55, v135
	v_mul_f32_e32 v52, v133, v52
	v_sub_f32_e32 v53, v134, v53
	v_add_f32_e32 v52, v53, v52
	v_add_f32_e32 v64, v55, v52
	v_mul_f32_e32 v66, v64, v64
	v_mov_b32_e32 v53, 0x3ecc95a3
	v_sub_f32_e32 v55, v64, v55
	v_fmac_f32_e32 v53, 0x3e9b6dac, v66
	v_sub_f32_e32 v52, v52, v55
	v_fmaak_f32 v53, v66, v53, 0x3f2aaada
	v_ldexp_f32 v67, v52, 1
	v_mul_f32_e32 v55, v64, v66
	v_mov_b32_e32 v52, 0x3f317218
	v_pk_mul_f32 v[52:53], v[54:55], v[52:53]
	v_ldexp_f32 v65, v64, 1
	v_fma_f32 v55, v54, s13, -v52
	v_fmamk_f32 v64, v54, 0xb102e308, v55
	v_pk_add_f32 v[54:55], v[52:53], v[64:65]
	v_mov_b32_e32 v66, v52
	v_sub_f32_e32 v65, v55, v65
	v_sub_f32_e32 v65, v53, v65
	v_add_f32_e32 v67, v67, v65
	v_pk_add_f32 v[52:53], v[54:55], v[52:53] neg_lo:[0,1] neg_hi:[0,1]
	v_pk_add_f32 v[130:131], v[54:55], v[66:67]
	v_mov_b32_e32 v65, v54
	v_mov_b32_e32 v53, v131
	v_pk_add_f32 v[132:133], v[64:65], v[52:53] neg_lo:[0,1] neg_hi:[0,1]
	v_pk_add_f32 v[52:53], v[64:65], v[52:53]
	v_mov_b32_e32 v66, v67
	v_mov_b32_e32 v64, v53
	v_pk_add_f32 v[134:135], v[64:65], v[54:55] neg_lo:[0,1] neg_hi:[0,1]
	v_mov_b32_e32 v52, v131
	v_mov_b32_e32 v65, v134
	v_pk_add_f32 v[144:145], v[130:131], v[64:65] neg_lo:[0,1] neg_hi:[0,1]
	v_mov_b32_e32 v130, v55
	v_mov_b32_e32 v131, v134
	;; [unrolled: 1-line block ×3, first 2 shown]
	v_pk_add_f32 v[52:53], v[52:53], v[130:131] neg_lo:[0,1] neg_hi:[0,1]
	v_mov_b32_e32 v67, v54
	v_pk_add_f32 v[52:53], v[66:67], v[52:53] neg_lo:[0,1] neg_hi:[0,1]
	v_mov_b32_e32 v144, v132
	v_pk_add_f32 v[54:55], v[144:145], v[52:53]
	s_mov_b32 s13, 0x33800000
	v_mov_b32_e32 v66, v55
	v_pk_add_f32 v[66:67], v[54:55], v[66:67]
	v_cmp_lt_f32_e64 s[64:65], |v129|, s13
	v_pk_add_f32 v[64:65], v[64:65], v[66:67]
	v_mov_b32_e32 v53, v66
	v_mov_b32_e32 v55, v64
	v_pk_add_f32 v[130:131], v[54:55], v[132:133] neg_lo:[0,1] neg_hi:[0,1]
	s_or_b64 s[54:55], s[54:55], s[64:65]
	v_sub_f32_e32 v54, v54, v130
	v_pk_add_f32 v[52:53], v[52:53], v[130:131] neg_lo:[0,1] neg_hi:[0,1]
	v_sub_f32_e32 v54, v132, v54
	v_add_f32_e32 v52, v52, v54
	v_add_f32_e32 v52, v52, v53
	v_add_f32_e32 v52, v64, v52
	v_cndmask_b32_e64 v52, v52, v129, s[54:55]
	v_add_f32_e32 v53, v49, v52
.LBB93_106:
	s_or_b64 exec, exec, s[56:57]
	v_mbcnt_lo_u32_b32 v49, -1, 0
	v_mbcnt_hi_u32_b32 v49, -1, v49
	v_and_b32_e32 v52, 15, v49
	v_mov_b32_dpp v54, v53 row_shr:1 row_mask:0xf bank_mask:0xf
	v_cmp_ne_u32_e64 s[54:55], 0, v52
	s_and_saveexec_b64 s[56:57], s[54:55]
	s_xor_b64 s[64:65], exec, s[56:57]
	s_cbranch_execz .LBB93_110
; %bb.107:
	v_max_f32_e32 v64, v53, v53
	v_max_f32_e32 v65, v54, v54
	v_min_f32_e32 v55, v65, v64
	v_cmp_u_f32_e64 s[54:55], v54, v54
	v_max_f32_e32 v64, v65, v64
	v_cmp_u_f32_e64 s[56:57], v53, v53
	v_cndmask_b32_e64 v55, v55, v54, s[54:55]
	v_cndmask_b32_e64 v64, v64, v54, s[54:55]
	;; [unrolled: 1-line block ×4, first 2 shown]
	s_movk_i32 s13, 0x1f8
	v_cmp_neq_f32_e64 s[54:55], v55, v53
	v_cmp_class_f32_e64 s[56:57], v55, s13
	s_or_b64 s[54:55], s[54:55], s[56:57]
	s_and_saveexec_b64 s[56:57], s[54:55]
	s_cbranch_execz .LBB93_109
; %bb.108:
	v_sub_f32_e32 v54, v55, v53
	s_mov_b32 s13, 0x3fb8aa3b
	v_mul_f32_e32 v55, 0x3fb8aa3b, v54
	v_fma_f32 v64, v54, s13, -v55
	v_rndne_f32_e32 v65, v55
	v_fmamk_f32 v64, v54, 0x32a5705f, v64
	v_sub_f32_e32 v55, v55, v65
	v_add_f32_e32 v55, v55, v64
	v_exp_f32_e32 v55, v55
	v_cvt_i32_f32_e32 v64, v65
	s_mov_b32 s13, 0xc2ce8ed0
	v_cmp_ngt_f32_e64 s[54:55], s13, v54
	s_mov_b32 s13, 0x42b17218
	v_ldexp_f32 v55, v55, v64
	v_cndmask_b32_e64 v55, 0, v55, s[54:55]
	v_mov_b32_e32 v64, 0x7f800000
	v_cmp_nlt_f32_e64 s[54:55], s13, v54
	s_mov_b32 s13, 0x3f2aaaab
	s_mov_b32 s66, 0x7f800000
	v_cndmask_b32_e64 v129, v64, v55, s[54:55]
	v_add_f32_e32 v64, 1.0, v129
	v_add_f32_e32 v54, -1.0, v64
	v_sub_f32_e32 v55, v54, v64
	v_add_f32_e32 v55, 1.0, v55
	v_sub_f32_e32 v54, v129, v54
	v_add_f32_e32 v65, v54, v55
	v_frexp_mant_f32_e32 v66, v64
	v_cvt_f64_f32_e32 v[54:55], v64
	v_frexp_exp_i32_f64_e32 v54, v[54:55]
	v_cmp_gt_f32_e64 s[54:55], s13, v66
	s_mov_b32 s13, 0x3f317218
	s_nop 0
	v_subbrev_co_u32_e64 v132, s[54:55], 0, v54, s[54:55]
	v_sub_u32_e32 v54, 0, v132
	v_ldexp_f32 v55, v64, v54
	v_add_f32_e32 v64, -1.0, v55
	v_add_f32_e32 v66, 1.0, v55
	v_ldexp_f32 v54, v65, v54
	v_add_f32_e32 v65, 1.0, v64
	v_add_f32_e32 v67, -1.0, v66
	v_sub_f32_e32 v65, v55, v65
	v_sub_f32_e32 v55, v55, v67
	v_add_f32_e32 v65, v54, v65
	v_add_f32_e32 v54, v54, v55
	;; [unrolled: 1-line block ×3, first 2 shown]
	v_rcp_f32_e32 v135, v133
	v_sub_f32_e32 v55, v66, v133
	v_add_f32_e32 v134, v54, v55
	v_add_f32_e32 v55, v64, v65
	v_mul_f32_e32 v145, v55, v135
	v_sub_f32_e32 v54, v64, v55
	v_mul_f32_e32 v64, v133, v145
	v_fma_f32 v66, v145, v133, -v64
	v_fmac_f32_e32 v66, v145, v134
	v_add_f32_e32 v144, v65, v54
	v_add_f32_e32 v54, v64, v66
	v_sub_f32_e32 v65, v55, v54
	v_pk_add_f32 v[130:131], v[54:55], v[64:65] neg_lo:[0,1] neg_hi:[0,1]
	v_mov_b32_e32 v67, v54
	v_pk_add_f32 v[54:55], v[130:131], v[66:67] neg_lo:[0,1] neg_hi:[0,1]
	v_cmp_eq_f32_e64 s[54:55], s66, v129
	v_add_f32_e32 v55, v144, v55
	v_add_f32_e32 v54, v54, v55
	;; [unrolled: 1-line block ×3, first 2 shown]
	v_mul_f32_e32 v144, v135, v55
	v_mul_f32_e32 v64, v133, v144
	v_fma_f32 v66, v144, v133, -v64
	v_fmac_f32_e32 v66, v144, v134
	v_sub_f32_e32 v65, v65, v55
	v_add_f32_e32 v133, v54, v65
	v_add_f32_e32 v54, v64, v66
	v_sub_f32_e32 v65, v55, v54
	v_pk_add_f32 v[130:131], v[54:55], v[64:65] neg_lo:[0,1] neg_hi:[0,1]
	v_mov_b32_e32 v67, v54
	v_pk_add_f32 v[54:55], v[130:131], v[66:67] neg_lo:[0,1] neg_hi:[0,1]
	v_cvt_f32_i32_e32 v64, v132
	v_add_f32_e32 v55, v133, v55
	v_add_f32_e32 v54, v54, v55
	;; [unrolled: 1-line block ×4, first 2 shown]
	v_sub_f32_e32 v55, v65, v145
	v_mul_f32_e32 v54, v135, v54
	v_sub_f32_e32 v55, v144, v55
	v_add_f32_e32 v54, v55, v54
	v_add_f32_e32 v66, v65, v54
	v_mul_f32_e32 v130, v66, v66
	v_mov_b32_e32 v55, 0x3ecc95a3
	v_sub_f32_e32 v65, v66, v65
	v_fmac_f32_e32 v55, 0x3e9b6dac, v130
	v_sub_f32_e32 v54, v54, v65
	v_fmaak_f32 v55, v130, v55, 0x3f2aaada
	v_ldexp_f32 v131, v54, 1
	v_mul_f32_e32 v65, v66, v130
	v_mov_b32_e32 v54, 0x3f317218
	v_pk_mul_f32 v[54:55], v[64:65], v[54:55]
	v_ldexp_f32 v67, v66, 1
	v_fma_f32 v65, v64, s13, -v54
	v_fmamk_f32 v66, v64, 0xb102e308, v65
	v_pk_add_f32 v[64:65], v[54:55], v[66:67]
	v_mov_b32_e32 v130, v54
	v_sub_f32_e32 v67, v65, v67
	v_sub_f32_e32 v67, v55, v67
	v_add_f32_e32 v131, v131, v67
	v_pk_add_f32 v[54:55], v[64:65], v[54:55] neg_lo:[0,1] neg_hi:[0,1]
	v_pk_add_f32 v[132:133], v[64:65], v[130:131]
	v_mov_b32_e32 v67, v64
	v_mov_b32_e32 v55, v133
	v_pk_add_f32 v[134:135], v[66:67], v[54:55] neg_lo:[0,1] neg_hi:[0,1]
	v_pk_add_f32 v[54:55], v[66:67], v[54:55]
	v_mov_b32_e32 v130, v131
	v_mov_b32_e32 v66, v55
	v_pk_add_f32 v[144:145], v[66:67], v[64:65] neg_lo:[0,1] neg_hi:[0,1]
	v_mov_b32_e32 v54, v133
	v_mov_b32_e32 v67, v144
	v_pk_add_f32 v[146:147], v[132:133], v[66:67] neg_lo:[0,1] neg_hi:[0,1]
	v_mov_b32_e32 v132, v65
	v_mov_b32_e32 v133, v144
	;; [unrolled: 1-line block ×3, first 2 shown]
	v_pk_add_f32 v[54:55], v[54:55], v[132:133] neg_lo:[0,1] neg_hi:[0,1]
	v_mov_b32_e32 v131, v64
	v_pk_add_f32 v[54:55], v[130:131], v[54:55] neg_lo:[0,1] neg_hi:[0,1]
	v_mov_b32_e32 v146, v134
	v_pk_add_f32 v[64:65], v[146:147], v[54:55]
	s_mov_b32 s13, 0x33800000
	v_mov_b32_e32 v130, v65
	v_pk_add_f32 v[130:131], v[64:65], v[130:131]
	v_cmp_lt_f32_e64 s[66:67], |v129|, s13
	v_pk_add_f32 v[66:67], v[66:67], v[130:131]
	v_mov_b32_e32 v55, v130
	v_mov_b32_e32 v65, v66
	v_pk_add_f32 v[132:133], v[64:65], v[134:135] neg_lo:[0,1] neg_hi:[0,1]
	s_or_b64 s[54:55], s[54:55], s[66:67]
	v_sub_f32_e32 v64, v64, v132
	v_pk_add_f32 v[54:55], v[54:55], v[132:133] neg_lo:[0,1] neg_hi:[0,1]
	v_sub_f32_e32 v64, v134, v64
	v_add_f32_e32 v54, v54, v64
	v_add_f32_e32 v54, v54, v55
	v_add_f32_e32 v54, v66, v54
	v_cndmask_b32_e64 v54, v54, v129, s[54:55]
	v_add_f32_e32 v54, v53, v54
.LBB93_109:
	s_or_b64 exec, exec, s[56:57]
	v_mov_b32_e32 v53, v54
.LBB93_110:
	s_or_b64 exec, exec, s[64:65]
	s_nop 0
	v_mov_b32_dpp v54, v53 row_shr:2 row_mask:0xf bank_mask:0xf
	v_cmp_lt_u32_e64 s[54:55], 1, v52
	s_and_saveexec_b64 s[64:65], s[54:55]
	s_cbranch_execz .LBB93_114
; %bb.111:
	v_max_f32_e32 v64, v53, v53
	v_max_f32_e32 v65, v54, v54
	v_min_f32_e32 v55, v65, v64
	v_cmp_u_f32_e64 s[54:55], v54, v54
	v_max_f32_e32 v64, v65, v64
	v_cmp_u_f32_e64 s[56:57], v53, v53
	v_cndmask_b32_e64 v55, v55, v54, s[54:55]
	v_cndmask_b32_e64 v64, v64, v54, s[54:55]
	;; [unrolled: 1-line block ×4, first 2 shown]
	s_movk_i32 s13, 0x1f8
	v_cmp_neq_f32_e64 s[54:55], v55, v53
	v_cmp_class_f32_e64 s[56:57], v55, s13
	s_or_b64 s[54:55], s[54:55], s[56:57]
	s_and_saveexec_b64 s[56:57], s[54:55]
	s_cbranch_execz .LBB93_113
; %bb.112:
	v_sub_f32_e32 v54, v55, v53
	s_mov_b32 s13, 0x3fb8aa3b
	v_mul_f32_e32 v55, 0x3fb8aa3b, v54
	v_fma_f32 v64, v54, s13, -v55
	v_rndne_f32_e32 v65, v55
	v_fmamk_f32 v64, v54, 0x32a5705f, v64
	v_sub_f32_e32 v55, v55, v65
	v_add_f32_e32 v55, v55, v64
	v_exp_f32_e32 v55, v55
	v_cvt_i32_f32_e32 v64, v65
	s_mov_b32 s13, 0xc2ce8ed0
	v_cmp_ngt_f32_e64 s[54:55], s13, v54
	s_mov_b32 s13, 0x42b17218
	v_ldexp_f32 v55, v55, v64
	v_cndmask_b32_e64 v55, 0, v55, s[54:55]
	v_mov_b32_e32 v64, 0x7f800000
	v_cmp_nlt_f32_e64 s[54:55], s13, v54
	s_mov_b32 s13, 0x3f2aaaab
	s_mov_b32 s66, 0x7f800000
	v_cndmask_b32_e64 v129, v64, v55, s[54:55]
	v_add_f32_e32 v64, 1.0, v129
	v_add_f32_e32 v54, -1.0, v64
	v_sub_f32_e32 v55, v54, v64
	v_add_f32_e32 v55, 1.0, v55
	v_sub_f32_e32 v54, v129, v54
	v_add_f32_e32 v65, v54, v55
	v_frexp_mant_f32_e32 v66, v64
	v_cvt_f64_f32_e32 v[54:55], v64
	v_frexp_exp_i32_f64_e32 v54, v[54:55]
	v_cmp_gt_f32_e64 s[54:55], s13, v66
	s_mov_b32 s13, 0x3f317218
	s_nop 0
	v_subbrev_co_u32_e64 v132, s[54:55], 0, v54, s[54:55]
	v_sub_u32_e32 v54, 0, v132
	v_ldexp_f32 v55, v64, v54
	v_add_f32_e32 v64, -1.0, v55
	v_add_f32_e32 v66, 1.0, v55
	v_ldexp_f32 v54, v65, v54
	v_add_f32_e32 v65, 1.0, v64
	v_add_f32_e32 v67, -1.0, v66
	v_sub_f32_e32 v65, v55, v65
	v_sub_f32_e32 v55, v55, v67
	v_add_f32_e32 v65, v54, v65
	v_add_f32_e32 v54, v54, v55
	;; [unrolled: 1-line block ×3, first 2 shown]
	v_rcp_f32_e32 v135, v133
	v_sub_f32_e32 v55, v66, v133
	v_add_f32_e32 v134, v54, v55
	v_add_f32_e32 v55, v64, v65
	v_mul_f32_e32 v145, v55, v135
	v_sub_f32_e32 v54, v64, v55
	v_mul_f32_e32 v64, v133, v145
	v_fma_f32 v66, v145, v133, -v64
	v_fmac_f32_e32 v66, v145, v134
	v_add_f32_e32 v144, v65, v54
	v_add_f32_e32 v54, v64, v66
	v_sub_f32_e32 v65, v55, v54
	v_pk_add_f32 v[130:131], v[54:55], v[64:65] neg_lo:[0,1] neg_hi:[0,1]
	v_mov_b32_e32 v67, v54
	v_pk_add_f32 v[54:55], v[130:131], v[66:67] neg_lo:[0,1] neg_hi:[0,1]
	v_cmp_eq_f32_e64 s[54:55], s66, v129
	v_add_f32_e32 v55, v144, v55
	v_add_f32_e32 v54, v54, v55
	v_add_f32_e32 v55, v65, v54
	v_mul_f32_e32 v144, v135, v55
	v_mul_f32_e32 v64, v133, v144
	v_fma_f32 v66, v144, v133, -v64
	v_fmac_f32_e32 v66, v144, v134
	v_sub_f32_e32 v65, v65, v55
	v_add_f32_e32 v133, v54, v65
	v_add_f32_e32 v54, v64, v66
	v_sub_f32_e32 v65, v55, v54
	v_pk_add_f32 v[130:131], v[54:55], v[64:65] neg_lo:[0,1] neg_hi:[0,1]
	v_mov_b32_e32 v67, v54
	v_pk_add_f32 v[54:55], v[130:131], v[66:67] neg_lo:[0,1] neg_hi:[0,1]
	v_cvt_f32_i32_e32 v64, v132
	v_add_f32_e32 v55, v133, v55
	v_add_f32_e32 v54, v54, v55
	;; [unrolled: 1-line block ×4, first 2 shown]
	v_sub_f32_e32 v55, v65, v145
	v_mul_f32_e32 v54, v135, v54
	v_sub_f32_e32 v55, v144, v55
	v_add_f32_e32 v54, v55, v54
	v_add_f32_e32 v66, v65, v54
	v_mul_f32_e32 v130, v66, v66
	v_mov_b32_e32 v55, 0x3ecc95a3
	v_sub_f32_e32 v65, v66, v65
	v_fmac_f32_e32 v55, 0x3e9b6dac, v130
	v_sub_f32_e32 v54, v54, v65
	v_fmaak_f32 v55, v130, v55, 0x3f2aaada
	v_ldexp_f32 v131, v54, 1
	v_mul_f32_e32 v65, v66, v130
	v_mov_b32_e32 v54, 0x3f317218
	v_pk_mul_f32 v[54:55], v[64:65], v[54:55]
	v_ldexp_f32 v67, v66, 1
	v_fma_f32 v65, v64, s13, -v54
	v_fmamk_f32 v66, v64, 0xb102e308, v65
	v_pk_add_f32 v[64:65], v[54:55], v[66:67]
	v_mov_b32_e32 v130, v54
	v_sub_f32_e32 v67, v65, v67
	v_sub_f32_e32 v67, v55, v67
	v_add_f32_e32 v131, v131, v67
	v_pk_add_f32 v[54:55], v[64:65], v[54:55] neg_lo:[0,1] neg_hi:[0,1]
	v_pk_add_f32 v[132:133], v[64:65], v[130:131]
	v_mov_b32_e32 v67, v64
	v_mov_b32_e32 v55, v133
	v_pk_add_f32 v[134:135], v[66:67], v[54:55] neg_lo:[0,1] neg_hi:[0,1]
	v_pk_add_f32 v[54:55], v[66:67], v[54:55]
	v_mov_b32_e32 v130, v131
	v_mov_b32_e32 v66, v55
	v_pk_add_f32 v[144:145], v[66:67], v[64:65] neg_lo:[0,1] neg_hi:[0,1]
	v_mov_b32_e32 v54, v133
	v_mov_b32_e32 v67, v144
	v_pk_add_f32 v[146:147], v[132:133], v[66:67] neg_lo:[0,1] neg_hi:[0,1]
	v_mov_b32_e32 v132, v65
	v_mov_b32_e32 v133, v144
	;; [unrolled: 1-line block ×3, first 2 shown]
	v_pk_add_f32 v[54:55], v[54:55], v[132:133] neg_lo:[0,1] neg_hi:[0,1]
	v_mov_b32_e32 v131, v64
	v_pk_add_f32 v[54:55], v[130:131], v[54:55] neg_lo:[0,1] neg_hi:[0,1]
	v_mov_b32_e32 v146, v134
	v_pk_add_f32 v[64:65], v[146:147], v[54:55]
	s_mov_b32 s13, 0x33800000
	v_mov_b32_e32 v130, v65
	v_pk_add_f32 v[130:131], v[64:65], v[130:131]
	v_cmp_lt_f32_e64 s[66:67], |v129|, s13
	v_pk_add_f32 v[66:67], v[66:67], v[130:131]
	v_mov_b32_e32 v55, v130
	v_mov_b32_e32 v65, v66
	v_pk_add_f32 v[132:133], v[64:65], v[134:135] neg_lo:[0,1] neg_hi:[0,1]
	s_or_b64 s[54:55], s[54:55], s[66:67]
	v_sub_f32_e32 v64, v64, v132
	v_pk_add_f32 v[54:55], v[54:55], v[132:133] neg_lo:[0,1] neg_hi:[0,1]
	v_sub_f32_e32 v64, v134, v64
	v_add_f32_e32 v54, v54, v64
	v_add_f32_e32 v54, v54, v55
	;; [unrolled: 1-line block ×3, first 2 shown]
	v_cndmask_b32_e64 v54, v54, v129, s[54:55]
	v_add_f32_e32 v54, v53, v54
.LBB93_113:
	s_or_b64 exec, exec, s[56:57]
	v_mov_b32_e32 v53, v54
.LBB93_114:
	s_or_b64 exec, exec, s[64:65]
	s_nop 0
	v_mov_b32_dpp v54, v53 row_shr:4 row_mask:0xf bank_mask:0xf
	v_cmp_lt_u32_e64 s[54:55], 3, v52
	s_and_saveexec_b64 s[64:65], s[54:55]
	s_cbranch_execz .LBB93_118
; %bb.115:
	v_max_f32_e32 v64, v53, v53
	v_max_f32_e32 v65, v54, v54
	v_min_f32_e32 v55, v65, v64
	v_cmp_u_f32_e64 s[54:55], v54, v54
	v_max_f32_e32 v64, v65, v64
	v_cmp_u_f32_e64 s[56:57], v53, v53
	v_cndmask_b32_e64 v55, v55, v54, s[54:55]
	v_cndmask_b32_e64 v64, v64, v54, s[54:55]
	;; [unrolled: 1-line block ×4, first 2 shown]
	s_movk_i32 s13, 0x1f8
	v_cmp_neq_f32_e64 s[54:55], v55, v53
	v_cmp_class_f32_e64 s[56:57], v55, s13
	s_or_b64 s[54:55], s[54:55], s[56:57]
	s_and_saveexec_b64 s[56:57], s[54:55]
	s_cbranch_execz .LBB93_117
; %bb.116:
	v_sub_f32_e32 v54, v55, v53
	s_mov_b32 s13, 0x3fb8aa3b
	v_mul_f32_e32 v55, 0x3fb8aa3b, v54
	v_fma_f32 v64, v54, s13, -v55
	v_rndne_f32_e32 v65, v55
	v_fmamk_f32 v64, v54, 0x32a5705f, v64
	v_sub_f32_e32 v55, v55, v65
	v_add_f32_e32 v55, v55, v64
	v_exp_f32_e32 v55, v55
	v_cvt_i32_f32_e32 v64, v65
	s_mov_b32 s13, 0xc2ce8ed0
	v_cmp_ngt_f32_e64 s[54:55], s13, v54
	s_mov_b32 s13, 0x42b17218
	v_ldexp_f32 v55, v55, v64
	v_cndmask_b32_e64 v55, 0, v55, s[54:55]
	v_mov_b32_e32 v64, 0x7f800000
	v_cmp_nlt_f32_e64 s[54:55], s13, v54
	s_mov_b32 s13, 0x3f2aaaab
	s_mov_b32 s66, 0x7f800000
	v_cndmask_b32_e64 v129, v64, v55, s[54:55]
	v_add_f32_e32 v64, 1.0, v129
	v_add_f32_e32 v54, -1.0, v64
	v_sub_f32_e32 v55, v54, v64
	v_add_f32_e32 v55, 1.0, v55
	v_sub_f32_e32 v54, v129, v54
	v_add_f32_e32 v65, v54, v55
	v_frexp_mant_f32_e32 v66, v64
	v_cvt_f64_f32_e32 v[54:55], v64
	v_frexp_exp_i32_f64_e32 v54, v[54:55]
	v_cmp_gt_f32_e64 s[54:55], s13, v66
	s_mov_b32 s13, 0x3f317218
	s_nop 0
	v_subbrev_co_u32_e64 v132, s[54:55], 0, v54, s[54:55]
	v_sub_u32_e32 v54, 0, v132
	v_ldexp_f32 v55, v64, v54
	v_add_f32_e32 v64, -1.0, v55
	v_add_f32_e32 v66, 1.0, v55
	v_ldexp_f32 v54, v65, v54
	v_add_f32_e32 v65, 1.0, v64
	v_add_f32_e32 v67, -1.0, v66
	v_sub_f32_e32 v65, v55, v65
	v_sub_f32_e32 v55, v55, v67
	v_add_f32_e32 v65, v54, v65
	v_add_f32_e32 v54, v54, v55
	;; [unrolled: 1-line block ×3, first 2 shown]
	v_rcp_f32_e32 v135, v133
	v_sub_f32_e32 v55, v66, v133
	v_add_f32_e32 v134, v54, v55
	v_add_f32_e32 v55, v64, v65
	v_mul_f32_e32 v145, v55, v135
	v_sub_f32_e32 v54, v64, v55
	v_mul_f32_e32 v64, v133, v145
	v_fma_f32 v66, v145, v133, -v64
	v_fmac_f32_e32 v66, v145, v134
	v_add_f32_e32 v144, v65, v54
	v_add_f32_e32 v54, v64, v66
	v_sub_f32_e32 v65, v55, v54
	v_pk_add_f32 v[130:131], v[54:55], v[64:65] neg_lo:[0,1] neg_hi:[0,1]
	v_mov_b32_e32 v67, v54
	v_pk_add_f32 v[54:55], v[130:131], v[66:67] neg_lo:[0,1] neg_hi:[0,1]
	v_cmp_eq_f32_e64 s[54:55], s66, v129
	v_add_f32_e32 v55, v144, v55
	v_add_f32_e32 v54, v54, v55
	;; [unrolled: 1-line block ×3, first 2 shown]
	v_mul_f32_e32 v144, v135, v55
	v_mul_f32_e32 v64, v133, v144
	v_fma_f32 v66, v144, v133, -v64
	v_fmac_f32_e32 v66, v144, v134
	v_sub_f32_e32 v65, v65, v55
	v_add_f32_e32 v133, v54, v65
	v_add_f32_e32 v54, v64, v66
	v_sub_f32_e32 v65, v55, v54
	v_pk_add_f32 v[130:131], v[54:55], v[64:65] neg_lo:[0,1] neg_hi:[0,1]
	v_mov_b32_e32 v67, v54
	v_pk_add_f32 v[54:55], v[130:131], v[66:67] neg_lo:[0,1] neg_hi:[0,1]
	v_cvt_f32_i32_e32 v64, v132
	v_add_f32_e32 v55, v133, v55
	v_add_f32_e32 v54, v54, v55
	;; [unrolled: 1-line block ×4, first 2 shown]
	v_sub_f32_e32 v55, v65, v145
	v_mul_f32_e32 v54, v135, v54
	v_sub_f32_e32 v55, v144, v55
	v_add_f32_e32 v54, v55, v54
	v_add_f32_e32 v66, v65, v54
	v_mul_f32_e32 v130, v66, v66
	v_mov_b32_e32 v55, 0x3ecc95a3
	v_sub_f32_e32 v65, v66, v65
	v_fmac_f32_e32 v55, 0x3e9b6dac, v130
	v_sub_f32_e32 v54, v54, v65
	v_fmaak_f32 v55, v130, v55, 0x3f2aaada
	v_ldexp_f32 v131, v54, 1
	v_mul_f32_e32 v65, v66, v130
	v_mov_b32_e32 v54, 0x3f317218
	v_pk_mul_f32 v[54:55], v[64:65], v[54:55]
	v_ldexp_f32 v67, v66, 1
	v_fma_f32 v65, v64, s13, -v54
	v_fmamk_f32 v66, v64, 0xb102e308, v65
	v_pk_add_f32 v[64:65], v[54:55], v[66:67]
	v_mov_b32_e32 v130, v54
	v_sub_f32_e32 v67, v65, v67
	v_sub_f32_e32 v67, v55, v67
	v_add_f32_e32 v131, v131, v67
	v_pk_add_f32 v[54:55], v[64:65], v[54:55] neg_lo:[0,1] neg_hi:[0,1]
	v_pk_add_f32 v[132:133], v[64:65], v[130:131]
	v_mov_b32_e32 v67, v64
	v_mov_b32_e32 v55, v133
	v_pk_add_f32 v[134:135], v[66:67], v[54:55] neg_lo:[0,1] neg_hi:[0,1]
	v_pk_add_f32 v[54:55], v[66:67], v[54:55]
	v_mov_b32_e32 v130, v131
	v_mov_b32_e32 v66, v55
	v_pk_add_f32 v[144:145], v[66:67], v[64:65] neg_lo:[0,1] neg_hi:[0,1]
	v_mov_b32_e32 v54, v133
	v_mov_b32_e32 v67, v144
	v_pk_add_f32 v[146:147], v[132:133], v[66:67] neg_lo:[0,1] neg_hi:[0,1]
	v_mov_b32_e32 v132, v65
	v_mov_b32_e32 v133, v144
	;; [unrolled: 1-line block ×3, first 2 shown]
	v_pk_add_f32 v[54:55], v[54:55], v[132:133] neg_lo:[0,1] neg_hi:[0,1]
	v_mov_b32_e32 v131, v64
	v_pk_add_f32 v[54:55], v[130:131], v[54:55] neg_lo:[0,1] neg_hi:[0,1]
	v_mov_b32_e32 v146, v134
	v_pk_add_f32 v[64:65], v[146:147], v[54:55]
	s_mov_b32 s13, 0x33800000
	v_mov_b32_e32 v130, v65
	v_pk_add_f32 v[130:131], v[64:65], v[130:131]
	v_cmp_lt_f32_e64 s[66:67], |v129|, s13
	v_pk_add_f32 v[66:67], v[66:67], v[130:131]
	v_mov_b32_e32 v55, v130
	v_mov_b32_e32 v65, v66
	v_pk_add_f32 v[132:133], v[64:65], v[134:135] neg_lo:[0,1] neg_hi:[0,1]
	s_or_b64 s[54:55], s[54:55], s[66:67]
	v_sub_f32_e32 v64, v64, v132
	v_pk_add_f32 v[54:55], v[54:55], v[132:133] neg_lo:[0,1] neg_hi:[0,1]
	v_sub_f32_e32 v64, v134, v64
	v_add_f32_e32 v54, v54, v64
	v_add_f32_e32 v54, v54, v55
	v_add_f32_e32 v54, v66, v54
	v_cndmask_b32_e64 v54, v54, v129, s[54:55]
	v_add_f32_e32 v54, v53, v54
.LBB93_117:
	s_or_b64 exec, exec, s[56:57]
	v_mov_b32_e32 v53, v54
.LBB93_118:
	s_or_b64 exec, exec, s[64:65]
	s_nop 0
	v_mov_b32_dpp v54, v53 row_shr:8 row_mask:0xf bank_mask:0xf
	v_cmp_lt_u32_e64 s[54:55], 7, v52
	s_and_saveexec_b64 s[64:65], s[54:55]
	s_cbranch_execz .LBB93_122
; %bb.119:
	v_max_f32_e32 v52, v53, v53
	v_max_f32_e32 v64, v54, v54
	v_min_f32_e32 v55, v64, v52
	v_cmp_u_f32_e64 s[54:55], v54, v54
	v_max_f32_e32 v52, v64, v52
	v_cmp_u_f32_e64 s[56:57], v53, v53
	v_cndmask_b32_e64 v55, v55, v54, s[54:55]
	v_cndmask_b32_e64 v52, v52, v54, s[54:55]
	v_cndmask_b32_e64 v55, v55, v53, s[56:57]
	v_cndmask_b32_e64 v52, v52, v53, s[56:57]
	s_movk_i32 s13, 0x1f8
	v_cmp_neq_f32_e64 s[54:55], v55, v52
	v_cmp_class_f32_e64 s[56:57], v55, s13
	s_or_b64 s[54:55], s[54:55], s[56:57]
	s_and_saveexec_b64 s[56:57], s[54:55]
	s_cbranch_execz .LBB93_121
; %bb.120:
	v_sub_f32_e32 v53, v55, v52
	s_mov_b32 s13, 0x3fb8aa3b
	v_mul_f32_e32 v54, 0x3fb8aa3b, v53
	v_fma_f32 v55, v53, s13, -v54
	v_rndne_f32_e32 v64, v54
	v_fmamk_f32 v55, v53, 0x32a5705f, v55
	v_sub_f32_e32 v54, v54, v64
	v_add_f32_e32 v54, v54, v55
	v_exp_f32_e32 v54, v54
	v_cvt_i32_f32_e32 v55, v64
	s_mov_b32 s13, 0xc2ce8ed0
	v_cmp_ngt_f32_e64 s[54:55], s13, v53
	s_mov_b32 s13, 0x42b17218
	v_ldexp_f32 v54, v54, v55
	v_cndmask_b32_e64 v54, 0, v54, s[54:55]
	v_mov_b32_e32 v55, 0x7f800000
	v_cmp_nlt_f32_e64 s[54:55], s13, v53
	s_mov_b32 s13, 0x3f2aaaab
	s_mov_b32 s66, 0x7f800000
	v_cndmask_b32_e64 v129, v55, v54, s[54:55]
	v_add_f32_e32 v53, 1.0, v129
	v_add_f32_e32 v54, -1.0, v53
	v_sub_f32_e32 v55, v54, v53
	v_add_f32_e32 v55, 1.0, v55
	v_sub_f32_e32 v54, v129, v54
	v_add_f32_e32 v64, v54, v55
	v_frexp_mant_f32_e32 v65, v53
	v_cvt_f64_f32_e32 v[54:55], v53
	v_frexp_exp_i32_f64_e32 v54, v[54:55]
	v_cmp_gt_f32_e64 s[54:55], s13, v65
	s_mov_b32 s13, 0x3f317218
	s_nop 0
	v_subbrev_co_u32_e64 v132, s[54:55], 0, v54, s[54:55]
	v_sub_u32_e32 v54, 0, v132
	v_ldexp_f32 v53, v53, v54
	v_ldexp_f32 v54, v64, v54
	v_add_f32_e32 v64, -1.0, v53
	v_add_f32_e32 v55, 1.0, v64
	v_sub_f32_e32 v55, v53, v55
	v_add_f32_e32 v65, v54, v55
	v_add_f32_e32 v55, 1.0, v53
	v_add_f32_e32 v66, -1.0, v55
	v_sub_f32_e32 v53, v53, v66
	v_add_f32_e32 v53, v54, v53
	v_add_f32_e32 v133, v55, v53
	v_rcp_f32_e32 v134, v133
	v_sub_f32_e32 v54, v55, v133
	v_add_f32_e32 v55, v64, v65
	v_add_f32_e32 v53, v53, v54
	v_mul_f32_e32 v144, v55, v134
	v_sub_f32_e32 v54, v64, v55
	v_mul_f32_e32 v64, v133, v144
	v_fma_f32 v66, v144, v133, -v64
	v_fmac_f32_e32 v66, v144, v53
	v_add_f32_e32 v135, v65, v54
	v_add_f32_e32 v54, v64, v66
	v_sub_f32_e32 v65, v55, v54
	v_pk_add_f32 v[130:131], v[54:55], v[64:65] neg_lo:[0,1] neg_hi:[0,1]
	v_mov_b32_e32 v67, v54
	v_pk_add_f32 v[54:55], v[130:131], v[66:67] neg_lo:[0,1] neg_hi:[0,1]
	v_cmp_eq_f32_e64 s[54:55], s66, v129
	v_add_f32_e32 v55, v135, v55
	v_add_f32_e32 v54, v54, v55
	;; [unrolled: 1-line block ×3, first 2 shown]
	v_mul_f32_e32 v135, v134, v55
	v_mul_f32_e32 v64, v133, v135
	v_fma_f32 v66, v135, v133, -v64
	v_fmac_f32_e32 v66, v135, v53
	v_sub_f32_e32 v53, v65, v55
	v_add_f32_e32 v53, v54, v53
	v_add_f32_e32 v54, v64, v66
	v_sub_f32_e32 v65, v55, v54
	v_pk_add_f32 v[130:131], v[54:55], v[64:65] neg_lo:[0,1] neg_hi:[0,1]
	v_mov_b32_e32 v67, v54
	v_pk_add_f32 v[54:55], v[130:131], v[66:67] neg_lo:[0,1] neg_hi:[0,1]
	v_cvt_f32_i32_e32 v64, v132
	v_add_f32_e32 v53, v53, v55
	v_add_f32_e32 v53, v54, v53
	;; [unrolled: 1-line block ×4, first 2 shown]
	v_sub_f32_e32 v55, v54, v144
	v_mul_f32_e32 v53, v134, v53
	v_sub_f32_e32 v55, v135, v55
	v_add_f32_e32 v53, v55, v53
	v_add_f32_e32 v65, v54, v53
	v_mul_f32_e32 v66, v65, v65
	v_mov_b32_e32 v55, 0x3ecc95a3
	v_fmac_f32_e32 v55, 0x3e9b6dac, v66
	v_sub_f32_e32 v54, v65, v54
	v_fmaak_f32 v55, v66, v55, 0x3f2aaada
	v_sub_f32_e32 v53, v53, v54
	v_ldexp_f32 v67, v65, 1
	v_mul_f32_e32 v65, v65, v66
	v_mov_b32_e32 v54, 0x3f317218
	v_pk_mul_f32 v[54:55], v[64:65], v[54:55]
	v_ldexp_f32 v53, v53, 1
	v_fma_f32 v65, v64, s13, -v54
	v_fmamk_f32 v66, v64, 0xb102e308, v65
	v_pk_add_f32 v[64:65], v[54:55], v[66:67]
	v_mov_b32_e32 v130, v54
	v_sub_f32_e32 v67, v65, v67
	v_sub_f32_e32 v67, v55, v67
	v_add_f32_e32 v131, v53, v67
	v_pk_add_f32 v[54:55], v[64:65], v[54:55] neg_lo:[0,1] neg_hi:[0,1]
	v_pk_add_f32 v[132:133], v[64:65], v[130:131]
	v_mov_b32_e32 v67, v64
	v_mov_b32_e32 v55, v133
	v_pk_add_f32 v[134:135], v[66:67], v[54:55] neg_lo:[0,1] neg_hi:[0,1]
	v_pk_add_f32 v[54:55], v[66:67], v[54:55]
	v_mov_b32_e32 v130, v131
	v_mov_b32_e32 v66, v55
	v_pk_add_f32 v[144:145], v[66:67], v[64:65] neg_lo:[0,1] neg_hi:[0,1]
	v_mov_b32_e32 v54, v133
	v_mov_b32_e32 v53, v144
	v_pk_add_f32 v[146:147], v[132:133], v[52:53] neg_lo:[0,1] neg_hi:[0,1]
	v_mov_b32_e32 v132, v65
	v_mov_b32_e32 v133, v144
	;; [unrolled: 1-line block ×3, first 2 shown]
	v_pk_add_f32 v[54:55], v[54:55], v[132:133] neg_lo:[0,1] neg_hi:[0,1]
	v_mov_b32_e32 v131, v64
	v_pk_add_f32 v[54:55], v[130:131], v[54:55] neg_lo:[0,1] neg_hi:[0,1]
	v_mov_b32_e32 v146, v134
	v_pk_add_f32 v[64:65], v[146:147], v[54:55]
	s_mov_b32 s13, 0x33800000
	v_mov_b32_e32 v130, v65
	v_pk_add_f32 v[130:131], v[64:65], v[130:131]
	v_cmp_lt_f32_e64 s[66:67], |v129|, s13
	v_pk_add_f32 v[66:67], v[66:67], v[130:131]
	v_mov_b32_e32 v55, v130
	v_mov_b32_e32 v65, v66
	v_pk_add_f32 v[132:133], v[64:65], v[134:135] neg_lo:[0,1] neg_hi:[0,1]
	s_or_b64 s[54:55], s[54:55], s[66:67]
	v_sub_f32_e32 v53, v64, v132
	v_pk_add_f32 v[54:55], v[54:55], v[132:133] neg_lo:[0,1] neg_hi:[0,1]
	v_sub_f32_e32 v53, v134, v53
	v_add_f32_e32 v53, v54, v53
	v_add_f32_e32 v53, v53, v55
	;; [unrolled: 1-line block ×3, first 2 shown]
	v_cndmask_b32_e64 v53, v53, v129, s[54:55]
	v_add_f32_e32 v54, v52, v53
.LBB93_121:
	s_or_b64 exec, exec, s[56:57]
	v_mov_b32_e32 v53, v54
.LBB93_122:
	s_or_b64 exec, exec, s[64:65]
	v_and_b32_e32 v52, 16, v49
	v_mov_b32_dpp v54, v53 row_bcast:15 row_mask:0xf bank_mask:0xf
	v_cmp_ne_u32_e64 s[54:55], 0, v52
	s_and_saveexec_b64 s[64:65], s[54:55]
	s_cbranch_execz .LBB93_126
; %bb.123:
	v_max_f32_e32 v52, v53, v53
	v_max_f32_e32 v64, v54, v54
	v_min_f32_e32 v55, v64, v52
	v_cmp_u_f32_e64 s[54:55], v54, v54
	v_max_f32_e32 v52, v64, v52
	v_cmp_u_f32_e64 s[56:57], v53, v53
	v_cndmask_b32_e64 v55, v55, v54, s[54:55]
	v_cndmask_b32_e64 v52, v52, v54, s[54:55]
	;; [unrolled: 1-line block ×4, first 2 shown]
	s_movk_i32 s13, 0x1f8
	v_cmp_neq_f32_e64 s[54:55], v55, v52
	v_cmp_class_f32_e64 s[56:57], v55, s13
	s_or_b64 s[54:55], s[54:55], s[56:57]
	s_and_saveexec_b64 s[56:57], s[54:55]
	s_cbranch_execz .LBB93_125
; %bb.124:
	v_sub_f32_e32 v53, v55, v52
	s_mov_b32 s13, 0x3fb8aa3b
	v_mul_f32_e32 v54, 0x3fb8aa3b, v53
	v_fma_f32 v55, v53, s13, -v54
	v_rndne_f32_e32 v64, v54
	v_fmamk_f32 v55, v53, 0x32a5705f, v55
	v_sub_f32_e32 v54, v54, v64
	v_add_f32_e32 v54, v54, v55
	v_exp_f32_e32 v54, v54
	v_cvt_i32_f32_e32 v55, v64
	s_mov_b32 s13, 0xc2ce8ed0
	v_cmp_ngt_f32_e64 s[54:55], s13, v53
	s_mov_b32 s13, 0x42b17218
	v_ldexp_f32 v54, v54, v55
	v_cndmask_b32_e64 v54, 0, v54, s[54:55]
	v_mov_b32_e32 v55, 0x7f800000
	v_cmp_nlt_f32_e64 s[54:55], s13, v53
	s_mov_b32 s13, 0x3f2aaaab
	s_mov_b32 s66, 0x7f800000
	v_cndmask_b32_e64 v129, v55, v54, s[54:55]
	v_add_f32_e32 v53, 1.0, v129
	v_add_f32_e32 v54, -1.0, v53
	v_sub_f32_e32 v55, v54, v53
	v_add_f32_e32 v55, 1.0, v55
	v_sub_f32_e32 v54, v129, v54
	v_add_f32_e32 v64, v54, v55
	v_frexp_mant_f32_e32 v65, v53
	v_cvt_f64_f32_e32 v[54:55], v53
	v_frexp_exp_i32_f64_e32 v54, v[54:55]
	v_cmp_gt_f32_e64 s[54:55], s13, v65
	s_mov_b32 s13, 0x3f317218
	s_nop 0
	v_subbrev_co_u32_e64 v132, s[54:55], 0, v54, s[54:55]
	v_sub_u32_e32 v54, 0, v132
	v_ldexp_f32 v53, v53, v54
	v_ldexp_f32 v54, v64, v54
	v_add_f32_e32 v64, -1.0, v53
	v_add_f32_e32 v55, 1.0, v64
	v_sub_f32_e32 v55, v53, v55
	v_add_f32_e32 v65, v54, v55
	v_add_f32_e32 v55, 1.0, v53
	v_add_f32_e32 v66, -1.0, v55
	v_sub_f32_e32 v53, v53, v66
	v_add_f32_e32 v53, v54, v53
	v_add_f32_e32 v133, v55, v53
	v_rcp_f32_e32 v134, v133
	v_sub_f32_e32 v54, v55, v133
	v_add_f32_e32 v55, v64, v65
	v_add_f32_e32 v53, v53, v54
	v_mul_f32_e32 v144, v55, v134
	v_sub_f32_e32 v54, v64, v55
	v_mul_f32_e32 v64, v133, v144
	v_fma_f32 v66, v144, v133, -v64
	v_fmac_f32_e32 v66, v144, v53
	v_add_f32_e32 v135, v65, v54
	v_add_f32_e32 v54, v64, v66
	v_sub_f32_e32 v65, v55, v54
	v_pk_add_f32 v[130:131], v[54:55], v[64:65] neg_lo:[0,1] neg_hi:[0,1]
	v_mov_b32_e32 v67, v54
	v_pk_add_f32 v[54:55], v[130:131], v[66:67] neg_lo:[0,1] neg_hi:[0,1]
	v_cmp_eq_f32_e64 s[54:55], s66, v129
	v_add_f32_e32 v55, v135, v55
	v_add_f32_e32 v54, v54, v55
	;; [unrolled: 1-line block ×3, first 2 shown]
	v_mul_f32_e32 v135, v134, v55
	v_mul_f32_e32 v64, v133, v135
	v_fma_f32 v66, v135, v133, -v64
	v_fmac_f32_e32 v66, v135, v53
	v_sub_f32_e32 v53, v65, v55
	v_add_f32_e32 v53, v54, v53
	v_add_f32_e32 v54, v64, v66
	v_sub_f32_e32 v65, v55, v54
	v_pk_add_f32 v[130:131], v[54:55], v[64:65] neg_lo:[0,1] neg_hi:[0,1]
	v_mov_b32_e32 v67, v54
	v_pk_add_f32 v[54:55], v[130:131], v[66:67] neg_lo:[0,1] neg_hi:[0,1]
	v_cvt_f32_i32_e32 v64, v132
	v_add_f32_e32 v53, v53, v55
	v_add_f32_e32 v53, v54, v53
	;; [unrolled: 1-line block ×4, first 2 shown]
	v_sub_f32_e32 v55, v54, v144
	v_mul_f32_e32 v53, v134, v53
	v_sub_f32_e32 v55, v135, v55
	v_add_f32_e32 v53, v55, v53
	v_add_f32_e32 v65, v54, v53
	v_mul_f32_e32 v66, v65, v65
	v_mov_b32_e32 v55, 0x3ecc95a3
	v_fmac_f32_e32 v55, 0x3e9b6dac, v66
	v_sub_f32_e32 v54, v65, v54
	v_fmaak_f32 v55, v66, v55, 0x3f2aaada
	v_sub_f32_e32 v53, v53, v54
	v_ldexp_f32 v67, v65, 1
	v_mul_f32_e32 v65, v65, v66
	v_mov_b32_e32 v54, 0x3f317218
	v_pk_mul_f32 v[54:55], v[64:65], v[54:55]
	v_ldexp_f32 v53, v53, 1
	v_fma_f32 v65, v64, s13, -v54
	v_fmamk_f32 v66, v64, 0xb102e308, v65
	v_pk_add_f32 v[64:65], v[54:55], v[66:67]
	v_mov_b32_e32 v130, v54
	v_sub_f32_e32 v67, v65, v67
	v_sub_f32_e32 v67, v55, v67
	v_add_f32_e32 v131, v53, v67
	v_pk_add_f32 v[54:55], v[64:65], v[54:55] neg_lo:[0,1] neg_hi:[0,1]
	v_pk_add_f32 v[132:133], v[64:65], v[130:131]
	v_mov_b32_e32 v67, v64
	v_mov_b32_e32 v55, v133
	v_pk_add_f32 v[134:135], v[66:67], v[54:55] neg_lo:[0,1] neg_hi:[0,1]
	v_pk_add_f32 v[54:55], v[66:67], v[54:55]
	v_mov_b32_e32 v130, v131
	v_mov_b32_e32 v66, v55
	v_pk_add_f32 v[144:145], v[66:67], v[64:65] neg_lo:[0,1] neg_hi:[0,1]
	v_mov_b32_e32 v54, v133
	v_mov_b32_e32 v53, v144
	v_pk_add_f32 v[146:147], v[132:133], v[52:53] neg_lo:[0,1] neg_hi:[0,1]
	v_mov_b32_e32 v132, v65
	v_mov_b32_e32 v133, v144
	;; [unrolled: 1-line block ×3, first 2 shown]
	v_pk_add_f32 v[54:55], v[54:55], v[132:133] neg_lo:[0,1] neg_hi:[0,1]
	v_mov_b32_e32 v131, v64
	v_pk_add_f32 v[54:55], v[130:131], v[54:55] neg_lo:[0,1] neg_hi:[0,1]
	v_mov_b32_e32 v146, v134
	v_pk_add_f32 v[64:65], v[146:147], v[54:55]
	s_mov_b32 s13, 0x33800000
	v_mov_b32_e32 v130, v65
	v_pk_add_f32 v[130:131], v[64:65], v[130:131]
	v_cmp_lt_f32_e64 s[66:67], |v129|, s13
	v_pk_add_f32 v[66:67], v[66:67], v[130:131]
	v_mov_b32_e32 v55, v130
	v_mov_b32_e32 v65, v66
	v_pk_add_f32 v[132:133], v[64:65], v[134:135] neg_lo:[0,1] neg_hi:[0,1]
	s_or_b64 s[54:55], s[54:55], s[66:67]
	v_sub_f32_e32 v53, v64, v132
	v_pk_add_f32 v[54:55], v[54:55], v[132:133] neg_lo:[0,1] neg_hi:[0,1]
	v_sub_f32_e32 v53, v134, v53
	v_add_f32_e32 v53, v54, v53
	v_add_f32_e32 v53, v53, v55
	;; [unrolled: 1-line block ×3, first 2 shown]
	v_cndmask_b32_e64 v53, v53, v129, s[54:55]
	v_add_f32_e32 v54, v52, v53
.LBB93_125:
	s_or_b64 exec, exec, s[56:57]
	v_mov_b32_e32 v53, v54
.LBB93_126:
	s_or_b64 exec, exec, s[64:65]
	s_nop 0
	v_mov_b32_dpp v54, v53 row_bcast:31 row_mask:0xf bank_mask:0xf
	v_cmp_lt_u32_e64 s[54:55], 31, v49
	s_and_saveexec_b64 s[64:65], s[54:55]
	s_cbranch_execz .LBB93_130
; %bb.127:
	v_max_f32_e32 v52, v53, v53
	v_max_f32_e32 v64, v54, v54
	v_min_f32_e32 v55, v64, v52
	v_cmp_u_f32_e64 s[54:55], v54, v54
	v_max_f32_e32 v52, v64, v52
	v_cmp_u_f32_e64 s[56:57], v53, v53
	v_cndmask_b32_e64 v55, v55, v54, s[54:55]
	v_cndmask_b32_e64 v52, v52, v54, s[54:55]
	;; [unrolled: 1-line block ×4, first 2 shown]
	s_movk_i32 s13, 0x1f8
	v_cmp_neq_f32_e64 s[54:55], v55, v52
	v_cmp_class_f32_e64 s[56:57], v55, s13
	s_or_b64 s[54:55], s[54:55], s[56:57]
	s_and_saveexec_b64 s[56:57], s[54:55]
	s_cbranch_execz .LBB93_129
; %bb.128:
	v_sub_f32_e32 v53, v55, v52
	s_mov_b32 s13, 0x3fb8aa3b
	v_mul_f32_e32 v54, 0x3fb8aa3b, v53
	v_fma_f32 v55, v53, s13, -v54
	v_rndne_f32_e32 v64, v54
	v_fmamk_f32 v55, v53, 0x32a5705f, v55
	v_sub_f32_e32 v54, v54, v64
	v_add_f32_e32 v54, v54, v55
	v_exp_f32_e32 v54, v54
	v_cvt_i32_f32_e32 v55, v64
	s_mov_b32 s13, 0xc2ce8ed0
	v_cmp_ngt_f32_e64 s[54:55], s13, v53
	s_mov_b32 s13, 0x42b17218
	v_ldexp_f32 v54, v54, v55
	v_cndmask_b32_e64 v54, 0, v54, s[54:55]
	v_mov_b32_e32 v55, 0x7f800000
	v_cmp_nlt_f32_e64 s[54:55], s13, v53
	s_mov_b32 s13, 0x3f2aaaab
	s_mov_b32 s66, 0x7f800000
	v_cndmask_b32_e64 v129, v55, v54, s[54:55]
	v_add_f32_e32 v53, 1.0, v129
	v_add_f32_e32 v54, -1.0, v53
	v_sub_f32_e32 v55, v54, v53
	v_add_f32_e32 v55, 1.0, v55
	v_sub_f32_e32 v54, v129, v54
	v_add_f32_e32 v64, v54, v55
	v_frexp_mant_f32_e32 v65, v53
	v_cvt_f64_f32_e32 v[54:55], v53
	v_frexp_exp_i32_f64_e32 v54, v[54:55]
	v_cmp_gt_f32_e64 s[54:55], s13, v65
	s_mov_b32 s13, 0x3f317218
	s_nop 0
	v_subbrev_co_u32_e64 v132, s[54:55], 0, v54, s[54:55]
	v_sub_u32_e32 v54, 0, v132
	v_ldexp_f32 v53, v53, v54
	v_ldexp_f32 v54, v64, v54
	v_add_f32_e32 v64, -1.0, v53
	v_add_f32_e32 v55, 1.0, v64
	v_sub_f32_e32 v55, v53, v55
	v_add_f32_e32 v65, v54, v55
	v_add_f32_e32 v55, 1.0, v53
	v_add_f32_e32 v66, -1.0, v55
	v_sub_f32_e32 v53, v53, v66
	v_add_f32_e32 v53, v54, v53
	v_add_f32_e32 v133, v55, v53
	v_rcp_f32_e32 v134, v133
	v_sub_f32_e32 v54, v55, v133
	v_add_f32_e32 v55, v64, v65
	v_add_f32_e32 v53, v53, v54
	v_mul_f32_e32 v144, v55, v134
	v_sub_f32_e32 v54, v64, v55
	v_mul_f32_e32 v64, v133, v144
	v_fma_f32 v66, v144, v133, -v64
	v_fmac_f32_e32 v66, v144, v53
	v_add_f32_e32 v135, v65, v54
	v_add_f32_e32 v54, v64, v66
	v_sub_f32_e32 v65, v55, v54
	v_pk_add_f32 v[130:131], v[54:55], v[64:65] neg_lo:[0,1] neg_hi:[0,1]
	v_mov_b32_e32 v67, v54
	v_pk_add_f32 v[54:55], v[130:131], v[66:67] neg_lo:[0,1] neg_hi:[0,1]
	v_cmp_eq_f32_e64 s[54:55], s66, v129
	v_add_f32_e32 v55, v135, v55
	v_add_f32_e32 v54, v54, v55
	;; [unrolled: 1-line block ×3, first 2 shown]
	v_mul_f32_e32 v135, v134, v55
	v_mul_f32_e32 v64, v133, v135
	v_fma_f32 v66, v135, v133, -v64
	v_fmac_f32_e32 v66, v135, v53
	v_sub_f32_e32 v53, v65, v55
	v_add_f32_e32 v53, v54, v53
	v_add_f32_e32 v54, v64, v66
	v_sub_f32_e32 v65, v55, v54
	v_pk_add_f32 v[130:131], v[54:55], v[64:65] neg_lo:[0,1] neg_hi:[0,1]
	v_mov_b32_e32 v67, v54
	v_pk_add_f32 v[54:55], v[130:131], v[66:67] neg_lo:[0,1] neg_hi:[0,1]
	v_cvt_f32_i32_e32 v64, v132
	v_add_f32_e32 v53, v53, v55
	v_add_f32_e32 v53, v54, v53
	;; [unrolled: 1-line block ×4, first 2 shown]
	v_sub_f32_e32 v55, v54, v144
	v_mul_f32_e32 v53, v134, v53
	v_sub_f32_e32 v55, v135, v55
	v_add_f32_e32 v53, v55, v53
	v_add_f32_e32 v65, v54, v53
	v_mul_f32_e32 v66, v65, v65
	v_mov_b32_e32 v55, 0x3ecc95a3
	v_fmac_f32_e32 v55, 0x3e9b6dac, v66
	v_sub_f32_e32 v54, v65, v54
	v_fmaak_f32 v55, v66, v55, 0x3f2aaada
	v_sub_f32_e32 v53, v53, v54
	v_ldexp_f32 v67, v65, 1
	v_mul_f32_e32 v65, v65, v66
	v_mov_b32_e32 v54, 0x3f317218
	v_pk_mul_f32 v[54:55], v[64:65], v[54:55]
	v_ldexp_f32 v53, v53, 1
	v_fma_f32 v65, v64, s13, -v54
	v_fmamk_f32 v66, v64, 0xb102e308, v65
	v_pk_add_f32 v[64:65], v[54:55], v[66:67]
	v_mov_b32_e32 v130, v54
	v_sub_f32_e32 v67, v65, v67
	v_sub_f32_e32 v67, v55, v67
	v_add_f32_e32 v131, v53, v67
	v_pk_add_f32 v[54:55], v[64:65], v[54:55] neg_lo:[0,1] neg_hi:[0,1]
	v_pk_add_f32 v[132:133], v[64:65], v[130:131]
	v_mov_b32_e32 v67, v64
	v_mov_b32_e32 v55, v133
	v_pk_add_f32 v[134:135], v[66:67], v[54:55] neg_lo:[0,1] neg_hi:[0,1]
	v_pk_add_f32 v[54:55], v[66:67], v[54:55]
	v_mov_b32_e32 v130, v131
	v_mov_b32_e32 v66, v55
	v_pk_add_f32 v[144:145], v[66:67], v[64:65] neg_lo:[0,1] neg_hi:[0,1]
	v_mov_b32_e32 v54, v133
	v_mov_b32_e32 v53, v144
	v_pk_add_f32 v[146:147], v[132:133], v[52:53] neg_lo:[0,1] neg_hi:[0,1]
	v_mov_b32_e32 v132, v65
	v_mov_b32_e32 v133, v144
	;; [unrolled: 1-line block ×3, first 2 shown]
	v_pk_add_f32 v[54:55], v[54:55], v[132:133] neg_lo:[0,1] neg_hi:[0,1]
	v_mov_b32_e32 v131, v64
	v_pk_add_f32 v[54:55], v[130:131], v[54:55] neg_lo:[0,1] neg_hi:[0,1]
	v_mov_b32_e32 v146, v134
	v_pk_add_f32 v[64:65], v[146:147], v[54:55]
	s_mov_b32 s13, 0x33800000
	v_mov_b32_e32 v130, v65
	v_pk_add_f32 v[130:131], v[64:65], v[130:131]
	v_cmp_lt_f32_e64 s[66:67], |v129|, s13
	v_pk_add_f32 v[66:67], v[66:67], v[130:131]
	v_mov_b32_e32 v55, v130
	v_mov_b32_e32 v65, v66
	v_pk_add_f32 v[132:133], v[64:65], v[134:135] neg_lo:[0,1] neg_hi:[0,1]
	s_or_b64 s[54:55], s[54:55], s[66:67]
	v_sub_f32_e32 v53, v64, v132
	v_pk_add_f32 v[54:55], v[54:55], v[132:133] neg_lo:[0,1] neg_hi:[0,1]
	v_sub_f32_e32 v53, v134, v53
	v_add_f32_e32 v53, v54, v53
	v_add_f32_e32 v53, v53, v55
	v_add_f32_e32 v53, v66, v53
	v_cndmask_b32_e64 v53, v53, v129, s[54:55]
	v_add_f32_e32 v54, v52, v53
.LBB93_129:
	s_or_b64 exec, exec, s[56:57]
	v_mov_b32_e32 v53, v54
.LBB93_130:
	s_or_b64 exec, exec, s[64:65]
	v_add_u32_e32 v52, -1, v49
	v_and_b32_e32 v54, 64, v49
	v_cmp_lt_i32_e64 s[54:55], v52, v54
	s_movk_i32 s13, 0x1f8
	s_nop 0
	v_cndmask_b32_e64 v49, v52, v49, s[54:55]
	v_lshlrev_b32_e32 v49, 2, v49
	ds_bpermute_b32 v49, v49, v53
	s_waitcnt lgkmcnt(0)
	v_max_f32_e32 v52, v49, v49
	v_min_f32_e32 v53, v52, v51
	v_max_f32_e32 v52, v52, v51
	v_cmp_u_f32_e64 s[54:55], v49, v49
	s_nop 1
	v_cndmask_b32_e64 v51, v53, v49, s[54:55]
	v_cndmask_b32_e64 v52, v52, v49, s[54:55]
	;; [unrolled: 1-line block ×4, first 2 shown]
	v_cmp_neq_f32_e64 s[52:53], v51, v48
	v_cmp_class_f32_e64 s[54:55], v51, s13
	s_or_b64 s[52:53], s[52:53], s[54:55]
	s_and_saveexec_b64 s[54:55], s[52:53]
	s_cbranch_execz .LBB93_132
; %bb.131:
	v_sub_f32_e32 v49, v51, v48
	s_mov_b32 s52, 0x3fb8aa3b
	v_mul_f32_e32 v51, 0x3fb8aa3b, v49
	v_fma_f32 v52, v49, s52, -v51
	v_rndne_f32_e32 v53, v51
	v_fmamk_f32 v52, v49, 0x32a5705f, v52
	v_sub_f32_e32 v51, v51, v53
	v_add_f32_e32 v51, v51, v52
	v_exp_f32_e32 v51, v51
	v_cvt_i32_f32_e32 v52, v53
	s_mov_b32 s52, 0xc2ce8ed0
	v_cmp_ngt_f32_e64 s[52:53], s52, v49
	s_mov_b32 s56, 0x7f800000
	v_ldexp_f32 v51, v51, v52
	v_cndmask_b32_e64 v51, 0, v51, s[52:53]
	s_mov_b32 s52, 0x42b17218
	v_mov_b32_e32 v52, 0x7f800000
	v_cmp_nlt_f32_e64 s[52:53], s52, v49
	s_nop 1
	v_cndmask_b32_e64 v51, v52, v51, s[52:53]
	v_add_f32_e32 v49, 1.0, v51
	v_add_f32_e32 v52, -1.0, v49
	v_sub_f32_e32 v53, v52, v49
	v_add_f32_e32 v53, 1.0, v53
	v_sub_f32_e32 v52, v51, v52
	v_add_f32_e32 v54, v52, v53
	v_frexp_mant_f32_e32 v55, v49
	s_mov_b32 s52, 0x3f2aaaab
	v_cvt_f64_f32_e32 v[52:53], v49
	v_frexp_exp_i32_f64_e32 v52, v[52:53]
	v_cmp_gt_f32_e64 s[52:53], s52, v55
	s_nop 1
	v_subbrev_co_u32_e64 v129, s[52:53], 0, v52, s[52:53]
	v_sub_u32_e32 v52, 0, v129
	v_ldexp_f32 v49, v49, v52
	v_ldexp_f32 v52, v54, v52
	v_add_f32_e32 v54, -1.0, v49
	v_add_f32_e32 v53, 1.0, v54
	v_sub_f32_e32 v53, v49, v53
	v_add_f32_e32 v55, v52, v53
	v_add_f32_e32 v53, 1.0, v49
	v_add_f32_e32 v64, -1.0, v53
	v_sub_f32_e32 v49, v49, v64
	v_add_f32_e32 v49, v52, v49
	v_add_f32_e32 v130, v53, v49
	v_rcp_f32_e32 v131, v130
	v_sub_f32_e32 v52, v53, v130
	v_add_f32_e32 v53, v54, v55
	v_add_f32_e32 v49, v49, v52
	v_mul_f32_e32 v133, v53, v131
	v_sub_f32_e32 v52, v54, v53
	v_mul_f32_e32 v54, v130, v133
	v_fma_f32 v64, v133, v130, -v54
	v_fmac_f32_e32 v64, v133, v49
	v_add_f32_e32 v132, v55, v52
	v_add_f32_e32 v52, v54, v64
	v_sub_f32_e32 v55, v53, v52
	v_pk_add_f32 v[66:67], v[52:53], v[54:55] neg_lo:[0,1] neg_hi:[0,1]
	v_mov_b32_e32 v65, v52
	v_pk_add_f32 v[52:53], v[66:67], v[64:65] neg_lo:[0,1] neg_hi:[0,1]
	s_mov_b32 s52, 0x3f317218
	v_add_f32_e32 v53, v132, v53
	v_add_f32_e32 v52, v52, v53
	;; [unrolled: 1-line block ×3, first 2 shown]
	v_mul_f32_e32 v132, v131, v53
	v_mul_f32_e32 v54, v130, v132
	v_fma_f32 v64, v132, v130, -v54
	v_fmac_f32_e32 v64, v132, v49
	v_sub_f32_e32 v49, v55, v53
	v_add_f32_e32 v49, v52, v49
	v_add_f32_e32 v52, v54, v64
	v_sub_f32_e32 v55, v53, v52
	v_pk_add_f32 v[66:67], v[52:53], v[54:55] neg_lo:[0,1] neg_hi:[0,1]
	v_mov_b32_e32 v65, v52
	v_pk_add_f32 v[52:53], v[66:67], v[64:65] neg_lo:[0,1] neg_hi:[0,1]
	v_cvt_f32_i32_e32 v54, v129
	v_add_f32_e32 v49, v49, v53
	v_add_f32_e32 v49, v52, v49
	;; [unrolled: 1-line block ×4, first 2 shown]
	v_sub_f32_e32 v53, v52, v133
	v_mul_f32_e32 v49, v131, v49
	v_sub_f32_e32 v53, v132, v53
	v_add_f32_e32 v49, v53, v49
	v_add_f32_e32 v55, v52, v49
	v_mul_f32_e32 v64, v55, v55
	v_mov_b32_e32 v53, 0x3ecc95a3
	v_fmac_f32_e32 v53, 0x3e9b6dac, v64
	v_sub_f32_e32 v52, v55, v52
	v_fmaak_f32 v53, v64, v53, 0x3f2aaada
	v_sub_f32_e32 v49, v49, v52
	v_ldexp_f32 v65, v55, 1
	v_mul_f32_e32 v55, v55, v64
	v_mov_b32_e32 v52, 0x3f317218
	v_pk_mul_f32 v[52:53], v[54:55], v[52:53]
	v_ldexp_f32 v49, v49, 1
	v_fma_f32 v55, v54, s52, -v52
	v_fmamk_f32 v64, v54, 0xb102e308, v55
	v_pk_add_f32 v[54:55], v[52:53], v[64:65]
	v_mov_b32_e32 v66, v52
	v_sub_f32_e32 v65, v55, v65
	v_sub_f32_e32 v65, v53, v65
	v_add_f32_e32 v67, v49, v65
	v_pk_add_f32 v[52:53], v[54:55], v[52:53] neg_lo:[0,1] neg_hi:[0,1]
	v_pk_add_f32 v[130:131], v[54:55], v[66:67]
	v_mov_b32_e32 v65, v54
	v_mov_b32_e32 v53, v131
	v_pk_add_f32 v[132:133], v[64:65], v[52:53] neg_lo:[0,1] neg_hi:[0,1]
	v_pk_add_f32 v[52:53], v[64:65], v[52:53]
	v_mov_b32_e32 v66, v67
	v_mov_b32_e32 v64, v53
	v_pk_add_f32 v[134:135], v[64:65], v[54:55] neg_lo:[0,1] neg_hi:[0,1]
	v_mov_b32_e32 v52, v131
	v_mov_b32_e32 v49, v134
	v_pk_add_f32 v[144:145], v[130:131], v[48:49] neg_lo:[0,1] neg_hi:[0,1]
	v_mov_b32_e32 v130, v55
	v_mov_b32_e32 v131, v134
	;; [unrolled: 1-line block ×3, first 2 shown]
	v_pk_add_f32 v[52:53], v[52:53], v[130:131] neg_lo:[0,1] neg_hi:[0,1]
	v_mov_b32_e32 v67, v54
	v_pk_add_f32 v[52:53], v[66:67], v[52:53] neg_lo:[0,1] neg_hi:[0,1]
	v_mov_b32_e32 v144, v132
	v_pk_add_f32 v[54:55], v[144:145], v[52:53]
	v_cmp_eq_f32_e64 s[52:53], s56, v51
	v_mov_b32_e32 v66, v55
	v_pk_add_f32 v[66:67], v[54:55], v[66:67]
	s_mov_b32 s56, 0x33800000
	v_pk_add_f32 v[64:65], v[64:65], v[66:67]
	v_mov_b32_e32 v53, v66
	v_mov_b32_e32 v55, v64
	v_pk_add_f32 v[130:131], v[54:55], v[132:133] neg_lo:[0,1] neg_hi:[0,1]
	v_cmp_lt_f32_e64 s[56:57], |v51|, s56
	v_sub_f32_e32 v49, v54, v130
	v_pk_add_f32 v[52:53], v[52:53], v[130:131] neg_lo:[0,1] neg_hi:[0,1]
	v_sub_f32_e32 v49, v132, v49
	v_add_f32_e32 v49, v52, v49
	v_add_f32_e32 v49, v49, v53
	;; [unrolled: 1-line block ×3, first 2 shown]
	s_or_b64 s[52:53], s[52:53], s[56:57]
	v_cndmask_b32_e64 v49, v49, v51, s[52:53]
	v_add_f32_e32 v49, v48, v49
.LBB93_132:
	s_or_b64 exec, exec, s[54:55]
	v_cmp_eq_u32_e64 s[52:53], 0, v0
	; wave barrier
	s_nop 1
	v_cndmask_b32_e64 v49, v49, v128, s[52:53]
	ds_write_b32 v50, v49
	; wave barrier
	ds_read_b32 v48, v50 offset:4
	v_max_f32_e32 v52, v49, v49
	v_cmp_u_f32_e64 s[52:53], v49, v49
	s_waitcnt lgkmcnt(0)
	v_max_f32_e32 v53, v48, v48
	v_min_f32_e32 v51, v52, v53
	v_max_f32_e32 v52, v52, v53
	v_cndmask_b32_e64 v51, v51, v49, s[52:53]
	v_cmp_u_f32_e64 s[54:55], v48, v48
	v_cndmask_b32_e64 v52, v52, v49, s[52:53]
	s_nop 0
	v_cndmask_b32_e64 v51, v51, v48, s[54:55]
	v_cndmask_b32_e64 v48, v52, v48, s[54:55]
	v_cmp_neq_f32_e64 s[52:53], v51, v48
	v_cmp_class_f32_e64 s[54:55], v51, s13
	s_or_b64 s[52:53], s[52:53], s[54:55]
	s_and_saveexec_b64 s[54:55], s[52:53]
	s_cbranch_execz .LBB93_134
; %bb.133:
	v_sub_f32_e32 v49, v51, v48
	s_mov_b32 s13, 0x3fb8aa3b
	v_mul_f32_e32 v51, 0x3fb8aa3b, v49
	v_fma_f32 v52, v49, s13, -v51
	v_rndne_f32_e32 v53, v51
	v_fmamk_f32 v52, v49, 0x32a5705f, v52
	v_sub_f32_e32 v51, v51, v53
	v_add_f32_e32 v51, v51, v52
	v_exp_f32_e32 v51, v51
	v_cvt_i32_f32_e32 v52, v53
	s_mov_b32 s13, 0xc2ce8ed0
	v_cmp_ngt_f32_e64 s[52:53], s13, v49
	s_mov_b32 s13, 0x42b17218
	v_ldexp_f32 v51, v51, v52
	v_cndmask_b32_e64 v51, 0, v51, s[52:53]
	v_mov_b32_e32 v52, 0x7f800000
	v_cmp_nlt_f32_e64 s[52:53], s13, v49
	s_mov_b32 s13, 0x3f2aaaab
	s_mov_b32 s56, 0x7f800000
	v_cndmask_b32_e64 v51, v52, v51, s[52:53]
	v_add_f32_e32 v49, 1.0, v51
	v_add_f32_e32 v52, -1.0, v49
	v_sub_f32_e32 v53, v52, v49
	v_add_f32_e32 v53, 1.0, v53
	v_sub_f32_e32 v52, v51, v52
	v_add_f32_e32 v54, v52, v53
	v_frexp_mant_f32_e32 v55, v49
	v_cvt_f64_f32_e32 v[52:53], v49
	v_frexp_exp_i32_f64_e32 v52, v[52:53]
	v_cmp_gt_f32_e64 s[52:53], s13, v55
	s_mov_b32 s13, 0x3f317218
	s_nop 0
	v_subbrev_co_u32_e64 v129, s[52:53], 0, v52, s[52:53]
	v_sub_u32_e32 v52, 0, v129
	v_ldexp_f32 v49, v49, v52
	v_ldexp_f32 v52, v54, v52
	v_add_f32_e32 v54, -1.0, v49
	v_add_f32_e32 v53, 1.0, v54
	v_sub_f32_e32 v53, v49, v53
	v_add_f32_e32 v55, v52, v53
	v_add_f32_e32 v53, 1.0, v49
	v_add_f32_e32 v64, -1.0, v53
	v_sub_f32_e32 v49, v49, v64
	v_add_f32_e32 v49, v52, v49
	v_add_f32_e32 v130, v53, v49
	v_rcp_f32_e32 v131, v130
	v_sub_f32_e32 v52, v53, v130
	v_add_f32_e32 v53, v54, v55
	v_add_f32_e32 v49, v49, v52
	v_mul_f32_e32 v133, v53, v131
	v_sub_f32_e32 v52, v54, v53
	v_mul_f32_e32 v54, v130, v133
	v_fma_f32 v64, v133, v130, -v54
	v_fmac_f32_e32 v64, v133, v49
	v_add_f32_e32 v132, v55, v52
	v_add_f32_e32 v52, v54, v64
	v_sub_f32_e32 v55, v53, v52
	v_pk_add_f32 v[66:67], v[52:53], v[54:55] neg_lo:[0,1] neg_hi:[0,1]
	v_mov_b32_e32 v65, v52
	v_pk_add_f32 v[52:53], v[66:67], v[64:65] neg_lo:[0,1] neg_hi:[0,1]
	v_cmp_eq_f32_e64 s[52:53], s56, v51
	v_add_f32_e32 v53, v132, v53
	v_add_f32_e32 v52, v52, v53
	;; [unrolled: 1-line block ×3, first 2 shown]
	v_mul_f32_e32 v132, v131, v53
	v_mul_f32_e32 v54, v130, v132
	v_fma_f32 v64, v132, v130, -v54
	v_fmac_f32_e32 v64, v132, v49
	v_sub_f32_e32 v49, v55, v53
	v_add_f32_e32 v49, v52, v49
	v_add_f32_e32 v52, v54, v64
	v_sub_f32_e32 v55, v53, v52
	v_pk_add_f32 v[66:67], v[52:53], v[54:55] neg_lo:[0,1] neg_hi:[0,1]
	v_mov_b32_e32 v65, v52
	v_pk_add_f32 v[52:53], v[66:67], v[64:65] neg_lo:[0,1] neg_hi:[0,1]
	v_cvt_f32_i32_e32 v54, v129
	v_add_f32_e32 v49, v49, v53
	v_add_f32_e32 v49, v52, v49
	;; [unrolled: 1-line block ×4, first 2 shown]
	v_sub_f32_e32 v53, v52, v133
	v_mul_f32_e32 v49, v131, v49
	v_sub_f32_e32 v53, v132, v53
	v_add_f32_e32 v49, v53, v49
	v_add_f32_e32 v55, v52, v49
	v_mul_f32_e32 v64, v55, v55
	v_mov_b32_e32 v53, 0x3ecc95a3
	v_fmac_f32_e32 v53, 0x3e9b6dac, v64
	v_sub_f32_e32 v52, v55, v52
	v_fmaak_f32 v53, v64, v53, 0x3f2aaada
	v_sub_f32_e32 v49, v49, v52
	v_ldexp_f32 v65, v55, 1
	v_mul_f32_e32 v55, v55, v64
	v_mov_b32_e32 v52, 0x3f317218
	v_pk_mul_f32 v[52:53], v[54:55], v[52:53]
	v_ldexp_f32 v49, v49, 1
	v_fma_f32 v55, v54, s13, -v52
	v_fmamk_f32 v64, v54, 0xb102e308, v55
	v_pk_add_f32 v[54:55], v[52:53], v[64:65]
	v_mov_b32_e32 v66, v52
	v_sub_f32_e32 v65, v55, v65
	v_sub_f32_e32 v65, v53, v65
	v_add_f32_e32 v67, v49, v65
	v_pk_add_f32 v[52:53], v[54:55], v[52:53] neg_lo:[0,1] neg_hi:[0,1]
	v_pk_add_f32 v[130:131], v[54:55], v[66:67]
	v_mov_b32_e32 v65, v54
	v_mov_b32_e32 v53, v131
	v_pk_add_f32 v[132:133], v[64:65], v[52:53] neg_lo:[0,1] neg_hi:[0,1]
	v_pk_add_f32 v[52:53], v[64:65], v[52:53]
	v_mov_b32_e32 v66, v67
	v_mov_b32_e32 v64, v53
	v_pk_add_f32 v[134:135], v[64:65], v[54:55] neg_lo:[0,1] neg_hi:[0,1]
	v_mov_b32_e32 v52, v131
	v_mov_b32_e32 v49, v134
	v_pk_add_f32 v[144:145], v[130:131], v[48:49] neg_lo:[0,1] neg_hi:[0,1]
	v_mov_b32_e32 v130, v55
	v_mov_b32_e32 v131, v134
	;; [unrolled: 1-line block ×3, first 2 shown]
	v_pk_add_f32 v[52:53], v[52:53], v[130:131] neg_lo:[0,1] neg_hi:[0,1]
	v_mov_b32_e32 v67, v54
	v_pk_add_f32 v[52:53], v[66:67], v[52:53] neg_lo:[0,1] neg_hi:[0,1]
	v_mov_b32_e32 v144, v132
	v_pk_add_f32 v[54:55], v[144:145], v[52:53]
	s_mov_b32 s13, 0x33800000
	v_mov_b32_e32 v66, v55
	v_pk_add_f32 v[66:67], v[54:55], v[66:67]
	v_cmp_lt_f32_e64 s[56:57], |v51|, s13
	v_pk_add_f32 v[64:65], v[64:65], v[66:67]
	v_mov_b32_e32 v53, v66
	v_mov_b32_e32 v55, v64
	v_pk_add_f32 v[130:131], v[54:55], v[132:133] neg_lo:[0,1] neg_hi:[0,1]
	s_or_b64 s[52:53], s[52:53], s[56:57]
	v_sub_f32_e32 v49, v54, v130
	v_pk_add_f32 v[52:53], v[52:53], v[130:131] neg_lo:[0,1] neg_hi:[0,1]
	v_sub_f32_e32 v49, v132, v49
	v_add_f32_e32 v49, v52, v49
	v_add_f32_e32 v49, v49, v53
	;; [unrolled: 1-line block ×3, first 2 shown]
	v_cndmask_b32_e64 v49, v49, v51, s[52:53]
	v_add_f32_e32 v49, v48, v49
.LBB93_134:
	s_or_b64 exec, exec, s[54:55]
	ds_read_b32 v48, v50 offset:8
	v_max_f32_e32 v52, v49, v49
	v_cmp_u_f32_e64 s[52:53], v49, v49
	s_movk_i32 s13, 0x1f8
	ds_write_b32 v50, v49 offset:4
	s_waitcnt lgkmcnt(1)
	v_max_f32_e32 v53, v48, v48
	v_min_f32_e32 v51, v52, v53
	v_max_f32_e32 v52, v52, v53
	v_cndmask_b32_e64 v51, v51, v49, s[52:53]
	v_cmp_u_f32_e64 s[54:55], v48, v48
	v_cndmask_b32_e64 v52, v52, v49, s[52:53]
	s_nop 0
	v_cndmask_b32_e64 v51, v51, v48, s[54:55]
	v_cndmask_b32_e64 v48, v52, v48, s[54:55]
	v_cmp_neq_f32_e64 s[52:53], v51, v48
	v_cmp_class_f32_e64 s[54:55], v51, s13
	s_or_b64 s[52:53], s[52:53], s[54:55]
	s_and_saveexec_b64 s[54:55], s[52:53]
	s_cbranch_execz .LBB93_136
; %bb.135:
	v_sub_f32_e32 v49, v51, v48
	s_mov_b32 s52, 0x3fb8aa3b
	v_mul_f32_e32 v51, 0x3fb8aa3b, v49
	v_fma_f32 v52, v49, s52, -v51
	v_rndne_f32_e32 v53, v51
	v_fmamk_f32 v52, v49, 0x32a5705f, v52
	v_sub_f32_e32 v51, v51, v53
	v_add_f32_e32 v51, v51, v52
	v_exp_f32_e32 v51, v51
	v_cvt_i32_f32_e32 v52, v53
	s_mov_b32 s52, 0xc2ce8ed0
	v_cmp_ngt_f32_e64 s[52:53], s52, v49
	s_mov_b32 s56, 0x7f800000
	v_ldexp_f32 v51, v51, v52
	v_cndmask_b32_e64 v51, 0, v51, s[52:53]
	s_mov_b32 s52, 0x42b17218
	v_mov_b32_e32 v52, 0x7f800000
	v_cmp_nlt_f32_e64 s[52:53], s52, v49
	s_nop 1
	v_cndmask_b32_e64 v51, v52, v51, s[52:53]
	v_add_f32_e32 v49, 1.0, v51
	v_add_f32_e32 v52, -1.0, v49
	v_sub_f32_e32 v53, v52, v49
	v_add_f32_e32 v53, 1.0, v53
	v_sub_f32_e32 v52, v51, v52
	v_add_f32_e32 v54, v52, v53
	v_frexp_mant_f32_e32 v55, v49
	s_mov_b32 s52, 0x3f2aaaab
	v_cvt_f64_f32_e32 v[52:53], v49
	v_frexp_exp_i32_f64_e32 v52, v[52:53]
	v_cmp_gt_f32_e64 s[52:53], s52, v55
	s_nop 1
	v_subbrev_co_u32_e64 v129, s[52:53], 0, v52, s[52:53]
	v_sub_u32_e32 v52, 0, v129
	v_ldexp_f32 v49, v49, v52
	v_ldexp_f32 v52, v54, v52
	v_add_f32_e32 v54, -1.0, v49
	v_add_f32_e32 v53, 1.0, v54
	v_sub_f32_e32 v53, v49, v53
	v_add_f32_e32 v55, v52, v53
	v_add_f32_e32 v53, 1.0, v49
	v_add_f32_e32 v64, -1.0, v53
	v_sub_f32_e32 v49, v49, v64
	v_add_f32_e32 v49, v52, v49
	v_add_f32_e32 v130, v53, v49
	v_rcp_f32_e32 v131, v130
	v_sub_f32_e32 v52, v53, v130
	v_add_f32_e32 v53, v54, v55
	v_add_f32_e32 v49, v49, v52
	v_mul_f32_e32 v133, v53, v131
	v_sub_f32_e32 v52, v54, v53
	v_mul_f32_e32 v54, v130, v133
	v_fma_f32 v64, v133, v130, -v54
	v_fmac_f32_e32 v64, v133, v49
	v_add_f32_e32 v132, v55, v52
	v_add_f32_e32 v52, v54, v64
	v_sub_f32_e32 v55, v53, v52
	v_pk_add_f32 v[66:67], v[52:53], v[54:55] neg_lo:[0,1] neg_hi:[0,1]
	v_mov_b32_e32 v65, v52
	v_pk_add_f32 v[52:53], v[66:67], v[64:65] neg_lo:[0,1] neg_hi:[0,1]
	s_mov_b32 s52, 0x3f317218
	v_add_f32_e32 v53, v132, v53
	v_add_f32_e32 v52, v52, v53
	;; [unrolled: 1-line block ×3, first 2 shown]
	v_mul_f32_e32 v132, v131, v53
	v_mul_f32_e32 v54, v130, v132
	v_fma_f32 v64, v132, v130, -v54
	v_fmac_f32_e32 v64, v132, v49
	v_sub_f32_e32 v49, v55, v53
	v_add_f32_e32 v49, v52, v49
	v_add_f32_e32 v52, v54, v64
	v_sub_f32_e32 v55, v53, v52
	v_pk_add_f32 v[66:67], v[52:53], v[54:55] neg_lo:[0,1] neg_hi:[0,1]
	v_mov_b32_e32 v65, v52
	v_pk_add_f32 v[52:53], v[66:67], v[64:65] neg_lo:[0,1] neg_hi:[0,1]
	v_cvt_f32_i32_e32 v54, v129
	v_add_f32_e32 v49, v49, v53
	v_add_f32_e32 v49, v52, v49
	;; [unrolled: 1-line block ×4, first 2 shown]
	v_sub_f32_e32 v53, v52, v133
	v_mul_f32_e32 v49, v131, v49
	v_sub_f32_e32 v53, v132, v53
	v_add_f32_e32 v49, v53, v49
	v_add_f32_e32 v55, v52, v49
	v_mul_f32_e32 v64, v55, v55
	v_mov_b32_e32 v53, 0x3ecc95a3
	v_fmac_f32_e32 v53, 0x3e9b6dac, v64
	v_sub_f32_e32 v52, v55, v52
	v_fmaak_f32 v53, v64, v53, 0x3f2aaada
	v_sub_f32_e32 v49, v49, v52
	v_ldexp_f32 v65, v55, 1
	v_mul_f32_e32 v55, v55, v64
	v_mov_b32_e32 v52, 0x3f317218
	v_pk_mul_f32 v[52:53], v[54:55], v[52:53]
	v_ldexp_f32 v49, v49, 1
	v_fma_f32 v55, v54, s52, -v52
	v_fmamk_f32 v64, v54, 0xb102e308, v55
	v_pk_add_f32 v[54:55], v[52:53], v[64:65]
	v_mov_b32_e32 v66, v52
	v_sub_f32_e32 v65, v55, v65
	v_sub_f32_e32 v65, v53, v65
	v_add_f32_e32 v67, v49, v65
	v_pk_add_f32 v[52:53], v[54:55], v[52:53] neg_lo:[0,1] neg_hi:[0,1]
	v_pk_add_f32 v[130:131], v[54:55], v[66:67]
	v_mov_b32_e32 v65, v54
	v_mov_b32_e32 v53, v131
	v_pk_add_f32 v[132:133], v[64:65], v[52:53] neg_lo:[0,1] neg_hi:[0,1]
	v_pk_add_f32 v[52:53], v[64:65], v[52:53]
	v_mov_b32_e32 v66, v67
	v_mov_b32_e32 v64, v53
	v_pk_add_f32 v[134:135], v[64:65], v[54:55] neg_lo:[0,1] neg_hi:[0,1]
	v_mov_b32_e32 v52, v131
	v_mov_b32_e32 v49, v134
	v_pk_add_f32 v[144:145], v[130:131], v[48:49] neg_lo:[0,1] neg_hi:[0,1]
	v_mov_b32_e32 v130, v55
	v_mov_b32_e32 v131, v134
	;; [unrolled: 1-line block ×3, first 2 shown]
	v_pk_add_f32 v[52:53], v[52:53], v[130:131] neg_lo:[0,1] neg_hi:[0,1]
	v_mov_b32_e32 v67, v54
	v_pk_add_f32 v[52:53], v[66:67], v[52:53] neg_lo:[0,1] neg_hi:[0,1]
	v_mov_b32_e32 v144, v132
	v_pk_add_f32 v[54:55], v[144:145], v[52:53]
	v_cmp_eq_f32_e64 s[52:53], s56, v51
	v_mov_b32_e32 v66, v55
	v_pk_add_f32 v[66:67], v[54:55], v[66:67]
	s_mov_b32 s56, 0x33800000
	v_pk_add_f32 v[64:65], v[64:65], v[66:67]
	v_mov_b32_e32 v53, v66
	v_mov_b32_e32 v55, v64
	v_pk_add_f32 v[130:131], v[54:55], v[132:133] neg_lo:[0,1] neg_hi:[0,1]
	v_cmp_lt_f32_e64 s[56:57], |v51|, s56
	v_sub_f32_e32 v49, v54, v130
	v_pk_add_f32 v[52:53], v[52:53], v[130:131] neg_lo:[0,1] neg_hi:[0,1]
	v_sub_f32_e32 v49, v132, v49
	v_add_f32_e32 v49, v52, v49
	v_add_f32_e32 v49, v49, v53
	;; [unrolled: 1-line block ×3, first 2 shown]
	s_or_b64 s[52:53], s[52:53], s[56:57]
	v_cndmask_b32_e64 v49, v49, v51, s[52:53]
	v_add_f32_e32 v49, v48, v49
.LBB93_136:
	s_or_b64 exec, exec, s[54:55]
	ds_read_b32 v48, v50 offset:12
	v_max_f32_e32 v52, v49, v49
	v_cmp_u_f32_e64 s[52:53], v49, v49
	ds_write_b32 v50, v49 offset:8
	s_waitcnt lgkmcnt(1)
	v_max_f32_e32 v53, v48, v48
	v_min_f32_e32 v51, v52, v53
	v_max_f32_e32 v52, v52, v53
	v_cndmask_b32_e64 v51, v51, v49, s[52:53]
	v_cmp_u_f32_e64 s[54:55], v48, v48
	v_cndmask_b32_e64 v52, v52, v49, s[52:53]
	s_nop 0
	v_cndmask_b32_e64 v51, v51, v48, s[54:55]
	v_cndmask_b32_e64 v48, v52, v48, s[54:55]
	v_cmp_neq_f32_e64 s[52:53], v51, v48
	v_cmp_class_f32_e64 s[54:55], v51, s13
	s_or_b64 s[52:53], s[52:53], s[54:55]
	s_and_saveexec_b64 s[54:55], s[52:53]
	s_cbranch_execz .LBB93_138
; %bb.137:
	v_sub_f32_e32 v49, v51, v48
	s_mov_b32 s13, 0x3fb8aa3b
	v_mul_f32_e32 v51, 0x3fb8aa3b, v49
	v_fma_f32 v52, v49, s13, -v51
	v_rndne_f32_e32 v53, v51
	v_fmamk_f32 v52, v49, 0x32a5705f, v52
	v_sub_f32_e32 v51, v51, v53
	v_add_f32_e32 v51, v51, v52
	v_exp_f32_e32 v51, v51
	v_cvt_i32_f32_e32 v52, v53
	s_mov_b32 s13, 0xc2ce8ed0
	v_cmp_ngt_f32_e64 s[52:53], s13, v49
	s_mov_b32 s13, 0x42b17218
	v_ldexp_f32 v51, v51, v52
	v_cndmask_b32_e64 v51, 0, v51, s[52:53]
	v_mov_b32_e32 v52, 0x7f800000
	v_cmp_nlt_f32_e64 s[52:53], s13, v49
	s_mov_b32 s13, 0x3f2aaaab
	s_mov_b32 s56, 0x7f800000
	v_cndmask_b32_e64 v51, v52, v51, s[52:53]
	v_add_f32_e32 v49, 1.0, v51
	v_add_f32_e32 v52, -1.0, v49
	v_sub_f32_e32 v53, v52, v49
	v_add_f32_e32 v53, 1.0, v53
	v_sub_f32_e32 v52, v51, v52
	v_add_f32_e32 v54, v52, v53
	v_frexp_mant_f32_e32 v55, v49
	v_cvt_f64_f32_e32 v[52:53], v49
	v_frexp_exp_i32_f64_e32 v52, v[52:53]
	v_cmp_gt_f32_e64 s[52:53], s13, v55
	s_mov_b32 s13, 0x3f317218
	s_nop 0
	v_subbrev_co_u32_e64 v129, s[52:53], 0, v52, s[52:53]
	v_sub_u32_e32 v52, 0, v129
	v_ldexp_f32 v49, v49, v52
	v_ldexp_f32 v52, v54, v52
	v_add_f32_e32 v54, -1.0, v49
	v_add_f32_e32 v53, 1.0, v54
	v_sub_f32_e32 v53, v49, v53
	v_add_f32_e32 v55, v52, v53
	v_add_f32_e32 v53, 1.0, v49
	v_add_f32_e32 v64, -1.0, v53
	v_sub_f32_e32 v49, v49, v64
	v_add_f32_e32 v49, v52, v49
	v_add_f32_e32 v130, v53, v49
	v_rcp_f32_e32 v131, v130
	v_sub_f32_e32 v52, v53, v130
	v_add_f32_e32 v53, v54, v55
	v_add_f32_e32 v49, v49, v52
	v_mul_f32_e32 v133, v53, v131
	v_sub_f32_e32 v52, v54, v53
	v_mul_f32_e32 v54, v130, v133
	v_fma_f32 v64, v133, v130, -v54
	v_fmac_f32_e32 v64, v133, v49
	v_add_f32_e32 v132, v55, v52
	v_add_f32_e32 v52, v54, v64
	v_sub_f32_e32 v55, v53, v52
	v_pk_add_f32 v[66:67], v[52:53], v[54:55] neg_lo:[0,1] neg_hi:[0,1]
	v_mov_b32_e32 v65, v52
	v_pk_add_f32 v[52:53], v[66:67], v[64:65] neg_lo:[0,1] neg_hi:[0,1]
	v_cmp_eq_f32_e64 s[52:53], s56, v51
	v_add_f32_e32 v53, v132, v53
	v_add_f32_e32 v52, v52, v53
	;; [unrolled: 1-line block ×3, first 2 shown]
	v_mul_f32_e32 v132, v131, v53
	v_mul_f32_e32 v54, v130, v132
	v_fma_f32 v64, v132, v130, -v54
	v_fmac_f32_e32 v64, v132, v49
	v_sub_f32_e32 v49, v55, v53
	v_add_f32_e32 v49, v52, v49
	v_add_f32_e32 v52, v54, v64
	v_sub_f32_e32 v55, v53, v52
	v_pk_add_f32 v[66:67], v[52:53], v[54:55] neg_lo:[0,1] neg_hi:[0,1]
	v_mov_b32_e32 v65, v52
	v_pk_add_f32 v[52:53], v[66:67], v[64:65] neg_lo:[0,1] neg_hi:[0,1]
	v_cvt_f32_i32_e32 v54, v129
	v_add_f32_e32 v49, v49, v53
	v_add_f32_e32 v49, v52, v49
	;; [unrolled: 1-line block ×4, first 2 shown]
	v_sub_f32_e32 v53, v52, v133
	v_mul_f32_e32 v49, v131, v49
	v_sub_f32_e32 v53, v132, v53
	v_add_f32_e32 v49, v53, v49
	v_add_f32_e32 v55, v52, v49
	v_mul_f32_e32 v64, v55, v55
	v_mov_b32_e32 v53, 0x3ecc95a3
	v_fmac_f32_e32 v53, 0x3e9b6dac, v64
	v_sub_f32_e32 v52, v55, v52
	v_fmaak_f32 v53, v64, v53, 0x3f2aaada
	v_sub_f32_e32 v49, v49, v52
	v_ldexp_f32 v65, v55, 1
	v_mul_f32_e32 v55, v55, v64
	v_mov_b32_e32 v52, 0x3f317218
	v_pk_mul_f32 v[52:53], v[54:55], v[52:53]
	v_ldexp_f32 v49, v49, 1
	v_fma_f32 v55, v54, s13, -v52
	v_fmamk_f32 v64, v54, 0xb102e308, v55
	v_pk_add_f32 v[54:55], v[52:53], v[64:65]
	v_mov_b32_e32 v66, v52
	v_sub_f32_e32 v65, v55, v65
	v_sub_f32_e32 v65, v53, v65
	v_add_f32_e32 v67, v49, v65
	v_pk_add_f32 v[52:53], v[54:55], v[52:53] neg_lo:[0,1] neg_hi:[0,1]
	v_pk_add_f32 v[130:131], v[54:55], v[66:67]
	v_mov_b32_e32 v65, v54
	v_mov_b32_e32 v53, v131
	v_pk_add_f32 v[132:133], v[64:65], v[52:53] neg_lo:[0,1] neg_hi:[0,1]
	v_pk_add_f32 v[52:53], v[64:65], v[52:53]
	v_mov_b32_e32 v66, v67
	v_mov_b32_e32 v64, v53
	v_pk_add_f32 v[134:135], v[64:65], v[54:55] neg_lo:[0,1] neg_hi:[0,1]
	v_mov_b32_e32 v52, v131
	v_mov_b32_e32 v49, v134
	v_pk_add_f32 v[144:145], v[130:131], v[48:49] neg_lo:[0,1] neg_hi:[0,1]
	v_mov_b32_e32 v130, v55
	v_mov_b32_e32 v131, v134
	;; [unrolled: 1-line block ×3, first 2 shown]
	v_pk_add_f32 v[52:53], v[52:53], v[130:131] neg_lo:[0,1] neg_hi:[0,1]
	v_mov_b32_e32 v67, v54
	v_pk_add_f32 v[52:53], v[66:67], v[52:53] neg_lo:[0,1] neg_hi:[0,1]
	v_mov_b32_e32 v144, v132
	v_pk_add_f32 v[54:55], v[144:145], v[52:53]
	s_mov_b32 s13, 0x33800000
	v_mov_b32_e32 v66, v55
	v_pk_add_f32 v[66:67], v[54:55], v[66:67]
	v_cmp_lt_f32_e64 s[56:57], |v51|, s13
	v_pk_add_f32 v[64:65], v[64:65], v[66:67]
	v_mov_b32_e32 v53, v66
	v_mov_b32_e32 v55, v64
	v_pk_add_f32 v[130:131], v[54:55], v[132:133] neg_lo:[0,1] neg_hi:[0,1]
	s_or_b64 s[52:53], s[52:53], s[56:57]
	v_sub_f32_e32 v49, v54, v130
	v_pk_add_f32 v[52:53], v[52:53], v[130:131] neg_lo:[0,1] neg_hi:[0,1]
	v_sub_f32_e32 v49, v132, v49
	v_add_f32_e32 v49, v52, v49
	v_add_f32_e32 v49, v49, v53
	;; [unrolled: 1-line block ×3, first 2 shown]
	v_cndmask_b32_e64 v49, v49, v51, s[52:53]
	v_add_f32_e32 v49, v48, v49
.LBB93_138:
	s_or_b64 exec, exec, s[54:55]
	ds_write_b32 v50, v49 offset:12
.LBB93_139:
	s_or_b64 exec, exec, s[60:61]
	v_cmp_eq_u32_e64 s[54:55], 0, v0
	v_cmp_ne_u32_e64 s[52:53], 0, v0
	s_waitcnt lgkmcnt(0)
	s_barrier
	s_and_saveexec_b64 s[56:57], s[52:53]
	s_cbranch_execz .LBB93_141
; %bb.140:
	v_add_u32_e32 v48, -1, v0
	v_lshrrev_b32_e32 v49, 5, v48
	v_add_lshl_u32 v48, v49, v48, 2
	ds_read_b32 v128, v48
.LBB93_141:
	s_or_b64 exec, exec, s[56:57]
	s_and_saveexec_b64 s[64:65], vcc
	s_cbranch_execz .LBB93_212
; %bb.142:
	v_mov_b32_e32 v55, 0
	ds_read_b32 v48, v55 offset:1048
	v_mbcnt_lo_u32_b32 v49, -1, 0
	v_mbcnt_hi_u32_b32 v51, -1, v49
	s_mov_b32 s61, 0
	v_cmp_eq_u32_e64 s[56:57], 0, v51
	s_and_saveexec_b64 vcc, s[56:57]
	s_cbranch_execz .LBB93_144
; %bb.143:
	s_add_i32 s60, s12, 64
	v_lshl_add_u64 v[52:53], s[60:61], 3, v[96:97]
	v_mov_b32_e32 v49, 1
	s_waitcnt lgkmcnt(0)
	flat_store_dwordx2 v[52:53], v[48:49] sc1
.LBB93_144:
	s_or_b64 exec, exec, vcc
	v_xad_u32 v50, v51, -1, s12
	v_add_u32_e32 v54, 64, v50
	v_lshl_add_u64 v[64:65], v[54:55], 3, v[96:97]
	flat_load_dwordx2 v[52:53], v[64:65] sc1
	s_waitcnt vmcnt(0) lgkmcnt(0)
	v_cmp_eq_u16_sdwa s[60:61], v53, v55 src0_sel:BYTE_0 src1_sel:DWORD
	s_and_saveexec_b64 vcc, s[60:61]
	s_cbranch_execz .LBB93_148
; %bb.145:
	s_mov_b64 s[60:61], 0
	v_mov_b32_e32 v49, 0
.LBB93_146:                             ; =>This Inner Loop Header: Depth=1
	flat_load_dwordx2 v[52:53], v[64:65] sc1
	s_waitcnt vmcnt(0) lgkmcnt(0)
	v_cmp_ne_u16_sdwa s[66:67], v53, v49 src0_sel:BYTE_0 src1_sel:DWORD
	s_or_b64 s[60:61], s[66:67], s[60:61]
	s_andn2_b64 exec, exec, s[60:61]
	s_cbranch_execnz .LBB93_146
; %bb.147:
	s_or_b64 exec, exec, s[60:61]
.LBB93_148:
	s_or_b64 exec, exec, vcc
	v_mov_b32_e32 v49, 2
	v_cmp_eq_u16_sdwa vcc, v53, v49 src0_sel:BYTE_0 src1_sel:DWORD
	v_lshlrev_b64 v[54:55], v51, -1
	s_nop 0
	v_and_b32_e32 v49, vcc_hi, v55
	v_or_b32_e32 v49, 0x80000000, v49
	v_ffbl_b32_e32 v49, v49
	v_add_u32_e32 v65, 32, v49
	v_and_b32_e32 v49, 63, v51
	v_and_b32_e32 v64, vcc_lo, v54
	v_cmp_ne_u32_e32 vcc, 63, v49
	v_ffbl_b32_e32 v64, v64
	v_min_u32_e32 v64, v64, v65
	v_addc_co_u32_e32 v66, vcc, 0, v51, vcc
	v_lshlrev_b32_e32 v129, 2, v66
	ds_bpermute_b32 v66, v129, v52
	v_cmp_lt_u32_e32 vcc, v49, v64
	v_mov_b32_e32 v65, v52
	s_and_saveexec_b64 s[66:67], vcc
	s_cbranch_execz .LBB93_152
; %bb.149:
	v_max_f32_e32 v67, v52, v52
	s_waitcnt lgkmcnt(0)
	v_max_f32_e32 v130, v66, v66
	v_min_f32_e32 v65, v130, v67
	v_cmp_u_f32_e32 vcc, v66, v66
	v_max_f32_e32 v67, v130, v67
	v_cmp_u_f32_e64 s[60:61], v52, v52
	v_cndmask_b32_e32 v65, v65, v66, vcc
	v_cndmask_b32_e32 v67, v67, v66, vcc
	v_cndmask_b32_e64 v65, v65, v52, s[60:61]
	v_cndmask_b32_e64 v52, v67, v52, s[60:61]
	s_movk_i32 s13, 0x1f8
	v_cmp_neq_f32_e32 vcc, v65, v52
	v_cmp_class_f32_e64 s[60:61], v65, s13
	s_or_b64 vcc, vcc, s[60:61]
	s_and_saveexec_b64 s[60:61], vcc
	s_cbranch_execz .LBB93_151
; %bb.150:
	v_sub_f32_e32 v65, v65, v52
	s_mov_b32 s13, 0x3fb8aa3b
	v_mul_f32_e32 v66, 0x3fb8aa3b, v65
	v_fma_f32 v67, v65, s13, -v66
	v_rndne_f32_e32 v130, v66
	v_fmamk_f32 v67, v65, 0x32a5705f, v67
	v_sub_f32_e32 v66, v66, v130
	v_add_f32_e32 v66, v66, v67
	v_exp_f32_e32 v66, v66
	v_cvt_i32_f32_e32 v67, v130
	s_mov_b32 s13, 0xc2ce8ed0
	v_cmp_ngt_f32_e32 vcc, s13, v65
	s_mov_b32 s13, 0x42b17218
	v_ldexp_f32 v66, v66, v67
	v_cndmask_b32_e32 v66, 0, v66, vcc
	v_mov_b32_e32 v67, 0x7f800000
	v_cmp_nlt_f32_e32 vcc, s13, v65
	s_mov_b32 s13, 0x3f2aaaab
	s_mov_b32 s68, 0x7f800000
	v_cndmask_b32_e32 v160, v67, v66, vcc
	v_add_f32_e32 v65, 1.0, v160
	v_add_f32_e32 v66, -1.0, v65
	v_sub_f32_e32 v67, v66, v65
	v_add_f32_e32 v67, 1.0, v67
	v_sub_f32_e32 v66, v160, v66
	v_add_f32_e32 v130, v66, v67
	v_frexp_mant_f32_e32 v131, v65
	v_cvt_f64_f32_e32 v[66:67], v65
	v_frexp_exp_i32_f64_e32 v66, v[66:67]
	v_cmp_gt_f32_e32 vcc, s13, v131
	s_mov_b32 s13, 0x3f317218
	s_nop 0
	v_subbrev_co_u32_e32 v144, vcc, 0, v66, vcc
	v_sub_u32_e32 v66, 0, v144
	v_ldexp_f32 v65, v65, v66
	v_ldexp_f32 v66, v130, v66
	v_add_f32_e32 v130, -1.0, v65
	v_add_f32_e32 v67, 1.0, v130
	v_sub_f32_e32 v67, v65, v67
	v_add_f32_e32 v131, v66, v67
	v_add_f32_e32 v67, 1.0, v65
	v_add_f32_e32 v132, -1.0, v67
	v_sub_f32_e32 v65, v65, v132
	v_add_f32_e32 v65, v66, v65
	v_add_f32_e32 v145, v67, v65
	v_rcp_f32_e32 v146, v145
	v_sub_f32_e32 v66, v67, v145
	v_add_f32_e32 v67, v130, v131
	v_add_f32_e32 v65, v65, v66
	v_mul_f32_e32 v148, v67, v146
	v_sub_f32_e32 v66, v130, v67
	v_mul_f32_e32 v130, v145, v148
	v_fma_f32 v132, v148, v145, -v130
	v_fmac_f32_e32 v132, v148, v65
	v_add_f32_e32 v147, v131, v66
	v_add_f32_e32 v66, v130, v132
	v_sub_f32_e32 v131, v67, v66
	v_pk_add_f32 v[134:135], v[66:67], v[130:131] neg_lo:[0,1] neg_hi:[0,1]
	v_mov_b32_e32 v133, v66
	v_pk_add_f32 v[66:67], v[134:135], v[132:133] neg_lo:[0,1] neg_hi:[0,1]
	v_cmp_eq_f32_e32 vcc, s68, v160
	v_add_f32_e32 v67, v147, v67
	v_add_f32_e32 v66, v66, v67
	;; [unrolled: 1-line block ×3, first 2 shown]
	v_mul_f32_e32 v147, v146, v67
	v_mul_f32_e32 v130, v145, v147
	v_fma_f32 v132, v147, v145, -v130
	v_fmac_f32_e32 v132, v147, v65
	v_sub_f32_e32 v65, v131, v67
	v_add_f32_e32 v65, v66, v65
	v_add_f32_e32 v66, v130, v132
	v_sub_f32_e32 v131, v67, v66
	v_pk_add_f32 v[134:135], v[66:67], v[130:131] neg_lo:[0,1] neg_hi:[0,1]
	v_mov_b32_e32 v133, v66
	v_pk_add_f32 v[66:67], v[134:135], v[132:133] neg_lo:[0,1] neg_hi:[0,1]
	v_cvt_f32_i32_e32 v130, v144
	v_add_f32_e32 v65, v65, v67
	v_add_f32_e32 v65, v66, v65
	;; [unrolled: 1-line block ×4, first 2 shown]
	v_sub_f32_e32 v67, v66, v148
	v_mul_f32_e32 v65, v146, v65
	v_sub_f32_e32 v67, v147, v67
	v_add_f32_e32 v65, v67, v65
	v_add_f32_e32 v131, v66, v65
	v_mul_f32_e32 v132, v131, v131
	v_mov_b32_e32 v67, 0x3ecc95a3
	v_fmac_f32_e32 v67, 0x3e9b6dac, v132
	v_sub_f32_e32 v66, v131, v66
	v_fmaak_f32 v67, v132, v67, 0x3f2aaada
	v_sub_f32_e32 v65, v65, v66
	v_ldexp_f32 v133, v131, 1
	v_mul_f32_e32 v131, v131, v132
	v_mov_b32_e32 v66, 0x3f317218
	v_pk_mul_f32 v[66:67], v[130:131], v[66:67]
	v_ldexp_f32 v65, v65, 1
	v_fma_f32 v131, v130, s13, -v66
	v_fmamk_f32 v132, v130, 0xb102e308, v131
	v_pk_add_f32 v[130:131], v[66:67], v[132:133]
	v_mov_b32_e32 v134, v66
	v_sub_f32_e32 v133, v131, v133
	v_sub_f32_e32 v133, v67, v133
	v_add_f32_e32 v135, v65, v133
	v_pk_add_f32 v[66:67], v[130:131], v[66:67] neg_lo:[0,1] neg_hi:[0,1]
	v_pk_add_f32 v[144:145], v[130:131], v[134:135]
	v_mov_b32_e32 v133, v130
	v_mov_b32_e32 v67, v145
	v_pk_add_f32 v[146:147], v[132:133], v[66:67] neg_lo:[0,1] neg_hi:[0,1]
	v_pk_add_f32 v[66:67], v[132:133], v[66:67]
	v_mov_b32_e32 v134, v135
	v_mov_b32_e32 v132, v67
	v_pk_add_f32 v[148:149], v[132:133], v[130:131] neg_lo:[0,1] neg_hi:[0,1]
	v_mov_b32_e32 v66, v145
	v_mov_b32_e32 v65, v148
	v_pk_add_f32 v[150:151], v[144:145], v[64:65] neg_lo:[0,1] neg_hi:[0,1]
	v_mov_b32_e32 v144, v131
	v_mov_b32_e32 v145, v148
	;; [unrolled: 1-line block ×3, first 2 shown]
	v_pk_add_f32 v[66:67], v[66:67], v[144:145] neg_lo:[0,1] neg_hi:[0,1]
	v_mov_b32_e32 v135, v130
	v_pk_add_f32 v[66:67], v[134:135], v[66:67] neg_lo:[0,1] neg_hi:[0,1]
	v_mov_b32_e32 v150, v146
	v_pk_add_f32 v[130:131], v[150:151], v[66:67]
	s_mov_b32 s13, 0x33800000
	v_mov_b32_e32 v134, v131
	v_pk_add_f32 v[134:135], v[130:131], v[134:135]
	v_cmp_lt_f32_e64 s[68:69], |v160|, s13
	v_pk_add_f32 v[132:133], v[132:133], v[134:135]
	v_mov_b32_e32 v67, v134
	v_mov_b32_e32 v131, v132
	v_pk_add_f32 v[144:145], v[130:131], v[146:147] neg_lo:[0,1] neg_hi:[0,1]
	s_or_b64 vcc, vcc, s[68:69]
	v_sub_f32_e32 v65, v130, v144
	v_pk_add_f32 v[66:67], v[66:67], v[144:145] neg_lo:[0,1] neg_hi:[0,1]
	v_sub_f32_e32 v65, v146, v65
	v_add_f32_e32 v65, v66, v65
	v_add_f32_e32 v65, v65, v67
	;; [unrolled: 1-line block ×3, first 2 shown]
	v_cndmask_b32_e32 v65, v65, v160, vcc
	v_add_f32_e32 v66, v52, v65
.LBB93_151:
	s_or_b64 exec, exec, s[60:61]
	v_mov_b32_e32 v52, v66
	v_mov_b32_e32 v65, v66
.LBB93_152:
	s_or_b64 exec, exec, s[66:67]
	v_cmp_gt_u32_e32 vcc, 62, v49
	v_add_u32_e32 v131, 2, v49
	s_waitcnt lgkmcnt(0)
	v_cndmask_b32_e64 v66, 0, 1, vcc
	v_lshlrev_b32_e32 v66, 1, v66
	v_add_lshl_u32 v130, v66, v51, 2
	ds_bpermute_b32 v66, v130, v52
	v_cmp_le_u32_e32 vcc, v131, v64
	s_and_saveexec_b64 s[66:67], vcc
	s_cbranch_execz .LBB93_156
; %bb.153:
	v_max_f32_e32 v52, v65, v65
	s_waitcnt lgkmcnt(0)
	v_max_f32_e32 v132, v66, v66
	v_min_f32_e32 v67, v132, v52
	v_cmp_u_f32_e32 vcc, v66, v66
	v_max_f32_e32 v52, v132, v52
	v_cmp_u_f32_e64 s[60:61], v65, v65
	v_cndmask_b32_e32 v67, v67, v66, vcc
	v_cndmask_b32_e32 v52, v52, v66, vcc
	v_cndmask_b32_e64 v67, v67, v65, s[60:61]
	v_cndmask_b32_e64 v52, v52, v65, s[60:61]
	s_movk_i32 s13, 0x1f8
	v_cmp_neq_f32_e32 vcc, v67, v52
	v_cmp_class_f32_e64 s[60:61], v67, s13
	s_or_b64 vcc, vcc, s[60:61]
	s_and_saveexec_b64 s[60:61], vcc
	s_cbranch_execz .LBB93_155
; %bb.154:
	v_sub_f32_e32 v65, v67, v52
	s_mov_b32 s13, 0x3fb8aa3b
	v_mul_f32_e32 v66, 0x3fb8aa3b, v65
	v_fma_f32 v67, v65, s13, -v66
	v_rndne_f32_e32 v132, v66
	v_fmamk_f32 v67, v65, 0x32a5705f, v67
	v_sub_f32_e32 v66, v66, v132
	v_add_f32_e32 v66, v66, v67
	v_exp_f32_e32 v66, v66
	v_cvt_i32_f32_e32 v67, v132
	s_mov_b32 s13, 0xc2ce8ed0
	v_cmp_ngt_f32_e32 vcc, s13, v65
	s_mov_b32 s13, 0x42b17218
	v_ldexp_f32 v66, v66, v67
	v_cndmask_b32_e32 v66, 0, v66, vcc
	v_mov_b32_e32 v67, 0x7f800000
	v_cmp_nlt_f32_e32 vcc, s13, v65
	s_mov_b32 s13, 0x3f2aaaab
	s_mov_b32 s68, 0x7f800000
	v_cndmask_b32_e32 v162, v67, v66, vcc
	v_add_f32_e32 v65, 1.0, v162
	v_add_f32_e32 v66, -1.0, v65
	v_sub_f32_e32 v67, v66, v65
	v_add_f32_e32 v67, 1.0, v67
	v_sub_f32_e32 v66, v162, v66
	v_add_f32_e32 v132, v66, v67
	v_frexp_mant_f32_e32 v133, v65
	v_cvt_f64_f32_e32 v[66:67], v65
	v_frexp_exp_i32_f64_e32 v66, v[66:67]
	v_cmp_gt_f32_e32 vcc, s13, v133
	s_mov_b32 s13, 0x3f317218
	s_nop 0
	v_subbrev_co_u32_e32 v146, vcc, 0, v66, vcc
	v_sub_u32_e32 v66, 0, v146
	v_ldexp_f32 v65, v65, v66
	v_ldexp_f32 v66, v132, v66
	v_add_f32_e32 v132, -1.0, v65
	v_add_f32_e32 v67, 1.0, v132
	v_sub_f32_e32 v67, v65, v67
	v_add_f32_e32 v133, v66, v67
	v_add_f32_e32 v67, 1.0, v65
	v_add_f32_e32 v134, -1.0, v67
	v_sub_f32_e32 v65, v65, v134
	v_add_f32_e32 v65, v66, v65
	v_add_f32_e32 v147, v67, v65
	v_rcp_f32_e32 v148, v147
	v_sub_f32_e32 v66, v67, v147
	v_add_f32_e32 v67, v132, v133
	v_add_f32_e32 v65, v65, v66
	v_mul_f32_e32 v150, v67, v148
	v_sub_f32_e32 v66, v132, v67
	v_mul_f32_e32 v132, v147, v150
	v_fma_f32 v134, v150, v147, -v132
	v_fmac_f32_e32 v134, v150, v65
	v_add_f32_e32 v149, v133, v66
	v_add_f32_e32 v66, v132, v134
	v_sub_f32_e32 v133, v67, v66
	v_pk_add_f32 v[144:145], v[66:67], v[132:133] neg_lo:[0,1] neg_hi:[0,1]
	v_mov_b32_e32 v135, v66
	v_pk_add_f32 v[66:67], v[144:145], v[134:135] neg_lo:[0,1] neg_hi:[0,1]
	v_cmp_eq_f32_e32 vcc, s68, v162
	v_add_f32_e32 v67, v149, v67
	v_add_f32_e32 v66, v66, v67
	;; [unrolled: 1-line block ×3, first 2 shown]
	v_mul_f32_e32 v149, v148, v67
	v_mul_f32_e32 v132, v147, v149
	v_fma_f32 v134, v149, v147, -v132
	v_fmac_f32_e32 v134, v149, v65
	v_sub_f32_e32 v65, v133, v67
	v_add_f32_e32 v65, v66, v65
	v_add_f32_e32 v66, v132, v134
	v_sub_f32_e32 v133, v67, v66
	v_pk_add_f32 v[144:145], v[66:67], v[132:133] neg_lo:[0,1] neg_hi:[0,1]
	v_mov_b32_e32 v135, v66
	v_pk_add_f32 v[66:67], v[144:145], v[134:135] neg_lo:[0,1] neg_hi:[0,1]
	v_cvt_f32_i32_e32 v132, v146
	v_add_f32_e32 v65, v65, v67
	v_add_f32_e32 v65, v66, v65
	;; [unrolled: 1-line block ×4, first 2 shown]
	v_sub_f32_e32 v67, v66, v150
	v_mul_f32_e32 v65, v148, v65
	v_sub_f32_e32 v67, v149, v67
	v_add_f32_e32 v65, v67, v65
	v_add_f32_e32 v133, v66, v65
	v_mul_f32_e32 v134, v133, v133
	v_mov_b32_e32 v67, 0x3ecc95a3
	v_fmac_f32_e32 v67, 0x3e9b6dac, v134
	v_sub_f32_e32 v66, v133, v66
	v_fmaak_f32 v67, v134, v67, 0x3f2aaada
	v_sub_f32_e32 v65, v65, v66
	v_ldexp_f32 v135, v133, 1
	v_mul_f32_e32 v133, v133, v134
	v_mov_b32_e32 v66, 0x3f317218
	v_pk_mul_f32 v[66:67], v[132:133], v[66:67]
	v_ldexp_f32 v65, v65, 1
	v_fma_f32 v133, v132, s13, -v66
	v_fmamk_f32 v134, v132, 0xb102e308, v133
	v_pk_add_f32 v[132:133], v[66:67], v[134:135]
	v_mov_b32_e32 v144, v66
	v_sub_f32_e32 v135, v133, v135
	v_sub_f32_e32 v135, v67, v135
	v_add_f32_e32 v145, v65, v135
	v_pk_add_f32 v[66:67], v[132:133], v[66:67] neg_lo:[0,1] neg_hi:[0,1]
	v_pk_add_f32 v[146:147], v[132:133], v[144:145]
	v_mov_b32_e32 v135, v132
	v_mov_b32_e32 v67, v147
	v_pk_add_f32 v[148:149], v[134:135], v[66:67] neg_lo:[0,1] neg_hi:[0,1]
	v_pk_add_f32 v[66:67], v[134:135], v[66:67]
	v_mov_b32_e32 v144, v145
	v_mov_b32_e32 v134, v67
	v_pk_add_f32 v[150:151], v[134:135], v[132:133] neg_lo:[0,1] neg_hi:[0,1]
	v_mov_b32_e32 v66, v147
	v_mov_b32_e32 v65, v150
	v_pk_add_f32 v[160:161], v[146:147], v[64:65] neg_lo:[0,1] neg_hi:[0,1]
	v_mov_b32_e32 v146, v133
	v_mov_b32_e32 v147, v150
	;; [unrolled: 1-line block ×3, first 2 shown]
	v_pk_add_f32 v[66:67], v[66:67], v[146:147] neg_lo:[0,1] neg_hi:[0,1]
	v_mov_b32_e32 v145, v132
	v_pk_add_f32 v[66:67], v[144:145], v[66:67] neg_lo:[0,1] neg_hi:[0,1]
	v_mov_b32_e32 v160, v148
	v_pk_add_f32 v[132:133], v[160:161], v[66:67]
	s_mov_b32 s13, 0x33800000
	v_mov_b32_e32 v144, v133
	v_pk_add_f32 v[144:145], v[132:133], v[144:145]
	v_cmp_lt_f32_e64 s[68:69], |v162|, s13
	v_pk_add_f32 v[134:135], v[134:135], v[144:145]
	v_mov_b32_e32 v67, v144
	v_mov_b32_e32 v133, v134
	v_pk_add_f32 v[146:147], v[132:133], v[148:149] neg_lo:[0,1] neg_hi:[0,1]
	s_or_b64 vcc, vcc, s[68:69]
	v_sub_f32_e32 v65, v132, v146
	v_pk_add_f32 v[66:67], v[66:67], v[146:147] neg_lo:[0,1] neg_hi:[0,1]
	v_sub_f32_e32 v65, v148, v65
	v_add_f32_e32 v65, v66, v65
	v_add_f32_e32 v65, v65, v67
	;; [unrolled: 1-line block ×3, first 2 shown]
	v_cndmask_b32_e32 v65, v65, v162, vcc
	v_add_f32_e32 v66, v52, v65
.LBB93_155:
	s_or_b64 exec, exec, s[60:61]
	v_mov_b32_e32 v52, v66
	v_mov_b32_e32 v65, v66
.LBB93_156:
	s_or_b64 exec, exec, s[66:67]
	v_cmp_gt_u32_e32 vcc, 60, v49
	v_add_u32_e32 v133, 4, v49
	s_waitcnt lgkmcnt(0)
	v_cndmask_b32_e64 v66, 0, 1, vcc
	v_lshlrev_b32_e32 v66, 2, v66
	v_add_lshl_u32 v132, v66, v51, 2
	ds_bpermute_b32 v66, v132, v52
	v_cmp_le_u32_e32 vcc, v133, v64
	s_and_saveexec_b64 s[66:67], vcc
	s_cbranch_execz .LBB93_160
; %bb.157:
	v_max_f32_e32 v52, v65, v65
	s_waitcnt lgkmcnt(0)
	v_max_f32_e32 v134, v66, v66
	v_min_f32_e32 v67, v134, v52
	v_cmp_u_f32_e32 vcc, v66, v66
	v_max_f32_e32 v52, v134, v52
	v_cmp_u_f32_e64 s[60:61], v65, v65
	v_cndmask_b32_e32 v67, v67, v66, vcc
	v_cndmask_b32_e32 v52, v52, v66, vcc
	v_cndmask_b32_e64 v67, v67, v65, s[60:61]
	v_cndmask_b32_e64 v52, v52, v65, s[60:61]
	s_movk_i32 s13, 0x1f8
	v_cmp_neq_f32_e32 vcc, v67, v52
	v_cmp_class_f32_e64 s[60:61], v67, s13
	s_or_b64 vcc, vcc, s[60:61]
	s_and_saveexec_b64 s[60:61], vcc
	s_cbranch_execz .LBB93_159
; %bb.158:
	v_sub_f32_e32 v65, v67, v52
	s_mov_b32 s13, 0x3fb8aa3b
	v_mul_f32_e32 v66, 0x3fb8aa3b, v65
	v_fma_f32 v67, v65, s13, -v66
	v_rndne_f32_e32 v134, v66
	v_fmamk_f32 v67, v65, 0x32a5705f, v67
	v_sub_f32_e32 v66, v66, v134
	v_add_f32_e32 v66, v66, v67
	v_exp_f32_e32 v66, v66
	v_cvt_i32_f32_e32 v67, v134
	s_mov_b32 s13, 0xc2ce8ed0
	v_cmp_ngt_f32_e32 vcc, s13, v65
	s_mov_b32 s13, 0x42b17218
	v_ldexp_f32 v66, v66, v67
	v_cndmask_b32_e32 v66, 0, v66, vcc
	v_mov_b32_e32 v67, 0x7f800000
	v_cmp_nlt_f32_e32 vcc, s13, v65
	s_mov_b32 s13, 0x3f2aaaab
	s_mov_b32 s68, 0x7f800000
	v_cndmask_b32_e32 v164, v67, v66, vcc
	v_add_f32_e32 v65, 1.0, v164
	v_add_f32_e32 v66, -1.0, v65
	v_sub_f32_e32 v67, v66, v65
	v_add_f32_e32 v67, 1.0, v67
	v_sub_f32_e32 v66, v164, v66
	v_add_f32_e32 v134, v66, v67
	v_frexp_mant_f32_e32 v135, v65
	v_cvt_f64_f32_e32 v[66:67], v65
	v_frexp_exp_i32_f64_e32 v66, v[66:67]
	v_cmp_gt_f32_e32 vcc, s13, v135
	s_mov_b32 s13, 0x3f317218
	s_nop 0
	v_subbrev_co_u32_e32 v148, vcc, 0, v66, vcc
	v_sub_u32_e32 v66, 0, v148
	v_ldexp_f32 v65, v65, v66
	v_ldexp_f32 v66, v134, v66
	v_add_f32_e32 v134, -1.0, v65
	v_add_f32_e32 v67, 1.0, v134
	v_sub_f32_e32 v67, v65, v67
	v_add_f32_e32 v135, v66, v67
	v_add_f32_e32 v67, 1.0, v65
	v_add_f32_e32 v144, -1.0, v67
	v_sub_f32_e32 v65, v65, v144
	v_add_f32_e32 v65, v66, v65
	v_add_f32_e32 v149, v67, v65
	v_rcp_f32_e32 v150, v149
	v_sub_f32_e32 v66, v67, v149
	v_add_f32_e32 v67, v134, v135
	v_add_f32_e32 v65, v65, v66
	v_mul_f32_e32 v160, v67, v150
	v_sub_f32_e32 v66, v134, v67
	v_mul_f32_e32 v134, v149, v160
	v_fma_f32 v144, v160, v149, -v134
	v_fmac_f32_e32 v144, v160, v65
	v_add_f32_e32 v151, v135, v66
	v_add_f32_e32 v66, v134, v144
	v_sub_f32_e32 v135, v67, v66
	v_pk_add_f32 v[146:147], v[66:67], v[134:135] neg_lo:[0,1] neg_hi:[0,1]
	v_mov_b32_e32 v145, v66
	v_pk_add_f32 v[66:67], v[146:147], v[144:145] neg_lo:[0,1] neg_hi:[0,1]
	v_cmp_eq_f32_e32 vcc, s68, v164
	v_add_f32_e32 v67, v151, v67
	v_add_f32_e32 v66, v66, v67
	;; [unrolled: 1-line block ×3, first 2 shown]
	v_mul_f32_e32 v151, v150, v67
	v_mul_f32_e32 v134, v149, v151
	v_fma_f32 v144, v151, v149, -v134
	v_fmac_f32_e32 v144, v151, v65
	v_sub_f32_e32 v65, v135, v67
	v_add_f32_e32 v65, v66, v65
	v_add_f32_e32 v66, v134, v144
	v_sub_f32_e32 v135, v67, v66
	v_pk_add_f32 v[146:147], v[66:67], v[134:135] neg_lo:[0,1] neg_hi:[0,1]
	v_mov_b32_e32 v145, v66
	v_pk_add_f32 v[66:67], v[146:147], v[144:145] neg_lo:[0,1] neg_hi:[0,1]
	v_cvt_f32_i32_e32 v134, v148
	v_add_f32_e32 v65, v65, v67
	v_add_f32_e32 v65, v66, v65
	;; [unrolled: 1-line block ×4, first 2 shown]
	v_sub_f32_e32 v67, v66, v160
	v_mul_f32_e32 v65, v150, v65
	v_sub_f32_e32 v67, v151, v67
	v_add_f32_e32 v65, v67, v65
	v_add_f32_e32 v135, v66, v65
	v_mul_f32_e32 v144, v135, v135
	v_mov_b32_e32 v67, 0x3ecc95a3
	v_fmac_f32_e32 v67, 0x3e9b6dac, v144
	v_sub_f32_e32 v66, v135, v66
	v_fmaak_f32 v67, v144, v67, 0x3f2aaada
	v_sub_f32_e32 v65, v65, v66
	v_ldexp_f32 v145, v135, 1
	v_mul_f32_e32 v135, v135, v144
	v_mov_b32_e32 v66, 0x3f317218
	v_pk_mul_f32 v[66:67], v[134:135], v[66:67]
	v_ldexp_f32 v65, v65, 1
	v_fma_f32 v135, v134, s13, -v66
	v_fmamk_f32 v144, v134, 0xb102e308, v135
	v_pk_add_f32 v[134:135], v[66:67], v[144:145]
	v_mov_b32_e32 v146, v66
	v_sub_f32_e32 v145, v135, v145
	v_sub_f32_e32 v145, v67, v145
	v_add_f32_e32 v147, v65, v145
	v_pk_add_f32 v[66:67], v[134:135], v[66:67] neg_lo:[0,1] neg_hi:[0,1]
	v_pk_add_f32 v[148:149], v[134:135], v[146:147]
	v_mov_b32_e32 v145, v134
	v_mov_b32_e32 v67, v149
	v_pk_add_f32 v[150:151], v[144:145], v[66:67] neg_lo:[0,1] neg_hi:[0,1]
	v_pk_add_f32 v[66:67], v[144:145], v[66:67]
	v_mov_b32_e32 v146, v147
	v_mov_b32_e32 v144, v67
	v_pk_add_f32 v[160:161], v[144:145], v[134:135] neg_lo:[0,1] neg_hi:[0,1]
	v_mov_b32_e32 v66, v149
	v_mov_b32_e32 v65, v160
	v_pk_add_f32 v[162:163], v[148:149], v[64:65] neg_lo:[0,1] neg_hi:[0,1]
	v_mov_b32_e32 v148, v135
	v_mov_b32_e32 v149, v160
	;; [unrolled: 1-line block ×3, first 2 shown]
	v_pk_add_f32 v[66:67], v[66:67], v[148:149] neg_lo:[0,1] neg_hi:[0,1]
	v_mov_b32_e32 v147, v134
	v_pk_add_f32 v[66:67], v[146:147], v[66:67] neg_lo:[0,1] neg_hi:[0,1]
	v_mov_b32_e32 v162, v150
	v_pk_add_f32 v[134:135], v[162:163], v[66:67]
	s_mov_b32 s13, 0x33800000
	v_mov_b32_e32 v146, v135
	v_pk_add_f32 v[146:147], v[134:135], v[146:147]
	v_cmp_lt_f32_e64 s[68:69], |v164|, s13
	v_pk_add_f32 v[144:145], v[144:145], v[146:147]
	v_mov_b32_e32 v67, v146
	v_mov_b32_e32 v135, v144
	v_pk_add_f32 v[148:149], v[134:135], v[150:151] neg_lo:[0,1] neg_hi:[0,1]
	s_or_b64 vcc, vcc, s[68:69]
	v_sub_f32_e32 v65, v134, v148
	v_pk_add_f32 v[66:67], v[66:67], v[148:149] neg_lo:[0,1] neg_hi:[0,1]
	v_sub_f32_e32 v65, v150, v65
	v_add_f32_e32 v65, v66, v65
	v_add_f32_e32 v65, v65, v67
	;; [unrolled: 1-line block ×3, first 2 shown]
	v_cndmask_b32_e32 v65, v65, v164, vcc
	v_add_f32_e32 v66, v52, v65
.LBB93_159:
	s_or_b64 exec, exec, s[60:61]
	v_mov_b32_e32 v52, v66
	v_mov_b32_e32 v65, v66
.LBB93_160:
	s_or_b64 exec, exec, s[66:67]
	v_cmp_gt_u32_e32 vcc, 56, v49
	v_add_u32_e32 v135, 8, v49
	s_waitcnt lgkmcnt(0)
	v_cndmask_b32_e64 v66, 0, 1, vcc
	v_lshlrev_b32_e32 v66, 3, v66
	v_add_lshl_u32 v134, v66, v51, 2
	ds_bpermute_b32 v66, v134, v52
	v_cmp_le_u32_e32 vcc, v135, v64
	s_and_saveexec_b64 s[66:67], vcc
	s_cbranch_execz .LBB93_164
; %bb.161:
	v_max_f32_e32 v52, v65, v65
	s_waitcnt lgkmcnt(0)
	v_max_f32_e32 v144, v66, v66
	v_min_f32_e32 v67, v144, v52
	v_cmp_u_f32_e32 vcc, v66, v66
	v_max_f32_e32 v52, v144, v52
	v_cmp_u_f32_e64 s[60:61], v65, v65
	v_cndmask_b32_e32 v67, v67, v66, vcc
	v_cndmask_b32_e32 v52, v52, v66, vcc
	v_cndmask_b32_e64 v67, v67, v65, s[60:61]
	v_cndmask_b32_e64 v52, v52, v65, s[60:61]
	s_movk_i32 s13, 0x1f8
	v_cmp_neq_f32_e32 vcc, v67, v52
	v_cmp_class_f32_e64 s[60:61], v67, s13
	s_or_b64 vcc, vcc, s[60:61]
	s_and_saveexec_b64 s[60:61], vcc
	s_cbranch_execz .LBB93_163
; %bb.162:
	v_sub_f32_e32 v65, v67, v52
	s_mov_b32 s13, 0x3fb8aa3b
	v_mul_f32_e32 v66, 0x3fb8aa3b, v65
	v_fma_f32 v67, v65, s13, -v66
	v_rndne_f32_e32 v144, v66
	v_fmamk_f32 v67, v65, 0x32a5705f, v67
	v_sub_f32_e32 v66, v66, v144
	v_add_f32_e32 v66, v66, v67
	v_exp_f32_e32 v66, v66
	v_cvt_i32_f32_e32 v67, v144
	s_mov_b32 s13, 0xc2ce8ed0
	v_cmp_ngt_f32_e32 vcc, s13, v65
	s_mov_b32 s13, 0x42b17218
	v_ldexp_f32 v66, v66, v67
	v_cndmask_b32_e32 v66, 0, v66, vcc
	v_mov_b32_e32 v67, 0x7f800000
	v_cmp_nlt_f32_e32 vcc, s13, v65
	s_mov_b32 s13, 0x3f2aaaab
	s_mov_b32 s68, 0x7f800000
	v_cndmask_b32_e32 v166, v67, v66, vcc
	v_add_f32_e32 v65, 1.0, v166
	v_add_f32_e32 v66, -1.0, v65
	v_sub_f32_e32 v67, v66, v65
	v_add_f32_e32 v67, 1.0, v67
	v_sub_f32_e32 v66, v166, v66
	v_add_f32_e32 v144, v66, v67
	v_frexp_mant_f32_e32 v145, v65
	v_cvt_f64_f32_e32 v[66:67], v65
	v_frexp_exp_i32_f64_e32 v66, v[66:67]
	v_cmp_gt_f32_e32 vcc, s13, v145
	s_mov_b32 s13, 0x3f317218
	s_nop 0
	v_subbrev_co_u32_e32 v150, vcc, 0, v66, vcc
	v_sub_u32_e32 v66, 0, v150
	v_ldexp_f32 v65, v65, v66
	v_ldexp_f32 v66, v144, v66
	v_add_f32_e32 v144, -1.0, v65
	v_add_f32_e32 v67, 1.0, v144
	v_sub_f32_e32 v67, v65, v67
	v_add_f32_e32 v145, v66, v67
	v_add_f32_e32 v67, 1.0, v65
	v_add_f32_e32 v146, -1.0, v67
	v_sub_f32_e32 v65, v65, v146
	v_add_f32_e32 v65, v66, v65
	v_add_f32_e32 v151, v67, v65
	v_rcp_f32_e32 v160, v151
	v_sub_f32_e32 v66, v67, v151
	v_add_f32_e32 v67, v144, v145
	v_add_f32_e32 v65, v65, v66
	v_mul_f32_e32 v162, v67, v160
	v_sub_f32_e32 v66, v144, v67
	v_mul_f32_e32 v144, v151, v162
	v_fma_f32 v146, v162, v151, -v144
	v_fmac_f32_e32 v146, v162, v65
	v_add_f32_e32 v161, v145, v66
	v_add_f32_e32 v66, v144, v146
	v_sub_f32_e32 v145, v67, v66
	v_pk_add_f32 v[148:149], v[66:67], v[144:145] neg_lo:[0,1] neg_hi:[0,1]
	v_mov_b32_e32 v147, v66
	v_pk_add_f32 v[66:67], v[148:149], v[146:147] neg_lo:[0,1] neg_hi:[0,1]
	v_cmp_eq_f32_e32 vcc, s68, v166
	v_add_f32_e32 v67, v161, v67
	v_add_f32_e32 v66, v66, v67
	;; [unrolled: 1-line block ×3, first 2 shown]
	v_mul_f32_e32 v161, v160, v67
	v_mul_f32_e32 v144, v151, v161
	v_fma_f32 v146, v161, v151, -v144
	v_fmac_f32_e32 v146, v161, v65
	v_sub_f32_e32 v65, v145, v67
	v_add_f32_e32 v65, v66, v65
	v_add_f32_e32 v66, v144, v146
	v_sub_f32_e32 v145, v67, v66
	v_pk_add_f32 v[148:149], v[66:67], v[144:145] neg_lo:[0,1] neg_hi:[0,1]
	v_mov_b32_e32 v147, v66
	v_pk_add_f32 v[66:67], v[148:149], v[146:147] neg_lo:[0,1] neg_hi:[0,1]
	v_cvt_f32_i32_e32 v144, v150
	v_add_f32_e32 v65, v65, v67
	v_add_f32_e32 v65, v66, v65
	;; [unrolled: 1-line block ×4, first 2 shown]
	v_sub_f32_e32 v67, v66, v162
	v_mul_f32_e32 v65, v160, v65
	v_sub_f32_e32 v67, v161, v67
	v_add_f32_e32 v65, v67, v65
	v_add_f32_e32 v145, v66, v65
	v_mul_f32_e32 v146, v145, v145
	v_mov_b32_e32 v67, 0x3ecc95a3
	v_fmac_f32_e32 v67, 0x3e9b6dac, v146
	v_sub_f32_e32 v66, v145, v66
	v_fmaak_f32 v67, v146, v67, 0x3f2aaada
	v_sub_f32_e32 v65, v65, v66
	v_ldexp_f32 v147, v145, 1
	v_mul_f32_e32 v145, v145, v146
	v_mov_b32_e32 v66, 0x3f317218
	v_pk_mul_f32 v[66:67], v[144:145], v[66:67]
	v_ldexp_f32 v65, v65, 1
	v_fma_f32 v145, v144, s13, -v66
	v_fmamk_f32 v146, v144, 0xb102e308, v145
	v_pk_add_f32 v[144:145], v[66:67], v[146:147]
	v_mov_b32_e32 v148, v66
	v_sub_f32_e32 v147, v145, v147
	v_sub_f32_e32 v147, v67, v147
	v_add_f32_e32 v149, v65, v147
	v_pk_add_f32 v[66:67], v[144:145], v[66:67] neg_lo:[0,1] neg_hi:[0,1]
	v_pk_add_f32 v[150:151], v[144:145], v[148:149]
	v_mov_b32_e32 v147, v144
	v_mov_b32_e32 v67, v151
	v_pk_add_f32 v[160:161], v[146:147], v[66:67] neg_lo:[0,1] neg_hi:[0,1]
	v_pk_add_f32 v[66:67], v[146:147], v[66:67]
	v_mov_b32_e32 v148, v149
	v_mov_b32_e32 v146, v67
	v_pk_add_f32 v[162:163], v[146:147], v[144:145] neg_lo:[0,1] neg_hi:[0,1]
	v_mov_b32_e32 v66, v151
	v_mov_b32_e32 v65, v162
	v_pk_add_f32 v[164:165], v[150:151], v[64:65] neg_lo:[0,1] neg_hi:[0,1]
	v_mov_b32_e32 v150, v145
	v_mov_b32_e32 v151, v162
	;; [unrolled: 1-line block ×3, first 2 shown]
	v_pk_add_f32 v[66:67], v[66:67], v[150:151] neg_lo:[0,1] neg_hi:[0,1]
	v_mov_b32_e32 v149, v144
	v_pk_add_f32 v[66:67], v[148:149], v[66:67] neg_lo:[0,1] neg_hi:[0,1]
	v_mov_b32_e32 v164, v160
	v_pk_add_f32 v[144:145], v[164:165], v[66:67]
	s_mov_b32 s13, 0x33800000
	v_mov_b32_e32 v148, v145
	v_pk_add_f32 v[148:149], v[144:145], v[148:149]
	v_cmp_lt_f32_e64 s[68:69], |v166|, s13
	v_pk_add_f32 v[146:147], v[146:147], v[148:149]
	v_mov_b32_e32 v67, v148
	v_mov_b32_e32 v145, v146
	v_pk_add_f32 v[150:151], v[144:145], v[160:161] neg_lo:[0,1] neg_hi:[0,1]
	s_or_b64 vcc, vcc, s[68:69]
	v_sub_f32_e32 v65, v144, v150
	v_pk_add_f32 v[66:67], v[66:67], v[150:151] neg_lo:[0,1] neg_hi:[0,1]
	v_sub_f32_e32 v65, v160, v65
	v_add_f32_e32 v65, v66, v65
	v_add_f32_e32 v65, v65, v67
	;; [unrolled: 1-line block ×3, first 2 shown]
	v_cndmask_b32_e32 v65, v65, v166, vcc
	v_add_f32_e32 v66, v52, v65
.LBB93_163:
	s_or_b64 exec, exec, s[60:61]
	v_mov_b32_e32 v52, v66
	v_mov_b32_e32 v65, v66
.LBB93_164:
	s_or_b64 exec, exec, s[66:67]
	v_cmp_gt_u32_e32 vcc, 48, v49
	v_add_u32_e32 v145, 16, v49
	s_waitcnt lgkmcnt(0)
	v_cndmask_b32_e64 v66, 0, 1, vcc
	v_lshlrev_b32_e32 v66, 4, v66
	v_add_lshl_u32 v144, v66, v51, 2
	ds_bpermute_b32 v66, v144, v52
	v_cmp_le_u32_e32 vcc, v145, v64
	s_and_saveexec_b64 s[66:67], vcc
	s_cbranch_execz .LBB93_168
; %bb.165:
	v_max_f32_e32 v52, v65, v65
	s_waitcnt lgkmcnt(0)
	v_max_f32_e32 v146, v66, v66
	v_min_f32_e32 v67, v146, v52
	v_cmp_u_f32_e32 vcc, v66, v66
	v_max_f32_e32 v52, v146, v52
	v_cmp_u_f32_e64 s[60:61], v65, v65
	v_cndmask_b32_e32 v67, v67, v66, vcc
	v_cndmask_b32_e32 v52, v52, v66, vcc
	v_cndmask_b32_e64 v67, v67, v65, s[60:61]
	v_cndmask_b32_e64 v52, v52, v65, s[60:61]
	s_movk_i32 s13, 0x1f8
	v_cmp_neq_f32_e32 vcc, v67, v52
	v_cmp_class_f32_e64 s[60:61], v67, s13
	s_or_b64 vcc, vcc, s[60:61]
	s_and_saveexec_b64 s[60:61], vcc
	s_cbranch_execz .LBB93_167
; %bb.166:
	v_sub_f32_e32 v65, v67, v52
	s_mov_b32 s13, 0x3fb8aa3b
	v_mul_f32_e32 v66, 0x3fb8aa3b, v65
	v_fma_f32 v67, v65, s13, -v66
	v_rndne_f32_e32 v146, v66
	v_fmamk_f32 v67, v65, 0x32a5705f, v67
	v_sub_f32_e32 v66, v66, v146
	v_add_f32_e32 v66, v66, v67
	v_exp_f32_e32 v66, v66
	v_cvt_i32_f32_e32 v67, v146
	s_mov_b32 s13, 0xc2ce8ed0
	v_cmp_ngt_f32_e32 vcc, s13, v65
	s_mov_b32 s13, 0x42b17218
	v_ldexp_f32 v66, v66, v67
	v_cndmask_b32_e32 v66, 0, v66, vcc
	v_mov_b32_e32 v67, 0x7f800000
	v_cmp_nlt_f32_e32 vcc, s13, v65
	s_mov_b32 s13, 0x3f2aaaab
	s_mov_b32 s68, 0x7f800000
	v_cndmask_b32_e32 v176, v67, v66, vcc
	v_add_f32_e32 v65, 1.0, v176
	v_add_f32_e32 v66, -1.0, v65
	v_sub_f32_e32 v67, v66, v65
	v_add_f32_e32 v67, 1.0, v67
	v_sub_f32_e32 v66, v176, v66
	v_add_f32_e32 v146, v66, v67
	v_frexp_mant_f32_e32 v147, v65
	v_cvt_f64_f32_e32 v[66:67], v65
	v_frexp_exp_i32_f64_e32 v66, v[66:67]
	v_cmp_gt_f32_e32 vcc, s13, v147
	s_mov_b32 s13, 0x3f317218
	s_nop 0
	v_subbrev_co_u32_e32 v160, vcc, 0, v66, vcc
	v_sub_u32_e32 v66, 0, v160
	v_ldexp_f32 v65, v65, v66
	v_ldexp_f32 v66, v146, v66
	v_add_f32_e32 v146, -1.0, v65
	v_add_f32_e32 v67, 1.0, v146
	v_sub_f32_e32 v67, v65, v67
	v_add_f32_e32 v147, v66, v67
	v_add_f32_e32 v67, 1.0, v65
	v_add_f32_e32 v148, -1.0, v67
	v_sub_f32_e32 v65, v65, v148
	v_add_f32_e32 v65, v66, v65
	v_add_f32_e32 v161, v67, v65
	v_rcp_f32_e32 v162, v161
	v_sub_f32_e32 v66, v67, v161
	v_add_f32_e32 v67, v146, v147
	v_add_f32_e32 v65, v65, v66
	v_mul_f32_e32 v164, v67, v162
	v_sub_f32_e32 v66, v146, v67
	v_mul_f32_e32 v146, v161, v164
	v_fma_f32 v148, v164, v161, -v146
	v_fmac_f32_e32 v148, v164, v65
	v_add_f32_e32 v163, v147, v66
	v_add_f32_e32 v66, v146, v148
	v_sub_f32_e32 v147, v67, v66
	v_pk_add_f32 v[150:151], v[66:67], v[146:147] neg_lo:[0,1] neg_hi:[0,1]
	v_mov_b32_e32 v149, v66
	v_pk_add_f32 v[66:67], v[150:151], v[148:149] neg_lo:[0,1] neg_hi:[0,1]
	v_cmp_eq_f32_e32 vcc, s68, v176
	v_add_f32_e32 v67, v163, v67
	v_add_f32_e32 v66, v66, v67
	v_add_f32_e32 v67, v147, v66
	v_mul_f32_e32 v163, v162, v67
	v_mul_f32_e32 v146, v161, v163
	v_fma_f32 v148, v163, v161, -v146
	v_fmac_f32_e32 v148, v163, v65
	v_sub_f32_e32 v65, v147, v67
	v_add_f32_e32 v65, v66, v65
	v_add_f32_e32 v66, v146, v148
	v_sub_f32_e32 v147, v67, v66
	v_pk_add_f32 v[150:151], v[66:67], v[146:147] neg_lo:[0,1] neg_hi:[0,1]
	v_mov_b32_e32 v149, v66
	v_pk_add_f32 v[66:67], v[150:151], v[148:149] neg_lo:[0,1] neg_hi:[0,1]
	v_cvt_f32_i32_e32 v146, v160
	v_add_f32_e32 v65, v65, v67
	v_add_f32_e32 v65, v66, v65
	;; [unrolled: 1-line block ×4, first 2 shown]
	v_sub_f32_e32 v67, v66, v164
	v_mul_f32_e32 v65, v162, v65
	v_sub_f32_e32 v67, v163, v67
	v_add_f32_e32 v65, v67, v65
	v_add_f32_e32 v147, v66, v65
	v_mul_f32_e32 v148, v147, v147
	v_mov_b32_e32 v67, 0x3ecc95a3
	v_fmac_f32_e32 v67, 0x3e9b6dac, v148
	v_sub_f32_e32 v66, v147, v66
	v_fmaak_f32 v67, v148, v67, 0x3f2aaada
	v_sub_f32_e32 v65, v65, v66
	v_ldexp_f32 v149, v147, 1
	v_mul_f32_e32 v147, v147, v148
	v_mov_b32_e32 v66, 0x3f317218
	v_pk_mul_f32 v[66:67], v[146:147], v[66:67]
	v_ldexp_f32 v65, v65, 1
	v_fma_f32 v147, v146, s13, -v66
	v_fmamk_f32 v148, v146, 0xb102e308, v147
	v_pk_add_f32 v[146:147], v[66:67], v[148:149]
	v_mov_b32_e32 v150, v66
	v_sub_f32_e32 v149, v147, v149
	v_sub_f32_e32 v149, v67, v149
	v_add_f32_e32 v151, v65, v149
	v_pk_add_f32 v[66:67], v[146:147], v[66:67] neg_lo:[0,1] neg_hi:[0,1]
	v_pk_add_f32 v[160:161], v[146:147], v[150:151]
	v_mov_b32_e32 v149, v146
	v_mov_b32_e32 v67, v161
	v_pk_add_f32 v[162:163], v[148:149], v[66:67] neg_lo:[0,1] neg_hi:[0,1]
	v_pk_add_f32 v[66:67], v[148:149], v[66:67]
	v_mov_b32_e32 v150, v151
	v_mov_b32_e32 v148, v67
	v_pk_add_f32 v[164:165], v[148:149], v[146:147] neg_lo:[0,1] neg_hi:[0,1]
	v_mov_b32_e32 v66, v161
	v_mov_b32_e32 v65, v164
	v_pk_add_f32 v[166:167], v[160:161], v[64:65] neg_lo:[0,1] neg_hi:[0,1]
	v_mov_b32_e32 v160, v147
	v_mov_b32_e32 v161, v164
	;; [unrolled: 1-line block ×3, first 2 shown]
	v_pk_add_f32 v[66:67], v[66:67], v[160:161] neg_lo:[0,1] neg_hi:[0,1]
	v_mov_b32_e32 v151, v146
	v_pk_add_f32 v[66:67], v[150:151], v[66:67] neg_lo:[0,1] neg_hi:[0,1]
	v_mov_b32_e32 v166, v162
	v_pk_add_f32 v[146:147], v[166:167], v[66:67]
	s_mov_b32 s13, 0x33800000
	v_mov_b32_e32 v150, v147
	v_pk_add_f32 v[150:151], v[146:147], v[150:151]
	v_cmp_lt_f32_e64 s[68:69], |v176|, s13
	v_pk_add_f32 v[148:149], v[148:149], v[150:151]
	v_mov_b32_e32 v67, v150
	v_mov_b32_e32 v147, v148
	v_pk_add_f32 v[160:161], v[146:147], v[162:163] neg_lo:[0,1] neg_hi:[0,1]
	s_or_b64 vcc, vcc, s[68:69]
	v_sub_f32_e32 v65, v146, v160
	v_pk_add_f32 v[66:67], v[66:67], v[160:161] neg_lo:[0,1] neg_hi:[0,1]
	v_sub_f32_e32 v65, v162, v65
	v_add_f32_e32 v65, v66, v65
	v_add_f32_e32 v65, v65, v67
	;; [unrolled: 1-line block ×3, first 2 shown]
	v_cndmask_b32_e32 v65, v65, v176, vcc
	v_add_f32_e32 v66, v52, v65
.LBB93_167:
	s_or_b64 exec, exec, s[60:61]
	v_mov_b32_e32 v52, v66
	v_mov_b32_e32 v65, v66
.LBB93_168:
	s_or_b64 exec, exec, s[66:67]
	v_cmp_gt_u32_e32 vcc, 32, v49
	v_add_u32_e32 v147, 32, v49
	s_waitcnt lgkmcnt(0)
	v_cndmask_b32_e64 v66, 0, 1, vcc
	v_lshlrev_b32_e32 v66, 5, v66
	v_add_lshl_u32 v146, v66, v51, 2
	ds_bpermute_b32 v52, v146, v52
	v_cmp_le_u32_e32 vcc, v147, v64
	s_and_saveexec_b64 s[66:67], vcc
	s_cbranch_execz .LBB93_172
; %bb.169:
	v_max_f32_e32 v51, v65, v65
	s_waitcnt lgkmcnt(0)
	v_max_f32_e32 v66, v52, v52
	v_min_f32_e32 v64, v66, v51
	v_cmp_u_f32_e32 vcc, v52, v52
	v_max_f32_e32 v51, v66, v51
	v_cmp_u_f32_e64 s[60:61], v65, v65
	v_cndmask_b32_e32 v64, v64, v52, vcc
	v_cndmask_b32_e32 v51, v51, v52, vcc
	v_cndmask_b32_e64 v64, v64, v65, s[60:61]
	v_cndmask_b32_e64 v51, v51, v65, s[60:61]
	s_movk_i32 s13, 0x1f8
	v_cmp_neq_f32_e32 vcc, v64, v51
	v_cmp_class_f32_e64 s[60:61], v64, s13
	s_or_b64 vcc, vcc, s[60:61]
	s_and_saveexec_b64 s[60:61], vcc
	s_cbranch_execz .LBB93_171
; %bb.170:
	v_sub_f32_e32 v52, v64, v51
	s_mov_b32 s13, 0x3fb8aa3b
	v_mul_f32_e32 v64, 0x3fb8aa3b, v52
	v_fma_f32 v65, v52, s13, -v64
	v_rndne_f32_e32 v66, v64
	v_fmamk_f32 v65, v52, 0x32a5705f, v65
	v_sub_f32_e32 v64, v64, v66
	v_add_f32_e32 v64, v64, v65
	v_exp_f32_e32 v64, v64
	v_cvt_i32_f32_e32 v65, v66
	s_mov_b32 s13, 0xc2ce8ed0
	v_cmp_ngt_f32_e32 vcc, s13, v52
	s_mov_b32 s13, 0x42b17218
	v_ldexp_f32 v64, v64, v65
	v_cndmask_b32_e32 v64, 0, v64, vcc
	v_mov_b32_e32 v65, 0x7f800000
	v_cmp_nlt_f32_e32 vcc, s13, v52
	s_mov_b32 s13, 0x3f2aaaab
	s_mov_b32 s68, 0x7f800000
	v_cndmask_b32_e32 v166, v65, v64, vcc
	v_add_f32_e32 v52, 1.0, v166
	v_add_f32_e32 v64, -1.0, v52
	v_sub_f32_e32 v65, v64, v52
	v_add_f32_e32 v65, 1.0, v65
	v_sub_f32_e32 v64, v166, v64
	v_add_f32_e32 v66, v64, v65
	v_frexp_mant_f32_e32 v67, v52
	v_cvt_f64_f32_e32 v[64:65], v52
	v_frexp_exp_i32_f64_e32 v64, v[64:65]
	v_cmp_gt_f32_e32 vcc, s13, v67
	s_mov_b32 s13, 0x3f317218
	s_nop 0
	v_subbrev_co_u32_e32 v160, vcc, 0, v64, vcc
	v_sub_u32_e32 v64, 0, v160
	v_ldexp_f32 v52, v52, v64
	v_ldexp_f32 v64, v66, v64
	v_add_f32_e32 v66, -1.0, v52
	v_add_f32_e32 v65, 1.0, v66
	v_sub_f32_e32 v65, v52, v65
	v_add_f32_e32 v67, v64, v65
	v_add_f32_e32 v65, 1.0, v52
	v_add_f32_e32 v148, -1.0, v65
	v_sub_f32_e32 v52, v52, v148
	v_add_f32_e32 v52, v64, v52
	v_add_f32_e32 v161, v65, v52
	v_rcp_f32_e32 v162, v161
	v_sub_f32_e32 v64, v65, v161
	v_add_f32_e32 v65, v66, v67
	v_add_f32_e32 v52, v52, v64
	v_mul_f32_e32 v164, v65, v162
	v_sub_f32_e32 v64, v66, v65
	v_mul_f32_e32 v66, v161, v164
	v_fma_f32 v148, v164, v161, -v66
	v_fmac_f32_e32 v148, v164, v52
	v_add_f32_e32 v163, v67, v64
	v_add_f32_e32 v64, v66, v148
	v_sub_f32_e32 v67, v65, v64
	v_pk_add_f32 v[150:151], v[64:65], v[66:67] neg_lo:[0,1] neg_hi:[0,1]
	v_mov_b32_e32 v149, v64
	v_pk_add_f32 v[64:65], v[150:151], v[148:149] neg_lo:[0,1] neg_hi:[0,1]
	v_cmp_eq_f32_e32 vcc, s68, v166
	v_add_f32_e32 v65, v163, v65
	v_add_f32_e32 v64, v64, v65
	;; [unrolled: 1-line block ×3, first 2 shown]
	v_mul_f32_e32 v163, v162, v65
	v_mul_f32_e32 v66, v161, v163
	v_fma_f32 v148, v163, v161, -v66
	v_fmac_f32_e32 v148, v163, v52
	v_sub_f32_e32 v52, v67, v65
	v_add_f32_e32 v52, v64, v52
	v_add_f32_e32 v64, v66, v148
	v_sub_f32_e32 v67, v65, v64
	v_pk_add_f32 v[150:151], v[64:65], v[66:67] neg_lo:[0,1] neg_hi:[0,1]
	v_mov_b32_e32 v149, v64
	v_pk_add_f32 v[64:65], v[150:151], v[148:149] neg_lo:[0,1] neg_hi:[0,1]
	v_cvt_f32_i32_e32 v66, v160
	v_add_f32_e32 v52, v52, v65
	v_add_f32_e32 v52, v64, v52
	;; [unrolled: 1-line block ×4, first 2 shown]
	v_sub_f32_e32 v65, v64, v164
	v_mul_f32_e32 v52, v162, v52
	v_sub_f32_e32 v65, v163, v65
	v_add_f32_e32 v52, v65, v52
	v_add_f32_e32 v67, v64, v52
	v_mul_f32_e32 v148, v67, v67
	v_mov_b32_e32 v65, 0x3ecc95a3
	v_fmac_f32_e32 v65, 0x3e9b6dac, v148
	v_sub_f32_e32 v64, v67, v64
	v_fmaak_f32 v65, v148, v65, 0x3f2aaada
	v_sub_f32_e32 v52, v52, v64
	v_ldexp_f32 v149, v67, 1
	v_mul_f32_e32 v67, v67, v148
	v_mov_b32_e32 v64, 0x3f317218
	v_pk_mul_f32 v[64:65], v[66:67], v[64:65]
	v_ldexp_f32 v52, v52, 1
	v_fma_f32 v67, v66, s13, -v64
	v_fmamk_f32 v148, v66, 0xb102e308, v67
	v_pk_add_f32 v[66:67], v[64:65], v[148:149]
	v_mov_b32_e32 v150, v64
	v_sub_f32_e32 v149, v67, v149
	v_sub_f32_e32 v149, v65, v149
	v_add_f32_e32 v151, v52, v149
	v_pk_add_f32 v[64:65], v[66:67], v[64:65] neg_lo:[0,1] neg_hi:[0,1]
	v_pk_add_f32 v[160:161], v[66:67], v[150:151]
	v_mov_b32_e32 v149, v66
	v_mov_b32_e32 v65, v161
	v_pk_add_f32 v[162:163], v[148:149], v[64:65] neg_lo:[0,1] neg_hi:[0,1]
	v_pk_add_f32 v[64:65], v[148:149], v[64:65]
	s_mov_b32 s13, 0x33800000
	v_mov_b32_e32 v52, v65
	v_pk_add_f32 v[148:149], v[52:53], v[66:67] neg_lo:[0,1] neg_hi:[0,1]
	v_mov_b32_e32 v64, v161
	v_mov_b32_e32 v149, v148
	v_pk_add_f32 v[164:165], v[160:161], v[148:149] neg_lo:[0,1] neg_hi:[0,1]
	v_mov_b32_e32 v160, v67
	v_mov_b32_e32 v161, v148
	;; [unrolled: 1-line block ×3, first 2 shown]
	v_pk_add_f32 v[64:65], v[64:65], v[160:161] neg_lo:[0,1] neg_hi:[0,1]
	v_mov_b32_e32 v148, v151
	v_mov_b32_e32 v149, v66
	v_pk_add_f32 v[64:65], v[148:149], v[64:65] neg_lo:[0,1] neg_hi:[0,1]
	v_mov_b32_e32 v164, v162
	v_pk_add_f32 v[66:67], v[164:165], v[64:65]
	v_cmp_lt_f32_e64 s[68:69], |v166|, s13
	v_mov_b32_e32 v148, v67
	v_pk_add_f32 v[148:149], v[66:67], v[148:149]
	s_or_b64 vcc, vcc, s[68:69]
	v_pk_add_f32 v[150:151], v[52:53], v[148:149]
	v_mov_b32_e32 v65, v148
	v_mov_b32_e32 v67, v150
	v_pk_add_f32 v[160:161], v[66:67], v[162:163] neg_lo:[0,1] neg_hi:[0,1]
	s_nop 0
	v_sub_f32_e32 v52, v66, v160
	v_pk_add_f32 v[64:65], v[64:65], v[160:161] neg_lo:[0,1] neg_hi:[0,1]
	v_sub_f32_e32 v52, v162, v52
	v_add_f32_e32 v52, v64, v52
	v_add_f32_e32 v52, v52, v65
	;; [unrolled: 1-line block ×3, first 2 shown]
	v_cndmask_b32_e32 v52, v52, v166, vcc
	v_add_f32_e32 v52, v51, v52
.LBB93_171:
	s_or_b64 exec, exec, s[60:61]
	v_mov_b32_e32 v65, v52
.LBB93_172:
	s_or_b64 exec, exec, s[66:67]
	v_mov_b32_e32 v51, 0
	s_movk_i32 s13, 0x1f8
	s_mov_b32 s68, 0x3fb8aa3b
	s_mov_b32 s69, 0xc2ce8ed0
	;; [unrolled: 1-line block ×5, first 2 shown]
	v_mov_b32_e32 v149, 0x3ecc95a3
	s_mov_b32 s73, 0x3f317218
	s_mov_b32 s74, 0x33800000
	v_mov_b32_e32 v150, 2
	v_mov_b32_e32 v151, 0x7f800000
	;; [unrolled: 1-line block ×3, first 2 shown]
                                        ; implicit-def: $vgpr52
	s_branch .LBB93_174
.LBB93_173:                             ;   in Loop: Header=BB93_174 Depth=1
	s_or_b64 exec, exec, s[60:61]
	v_subrev_u32_e32 v50, 64, v50
.LBB93_174:                             ; =>This Loop Header: Depth=1
                                        ;     Child Loop BB93_177 Depth 2
	v_cmp_ne_u16_sdwa vcc, v53, v150 src0_sel:BYTE_0 src1_sel:DWORD
	v_mov_b32_e32 v148, v65
	s_waitcnt lgkmcnt(0)
	v_cndmask_b32_e64 v52, 0, 1, vcc
	;;#ASMSTART
	;;#ASMEND
	s_nop 0
	v_cmp_ne_u32_e32 vcc, 0, v52
	s_cmp_lg_u64 vcc, exec
	s_cbranch_scc1 .LBB93_205
; %bb.175:                              ;   in Loop: Header=BB93_174 Depth=1
	v_lshl_add_u64 v[66:67], v[50:51], 3, v[96:97]
	flat_load_dwordx2 v[52:53], v[66:67] sc1
	s_waitcnt vmcnt(0) lgkmcnt(0)
	v_cmp_eq_u16_sdwa s[60:61], v53, v51 src0_sel:BYTE_0 src1_sel:DWORD
	s_and_saveexec_b64 vcc, s[60:61]
	s_cbranch_execz .LBB93_179
; %bb.176:                              ;   in Loop: Header=BB93_174 Depth=1
	s_mov_b64 s[60:61], 0
.LBB93_177:                             ;   Parent Loop BB93_174 Depth=1
                                        ; =>  This Inner Loop Header: Depth=2
	flat_load_dwordx2 v[52:53], v[66:67] sc1
	s_waitcnt vmcnt(0) lgkmcnt(0)
	v_cmp_ne_u16_sdwa s[66:67], v53, v51 src0_sel:BYTE_0 src1_sel:DWORD
	s_or_b64 s[60:61], s[66:67], s[60:61]
	s_andn2_b64 exec, exec, s[60:61]
	s_cbranch_execnz .LBB93_177
; %bb.178:                              ;   in Loop: Header=BB93_174 Depth=1
	s_or_b64 exec, exec, s[60:61]
.LBB93_179:                             ;   in Loop: Header=BB93_174 Depth=1
	s_or_b64 exec, exec, vcc
	v_cmp_eq_u16_sdwa vcc, v53, v150 src0_sel:BYTE_0 src1_sel:DWORD
	ds_bpermute_b32 v67, v129, v52
	s_nop 0
	v_and_b32_e32 v65, vcc_hi, v55
	v_or_b32_e32 v65, 0x80000000, v65
	v_and_b32_e32 v66, vcc_lo, v54
	v_ffbl_b32_e32 v65, v65
	v_add_u32_e32 v65, 32, v65
	v_ffbl_b32_e32 v66, v66
	v_min_u32_e32 v66, v66, v65
	v_cmp_lt_u32_e32 vcc, v49, v66
	v_mov_b32_e32 v65, v52
	s_and_saveexec_b64 s[66:67], vcc
	s_cbranch_execz .LBB93_183
; %bb.180:                              ;   in Loop: Header=BB93_174 Depth=1
	v_max_f32_e32 v160, v52, v52
	s_waitcnt lgkmcnt(0)
	v_max_f32_e32 v161, v67, v67
	v_min_f32_e32 v65, v161, v160
	v_cmp_u_f32_e32 vcc, v67, v67
	v_max_f32_e32 v160, v161, v160
	v_cmp_u_f32_e64 s[60:61], v52, v52
	v_cndmask_b32_e32 v65, v65, v67, vcc
	v_cndmask_b32_e32 v160, v160, v67, vcc
	v_cndmask_b32_e64 v65, v65, v52, s[60:61]
	v_cndmask_b32_e64 v52, v160, v52, s[60:61]
	v_cmp_neq_f32_e32 vcc, v65, v52
	v_cmp_class_f32_e64 s[60:61], v65, s13
	s_or_b64 vcc, vcc, s[60:61]
	s_and_saveexec_b64 s[60:61], vcc
	s_cbranch_execz .LBB93_182
; %bb.181:                              ;   in Loop: Header=BB93_174 Depth=1
	v_sub_f32_e32 v65, v65, v52
	v_mul_f32_e32 v67, 0x3fb8aa3b, v65
	v_fma_f32 v160, v65, s68, -v67
	v_rndne_f32_e32 v161, v67
	v_fmac_f32_e32 v160, 0x32a5705f, v65
	v_sub_f32_e32 v67, v67, v161
	v_add_f32_e32 v67, v67, v160
	v_cvt_i32_f32_e32 v160, v161
	v_exp_f32_e32 v67, v67
	v_cmp_ngt_f32_e32 vcc, s69, v65
	v_ldexp_f32 v67, v67, v160
	s_nop 0
	v_cndmask_b32_e32 v67, 0, v67, vcc
	v_cmp_nlt_f32_e32 vcc, s70, v65
	s_nop 1
	v_cndmask_b32_e32 v67, v151, v67, vcc
	v_add_f32_e32 v65, 1.0, v67
	v_add_f32_e32 v160, -1.0, v65
	v_sub_f32_e32 v161, v160, v65
	v_add_f32_e32 v161, 1.0, v161
	v_sub_f32_e32 v160, v67, v160
	v_add_f32_e32 v162, v160, v161
	v_frexp_mant_f32_e32 v163, v65
	v_cvt_f64_f32_e32 v[160:161], v65
	v_frexp_exp_i32_f64_e32 v160, v[160:161]
	v_cmp_gt_f32_e32 vcc, s72, v163
	v_cmp_lt_f32_e64 s[76:77], |v67|, s74
	s_nop 0
	v_subbrev_co_u32_e32 v176, vcc, 0, v160, vcc
	v_sub_u32_e32 v160, 0, v176
	v_ldexp_f32 v65, v65, v160
	v_ldexp_f32 v160, v162, v160
	v_add_f32_e32 v162, -1.0, v65
	v_add_f32_e32 v161, 1.0, v162
	v_sub_f32_e32 v161, v65, v161
	v_add_f32_e32 v163, v160, v161
	v_add_f32_e32 v161, 1.0, v65
	v_add_f32_e32 v164, -1.0, v161
	v_sub_f32_e32 v65, v65, v164
	v_add_f32_e32 v65, v160, v65
	v_add_f32_e32 v177, v161, v65
	v_rcp_f32_e32 v178, v177
	v_sub_f32_e32 v160, v161, v177
	v_add_f32_e32 v161, v162, v163
	v_add_f32_e32 v65, v65, v160
	v_mul_f32_e32 v180, v161, v178
	v_sub_f32_e32 v160, v162, v161
	v_mul_f32_e32 v162, v177, v180
	v_fma_f32 v164, v180, v177, -v162
	v_fmac_f32_e32 v164, v180, v65
	v_add_f32_e32 v179, v163, v160
	v_add_f32_e32 v160, v162, v164
	v_sub_f32_e32 v163, v161, v160
	v_pk_add_f32 v[166:167], v[160:161], v[162:163] neg_lo:[0,1] neg_hi:[0,1]
	v_mov_b32_e32 v165, v160
	v_pk_add_f32 v[160:161], v[166:167], v[164:165] neg_lo:[0,1] neg_hi:[0,1]
	v_cmp_eq_f32_e32 vcc, s71, v67
	v_add_f32_e32 v161, v179, v161
	v_add_f32_e32 v160, v160, v161
	v_add_f32_e32 v161, v163, v160
	v_mul_f32_e32 v179, v178, v161
	v_mul_f32_e32 v162, v177, v179
	v_fma_f32 v164, v179, v177, -v162
	v_fmac_f32_e32 v164, v179, v65
	v_sub_f32_e32 v65, v163, v161
	v_add_f32_e32 v65, v160, v65
	v_add_f32_e32 v160, v162, v164
	v_sub_f32_e32 v163, v161, v160
	v_pk_add_f32 v[166:167], v[160:161], v[162:163] neg_lo:[0,1] neg_hi:[0,1]
	v_mov_b32_e32 v165, v160
	v_pk_add_f32 v[160:161], v[166:167], v[164:165] neg_lo:[0,1] neg_hi:[0,1]
	s_or_b64 vcc, vcc, s[76:77]
	v_add_f32_e32 v65, v65, v161
	v_add_f32_e32 v65, v160, v65
	;; [unrolled: 1-line block ×4, first 2 shown]
	v_sub_f32_e32 v160, v161, v180
	v_mul_f32_e32 v65, v178, v65
	v_sub_f32_e32 v160, v179, v160
	v_add_f32_e32 v162, v160, v65
	v_add_f32_e32 v164, v161, v162
	v_cvt_f32_i32_e32 v160, v176
	v_mul_f32_e32 v165, v164, v164
	v_sub_f32_e32 v161, v164, v161
	v_fmamk_f32 v65, v165, 0x3e9b6dac, v149
	v_sub_f32_e32 v161, v162, v161
	v_fmaak_f32 v65, v165, v65, 0x3f2aaada
	v_ldexp_f32 v166, v161, 1
	v_mul_f32_e32 v161, v164, v165
	v_ldexp_f32 v163, v164, 1
	v_pk_mul_f32 v[164:165], v[160:161], v[64:65]
	s_nop 0
	v_fma_f32 v162, v160, s73, -v164
	v_fmac_f32_e32 v162, 0xb102e308, v160
	v_pk_add_f32 v[160:161], v[164:165], v[162:163]
	s_nop 0
	v_sub_f32_e32 v65, v161, v163
	v_sub_f32_e32 v65, v165, v65
	v_add_f32_e32 v167, v166, v65
	v_mov_b32_e32 v166, v164
	v_pk_add_f32 v[164:165], v[160:161], v[164:165] neg_lo:[0,1] neg_hi:[0,1]
	v_pk_add_f32 v[176:177], v[160:161], v[166:167]
	v_mov_b32_e32 v163, v160
	v_mov_b32_e32 v165, v177
	v_pk_add_f32 v[178:179], v[162:163], v[164:165] neg_lo:[0,1] neg_hi:[0,1]
	v_pk_add_f32 v[162:163], v[162:163], v[164:165]
	v_mov_b32_e32 v166, v167
	v_mov_b32_e32 v164, v163
	v_pk_add_f32 v[180:181], v[164:165], v[160:161] neg_lo:[0,1] neg_hi:[0,1]
	v_mov_b32_e32 v162, v177
	v_mov_b32_e32 v65, v180
	v_pk_add_f32 v[182:183], v[176:177], v[64:65] neg_lo:[0,1] neg_hi:[0,1]
	v_mov_b32_e32 v176, v161
	v_mov_b32_e32 v177, v180
	;; [unrolled: 1-line block ×3, first 2 shown]
	v_pk_add_f32 v[162:163], v[162:163], v[176:177] neg_lo:[0,1] neg_hi:[0,1]
	v_mov_b32_e32 v167, v160
	v_pk_add_f32 v[160:161], v[166:167], v[162:163] neg_lo:[0,1] neg_hi:[0,1]
	v_mov_b32_e32 v182, v178
	v_pk_add_f32 v[162:163], v[182:183], v[160:161]
	s_nop 0
	v_mov_b32_e32 v166, v163
	v_pk_add_f32 v[166:167], v[162:163], v[166:167]
	s_nop 0
	v_pk_add_f32 v[164:165], v[164:165], v[166:167]
	v_mov_b32_e32 v161, v166
	v_mov_b32_e32 v163, v164
	v_pk_add_f32 v[176:177], v[162:163], v[178:179] neg_lo:[0,1] neg_hi:[0,1]
	s_nop 0
	v_sub_f32_e32 v65, v162, v176
	v_pk_add_f32 v[160:161], v[160:161], v[176:177] neg_lo:[0,1] neg_hi:[0,1]
	v_sub_f32_e32 v65, v178, v65
	v_add_f32_e32 v65, v160, v65
	v_add_f32_e32 v65, v65, v161
	;; [unrolled: 1-line block ×3, first 2 shown]
	v_cndmask_b32_e32 v65, v65, v67, vcc
	v_add_f32_e32 v67, v52, v65
.LBB93_182:                             ;   in Loop: Header=BB93_174 Depth=1
	s_or_b64 exec, exec, s[60:61]
	v_mov_b32_e32 v52, v67
	v_mov_b32_e32 v65, v67
.LBB93_183:                             ;   in Loop: Header=BB93_174 Depth=1
	s_or_b64 exec, exec, s[66:67]
	s_waitcnt lgkmcnt(0)
	ds_bpermute_b32 v67, v130, v52
	v_cmp_le_u32_e32 vcc, v131, v66
	s_and_saveexec_b64 s[66:67], vcc
	s_cbranch_execz .LBB93_187
; %bb.184:                              ;   in Loop: Header=BB93_174 Depth=1
	v_max_f32_e32 v52, v65, v65
	s_waitcnt lgkmcnt(0)
	v_max_f32_e32 v161, v67, v67
	v_min_f32_e32 v160, v161, v52
	v_cmp_u_f32_e32 vcc, v67, v67
	v_max_f32_e32 v52, v161, v52
	v_cmp_u_f32_e64 s[60:61], v65, v65
	v_cndmask_b32_e32 v160, v160, v67, vcc
	v_cndmask_b32_e32 v52, v52, v67, vcc
	v_cndmask_b32_e64 v160, v160, v65, s[60:61]
	v_cndmask_b32_e64 v52, v52, v65, s[60:61]
	v_cmp_neq_f32_e32 vcc, v160, v52
	v_cmp_class_f32_e64 s[60:61], v160, s13
	s_or_b64 vcc, vcc, s[60:61]
	s_and_saveexec_b64 s[60:61], vcc
	s_cbranch_execz .LBB93_186
; %bb.185:                              ;   in Loop: Header=BB93_174 Depth=1
	v_sub_f32_e32 v65, v160, v52
	v_mul_f32_e32 v67, 0x3fb8aa3b, v65
	v_fma_f32 v160, v65, s68, -v67
	v_rndne_f32_e32 v161, v67
	v_fmac_f32_e32 v160, 0x32a5705f, v65
	v_sub_f32_e32 v67, v67, v161
	v_add_f32_e32 v67, v67, v160
	v_cvt_i32_f32_e32 v160, v161
	v_exp_f32_e32 v67, v67
	v_cmp_ngt_f32_e32 vcc, s69, v65
	v_ldexp_f32 v67, v67, v160
	s_nop 0
	v_cndmask_b32_e32 v67, 0, v67, vcc
	v_cmp_nlt_f32_e32 vcc, s70, v65
	s_nop 1
	v_cndmask_b32_e32 v67, v151, v67, vcc
	v_add_f32_e32 v65, 1.0, v67
	v_add_f32_e32 v160, -1.0, v65
	v_sub_f32_e32 v161, v160, v65
	v_add_f32_e32 v161, 1.0, v161
	v_sub_f32_e32 v160, v67, v160
	v_add_f32_e32 v162, v160, v161
	v_frexp_mant_f32_e32 v163, v65
	v_cvt_f64_f32_e32 v[160:161], v65
	v_frexp_exp_i32_f64_e32 v160, v[160:161]
	v_cmp_gt_f32_e32 vcc, s72, v163
	v_cmp_lt_f32_e64 s[76:77], |v67|, s74
	s_nop 0
	v_subbrev_co_u32_e32 v176, vcc, 0, v160, vcc
	v_sub_u32_e32 v160, 0, v176
	v_ldexp_f32 v65, v65, v160
	v_ldexp_f32 v160, v162, v160
	v_add_f32_e32 v162, -1.0, v65
	v_add_f32_e32 v161, 1.0, v162
	v_sub_f32_e32 v161, v65, v161
	v_add_f32_e32 v163, v160, v161
	v_add_f32_e32 v161, 1.0, v65
	v_add_f32_e32 v164, -1.0, v161
	v_sub_f32_e32 v65, v65, v164
	v_add_f32_e32 v65, v160, v65
	v_add_f32_e32 v177, v161, v65
	v_rcp_f32_e32 v178, v177
	v_sub_f32_e32 v160, v161, v177
	v_add_f32_e32 v161, v162, v163
	v_add_f32_e32 v65, v65, v160
	v_mul_f32_e32 v180, v161, v178
	v_sub_f32_e32 v160, v162, v161
	v_mul_f32_e32 v162, v177, v180
	v_fma_f32 v164, v180, v177, -v162
	v_fmac_f32_e32 v164, v180, v65
	v_add_f32_e32 v179, v163, v160
	v_add_f32_e32 v160, v162, v164
	v_sub_f32_e32 v163, v161, v160
	v_pk_add_f32 v[166:167], v[160:161], v[162:163] neg_lo:[0,1] neg_hi:[0,1]
	v_mov_b32_e32 v165, v160
	v_pk_add_f32 v[160:161], v[166:167], v[164:165] neg_lo:[0,1] neg_hi:[0,1]
	v_cmp_eq_f32_e32 vcc, s71, v67
	v_add_f32_e32 v161, v179, v161
	v_add_f32_e32 v160, v160, v161
	;; [unrolled: 1-line block ×3, first 2 shown]
	v_mul_f32_e32 v179, v178, v161
	v_mul_f32_e32 v162, v177, v179
	v_fma_f32 v164, v179, v177, -v162
	v_fmac_f32_e32 v164, v179, v65
	v_sub_f32_e32 v65, v163, v161
	v_add_f32_e32 v65, v160, v65
	v_add_f32_e32 v160, v162, v164
	v_sub_f32_e32 v163, v161, v160
	v_pk_add_f32 v[166:167], v[160:161], v[162:163] neg_lo:[0,1] neg_hi:[0,1]
	v_mov_b32_e32 v165, v160
	v_pk_add_f32 v[160:161], v[166:167], v[164:165] neg_lo:[0,1] neg_hi:[0,1]
	s_or_b64 vcc, vcc, s[76:77]
	v_add_f32_e32 v65, v65, v161
	v_add_f32_e32 v65, v160, v65
	;; [unrolled: 1-line block ×4, first 2 shown]
	v_sub_f32_e32 v160, v161, v180
	v_mul_f32_e32 v65, v178, v65
	v_sub_f32_e32 v160, v179, v160
	v_add_f32_e32 v162, v160, v65
	v_add_f32_e32 v164, v161, v162
	v_cvt_f32_i32_e32 v160, v176
	v_mul_f32_e32 v165, v164, v164
	v_sub_f32_e32 v161, v164, v161
	v_fmamk_f32 v65, v165, 0x3e9b6dac, v149
	v_sub_f32_e32 v161, v162, v161
	v_fmaak_f32 v65, v165, v65, 0x3f2aaada
	v_ldexp_f32 v166, v161, 1
	v_mul_f32_e32 v161, v164, v165
	v_ldexp_f32 v163, v164, 1
	v_pk_mul_f32 v[164:165], v[160:161], v[64:65]
	s_nop 0
	v_fma_f32 v162, v160, s73, -v164
	v_fmac_f32_e32 v162, 0xb102e308, v160
	v_pk_add_f32 v[160:161], v[164:165], v[162:163]
	s_nop 0
	v_sub_f32_e32 v65, v161, v163
	v_sub_f32_e32 v65, v165, v65
	v_add_f32_e32 v167, v166, v65
	v_mov_b32_e32 v166, v164
	v_pk_add_f32 v[164:165], v[160:161], v[164:165] neg_lo:[0,1] neg_hi:[0,1]
	v_pk_add_f32 v[176:177], v[160:161], v[166:167]
	v_mov_b32_e32 v163, v160
	v_mov_b32_e32 v165, v177
	v_pk_add_f32 v[178:179], v[162:163], v[164:165] neg_lo:[0,1] neg_hi:[0,1]
	v_pk_add_f32 v[162:163], v[162:163], v[164:165]
	v_mov_b32_e32 v166, v167
	v_mov_b32_e32 v164, v163
	v_pk_add_f32 v[180:181], v[164:165], v[160:161] neg_lo:[0,1] neg_hi:[0,1]
	v_mov_b32_e32 v162, v177
	v_mov_b32_e32 v65, v180
	v_pk_add_f32 v[182:183], v[176:177], v[64:65] neg_lo:[0,1] neg_hi:[0,1]
	v_mov_b32_e32 v176, v161
	v_mov_b32_e32 v177, v180
	;; [unrolled: 1-line block ×3, first 2 shown]
	v_pk_add_f32 v[162:163], v[162:163], v[176:177] neg_lo:[0,1] neg_hi:[0,1]
	v_mov_b32_e32 v167, v160
	v_pk_add_f32 v[160:161], v[166:167], v[162:163] neg_lo:[0,1] neg_hi:[0,1]
	v_mov_b32_e32 v182, v178
	v_pk_add_f32 v[162:163], v[182:183], v[160:161]
	s_nop 0
	v_mov_b32_e32 v166, v163
	v_pk_add_f32 v[166:167], v[162:163], v[166:167]
	s_nop 0
	v_pk_add_f32 v[164:165], v[164:165], v[166:167]
	v_mov_b32_e32 v161, v166
	v_mov_b32_e32 v163, v164
	v_pk_add_f32 v[176:177], v[162:163], v[178:179] neg_lo:[0,1] neg_hi:[0,1]
	s_nop 0
	v_sub_f32_e32 v65, v162, v176
	v_pk_add_f32 v[160:161], v[160:161], v[176:177] neg_lo:[0,1] neg_hi:[0,1]
	v_sub_f32_e32 v65, v178, v65
	v_add_f32_e32 v65, v160, v65
	v_add_f32_e32 v65, v65, v161
	;; [unrolled: 1-line block ×3, first 2 shown]
	v_cndmask_b32_e32 v65, v65, v67, vcc
	v_add_f32_e32 v67, v52, v65
.LBB93_186:                             ;   in Loop: Header=BB93_174 Depth=1
	s_or_b64 exec, exec, s[60:61]
	v_mov_b32_e32 v52, v67
	v_mov_b32_e32 v65, v67
.LBB93_187:                             ;   in Loop: Header=BB93_174 Depth=1
	s_or_b64 exec, exec, s[66:67]
	s_waitcnt lgkmcnt(0)
	ds_bpermute_b32 v67, v132, v52
	v_cmp_le_u32_e32 vcc, v133, v66
	s_and_saveexec_b64 s[66:67], vcc
	s_cbranch_execz .LBB93_191
; %bb.188:                              ;   in Loop: Header=BB93_174 Depth=1
	v_max_f32_e32 v52, v65, v65
	s_waitcnt lgkmcnt(0)
	v_max_f32_e32 v161, v67, v67
	v_min_f32_e32 v160, v161, v52
	v_cmp_u_f32_e32 vcc, v67, v67
	v_max_f32_e32 v52, v161, v52
	v_cmp_u_f32_e64 s[60:61], v65, v65
	v_cndmask_b32_e32 v160, v160, v67, vcc
	v_cndmask_b32_e32 v52, v52, v67, vcc
	v_cndmask_b32_e64 v160, v160, v65, s[60:61]
	v_cndmask_b32_e64 v52, v52, v65, s[60:61]
	v_cmp_neq_f32_e32 vcc, v160, v52
	v_cmp_class_f32_e64 s[60:61], v160, s13
	s_or_b64 vcc, vcc, s[60:61]
	s_and_saveexec_b64 s[60:61], vcc
	s_cbranch_execz .LBB93_190
; %bb.189:                              ;   in Loop: Header=BB93_174 Depth=1
	v_sub_f32_e32 v65, v160, v52
	v_mul_f32_e32 v67, 0x3fb8aa3b, v65
	v_fma_f32 v160, v65, s68, -v67
	v_rndne_f32_e32 v161, v67
	v_fmac_f32_e32 v160, 0x32a5705f, v65
	v_sub_f32_e32 v67, v67, v161
	v_add_f32_e32 v67, v67, v160
	v_cvt_i32_f32_e32 v160, v161
	v_exp_f32_e32 v67, v67
	v_cmp_ngt_f32_e32 vcc, s69, v65
	v_ldexp_f32 v67, v67, v160
	s_nop 0
	v_cndmask_b32_e32 v67, 0, v67, vcc
	v_cmp_nlt_f32_e32 vcc, s70, v65
	s_nop 1
	v_cndmask_b32_e32 v67, v151, v67, vcc
	v_add_f32_e32 v65, 1.0, v67
	v_add_f32_e32 v160, -1.0, v65
	v_sub_f32_e32 v161, v160, v65
	v_add_f32_e32 v161, 1.0, v161
	v_sub_f32_e32 v160, v67, v160
	v_add_f32_e32 v162, v160, v161
	v_frexp_mant_f32_e32 v163, v65
	v_cvt_f64_f32_e32 v[160:161], v65
	v_frexp_exp_i32_f64_e32 v160, v[160:161]
	v_cmp_gt_f32_e32 vcc, s72, v163
	v_cmp_lt_f32_e64 s[76:77], |v67|, s74
	s_nop 0
	v_subbrev_co_u32_e32 v176, vcc, 0, v160, vcc
	v_sub_u32_e32 v160, 0, v176
	v_ldexp_f32 v65, v65, v160
	v_ldexp_f32 v160, v162, v160
	v_add_f32_e32 v162, -1.0, v65
	v_add_f32_e32 v161, 1.0, v162
	v_sub_f32_e32 v161, v65, v161
	v_add_f32_e32 v163, v160, v161
	v_add_f32_e32 v161, 1.0, v65
	v_add_f32_e32 v164, -1.0, v161
	v_sub_f32_e32 v65, v65, v164
	v_add_f32_e32 v65, v160, v65
	v_add_f32_e32 v177, v161, v65
	v_rcp_f32_e32 v178, v177
	v_sub_f32_e32 v160, v161, v177
	v_add_f32_e32 v161, v162, v163
	v_add_f32_e32 v65, v65, v160
	v_mul_f32_e32 v180, v161, v178
	v_sub_f32_e32 v160, v162, v161
	v_mul_f32_e32 v162, v177, v180
	v_fma_f32 v164, v180, v177, -v162
	v_fmac_f32_e32 v164, v180, v65
	v_add_f32_e32 v179, v163, v160
	v_add_f32_e32 v160, v162, v164
	v_sub_f32_e32 v163, v161, v160
	v_pk_add_f32 v[166:167], v[160:161], v[162:163] neg_lo:[0,1] neg_hi:[0,1]
	v_mov_b32_e32 v165, v160
	v_pk_add_f32 v[160:161], v[166:167], v[164:165] neg_lo:[0,1] neg_hi:[0,1]
	v_cmp_eq_f32_e32 vcc, s71, v67
	v_add_f32_e32 v161, v179, v161
	v_add_f32_e32 v160, v160, v161
	;; [unrolled: 1-line block ×3, first 2 shown]
	v_mul_f32_e32 v179, v178, v161
	v_mul_f32_e32 v162, v177, v179
	v_fma_f32 v164, v179, v177, -v162
	v_fmac_f32_e32 v164, v179, v65
	v_sub_f32_e32 v65, v163, v161
	v_add_f32_e32 v65, v160, v65
	v_add_f32_e32 v160, v162, v164
	v_sub_f32_e32 v163, v161, v160
	v_pk_add_f32 v[166:167], v[160:161], v[162:163] neg_lo:[0,1] neg_hi:[0,1]
	v_mov_b32_e32 v165, v160
	v_pk_add_f32 v[160:161], v[166:167], v[164:165] neg_lo:[0,1] neg_hi:[0,1]
	s_or_b64 vcc, vcc, s[76:77]
	v_add_f32_e32 v65, v65, v161
	v_add_f32_e32 v65, v160, v65
	;; [unrolled: 1-line block ×4, first 2 shown]
	v_sub_f32_e32 v160, v161, v180
	v_mul_f32_e32 v65, v178, v65
	v_sub_f32_e32 v160, v179, v160
	v_add_f32_e32 v162, v160, v65
	v_add_f32_e32 v164, v161, v162
	v_cvt_f32_i32_e32 v160, v176
	v_mul_f32_e32 v165, v164, v164
	v_sub_f32_e32 v161, v164, v161
	v_fmamk_f32 v65, v165, 0x3e9b6dac, v149
	v_sub_f32_e32 v161, v162, v161
	v_fmaak_f32 v65, v165, v65, 0x3f2aaada
	v_ldexp_f32 v166, v161, 1
	v_mul_f32_e32 v161, v164, v165
	v_ldexp_f32 v163, v164, 1
	v_pk_mul_f32 v[164:165], v[160:161], v[64:65]
	s_nop 0
	v_fma_f32 v162, v160, s73, -v164
	v_fmac_f32_e32 v162, 0xb102e308, v160
	v_pk_add_f32 v[160:161], v[164:165], v[162:163]
	s_nop 0
	v_sub_f32_e32 v65, v161, v163
	v_sub_f32_e32 v65, v165, v65
	v_add_f32_e32 v167, v166, v65
	v_mov_b32_e32 v166, v164
	v_pk_add_f32 v[164:165], v[160:161], v[164:165] neg_lo:[0,1] neg_hi:[0,1]
	v_pk_add_f32 v[176:177], v[160:161], v[166:167]
	v_mov_b32_e32 v163, v160
	v_mov_b32_e32 v165, v177
	v_pk_add_f32 v[178:179], v[162:163], v[164:165] neg_lo:[0,1] neg_hi:[0,1]
	v_pk_add_f32 v[162:163], v[162:163], v[164:165]
	v_mov_b32_e32 v166, v167
	v_mov_b32_e32 v164, v163
	v_pk_add_f32 v[180:181], v[164:165], v[160:161] neg_lo:[0,1] neg_hi:[0,1]
	v_mov_b32_e32 v162, v177
	v_mov_b32_e32 v65, v180
	v_pk_add_f32 v[182:183], v[176:177], v[64:65] neg_lo:[0,1] neg_hi:[0,1]
	v_mov_b32_e32 v176, v161
	v_mov_b32_e32 v177, v180
	;; [unrolled: 1-line block ×3, first 2 shown]
	v_pk_add_f32 v[162:163], v[162:163], v[176:177] neg_lo:[0,1] neg_hi:[0,1]
	v_mov_b32_e32 v167, v160
	v_pk_add_f32 v[160:161], v[166:167], v[162:163] neg_lo:[0,1] neg_hi:[0,1]
	v_mov_b32_e32 v182, v178
	v_pk_add_f32 v[162:163], v[182:183], v[160:161]
	s_nop 0
	v_mov_b32_e32 v166, v163
	v_pk_add_f32 v[166:167], v[162:163], v[166:167]
	s_nop 0
	v_pk_add_f32 v[164:165], v[164:165], v[166:167]
	v_mov_b32_e32 v161, v166
	v_mov_b32_e32 v163, v164
	v_pk_add_f32 v[176:177], v[162:163], v[178:179] neg_lo:[0,1] neg_hi:[0,1]
	s_nop 0
	v_sub_f32_e32 v65, v162, v176
	v_pk_add_f32 v[160:161], v[160:161], v[176:177] neg_lo:[0,1] neg_hi:[0,1]
	v_sub_f32_e32 v65, v178, v65
	v_add_f32_e32 v65, v160, v65
	v_add_f32_e32 v65, v65, v161
	;; [unrolled: 1-line block ×3, first 2 shown]
	v_cndmask_b32_e32 v65, v65, v67, vcc
	v_add_f32_e32 v67, v52, v65
.LBB93_190:                             ;   in Loop: Header=BB93_174 Depth=1
	s_or_b64 exec, exec, s[60:61]
	v_mov_b32_e32 v52, v67
	v_mov_b32_e32 v65, v67
.LBB93_191:                             ;   in Loop: Header=BB93_174 Depth=1
	s_or_b64 exec, exec, s[66:67]
	s_waitcnt lgkmcnt(0)
	ds_bpermute_b32 v67, v134, v52
	v_cmp_le_u32_e32 vcc, v135, v66
	s_and_saveexec_b64 s[66:67], vcc
	s_cbranch_execz .LBB93_195
; %bb.192:                              ;   in Loop: Header=BB93_174 Depth=1
	v_max_f32_e32 v52, v65, v65
	s_waitcnt lgkmcnt(0)
	v_max_f32_e32 v161, v67, v67
	v_min_f32_e32 v160, v161, v52
	v_cmp_u_f32_e32 vcc, v67, v67
	v_max_f32_e32 v52, v161, v52
	v_cmp_u_f32_e64 s[60:61], v65, v65
	v_cndmask_b32_e32 v160, v160, v67, vcc
	v_cndmask_b32_e32 v52, v52, v67, vcc
	v_cndmask_b32_e64 v160, v160, v65, s[60:61]
	v_cndmask_b32_e64 v52, v52, v65, s[60:61]
	v_cmp_neq_f32_e32 vcc, v160, v52
	v_cmp_class_f32_e64 s[60:61], v160, s13
	s_or_b64 vcc, vcc, s[60:61]
	s_and_saveexec_b64 s[60:61], vcc
	s_cbranch_execz .LBB93_194
; %bb.193:                              ;   in Loop: Header=BB93_174 Depth=1
	v_sub_f32_e32 v65, v160, v52
	v_mul_f32_e32 v67, 0x3fb8aa3b, v65
	v_fma_f32 v160, v65, s68, -v67
	v_rndne_f32_e32 v161, v67
	v_fmac_f32_e32 v160, 0x32a5705f, v65
	v_sub_f32_e32 v67, v67, v161
	v_add_f32_e32 v67, v67, v160
	v_cvt_i32_f32_e32 v160, v161
	v_exp_f32_e32 v67, v67
	v_cmp_ngt_f32_e32 vcc, s69, v65
	v_ldexp_f32 v67, v67, v160
	s_nop 0
	v_cndmask_b32_e32 v67, 0, v67, vcc
	v_cmp_nlt_f32_e32 vcc, s70, v65
	s_nop 1
	v_cndmask_b32_e32 v67, v151, v67, vcc
	v_add_f32_e32 v65, 1.0, v67
	v_add_f32_e32 v160, -1.0, v65
	v_sub_f32_e32 v161, v160, v65
	v_add_f32_e32 v161, 1.0, v161
	v_sub_f32_e32 v160, v67, v160
	v_add_f32_e32 v162, v160, v161
	v_frexp_mant_f32_e32 v163, v65
	v_cvt_f64_f32_e32 v[160:161], v65
	v_frexp_exp_i32_f64_e32 v160, v[160:161]
	v_cmp_gt_f32_e32 vcc, s72, v163
	v_cmp_lt_f32_e64 s[76:77], |v67|, s74
	s_nop 0
	v_subbrev_co_u32_e32 v176, vcc, 0, v160, vcc
	v_sub_u32_e32 v160, 0, v176
	v_ldexp_f32 v65, v65, v160
	v_ldexp_f32 v160, v162, v160
	v_add_f32_e32 v162, -1.0, v65
	v_add_f32_e32 v161, 1.0, v162
	v_sub_f32_e32 v161, v65, v161
	v_add_f32_e32 v163, v160, v161
	v_add_f32_e32 v161, 1.0, v65
	v_add_f32_e32 v164, -1.0, v161
	v_sub_f32_e32 v65, v65, v164
	v_add_f32_e32 v65, v160, v65
	v_add_f32_e32 v177, v161, v65
	v_rcp_f32_e32 v178, v177
	v_sub_f32_e32 v160, v161, v177
	v_add_f32_e32 v161, v162, v163
	v_add_f32_e32 v65, v65, v160
	v_mul_f32_e32 v180, v161, v178
	v_sub_f32_e32 v160, v162, v161
	v_mul_f32_e32 v162, v177, v180
	v_fma_f32 v164, v180, v177, -v162
	v_fmac_f32_e32 v164, v180, v65
	v_add_f32_e32 v179, v163, v160
	v_add_f32_e32 v160, v162, v164
	v_sub_f32_e32 v163, v161, v160
	v_pk_add_f32 v[166:167], v[160:161], v[162:163] neg_lo:[0,1] neg_hi:[0,1]
	v_mov_b32_e32 v165, v160
	v_pk_add_f32 v[160:161], v[166:167], v[164:165] neg_lo:[0,1] neg_hi:[0,1]
	v_cmp_eq_f32_e32 vcc, s71, v67
	v_add_f32_e32 v161, v179, v161
	v_add_f32_e32 v160, v160, v161
	;; [unrolled: 1-line block ×3, first 2 shown]
	v_mul_f32_e32 v179, v178, v161
	v_mul_f32_e32 v162, v177, v179
	v_fma_f32 v164, v179, v177, -v162
	v_fmac_f32_e32 v164, v179, v65
	v_sub_f32_e32 v65, v163, v161
	v_add_f32_e32 v65, v160, v65
	v_add_f32_e32 v160, v162, v164
	v_sub_f32_e32 v163, v161, v160
	v_pk_add_f32 v[166:167], v[160:161], v[162:163] neg_lo:[0,1] neg_hi:[0,1]
	v_mov_b32_e32 v165, v160
	v_pk_add_f32 v[160:161], v[166:167], v[164:165] neg_lo:[0,1] neg_hi:[0,1]
	s_or_b64 vcc, vcc, s[76:77]
	v_add_f32_e32 v65, v65, v161
	v_add_f32_e32 v65, v160, v65
	;; [unrolled: 1-line block ×4, first 2 shown]
	v_sub_f32_e32 v160, v161, v180
	v_mul_f32_e32 v65, v178, v65
	v_sub_f32_e32 v160, v179, v160
	v_add_f32_e32 v162, v160, v65
	v_add_f32_e32 v164, v161, v162
	v_cvt_f32_i32_e32 v160, v176
	v_mul_f32_e32 v165, v164, v164
	v_sub_f32_e32 v161, v164, v161
	v_fmamk_f32 v65, v165, 0x3e9b6dac, v149
	v_sub_f32_e32 v161, v162, v161
	v_fmaak_f32 v65, v165, v65, 0x3f2aaada
	v_ldexp_f32 v166, v161, 1
	v_mul_f32_e32 v161, v164, v165
	v_ldexp_f32 v163, v164, 1
	v_pk_mul_f32 v[164:165], v[160:161], v[64:65]
	s_nop 0
	v_fma_f32 v162, v160, s73, -v164
	v_fmac_f32_e32 v162, 0xb102e308, v160
	v_pk_add_f32 v[160:161], v[164:165], v[162:163]
	s_nop 0
	v_sub_f32_e32 v65, v161, v163
	v_sub_f32_e32 v65, v165, v65
	v_add_f32_e32 v167, v166, v65
	v_mov_b32_e32 v166, v164
	v_pk_add_f32 v[164:165], v[160:161], v[164:165] neg_lo:[0,1] neg_hi:[0,1]
	v_pk_add_f32 v[176:177], v[160:161], v[166:167]
	v_mov_b32_e32 v163, v160
	v_mov_b32_e32 v165, v177
	v_pk_add_f32 v[178:179], v[162:163], v[164:165] neg_lo:[0,1] neg_hi:[0,1]
	v_pk_add_f32 v[162:163], v[162:163], v[164:165]
	v_mov_b32_e32 v166, v167
	v_mov_b32_e32 v164, v163
	v_pk_add_f32 v[180:181], v[164:165], v[160:161] neg_lo:[0,1] neg_hi:[0,1]
	v_mov_b32_e32 v162, v177
	v_mov_b32_e32 v65, v180
	v_pk_add_f32 v[182:183], v[176:177], v[64:65] neg_lo:[0,1] neg_hi:[0,1]
	v_mov_b32_e32 v176, v161
	v_mov_b32_e32 v177, v180
	;; [unrolled: 1-line block ×3, first 2 shown]
	v_pk_add_f32 v[162:163], v[162:163], v[176:177] neg_lo:[0,1] neg_hi:[0,1]
	v_mov_b32_e32 v167, v160
	v_pk_add_f32 v[160:161], v[166:167], v[162:163] neg_lo:[0,1] neg_hi:[0,1]
	v_mov_b32_e32 v182, v178
	v_pk_add_f32 v[162:163], v[182:183], v[160:161]
	s_nop 0
	v_mov_b32_e32 v166, v163
	v_pk_add_f32 v[166:167], v[162:163], v[166:167]
	s_nop 0
	v_pk_add_f32 v[164:165], v[164:165], v[166:167]
	v_mov_b32_e32 v161, v166
	v_mov_b32_e32 v163, v164
	v_pk_add_f32 v[176:177], v[162:163], v[178:179] neg_lo:[0,1] neg_hi:[0,1]
	s_nop 0
	v_sub_f32_e32 v65, v162, v176
	v_pk_add_f32 v[160:161], v[160:161], v[176:177] neg_lo:[0,1] neg_hi:[0,1]
	v_sub_f32_e32 v65, v178, v65
	v_add_f32_e32 v65, v160, v65
	v_add_f32_e32 v65, v65, v161
	;; [unrolled: 1-line block ×3, first 2 shown]
	v_cndmask_b32_e32 v65, v65, v67, vcc
	v_add_f32_e32 v67, v52, v65
.LBB93_194:                             ;   in Loop: Header=BB93_174 Depth=1
	s_or_b64 exec, exec, s[60:61]
	v_mov_b32_e32 v52, v67
	v_mov_b32_e32 v65, v67
.LBB93_195:                             ;   in Loop: Header=BB93_174 Depth=1
	s_or_b64 exec, exec, s[66:67]
	s_waitcnt lgkmcnt(0)
	ds_bpermute_b32 v67, v144, v52
	v_cmp_le_u32_e32 vcc, v145, v66
	s_and_saveexec_b64 s[66:67], vcc
	s_cbranch_execz .LBB93_199
; %bb.196:                              ;   in Loop: Header=BB93_174 Depth=1
	v_max_f32_e32 v52, v65, v65
	s_waitcnt lgkmcnt(0)
	v_max_f32_e32 v161, v67, v67
	v_min_f32_e32 v160, v161, v52
	v_cmp_u_f32_e32 vcc, v67, v67
	v_max_f32_e32 v52, v161, v52
	v_cmp_u_f32_e64 s[60:61], v65, v65
	v_cndmask_b32_e32 v160, v160, v67, vcc
	v_cndmask_b32_e32 v52, v52, v67, vcc
	v_cndmask_b32_e64 v160, v160, v65, s[60:61]
	v_cndmask_b32_e64 v52, v52, v65, s[60:61]
	v_cmp_neq_f32_e32 vcc, v160, v52
	v_cmp_class_f32_e64 s[60:61], v160, s13
	s_or_b64 vcc, vcc, s[60:61]
	s_and_saveexec_b64 s[60:61], vcc
	s_cbranch_execz .LBB93_198
; %bb.197:                              ;   in Loop: Header=BB93_174 Depth=1
	v_sub_f32_e32 v65, v160, v52
	v_mul_f32_e32 v67, 0x3fb8aa3b, v65
	v_fma_f32 v160, v65, s68, -v67
	v_rndne_f32_e32 v161, v67
	v_fmac_f32_e32 v160, 0x32a5705f, v65
	v_sub_f32_e32 v67, v67, v161
	v_add_f32_e32 v67, v67, v160
	v_cvt_i32_f32_e32 v160, v161
	v_exp_f32_e32 v67, v67
	v_cmp_ngt_f32_e32 vcc, s69, v65
	v_ldexp_f32 v67, v67, v160
	s_nop 0
	v_cndmask_b32_e32 v67, 0, v67, vcc
	v_cmp_nlt_f32_e32 vcc, s70, v65
	s_nop 1
	v_cndmask_b32_e32 v67, v151, v67, vcc
	v_add_f32_e32 v65, 1.0, v67
	v_add_f32_e32 v160, -1.0, v65
	v_sub_f32_e32 v161, v160, v65
	v_add_f32_e32 v161, 1.0, v161
	v_sub_f32_e32 v160, v67, v160
	v_add_f32_e32 v162, v160, v161
	v_frexp_mant_f32_e32 v163, v65
	v_cvt_f64_f32_e32 v[160:161], v65
	v_frexp_exp_i32_f64_e32 v160, v[160:161]
	v_cmp_gt_f32_e32 vcc, s72, v163
	v_cmp_lt_f32_e64 s[76:77], |v67|, s74
	s_nop 0
	v_subbrev_co_u32_e32 v176, vcc, 0, v160, vcc
	v_sub_u32_e32 v160, 0, v176
	v_ldexp_f32 v65, v65, v160
	v_ldexp_f32 v160, v162, v160
	v_add_f32_e32 v162, -1.0, v65
	v_add_f32_e32 v161, 1.0, v162
	v_sub_f32_e32 v161, v65, v161
	v_add_f32_e32 v163, v160, v161
	v_add_f32_e32 v161, 1.0, v65
	v_add_f32_e32 v164, -1.0, v161
	v_sub_f32_e32 v65, v65, v164
	v_add_f32_e32 v65, v160, v65
	v_add_f32_e32 v177, v161, v65
	v_rcp_f32_e32 v178, v177
	v_sub_f32_e32 v160, v161, v177
	v_add_f32_e32 v161, v162, v163
	v_add_f32_e32 v65, v65, v160
	v_mul_f32_e32 v180, v161, v178
	v_sub_f32_e32 v160, v162, v161
	v_mul_f32_e32 v162, v177, v180
	v_fma_f32 v164, v180, v177, -v162
	v_fmac_f32_e32 v164, v180, v65
	v_add_f32_e32 v179, v163, v160
	v_add_f32_e32 v160, v162, v164
	v_sub_f32_e32 v163, v161, v160
	v_pk_add_f32 v[166:167], v[160:161], v[162:163] neg_lo:[0,1] neg_hi:[0,1]
	v_mov_b32_e32 v165, v160
	v_pk_add_f32 v[160:161], v[166:167], v[164:165] neg_lo:[0,1] neg_hi:[0,1]
	v_cmp_eq_f32_e32 vcc, s71, v67
	v_add_f32_e32 v161, v179, v161
	v_add_f32_e32 v160, v160, v161
	;; [unrolled: 1-line block ×3, first 2 shown]
	v_mul_f32_e32 v179, v178, v161
	v_mul_f32_e32 v162, v177, v179
	v_fma_f32 v164, v179, v177, -v162
	v_fmac_f32_e32 v164, v179, v65
	v_sub_f32_e32 v65, v163, v161
	v_add_f32_e32 v65, v160, v65
	v_add_f32_e32 v160, v162, v164
	v_sub_f32_e32 v163, v161, v160
	v_pk_add_f32 v[166:167], v[160:161], v[162:163] neg_lo:[0,1] neg_hi:[0,1]
	v_mov_b32_e32 v165, v160
	v_pk_add_f32 v[160:161], v[166:167], v[164:165] neg_lo:[0,1] neg_hi:[0,1]
	s_or_b64 vcc, vcc, s[76:77]
	v_add_f32_e32 v65, v65, v161
	v_add_f32_e32 v65, v160, v65
	;; [unrolled: 1-line block ×4, first 2 shown]
	v_sub_f32_e32 v160, v161, v180
	v_mul_f32_e32 v65, v178, v65
	v_sub_f32_e32 v160, v179, v160
	v_add_f32_e32 v162, v160, v65
	v_add_f32_e32 v164, v161, v162
	v_cvt_f32_i32_e32 v160, v176
	v_mul_f32_e32 v165, v164, v164
	v_sub_f32_e32 v161, v164, v161
	v_fmamk_f32 v65, v165, 0x3e9b6dac, v149
	v_sub_f32_e32 v161, v162, v161
	v_fmaak_f32 v65, v165, v65, 0x3f2aaada
	v_ldexp_f32 v166, v161, 1
	v_mul_f32_e32 v161, v164, v165
	v_ldexp_f32 v163, v164, 1
	v_pk_mul_f32 v[164:165], v[160:161], v[64:65]
	s_nop 0
	v_fma_f32 v162, v160, s73, -v164
	v_fmac_f32_e32 v162, 0xb102e308, v160
	v_pk_add_f32 v[160:161], v[164:165], v[162:163]
	s_nop 0
	v_sub_f32_e32 v65, v161, v163
	v_sub_f32_e32 v65, v165, v65
	v_add_f32_e32 v167, v166, v65
	v_mov_b32_e32 v166, v164
	v_pk_add_f32 v[164:165], v[160:161], v[164:165] neg_lo:[0,1] neg_hi:[0,1]
	v_pk_add_f32 v[176:177], v[160:161], v[166:167]
	v_mov_b32_e32 v163, v160
	v_mov_b32_e32 v165, v177
	v_pk_add_f32 v[178:179], v[162:163], v[164:165] neg_lo:[0,1] neg_hi:[0,1]
	v_pk_add_f32 v[162:163], v[162:163], v[164:165]
	v_mov_b32_e32 v166, v167
	v_mov_b32_e32 v164, v163
	v_pk_add_f32 v[180:181], v[164:165], v[160:161] neg_lo:[0,1] neg_hi:[0,1]
	v_mov_b32_e32 v162, v177
	v_mov_b32_e32 v65, v180
	v_pk_add_f32 v[182:183], v[176:177], v[64:65] neg_lo:[0,1] neg_hi:[0,1]
	v_mov_b32_e32 v176, v161
	v_mov_b32_e32 v177, v180
	;; [unrolled: 1-line block ×3, first 2 shown]
	v_pk_add_f32 v[162:163], v[162:163], v[176:177] neg_lo:[0,1] neg_hi:[0,1]
	v_mov_b32_e32 v167, v160
	v_pk_add_f32 v[160:161], v[166:167], v[162:163] neg_lo:[0,1] neg_hi:[0,1]
	v_mov_b32_e32 v182, v178
	v_pk_add_f32 v[162:163], v[182:183], v[160:161]
	s_nop 0
	v_mov_b32_e32 v166, v163
	v_pk_add_f32 v[166:167], v[162:163], v[166:167]
	s_nop 0
	v_pk_add_f32 v[164:165], v[164:165], v[166:167]
	v_mov_b32_e32 v161, v166
	v_mov_b32_e32 v163, v164
	v_pk_add_f32 v[176:177], v[162:163], v[178:179] neg_lo:[0,1] neg_hi:[0,1]
	s_nop 0
	v_sub_f32_e32 v65, v162, v176
	v_pk_add_f32 v[160:161], v[160:161], v[176:177] neg_lo:[0,1] neg_hi:[0,1]
	v_sub_f32_e32 v65, v178, v65
	v_add_f32_e32 v65, v160, v65
	v_add_f32_e32 v65, v65, v161
	;; [unrolled: 1-line block ×3, first 2 shown]
	v_cndmask_b32_e32 v65, v65, v67, vcc
	v_add_f32_e32 v67, v52, v65
.LBB93_198:                             ;   in Loop: Header=BB93_174 Depth=1
	s_or_b64 exec, exec, s[60:61]
	v_mov_b32_e32 v52, v67
	v_mov_b32_e32 v65, v67
.LBB93_199:                             ;   in Loop: Header=BB93_174 Depth=1
	s_or_b64 exec, exec, s[66:67]
	s_waitcnt lgkmcnt(0)
	ds_bpermute_b32 v67, v146, v52
	v_cmp_le_u32_e32 vcc, v147, v66
	s_and_saveexec_b64 s[66:67], vcc
	s_cbranch_execz .LBB93_203
; %bb.200:                              ;   in Loop: Header=BB93_174 Depth=1
	v_max_f32_e32 v52, v65, v65
	s_waitcnt lgkmcnt(0)
	v_max_f32_e32 v160, v67, v67
	v_min_f32_e32 v66, v160, v52
	v_cmp_u_f32_e32 vcc, v67, v67
	v_max_f32_e32 v52, v160, v52
	v_cmp_u_f32_e64 s[60:61], v65, v65
	v_cndmask_b32_e32 v66, v66, v67, vcc
	v_cndmask_b32_e32 v52, v52, v67, vcc
	v_cndmask_b32_e64 v66, v66, v65, s[60:61]
	v_cndmask_b32_e64 v52, v52, v65, s[60:61]
	v_cmp_neq_f32_e32 vcc, v66, v52
	v_cmp_class_f32_e64 s[60:61], v66, s13
	s_or_b64 vcc, vcc, s[60:61]
	s_and_saveexec_b64 s[60:61], vcc
	s_cbranch_execz .LBB93_202
; %bb.201:                              ;   in Loop: Header=BB93_174 Depth=1
	v_sub_f32_e32 v65, v66, v52
	v_mul_f32_e32 v66, 0x3fb8aa3b, v65
	v_fma_f32 v67, v65, s68, -v66
	v_rndne_f32_e32 v160, v66
	v_fmac_f32_e32 v67, 0x32a5705f, v65
	v_sub_f32_e32 v66, v66, v160
	v_add_f32_e32 v66, v66, v67
	v_cvt_i32_f32_e32 v67, v160
	v_exp_f32_e32 v66, v66
	v_cmp_ngt_f32_e32 vcc, s69, v65
	v_ldexp_f32 v66, v66, v67
	s_nop 0
	v_cndmask_b32_e32 v66, 0, v66, vcc
	v_cmp_nlt_f32_e32 vcc, s70, v65
	s_nop 1
	v_cndmask_b32_e32 v182, v151, v66, vcc
	v_add_f32_e32 v65, 1.0, v182
	v_add_f32_e32 v66, -1.0, v65
	v_sub_f32_e32 v67, v66, v65
	v_add_f32_e32 v67, 1.0, v67
	v_sub_f32_e32 v66, v182, v66
	v_add_f32_e32 v160, v66, v67
	v_frexp_mant_f32_e32 v161, v65
	v_cvt_f64_f32_e32 v[66:67], v65
	v_frexp_exp_i32_f64_e32 v66, v[66:67]
	v_cmp_gt_f32_e32 vcc, s72, v161
	v_cmp_lt_f32_e64 s[76:77], |v182|, s74
	s_nop 0
	v_subbrev_co_u32_e32 v166, vcc, 0, v66, vcc
	v_sub_u32_e32 v66, 0, v166
	v_ldexp_f32 v65, v65, v66
	v_ldexp_f32 v66, v160, v66
	v_add_f32_e32 v160, -1.0, v65
	v_add_f32_e32 v67, 1.0, v160
	v_sub_f32_e32 v67, v65, v67
	v_add_f32_e32 v161, v66, v67
	v_add_f32_e32 v67, 1.0, v65
	v_add_f32_e32 v162, -1.0, v67
	v_sub_f32_e32 v65, v65, v162
	v_add_f32_e32 v65, v66, v65
	v_add_f32_e32 v167, v67, v65
	v_rcp_f32_e32 v176, v167
	v_sub_f32_e32 v66, v67, v167
	v_add_f32_e32 v67, v160, v161
	v_add_f32_e32 v65, v65, v66
	v_mul_f32_e32 v178, v67, v176
	v_sub_f32_e32 v66, v160, v67
	v_mul_f32_e32 v160, v167, v178
	v_fma_f32 v162, v178, v167, -v160
	v_fmac_f32_e32 v162, v178, v65
	v_add_f32_e32 v177, v161, v66
	v_add_f32_e32 v66, v160, v162
	v_sub_f32_e32 v161, v67, v66
	v_pk_add_f32 v[164:165], v[66:67], v[160:161] neg_lo:[0,1] neg_hi:[0,1]
	v_mov_b32_e32 v163, v66
	v_pk_add_f32 v[66:67], v[164:165], v[162:163] neg_lo:[0,1] neg_hi:[0,1]
	v_cmp_eq_f32_e32 vcc, s71, v182
	v_add_f32_e32 v67, v177, v67
	v_add_f32_e32 v66, v66, v67
	;; [unrolled: 1-line block ×3, first 2 shown]
	v_mul_f32_e32 v177, v176, v67
	v_mul_f32_e32 v160, v167, v177
	v_fma_f32 v162, v177, v167, -v160
	v_fmac_f32_e32 v162, v177, v65
	v_sub_f32_e32 v65, v161, v67
	v_add_f32_e32 v65, v66, v65
	v_add_f32_e32 v66, v160, v162
	v_sub_f32_e32 v161, v67, v66
	v_pk_add_f32 v[164:165], v[66:67], v[160:161] neg_lo:[0,1] neg_hi:[0,1]
	v_mov_b32_e32 v163, v66
	v_pk_add_f32 v[66:67], v[164:165], v[162:163] neg_lo:[0,1] neg_hi:[0,1]
	s_or_b64 vcc, vcc, s[76:77]
	v_add_f32_e32 v65, v65, v67
	v_add_f32_e32 v65, v66, v65
	;; [unrolled: 1-line block ×4, first 2 shown]
	v_sub_f32_e32 v66, v67, v178
	v_mul_f32_e32 v65, v176, v65
	v_sub_f32_e32 v66, v177, v66
	v_add_f32_e32 v160, v66, v65
	v_add_f32_e32 v162, v67, v160
	v_cvt_f32_i32_e32 v66, v166
	v_mul_f32_e32 v163, v162, v162
	v_sub_f32_e32 v67, v162, v67
	v_fmamk_f32 v65, v163, 0x3e9b6dac, v149
	v_sub_f32_e32 v67, v160, v67
	v_fmaak_f32 v65, v163, v65, 0x3f2aaada
	v_ldexp_f32 v164, v67, 1
	v_mul_f32_e32 v67, v162, v163
	v_ldexp_f32 v161, v162, 1
	v_pk_mul_f32 v[162:163], v[66:67], v[64:65]
	s_nop 0
	v_fma_f32 v160, v66, s73, -v162
	v_fmac_f32_e32 v160, 0xb102e308, v66
	v_pk_add_f32 v[66:67], v[162:163], v[160:161]
	s_nop 0
	v_sub_f32_e32 v65, v67, v161
	v_sub_f32_e32 v65, v163, v65
	v_add_f32_e32 v165, v164, v65
	v_mov_b32_e32 v164, v162
	v_pk_add_f32 v[162:163], v[66:67], v[162:163] neg_lo:[0,1] neg_hi:[0,1]
	v_pk_add_f32 v[166:167], v[66:67], v[164:165]
	v_mov_b32_e32 v161, v66
	v_mov_b32_e32 v163, v167
	v_pk_add_f32 v[176:177], v[160:161], v[162:163] neg_lo:[0,1] neg_hi:[0,1]
	v_pk_add_f32 v[160:161], v[160:161], v[162:163]
	v_mov_b32_e32 v164, v165
	v_mov_b32_e32 v162, v161
	v_pk_add_f32 v[178:179], v[162:163], v[66:67] neg_lo:[0,1] neg_hi:[0,1]
	v_mov_b32_e32 v160, v167
	v_mov_b32_e32 v65, v178
	v_pk_add_f32 v[180:181], v[166:167], v[64:65] neg_lo:[0,1] neg_hi:[0,1]
	v_mov_b32_e32 v166, v67
	v_mov_b32_e32 v167, v178
	;; [unrolled: 1-line block ×3, first 2 shown]
	v_pk_add_f32 v[160:161], v[160:161], v[166:167] neg_lo:[0,1] neg_hi:[0,1]
	v_mov_b32_e32 v165, v66
	v_pk_add_f32 v[66:67], v[164:165], v[160:161] neg_lo:[0,1] neg_hi:[0,1]
	v_mov_b32_e32 v180, v176
	v_pk_add_f32 v[160:161], v[180:181], v[66:67]
	s_nop 0
	v_mov_b32_e32 v164, v161
	v_pk_add_f32 v[164:165], v[160:161], v[164:165]
	s_nop 0
	v_pk_add_f32 v[162:163], v[162:163], v[164:165]
	v_mov_b32_e32 v67, v164
	v_mov_b32_e32 v161, v162
	v_pk_add_f32 v[166:167], v[160:161], v[176:177] neg_lo:[0,1] neg_hi:[0,1]
	s_nop 0
	v_sub_f32_e32 v65, v160, v166
	v_pk_add_f32 v[66:67], v[66:67], v[166:167] neg_lo:[0,1] neg_hi:[0,1]
	v_sub_f32_e32 v65, v176, v65
	v_add_f32_e32 v65, v66, v65
	v_add_f32_e32 v65, v65, v67
	;; [unrolled: 1-line block ×3, first 2 shown]
	v_cndmask_b32_e32 v65, v65, v182, vcc
	v_add_f32_e32 v67, v52, v65
.LBB93_202:                             ;   in Loop: Header=BB93_174 Depth=1
	s_or_b64 exec, exec, s[60:61]
	v_mov_b32_e32 v65, v67
.LBB93_203:                             ;   in Loop: Header=BB93_174 Depth=1
	s_or_b64 exec, exec, s[66:67]
	v_max_f32_e32 v52, v148, v148
	s_waitcnt lgkmcnt(0)
	v_max_f32_e32 v67, v65, v65
	v_min_f32_e32 v66, v67, v52
	v_cmp_u_f32_e32 vcc, v65, v65
	v_max_f32_e32 v52, v67, v52
	v_cmp_u_f32_e64 s[60:61], v148, v148
	v_cndmask_b32_e32 v66, v66, v65, vcc
	v_cndmask_b32_e32 v52, v52, v65, vcc
	v_cndmask_b32_e64 v66, v66, v148, s[60:61]
	v_cndmask_b32_e64 v52, v52, v148, s[60:61]
	v_cmp_neq_f32_e32 vcc, v66, v52
	v_cmp_class_f32_e64 s[60:61], v66, s13
	s_or_b64 vcc, vcc, s[60:61]
	s_and_saveexec_b64 s[60:61], vcc
	s_xor_b64 s[60:61], exec, s[60:61]
	s_cbranch_execz .LBB93_173
; %bb.204:                              ;   in Loop: Header=BB93_174 Depth=1
	v_sub_f32_e32 v65, v66, v52
	v_mul_f32_e32 v66, 0x3fb8aa3b, v65
	v_fma_f32 v67, v65, s68, -v66
	v_rndne_f32_e32 v160, v66
	v_fmac_f32_e32 v67, 0x32a5705f, v65
	v_sub_f32_e32 v66, v66, v160
	v_add_f32_e32 v66, v66, v67
	v_cvt_i32_f32_e32 v67, v160
	v_exp_f32_e32 v66, v66
	v_cmp_ngt_f32_e32 vcc, s69, v65
	v_ldexp_f32 v66, v66, v67
	s_nop 0
	v_cndmask_b32_e32 v66, 0, v66, vcc
	v_cmp_nlt_f32_e32 vcc, s70, v65
	s_nop 1
	v_cndmask_b32_e32 v182, v151, v66, vcc
	v_add_f32_e32 v65, 1.0, v182
	v_add_f32_e32 v66, -1.0, v65
	v_sub_f32_e32 v67, v66, v65
	v_add_f32_e32 v67, 1.0, v67
	v_sub_f32_e32 v66, v182, v66
	v_add_f32_e32 v160, v66, v67
	v_frexp_mant_f32_e32 v161, v65
	v_cvt_f64_f32_e32 v[66:67], v65
	v_frexp_exp_i32_f64_e32 v66, v[66:67]
	v_cmp_gt_f32_e32 vcc, s72, v161
	v_cmp_lt_f32_e64 s[66:67], |v182|, s74
	s_nop 0
	v_subbrev_co_u32_e32 v66, vcc, 0, v66, vcc
	v_sub_u32_e32 v67, 0, v66
	v_ldexp_f32 v65, v65, v67
	v_ldexp_f32 v67, v160, v67
	v_add_f32_e32 v160, -1.0, v65
	v_add_f32_e32 v163, 1.0, v65
	v_add_f32_e32 v161, 1.0, v160
	v_add_f32_e32 v164, -1.0, v163
	v_sub_f32_e32 v161, v65, v161
	v_sub_f32_e32 v65, v65, v164
	v_add_f32_e32 v65, v67, v65
	v_add_f32_e32 v161, v67, v161
	;; [unrolled: 1-line block ×3, first 2 shown]
	v_rcp_f32_e32 v164, v67
	v_add_f32_e32 v162, v160, v161
	v_sub_f32_e32 v160, v160, v162
	v_add_f32_e32 v160, v161, v160
	v_sub_f32_e32 v161, v163, v67
	v_add_f32_e32 v65, v65, v161
	v_mul_f32_e32 v161, v162, v164
	v_mul_f32_e32 v163, v67, v161
	v_fma_f32 v165, v161, v67, -v163
	v_fmac_f32_e32 v165, v161, v65
	v_add_f32_e32 v166, v163, v165
	v_sub_f32_e32 v167, v162, v166
	v_sub_f32_e32 v162, v162, v167
	;; [unrolled: 1-line block ×4, first 2 shown]
	v_add_f32_e32 v160, v160, v162
	v_sub_f32_e32 v162, v163, v165
	v_add_f32_e32 v160, v162, v160
	v_add_f32_e32 v162, v167, v160
	v_mul_f32_e32 v163, v164, v162
	v_mul_f32_e32 v165, v67, v163
	v_fma_f32 v67, v163, v67, -v165
	v_fmac_f32_e32 v67, v163, v65
	v_sub_f32_e32 v65, v167, v162
	v_add_f32_e32 v65, v160, v65
	v_add_f32_e32 v160, v165, v67
	v_sub_f32_e32 v166, v162, v160
	v_sub_f32_e32 v162, v162, v166
	;; [unrolled: 1-line block ×4, first 2 shown]
	v_add_f32_e32 v65, v65, v160
	v_sub_f32_e32 v67, v165, v67
	v_add_f32_e32 v65, v67, v65
	v_add_f32_e32 v67, v161, v163
	v_add_f32_e32 v65, v166, v65
	v_sub_f32_e32 v160, v67, v161
	v_mul_f32_e32 v65, v164, v65
	v_sub_f32_e32 v160, v163, v160
	v_add_f32_e32 v160, v160, v65
	v_add_f32_e32 v162, v67, v160
	v_cvt_f32_i32_e32 v66, v66
	v_mul_f32_e32 v163, v162, v162
	v_sub_f32_e32 v67, v162, v67
	v_fmamk_f32 v65, v163, 0x3e9b6dac, v149
	v_sub_f32_e32 v67, v160, v67
	v_fmaak_f32 v65, v163, v65, 0x3f2aaada
	v_ldexp_f32 v164, v67, 1
	v_mul_f32_e32 v67, v162, v163
	v_ldexp_f32 v161, v162, 1
	v_pk_mul_f32 v[162:163], v[66:67], v[64:65]
	v_cmp_eq_f32_e32 vcc, s71, v182
	v_fma_f32 v160, v66, s73, -v162
	v_fmac_f32_e32 v160, 0xb102e308, v66
	v_pk_add_f32 v[66:67], v[162:163], v[160:161]
	s_or_b64 vcc, vcc, s[66:67]
	v_sub_f32_e32 v65, v67, v161
	v_sub_f32_e32 v65, v163, v65
	v_add_f32_e32 v165, v164, v65
	v_mov_b32_e32 v164, v162
	v_pk_add_f32 v[162:163], v[66:67], v[162:163] neg_lo:[0,1] neg_hi:[0,1]
	v_pk_add_f32 v[166:167], v[66:67], v[164:165]
	v_mov_b32_e32 v161, v66
	v_mov_b32_e32 v163, v167
	v_pk_add_f32 v[176:177], v[160:161], v[162:163] neg_lo:[0,1] neg_hi:[0,1]
	v_pk_add_f32 v[160:161], v[160:161], v[162:163]
	v_mov_b32_e32 v164, v165
	v_mov_b32_e32 v162, v161
	v_pk_add_f32 v[178:179], v[162:163], v[66:67] neg_lo:[0,1] neg_hi:[0,1]
	v_mov_b32_e32 v160, v167
	v_mov_b32_e32 v65, v178
	v_pk_add_f32 v[180:181], v[166:167], v[64:65] neg_lo:[0,1] neg_hi:[0,1]
	v_mov_b32_e32 v166, v67
	v_mov_b32_e32 v167, v178
	;; [unrolled: 1-line block ×3, first 2 shown]
	v_pk_add_f32 v[160:161], v[160:161], v[166:167] neg_lo:[0,1] neg_hi:[0,1]
	v_mov_b32_e32 v165, v66
	v_pk_add_f32 v[66:67], v[164:165], v[160:161] neg_lo:[0,1] neg_hi:[0,1]
	v_mov_b32_e32 v180, v176
	v_pk_add_f32 v[160:161], v[180:181], v[66:67]
	s_nop 0
	v_mov_b32_e32 v164, v161
	v_pk_add_f32 v[164:165], v[160:161], v[164:165]
	s_nop 0
	v_pk_add_f32 v[162:163], v[162:163], v[164:165]
	v_mov_b32_e32 v67, v164
	v_mov_b32_e32 v161, v162
	v_pk_add_f32 v[166:167], v[160:161], v[176:177] neg_lo:[0,1] neg_hi:[0,1]
	s_nop 0
	v_sub_f32_e32 v65, v160, v166
	v_pk_add_f32 v[66:67], v[66:67], v[166:167] neg_lo:[0,1] neg_hi:[0,1]
	v_sub_f32_e32 v65, v176, v65
	v_add_f32_e32 v65, v66, v65
	v_add_f32_e32 v65, v65, v67
	;; [unrolled: 1-line block ×3, first 2 shown]
	v_cndmask_b32_e32 v65, v65, v182, vcc
	v_add_f32_e32 v65, v52, v65
	s_branch .LBB93_173
.LBB93_205:                             ;   in Loop: Header=BB93_174 Depth=1
                                        ; implicit-def: $vgpr65
                                        ; implicit-def: $vgpr53
	s_cbranch_execz .LBB93_174
; %bb.206:
	s_and_saveexec_b64 s[60:61], s[56:57]
	s_cbranch_execz .LBB93_210
; %bb.207:
	v_max_f32_e32 v49, v48, v48
	v_max_f32_e32 v51, v148, v148
	v_min_f32_e32 v50, v51, v49
	v_cmp_u_f32_e32 vcc, v148, v148
	v_max_f32_e32 v49, v51, v49
	v_cmp_u_f32_e64 s[56:57], v48, v48
	v_cndmask_b32_e32 v50, v50, v148, vcc
	v_cndmask_b32_e32 v49, v49, v148, vcc
	v_cndmask_b32_e64 v50, v50, v48, s[56:57]
	v_cndmask_b32_e64 v49, v49, v48, s[56:57]
	s_movk_i32 s13, 0x1f8
	v_cmp_neq_f32_e32 vcc, v50, v49
	v_cmp_class_f32_e64 s[56:57], v50, s13
	s_or_b64 vcc, vcc, s[56:57]
	v_mov_b32_e32 v48, v148
	s_and_saveexec_b64 s[56:57], vcc
	s_cbranch_execz .LBB93_209
; %bb.208:
	v_sub_f32_e32 v48, v50, v49
	s_mov_b32 s13, 0x3fb8aa3b
	v_mul_f32_e32 v50, 0x3fb8aa3b, v48
	v_fma_f32 v51, v48, s13, -v50
	v_rndne_f32_e32 v52, v50
	v_fmamk_f32 v51, v48, 0x32a5705f, v51
	v_sub_f32_e32 v50, v50, v52
	v_add_f32_e32 v50, v50, v51
	v_exp_f32_e32 v50, v50
	v_cvt_i32_f32_e32 v51, v52
	s_mov_b32 s13, 0xc2ce8ed0
	v_cmp_ngt_f32_e32 vcc, s13, v48
	s_mov_b32 s13, 0x42b17218
	v_ldexp_f32 v50, v50, v51
	v_cndmask_b32_e32 v50, 0, v50, vcc
	v_mov_b32_e32 v51, 0x7f800000
	v_cmp_nlt_f32_e32 vcc, s13, v48
	s_mov_b32 s13, 0x3f2aaaab
	s_mov_b32 s66, 0x7f800000
	v_cndmask_b32_e32 v129, v51, v50, vcc
	v_add_f32_e32 v48, 1.0, v129
	v_add_f32_e32 v50, -1.0, v48
	v_sub_f32_e32 v51, v50, v48
	v_add_f32_e32 v51, 1.0, v51
	v_sub_f32_e32 v50, v129, v50
	v_add_f32_e32 v52, v50, v51
	v_frexp_mant_f32_e32 v53, v48
	v_cvt_f64_f32_e32 v[50:51], v48
	v_frexp_exp_i32_f64_e32 v50, v[50:51]
	v_cmp_gt_f32_e32 vcc, s13, v53
	s_mov_b32 s13, 0x3f317218
	s_nop 0
	v_subbrev_co_u32_e32 v66, vcc, 0, v50, vcc
	v_sub_u32_e32 v50, 0, v66
	v_ldexp_f32 v48, v48, v50
	v_ldexp_f32 v50, v52, v50
	v_add_f32_e32 v52, -1.0, v48
	v_add_f32_e32 v51, 1.0, v52
	v_sub_f32_e32 v51, v48, v51
	v_add_f32_e32 v53, v50, v51
	v_add_f32_e32 v51, 1.0, v48
	v_add_f32_e32 v54, -1.0, v51
	v_sub_f32_e32 v48, v48, v54
	v_add_f32_e32 v48, v50, v48
	v_add_f32_e32 v67, v51, v48
	v_rcp_f32_e32 v130, v67
	v_sub_f32_e32 v50, v51, v67
	v_add_f32_e32 v51, v52, v53
	v_add_f32_e32 v48, v48, v50
	v_mul_f32_e32 v132, v51, v130
	v_sub_f32_e32 v50, v52, v51
	v_mul_f32_e32 v52, v67, v132
	v_fma_f32 v54, v132, v67, -v52
	v_fmac_f32_e32 v54, v132, v48
	v_add_f32_e32 v131, v53, v50
	v_add_f32_e32 v50, v52, v54
	v_sub_f32_e32 v53, v51, v50
	v_pk_add_f32 v[64:65], v[50:51], v[52:53] neg_lo:[0,1] neg_hi:[0,1]
	v_mov_b32_e32 v55, v50
	v_pk_add_f32 v[50:51], v[64:65], v[54:55] neg_lo:[0,1] neg_hi:[0,1]
	v_cmp_eq_f32_e32 vcc, s66, v129
	v_add_f32_e32 v51, v131, v51
	v_add_f32_e32 v50, v50, v51
	;; [unrolled: 1-line block ×3, first 2 shown]
	v_mul_f32_e32 v131, v130, v51
	v_mul_f32_e32 v52, v67, v131
	v_fma_f32 v54, v131, v67, -v52
	v_fmac_f32_e32 v54, v131, v48
	v_sub_f32_e32 v48, v53, v51
	v_add_f32_e32 v48, v50, v48
	v_add_f32_e32 v50, v52, v54
	v_sub_f32_e32 v53, v51, v50
	v_pk_add_f32 v[64:65], v[50:51], v[52:53] neg_lo:[0,1] neg_hi:[0,1]
	v_mov_b32_e32 v55, v50
	v_pk_add_f32 v[50:51], v[64:65], v[54:55] neg_lo:[0,1] neg_hi:[0,1]
	v_cvt_f32_i32_e32 v52, v66
	v_add_f32_e32 v48, v48, v51
	v_add_f32_e32 v48, v50, v48
	v_add_f32_e32 v50, v132, v131
	v_add_f32_e32 v48, v53, v48
	v_sub_f32_e32 v51, v50, v132
	v_mul_f32_e32 v48, v130, v48
	v_sub_f32_e32 v51, v131, v51
	v_add_f32_e32 v48, v51, v48
	v_add_f32_e32 v53, v50, v48
	v_mul_f32_e32 v54, v53, v53
	v_mov_b32_e32 v51, 0x3ecc95a3
	v_fmac_f32_e32 v51, 0x3e9b6dac, v54
	v_sub_f32_e32 v50, v53, v50
	v_fmaak_f32 v51, v54, v51, 0x3f2aaada
	v_sub_f32_e32 v48, v48, v50
	v_ldexp_f32 v55, v53, 1
	v_mul_f32_e32 v53, v53, v54
	v_mov_b32_e32 v50, 0x3f317218
	v_pk_mul_f32 v[50:51], v[52:53], v[50:51]
	v_ldexp_f32 v48, v48, 1
	v_fma_f32 v53, v52, s13, -v50
	v_fmamk_f32 v54, v52, 0xb102e308, v53
	v_pk_add_f32 v[52:53], v[50:51], v[54:55]
	v_mov_b32_e32 v64, v50
	v_sub_f32_e32 v55, v53, v55
	v_sub_f32_e32 v55, v51, v55
	v_add_f32_e32 v65, v48, v55
	v_pk_add_f32 v[50:51], v[52:53], v[50:51] neg_lo:[0,1] neg_hi:[0,1]
	v_pk_add_f32 v[66:67], v[52:53], v[64:65]
	v_mov_b32_e32 v55, v52
	v_mov_b32_e32 v51, v67
	v_pk_add_f32 v[130:131], v[54:55], v[50:51] neg_lo:[0,1] neg_hi:[0,1]
	v_pk_add_f32 v[50:51], v[54:55], v[50:51]
	s_mov_b32 s13, 0x33800000
	v_mov_b32_e32 v48, v51
	v_pk_add_f32 v[54:55], v[48:49], v[52:53] neg_lo:[0,1] neg_hi:[0,1]
	v_mov_b32_e32 v50, v67
	v_mov_b32_e32 v55, v54
	v_pk_add_f32 v[132:133], v[66:67], v[54:55] neg_lo:[0,1] neg_hi:[0,1]
	v_mov_b32_e32 v66, v53
	v_mov_b32_e32 v67, v54
	;; [unrolled: 1-line block ×3, first 2 shown]
	v_pk_add_f32 v[50:51], v[50:51], v[66:67] neg_lo:[0,1] neg_hi:[0,1]
	v_mov_b32_e32 v54, v65
	v_mov_b32_e32 v55, v52
	v_pk_add_f32 v[50:51], v[54:55], v[50:51] neg_lo:[0,1] neg_hi:[0,1]
	v_mov_b32_e32 v132, v130
	v_pk_add_f32 v[52:53], v[132:133], v[50:51]
	v_cmp_lt_f32_e64 s[66:67], |v129|, s13
	v_mov_b32_e32 v54, v53
	v_pk_add_f32 v[54:55], v[52:53], v[54:55]
	s_or_b64 vcc, vcc, s[66:67]
	v_pk_add_f32 v[64:65], v[48:49], v[54:55]
	v_mov_b32_e32 v51, v54
	v_mov_b32_e32 v53, v64
	v_pk_add_f32 v[66:67], v[52:53], v[130:131] neg_lo:[0,1] neg_hi:[0,1]
	s_nop 0
	v_sub_f32_e32 v48, v52, v66
	v_pk_add_f32 v[50:51], v[50:51], v[66:67] neg_lo:[0,1] neg_hi:[0,1]
	v_sub_f32_e32 v48, v130, v48
	v_add_f32_e32 v48, v50, v48
	v_add_f32_e32 v48, v48, v51
	;; [unrolled: 1-line block ×3, first 2 shown]
	v_cndmask_b32_e32 v48, v48, v129, vcc
	v_add_f32_e32 v48, v49, v48
.LBB93_209:
	s_or_b64 exec, exec, s[56:57]
	s_add_i32 s12, s12, 64
	s_mov_b32 s13, 0
	v_lshl_add_u64 v[50:51], s[12:13], 3, v[96:97]
	v_mov_b32_e32 v49, 2
	flat_store_dwordx2 v[50:51], v[48:49] sc1
.LBB93_210:
	s_or_b64 exec, exec, s[60:61]
	s_and_b64 exec, exec, s[54:55]
	s_cbranch_execz .LBB93_212
; %bb.211:
	v_mov_b32_e32 v48, 0
	ds_write_b32 v48, v148
.LBB93_212:
	s_or_b64 exec, exec, s[64:65]
	v_mov_b32_e32 v48, 0
	s_waitcnt lgkmcnt(0)
	s_barrier
	ds_read_b32 v48, v48
	v_mov_b32_e32 v49, v16
	s_and_saveexec_b64 s[12:13], s[52:53]
	s_cbranch_execz .LBB93_216
; %bb.213:
	v_max_f32_e32 v49, v128, v128
	v_min_f32_e32 v50, v49, v119
	v_cmp_u_f32_e32 vcc, v128, v128
	v_max_f32_e32 v49, v49, v119
	s_nop 0
	v_cndmask_b32_e32 v50, v50, v128, vcc
	v_cndmask_b32_e32 v49, v49, v128, vcc
	v_cndmask_b32_e64 v50, v50, v16, s[50:51]
	v_cndmask_b32_e64 v49, v49, v16, s[50:51]
	s_movk_i32 s50, 0x1f8
	v_cmp_neq_f32_e32 vcc, v50, v49
	v_cmp_class_f32_e64 s[50:51], v50, s50
	s_or_b64 vcc, vcc, s[50:51]
	s_and_saveexec_b64 s[50:51], vcc
	s_cbranch_execz .LBB93_215
; %bb.214:
	v_sub_f32_e32 v50, v50, v49
	s_mov_b32 s52, 0x3fb8aa3b
	v_mul_f32_e32 v51, 0x3fb8aa3b, v50
	v_fma_f32 v52, v50, s52, -v51
	v_rndne_f32_e32 v53, v51
	v_fmamk_f32 v52, v50, 0x32a5705f, v52
	v_sub_f32_e32 v51, v51, v53
	v_add_f32_e32 v51, v51, v52
	v_exp_f32_e32 v51, v51
	v_cvt_i32_f32_e32 v52, v53
	s_mov_b32 s52, 0xc2ce8ed0
	v_cmp_ngt_f32_e32 vcc, s52, v50
	s_mov_b32 s52, 0x42b17218
	v_ldexp_f32 v51, v51, v52
	v_cndmask_b32_e32 v51, 0, v51, vcc
	v_mov_b32_e32 v52, 0x7f800000
	v_cmp_nlt_f32_e32 vcc, s52, v50
	s_mov_b32 s52, 0x3f2aaaab
	s_mov_b32 s53, 0x7f800000
	v_cndmask_b32_e32 v119, v52, v51, vcc
	v_add_f32_e32 v52, 1.0, v119
	v_add_f32_e32 v50, -1.0, v52
	v_sub_f32_e32 v51, v50, v52
	v_add_f32_e32 v51, 1.0, v51
	v_sub_f32_e32 v50, v119, v50
	v_add_f32_e32 v53, v50, v51
	v_frexp_mant_f32_e32 v54, v52
	v_cvt_f64_f32_e32 v[50:51], v52
	v_frexp_exp_i32_f64_e32 v50, v[50:51]
	v_cmp_gt_f32_e32 vcc, s52, v54
	s_mov_b32 s52, 0x3f317218
	s_nop 0
	v_subbrev_co_u32_e32 v66, vcc, 0, v50, vcc
	v_sub_u32_e32 v50, 0, v66
	v_ldexp_f32 v51, v52, v50
	v_add_f32_e32 v52, -1.0, v51
	v_add_f32_e32 v54, 1.0, v51
	v_ldexp_f32 v50, v53, v50
	v_add_f32_e32 v53, 1.0, v52
	v_add_f32_e32 v55, -1.0, v54
	v_sub_f32_e32 v53, v51, v53
	v_sub_f32_e32 v51, v51, v55
	v_add_f32_e32 v53, v50, v53
	v_add_f32_e32 v50, v50, v51
	;; [unrolled: 1-line block ×3, first 2 shown]
	v_rcp_f32_e32 v129, v67
	v_sub_f32_e32 v51, v54, v67
	v_add_f32_e32 v128, v50, v51
	v_add_f32_e32 v51, v52, v53
	v_mul_f32_e32 v131, v51, v129
	v_sub_f32_e32 v50, v52, v51
	v_mul_f32_e32 v52, v67, v131
	v_fma_f32 v54, v131, v67, -v52
	v_fmac_f32_e32 v54, v131, v128
	v_add_f32_e32 v130, v53, v50
	v_add_f32_e32 v50, v52, v54
	v_sub_f32_e32 v53, v51, v50
	v_pk_add_f32 v[64:65], v[50:51], v[52:53] neg_lo:[0,1] neg_hi:[0,1]
	v_mov_b32_e32 v55, v50
	v_pk_add_f32 v[50:51], v[64:65], v[54:55] neg_lo:[0,1] neg_hi:[0,1]
	v_cmp_eq_f32_e32 vcc, s53, v119
	v_add_f32_e32 v51, v130, v51
	v_add_f32_e32 v50, v50, v51
	;; [unrolled: 1-line block ×3, first 2 shown]
	v_mul_f32_e32 v130, v129, v51
	v_mul_f32_e32 v52, v67, v130
	v_fma_f32 v54, v130, v67, -v52
	v_fmac_f32_e32 v54, v130, v128
	v_sub_f32_e32 v53, v53, v51
	v_add_f32_e32 v67, v50, v53
	v_add_f32_e32 v50, v52, v54
	v_sub_f32_e32 v53, v51, v50
	v_pk_add_f32 v[64:65], v[50:51], v[52:53] neg_lo:[0,1] neg_hi:[0,1]
	v_mov_b32_e32 v55, v50
	v_pk_add_f32 v[50:51], v[64:65], v[54:55] neg_lo:[0,1] neg_hi:[0,1]
	v_cvt_f32_i32_e32 v52, v66
	v_add_f32_e32 v51, v67, v51
	v_add_f32_e32 v50, v50, v51
	;; [unrolled: 1-line block ×4, first 2 shown]
	v_sub_f32_e32 v51, v53, v131
	v_mul_f32_e32 v50, v129, v50
	v_sub_f32_e32 v51, v130, v51
	v_add_f32_e32 v50, v51, v50
	v_add_f32_e32 v54, v53, v50
	v_mul_f32_e32 v64, v54, v54
	v_mov_b32_e32 v51, 0x3ecc95a3
	v_sub_f32_e32 v53, v54, v53
	v_fmac_f32_e32 v51, 0x3e9b6dac, v64
	v_sub_f32_e32 v50, v50, v53
	v_fmaak_f32 v51, v64, v51, 0x3f2aaada
	v_ldexp_f32 v65, v50, 1
	v_mul_f32_e32 v53, v54, v64
	v_mov_b32_e32 v50, 0x3f317218
	v_pk_mul_f32 v[50:51], v[52:53], v[50:51]
	v_ldexp_f32 v55, v54, 1
	v_fma_f32 v53, v52, s52, -v50
	v_fmamk_f32 v54, v52, 0xb102e308, v53
	v_pk_add_f32 v[52:53], v[50:51], v[54:55]
	v_mov_b32_e32 v64, v50
	v_sub_f32_e32 v55, v53, v55
	v_sub_f32_e32 v55, v51, v55
	v_add_f32_e32 v65, v65, v55
	v_pk_add_f32 v[50:51], v[52:53], v[50:51] neg_lo:[0,1] neg_hi:[0,1]
	v_pk_add_f32 v[66:67], v[52:53], v[64:65]
	v_mov_b32_e32 v55, v52
	v_mov_b32_e32 v51, v67
	v_pk_add_f32 v[128:129], v[54:55], v[50:51] neg_lo:[0,1] neg_hi:[0,1]
	v_pk_add_f32 v[50:51], v[54:55], v[50:51]
	v_mov_b32_e32 v64, v65
	v_mov_b32_e32 v54, v51
	v_pk_add_f32 v[130:131], v[54:55], v[52:53] neg_lo:[0,1] neg_hi:[0,1]
	v_mov_b32_e32 v50, v67
	v_mov_b32_e32 v55, v130
	v_pk_add_f32 v[132:133], v[66:67], v[54:55] neg_lo:[0,1] neg_hi:[0,1]
	v_mov_b32_e32 v66, v53
	v_mov_b32_e32 v67, v130
	;; [unrolled: 1-line block ×3, first 2 shown]
	v_pk_add_f32 v[50:51], v[50:51], v[66:67] neg_lo:[0,1] neg_hi:[0,1]
	v_mov_b32_e32 v65, v52
	v_pk_add_f32 v[50:51], v[64:65], v[50:51] neg_lo:[0,1] neg_hi:[0,1]
	v_mov_b32_e32 v132, v128
	v_pk_add_f32 v[52:53], v[132:133], v[50:51]
	s_mov_b32 s52, 0x33800000
	v_mov_b32_e32 v64, v53
	v_pk_add_f32 v[64:65], v[52:53], v[64:65]
	v_cmp_lt_f32_e64 s[52:53], |v119|, s52
	v_pk_add_f32 v[54:55], v[54:55], v[64:65]
	v_mov_b32_e32 v51, v64
	v_mov_b32_e32 v53, v54
	v_pk_add_f32 v[66:67], v[52:53], v[128:129] neg_lo:[0,1] neg_hi:[0,1]
	s_or_b64 vcc, vcc, s[52:53]
	v_sub_f32_e32 v52, v52, v66
	v_pk_add_f32 v[50:51], v[50:51], v[66:67] neg_lo:[0,1] neg_hi:[0,1]
	v_sub_f32_e32 v52, v128, v52
	v_add_f32_e32 v50, v50, v52
	v_add_f32_e32 v50, v50, v51
	v_add_f32_e32 v50, v54, v50
	v_cndmask_b32_e32 v50, v50, v119, vcc
	v_add_f32_e32 v128, v49, v50
.LBB93_215:
	s_or_b64 exec, exec, s[50:51]
	v_mov_b32_e32 v49, v128
.LBB93_216:
	s_or_b64 exec, exec, s[12:13]
	v_max_f32_e32 v51, v49, v49
	s_waitcnt lgkmcnt(0)
	v_max_f32_e32 v52, v48, v48
	v_min_f32_e32 v50, v52, v51
	v_cmp_u_f32_e32 vcc, v48, v48
	v_max_f32_e32 v51, v52, v51
	v_cmp_u_f32_e64 s[12:13], v49, v49
	v_cndmask_b32_e32 v50, v50, v48, vcc
	v_cndmask_b32_e32 v51, v51, v48, vcc
	v_cndmask_b32_e64 v50, v50, v49, s[12:13]
	v_cndmask_b32_e64 v49, v51, v49, s[12:13]
	s_movk_i32 s50, 0x1f8
	v_cmp_neq_f32_e32 vcc, v50, v49
	v_cmp_class_f32_e64 s[12:13], v50, s50
	s_or_b64 vcc, vcc, s[12:13]
	s_and_saveexec_b64 s[12:13], vcc
	s_cbranch_execz .LBB93_218
; %bb.217:
	v_sub_f32_e32 v48, v50, v49
	s_mov_b32 s51, 0x3fb8aa3b
	v_mul_f32_e32 v50, 0x3fb8aa3b, v48
	v_fma_f32 v51, v48, s51, -v50
	v_rndne_f32_e32 v52, v50
	v_fmamk_f32 v51, v48, 0x32a5705f, v51
	v_sub_f32_e32 v50, v50, v52
	v_add_f32_e32 v50, v50, v51
	v_exp_f32_e32 v50, v50
	v_cvt_i32_f32_e32 v51, v52
	s_mov_b32 s51, 0xc2ce8ed0
	v_cmp_ngt_f32_e32 vcc, s51, v48
	s_mov_b32 s51, 0x42b17218
	v_ldexp_f32 v50, v50, v51
	v_cndmask_b32_e32 v50, 0, v50, vcc
	v_mov_b32_e32 v51, 0x7f800000
	v_cmp_nlt_f32_e32 vcc, s51, v48
	s_mov_b32 s51, 0x3f2aaaab
	s_mov_b32 s52, 0x7f800000
	v_cndmask_b32_e32 v119, v51, v50, vcc
	v_add_f32_e32 v48, 1.0, v119
	v_add_f32_e32 v50, -1.0, v48
	v_sub_f32_e32 v51, v50, v48
	v_add_f32_e32 v51, 1.0, v51
	v_sub_f32_e32 v50, v119, v50
	v_add_f32_e32 v52, v50, v51
	v_frexp_mant_f32_e32 v53, v48
	v_cvt_f64_f32_e32 v[50:51], v48
	v_frexp_exp_i32_f64_e32 v50, v[50:51]
	v_cmp_gt_f32_e32 vcc, s51, v53
	s_mov_b32 s51, 0x3f317218
	s_nop 0
	v_subbrev_co_u32_e32 v66, vcc, 0, v50, vcc
	v_sub_u32_e32 v50, 0, v66
	v_ldexp_f32 v48, v48, v50
	v_ldexp_f32 v50, v52, v50
	v_add_f32_e32 v52, -1.0, v48
	v_add_f32_e32 v51, 1.0, v52
	v_sub_f32_e32 v51, v48, v51
	v_add_f32_e32 v53, v50, v51
	v_add_f32_e32 v51, 1.0, v48
	v_add_f32_e32 v54, -1.0, v51
	v_sub_f32_e32 v48, v48, v54
	v_add_f32_e32 v48, v50, v48
	v_add_f32_e32 v67, v51, v48
	v_rcp_f32_e32 v128, v67
	v_sub_f32_e32 v50, v51, v67
	v_add_f32_e32 v51, v52, v53
	v_add_f32_e32 v48, v48, v50
	v_mul_f32_e32 v130, v51, v128
	v_sub_f32_e32 v50, v52, v51
	v_mul_f32_e32 v52, v67, v130
	v_fma_f32 v54, v130, v67, -v52
	v_fmac_f32_e32 v54, v130, v48
	v_add_f32_e32 v129, v53, v50
	v_add_f32_e32 v50, v52, v54
	v_sub_f32_e32 v53, v51, v50
	v_pk_add_f32 v[64:65], v[50:51], v[52:53] neg_lo:[0,1] neg_hi:[0,1]
	v_mov_b32_e32 v55, v50
	v_pk_add_f32 v[50:51], v[64:65], v[54:55] neg_lo:[0,1] neg_hi:[0,1]
	v_cmp_eq_f32_e32 vcc, s52, v119
	v_add_f32_e32 v51, v129, v51
	v_add_f32_e32 v50, v50, v51
	v_add_f32_e32 v51, v53, v50
	v_mul_f32_e32 v129, v128, v51
	v_mul_f32_e32 v52, v67, v129
	v_fma_f32 v54, v129, v67, -v52
	v_fmac_f32_e32 v54, v129, v48
	v_sub_f32_e32 v48, v53, v51
	v_add_f32_e32 v48, v50, v48
	v_add_f32_e32 v50, v52, v54
	v_sub_f32_e32 v53, v51, v50
	v_pk_add_f32 v[64:65], v[50:51], v[52:53] neg_lo:[0,1] neg_hi:[0,1]
	v_mov_b32_e32 v55, v50
	v_pk_add_f32 v[50:51], v[64:65], v[54:55] neg_lo:[0,1] neg_hi:[0,1]
	v_cvt_f32_i32_e32 v52, v66
	v_add_f32_e32 v48, v48, v51
	v_add_f32_e32 v48, v50, v48
	;; [unrolled: 1-line block ×4, first 2 shown]
	v_sub_f32_e32 v51, v50, v130
	v_mul_f32_e32 v48, v128, v48
	v_sub_f32_e32 v51, v129, v51
	v_add_f32_e32 v48, v51, v48
	v_add_f32_e32 v53, v50, v48
	v_mul_f32_e32 v54, v53, v53
	v_mov_b32_e32 v51, 0x3ecc95a3
	v_fmac_f32_e32 v51, 0x3e9b6dac, v54
	v_sub_f32_e32 v50, v53, v50
	v_fmaak_f32 v51, v54, v51, 0x3f2aaada
	v_sub_f32_e32 v48, v48, v50
	v_ldexp_f32 v55, v53, 1
	v_mul_f32_e32 v53, v53, v54
	v_mov_b32_e32 v50, 0x3f317218
	v_pk_mul_f32 v[50:51], v[52:53], v[50:51]
	v_ldexp_f32 v48, v48, 1
	v_fma_f32 v53, v52, s51, -v50
	v_fmamk_f32 v54, v52, 0xb102e308, v53
	v_pk_add_f32 v[52:53], v[50:51], v[54:55]
	v_mov_b32_e32 v64, v50
	v_sub_f32_e32 v55, v53, v55
	v_sub_f32_e32 v55, v51, v55
	v_add_f32_e32 v65, v48, v55
	v_pk_add_f32 v[50:51], v[52:53], v[50:51] neg_lo:[0,1] neg_hi:[0,1]
	v_pk_add_f32 v[66:67], v[52:53], v[64:65]
	v_mov_b32_e32 v55, v52
	v_mov_b32_e32 v51, v67
	v_pk_add_f32 v[128:129], v[54:55], v[50:51] neg_lo:[0,1] neg_hi:[0,1]
	v_pk_add_f32 v[50:51], v[54:55], v[50:51]
	s_mov_b32 s51, 0x33800000
	v_mov_b32_e32 v48, v51
	v_pk_add_f32 v[54:55], v[48:49], v[52:53] neg_lo:[0,1] neg_hi:[0,1]
	v_mov_b32_e32 v50, v67
	v_mov_b32_e32 v55, v54
	v_pk_add_f32 v[130:131], v[66:67], v[54:55] neg_lo:[0,1] neg_hi:[0,1]
	v_mov_b32_e32 v66, v53
	v_mov_b32_e32 v67, v54
	;; [unrolled: 1-line block ×3, first 2 shown]
	v_pk_add_f32 v[50:51], v[50:51], v[66:67] neg_lo:[0,1] neg_hi:[0,1]
	v_mov_b32_e32 v54, v65
	v_mov_b32_e32 v55, v52
	v_pk_add_f32 v[50:51], v[54:55], v[50:51] neg_lo:[0,1] neg_hi:[0,1]
	v_mov_b32_e32 v130, v128
	v_pk_add_f32 v[52:53], v[130:131], v[50:51]
	v_cmp_lt_f32_e64 s[52:53], |v119|, s51
	v_mov_b32_e32 v54, v53
	v_pk_add_f32 v[54:55], v[52:53], v[54:55]
	s_or_b64 vcc, vcc, s[52:53]
	v_pk_add_f32 v[64:65], v[48:49], v[54:55]
	v_mov_b32_e32 v51, v54
	v_mov_b32_e32 v53, v64
	v_pk_add_f32 v[66:67], v[52:53], v[128:129] neg_lo:[0,1] neg_hi:[0,1]
	s_nop 0
	v_sub_f32_e32 v48, v52, v66
	v_pk_add_f32 v[50:51], v[50:51], v[66:67] neg_lo:[0,1] neg_hi:[0,1]
	v_sub_f32_e32 v48, v128, v48
	v_add_f32_e32 v48, v50, v48
	v_add_f32_e32 v48, v48, v51
	;; [unrolled: 1-line block ×3, first 2 shown]
	v_cndmask_b32_e32 v48, v48, v119, vcc
	v_add_f32_e32 v48, v49, v48
.LBB93_218:
	s_or_b64 exec, exec, s[12:13]
	v_max_f32_e32 v49, v48, v48
	v_min_f32_e32 v50, v49, v11
	v_cmp_u_f32_e32 vcc, v48, v48
	v_max_f32_e32 v49, v49, v11
	s_nop 0
	v_cndmask_b32_e32 v50, v50, v48, vcc
	v_cndmask_b32_e32 v49, v49, v48, vcc
	v_cndmask_b32_e64 v51, v50, v17, s[2:3]
	v_cndmask_b32_e64 v50, v49, v17, s[2:3]
	v_cmp_neq_f32_e32 vcc, v51, v50
	v_cmp_class_f32_e64 s[2:3], v51, s50
	s_or_b64 s[12:13], vcc, s[2:3]
	v_mov_b32_e32 v49, v48
	s_and_saveexec_b64 s[2:3], s[12:13]
	s_cbranch_execz .LBB93_220
; %bb.219:
	v_sub_f32_e32 v49, v51, v50
	s_mov_b32 s12, 0x3fb8aa3b
	v_mul_f32_e32 v51, 0x3fb8aa3b, v49
	v_fma_f32 v52, v49, s12, -v51
	v_rndne_f32_e32 v53, v51
	v_fmamk_f32 v52, v49, 0x32a5705f, v52
	v_sub_f32_e32 v51, v51, v53
	v_add_f32_e32 v51, v51, v52
	v_exp_f32_e32 v51, v51
	v_cvt_i32_f32_e32 v52, v53
	s_mov_b32 s12, 0xc2ce8ed0
	v_cmp_ngt_f32_e32 vcc, s12, v49
	s_mov_b32 s12, 0x42b17218
	v_ldexp_f32 v51, v51, v52
	v_cndmask_b32_e32 v51, 0, v51, vcc
	v_mov_b32_e32 v52, 0x7f800000
	v_cmp_nlt_f32_e32 vcc, s12, v49
	s_mov_b32 s12, 0x3f2aaaab
	s_mov_b32 s13, 0x7f800000
	v_cndmask_b32_e32 v51, v52, v51, vcc
	v_add_f32_e32 v49, 1.0, v51
	v_add_f32_e32 v52, -1.0, v49
	v_sub_f32_e32 v53, v52, v49
	v_add_f32_e32 v53, 1.0, v53
	v_sub_f32_e32 v52, v51, v52
	v_add_f32_e32 v54, v52, v53
	v_frexp_mant_f32_e32 v55, v49
	v_cvt_f64_f32_e32 v[52:53], v49
	v_frexp_exp_i32_f64_e32 v52, v[52:53]
	v_cmp_gt_f32_e32 vcc, s12, v55
	s_mov_b32 s12, 0x3f317218
	s_nop 0
	v_subbrev_co_u32_e32 v119, vcc, 0, v52, vcc
	v_sub_u32_e32 v52, 0, v119
	v_ldexp_f32 v49, v49, v52
	v_ldexp_f32 v52, v54, v52
	v_add_f32_e32 v54, -1.0, v49
	v_add_f32_e32 v53, 1.0, v54
	v_sub_f32_e32 v53, v49, v53
	v_add_f32_e32 v55, v52, v53
	v_add_f32_e32 v53, 1.0, v49
	v_add_f32_e32 v64, -1.0, v53
	v_sub_f32_e32 v49, v49, v64
	v_add_f32_e32 v49, v52, v49
	v_add_f32_e32 v128, v53, v49
	v_rcp_f32_e32 v129, v128
	v_sub_f32_e32 v52, v53, v128
	v_add_f32_e32 v53, v54, v55
	v_add_f32_e32 v49, v49, v52
	v_mul_f32_e32 v131, v53, v129
	v_sub_f32_e32 v52, v54, v53
	v_mul_f32_e32 v54, v128, v131
	v_fma_f32 v64, v131, v128, -v54
	v_fmac_f32_e32 v64, v131, v49
	v_add_f32_e32 v130, v55, v52
	v_add_f32_e32 v52, v54, v64
	v_sub_f32_e32 v55, v53, v52
	v_pk_add_f32 v[66:67], v[52:53], v[54:55] neg_lo:[0,1] neg_hi:[0,1]
	v_mov_b32_e32 v65, v52
	v_pk_add_f32 v[52:53], v[66:67], v[64:65] neg_lo:[0,1] neg_hi:[0,1]
	v_cmp_eq_f32_e32 vcc, s13, v51
	v_add_f32_e32 v53, v130, v53
	v_add_f32_e32 v52, v52, v53
	;; [unrolled: 1-line block ×3, first 2 shown]
	v_mul_f32_e32 v130, v129, v53
	v_mul_f32_e32 v54, v128, v130
	v_fma_f32 v64, v130, v128, -v54
	v_fmac_f32_e32 v64, v130, v49
	v_sub_f32_e32 v49, v55, v53
	v_add_f32_e32 v49, v52, v49
	v_add_f32_e32 v52, v54, v64
	v_sub_f32_e32 v55, v53, v52
	v_pk_add_f32 v[66:67], v[52:53], v[54:55] neg_lo:[0,1] neg_hi:[0,1]
	v_mov_b32_e32 v65, v52
	v_pk_add_f32 v[52:53], v[66:67], v[64:65] neg_lo:[0,1] neg_hi:[0,1]
	v_cvt_f32_i32_e32 v54, v119
	v_add_f32_e32 v49, v49, v53
	v_add_f32_e32 v49, v52, v49
	;; [unrolled: 1-line block ×4, first 2 shown]
	v_sub_f32_e32 v53, v52, v131
	v_mul_f32_e32 v49, v129, v49
	v_sub_f32_e32 v53, v130, v53
	v_add_f32_e32 v49, v53, v49
	v_add_f32_e32 v55, v52, v49
	v_mul_f32_e32 v64, v55, v55
	v_mov_b32_e32 v53, 0x3ecc95a3
	v_fmac_f32_e32 v53, 0x3e9b6dac, v64
	v_sub_f32_e32 v52, v55, v52
	v_fmaak_f32 v53, v64, v53, 0x3f2aaada
	v_sub_f32_e32 v49, v49, v52
	v_ldexp_f32 v65, v55, 1
	v_mul_f32_e32 v55, v55, v64
	v_mov_b32_e32 v52, 0x3f317218
	v_pk_mul_f32 v[52:53], v[54:55], v[52:53]
	v_ldexp_f32 v49, v49, 1
	v_fma_f32 v55, v54, s12, -v52
	v_fmamk_f32 v64, v54, 0xb102e308, v55
	v_pk_add_f32 v[54:55], v[52:53], v[64:65]
	v_mov_b32_e32 v66, v52
	v_sub_f32_e32 v65, v55, v65
	v_sub_f32_e32 v65, v53, v65
	v_add_f32_e32 v67, v49, v65
	v_pk_add_f32 v[52:53], v[54:55], v[52:53] neg_lo:[0,1] neg_hi:[0,1]
	v_pk_add_f32 v[128:129], v[54:55], v[66:67]
	v_mov_b32_e32 v65, v54
	v_mov_b32_e32 v53, v129
	v_pk_add_f32 v[130:131], v[64:65], v[52:53] neg_lo:[0,1] neg_hi:[0,1]
	v_pk_add_f32 v[52:53], v[64:65], v[52:53]
	v_mov_b32_e32 v66, v67
	v_mov_b32_e32 v64, v53
	v_pk_add_f32 v[132:133], v[64:65], v[54:55] neg_lo:[0,1] neg_hi:[0,1]
	v_mov_b32_e32 v52, v129
	v_mov_b32_e32 v49, v132
	v_pk_add_f32 v[134:135], v[128:129], v[48:49] neg_lo:[0,1] neg_hi:[0,1]
	v_mov_b32_e32 v128, v55
	v_mov_b32_e32 v129, v132
	;; [unrolled: 1-line block ×3, first 2 shown]
	v_pk_add_f32 v[52:53], v[52:53], v[128:129] neg_lo:[0,1] neg_hi:[0,1]
	v_mov_b32_e32 v67, v54
	v_pk_add_f32 v[52:53], v[66:67], v[52:53] neg_lo:[0,1] neg_hi:[0,1]
	v_mov_b32_e32 v134, v130
	v_pk_add_f32 v[54:55], v[134:135], v[52:53]
	s_mov_b32 s12, 0x33800000
	v_mov_b32_e32 v66, v55
	v_pk_add_f32 v[66:67], v[54:55], v[66:67]
	v_cmp_lt_f32_e64 s[12:13], |v51|, s12
	v_pk_add_f32 v[64:65], v[64:65], v[66:67]
	v_mov_b32_e32 v53, v66
	v_mov_b32_e32 v55, v64
	v_pk_add_f32 v[128:129], v[54:55], v[130:131] neg_lo:[0,1] neg_hi:[0,1]
	s_or_b64 vcc, vcc, s[12:13]
	v_sub_f32_e32 v49, v54, v128
	v_pk_add_f32 v[52:53], v[52:53], v[128:129] neg_lo:[0,1] neg_hi:[0,1]
	v_sub_f32_e32 v49, v130, v49
	v_add_f32_e32 v49, v52, v49
	v_add_f32_e32 v49, v49, v53
	;; [unrolled: 1-line block ×3, first 2 shown]
	v_cndmask_b32_e32 v49, v49, v51, vcc
	v_add_f32_e32 v49, v50, v49
.LBB93_220:
	s_or_b64 exec, exec, s[2:3]
	v_max_f32_e32 v50, v49, v49
	v_min_f32_e32 v51, v50, v68
	v_cmp_u_f32_e32 vcc, v49, v49
	v_max_f32_e32 v50, v50, v68
	s_nop 0
	v_cndmask_b32_e32 v51, v51, v49, vcc
	v_cndmask_b32_e32 v50, v50, v49, vcc
	v_cndmask_b32_e64 v52, v51, v18, s[4:5]
	v_cndmask_b32_e64 v51, v50, v18, s[4:5]
	s_movk_i32 s4, 0x1f8
	v_cmp_neq_f32_e32 vcc, v52, v51
	v_cmp_class_f32_e64 s[2:3], v52, s4
	s_or_b64 s[12:13], vcc, s[2:3]
	v_mov_b32_e32 v50, v49
	s_and_saveexec_b64 s[2:3], s[12:13]
	s_cbranch_execz .LBB93_222
; %bb.221:
	v_sub_f32_e32 v50, v52, v51
	s_mov_b32 s5, 0x3fb8aa3b
	v_mul_f32_e32 v52, 0x3fb8aa3b, v50
	v_fma_f32 v53, v50, s5, -v52
	v_rndne_f32_e32 v54, v52
	v_fmamk_f32 v53, v50, 0x32a5705f, v53
	v_sub_f32_e32 v52, v52, v54
	v_add_f32_e32 v52, v52, v53
	v_exp_f32_e32 v52, v52
	v_cvt_i32_f32_e32 v53, v54
	s_mov_b32 s5, 0xc2ce8ed0
	v_cmp_ngt_f32_e32 vcc, s5, v50
	s_mov_b32 s5, 0x42b17218
	v_ldexp_f32 v52, v52, v53
	v_cndmask_b32_e32 v52, 0, v52, vcc
	v_mov_b32_e32 v53, 0x7f800000
	v_cmp_nlt_f32_e32 vcc, s5, v50
	s_mov_b32 s5, 0x3f2aaaab
	s_mov_b32 s12, 0x7f800000
	v_cndmask_b32_e32 v68, v53, v52, vcc
	v_add_f32_e32 v50, 1.0, v68
	v_add_f32_e32 v52, -1.0, v50
	v_sub_f32_e32 v53, v52, v50
	v_add_f32_e32 v53, 1.0, v53
	v_sub_f32_e32 v52, v68, v52
	v_add_f32_e32 v54, v52, v53
	v_frexp_mant_f32_e32 v55, v50
	v_cvt_f64_f32_e32 v[52:53], v50
	v_frexp_exp_i32_f64_e32 v52, v[52:53]
	v_cmp_gt_f32_e32 vcc, s5, v55
	s_mov_b32 s5, 0x3f317218
	s_nop 0
	v_subbrev_co_u32_e32 v119, vcc, 0, v52, vcc
	v_sub_u32_e32 v52, 0, v119
	v_ldexp_f32 v50, v50, v52
	v_ldexp_f32 v52, v54, v52
	v_add_f32_e32 v54, -1.0, v50
	v_add_f32_e32 v53, 1.0, v54
	v_sub_f32_e32 v53, v50, v53
	v_add_f32_e32 v55, v52, v53
	v_add_f32_e32 v53, 1.0, v50
	v_add_f32_e32 v64, -1.0, v53
	v_sub_f32_e32 v50, v50, v64
	v_add_f32_e32 v50, v52, v50
	v_add_f32_e32 v128, v53, v50
	v_rcp_f32_e32 v129, v128
	v_sub_f32_e32 v52, v53, v128
	v_add_f32_e32 v53, v54, v55
	v_add_f32_e32 v50, v50, v52
	v_mul_f32_e32 v131, v53, v129
	v_sub_f32_e32 v52, v54, v53
	v_mul_f32_e32 v54, v128, v131
	v_fma_f32 v64, v131, v128, -v54
	v_fmac_f32_e32 v64, v131, v50
	v_add_f32_e32 v130, v55, v52
	v_add_f32_e32 v52, v54, v64
	v_sub_f32_e32 v55, v53, v52
	v_pk_add_f32 v[66:67], v[52:53], v[54:55] neg_lo:[0,1] neg_hi:[0,1]
	v_mov_b32_e32 v65, v52
	v_pk_add_f32 v[52:53], v[66:67], v[64:65] neg_lo:[0,1] neg_hi:[0,1]
	v_cmp_eq_f32_e32 vcc, s12, v68
	v_add_f32_e32 v53, v130, v53
	v_add_f32_e32 v52, v52, v53
	;; [unrolled: 1-line block ×3, first 2 shown]
	v_mul_f32_e32 v130, v129, v53
	v_mul_f32_e32 v54, v128, v130
	v_fma_f32 v64, v130, v128, -v54
	v_fmac_f32_e32 v64, v130, v50
	v_sub_f32_e32 v50, v55, v53
	v_add_f32_e32 v50, v52, v50
	v_add_f32_e32 v52, v54, v64
	v_sub_f32_e32 v55, v53, v52
	v_pk_add_f32 v[66:67], v[52:53], v[54:55] neg_lo:[0,1] neg_hi:[0,1]
	v_mov_b32_e32 v65, v52
	v_pk_add_f32 v[52:53], v[66:67], v[64:65] neg_lo:[0,1] neg_hi:[0,1]
	v_cvt_f32_i32_e32 v54, v119
	v_add_f32_e32 v50, v50, v53
	v_add_f32_e32 v50, v52, v50
	;; [unrolled: 1-line block ×4, first 2 shown]
	v_sub_f32_e32 v53, v52, v131
	v_mul_f32_e32 v50, v129, v50
	v_sub_f32_e32 v53, v130, v53
	v_add_f32_e32 v50, v53, v50
	v_add_f32_e32 v55, v52, v50
	v_mul_f32_e32 v64, v55, v55
	v_mov_b32_e32 v53, 0x3ecc95a3
	v_fmac_f32_e32 v53, 0x3e9b6dac, v64
	v_sub_f32_e32 v52, v55, v52
	v_fmaak_f32 v53, v64, v53, 0x3f2aaada
	v_sub_f32_e32 v50, v50, v52
	v_ldexp_f32 v65, v55, 1
	v_mul_f32_e32 v55, v55, v64
	v_mov_b32_e32 v52, 0x3f317218
	v_pk_mul_f32 v[52:53], v[54:55], v[52:53]
	v_ldexp_f32 v50, v50, 1
	v_fma_f32 v55, v54, s5, -v52
	v_fmamk_f32 v64, v54, 0xb102e308, v55
	v_pk_add_f32 v[54:55], v[52:53], v[64:65]
	v_mov_b32_e32 v66, v52
	v_sub_f32_e32 v65, v55, v65
	v_sub_f32_e32 v65, v53, v65
	v_add_f32_e32 v67, v50, v65
	v_pk_add_f32 v[52:53], v[54:55], v[52:53] neg_lo:[0,1] neg_hi:[0,1]
	v_pk_add_f32 v[128:129], v[54:55], v[66:67]
	v_mov_b32_e32 v65, v54
	v_mov_b32_e32 v53, v129
	v_pk_add_f32 v[130:131], v[64:65], v[52:53] neg_lo:[0,1] neg_hi:[0,1]
	v_pk_add_f32 v[52:53], v[64:65], v[52:53]
	s_mov_b32 s5, 0x33800000
	v_mov_b32_e32 v50, v53
	v_pk_add_f32 v[64:65], v[50:51], v[54:55] neg_lo:[0,1] neg_hi:[0,1]
	v_mov_b32_e32 v52, v129
	v_mov_b32_e32 v65, v64
	v_pk_add_f32 v[132:133], v[128:129], v[64:65] neg_lo:[0,1] neg_hi:[0,1]
	v_mov_b32_e32 v128, v55
	v_mov_b32_e32 v129, v64
	;; [unrolled: 1-line block ×3, first 2 shown]
	v_pk_add_f32 v[52:53], v[52:53], v[128:129] neg_lo:[0,1] neg_hi:[0,1]
	v_mov_b32_e32 v64, v67
	v_mov_b32_e32 v65, v54
	v_pk_add_f32 v[52:53], v[64:65], v[52:53] neg_lo:[0,1] neg_hi:[0,1]
	v_mov_b32_e32 v132, v130
	v_pk_add_f32 v[54:55], v[132:133], v[52:53]
	v_cmp_lt_f32_e64 s[12:13], |v68|, s5
	v_mov_b32_e32 v64, v55
	v_pk_add_f32 v[64:65], v[54:55], v[64:65]
	s_or_b64 vcc, vcc, s[12:13]
	v_pk_add_f32 v[66:67], v[50:51], v[64:65]
	v_mov_b32_e32 v53, v64
	v_mov_b32_e32 v55, v66
	v_pk_add_f32 v[128:129], v[54:55], v[130:131] neg_lo:[0,1] neg_hi:[0,1]
	s_nop 0
	v_sub_f32_e32 v50, v54, v128
	v_pk_add_f32 v[52:53], v[52:53], v[128:129] neg_lo:[0,1] neg_hi:[0,1]
	v_sub_f32_e32 v50, v130, v50
	v_add_f32_e32 v50, v52, v50
	v_add_f32_e32 v50, v50, v53
	;; [unrolled: 1-line block ×3, first 2 shown]
	v_cndmask_b32_e32 v50, v50, v68, vcc
	v_add_f32_e32 v50, v51, v50
.LBB93_222:
	s_or_b64 exec, exec, s[2:3]
	v_max_f32_e32 v51, v50, v50
	v_min_f32_e32 v52, v51, v69
	v_cmp_u_f32_e32 vcc, v50, v50
	v_max_f32_e32 v51, v51, v69
	s_nop 0
	v_cndmask_b32_e32 v52, v52, v50, vcc
	v_cndmask_b32_e32 v51, v51, v50, vcc
	v_cndmask_b32_e64 v53, v52, v19, s[6:7]
	v_cndmask_b32_e64 v52, v51, v19, s[6:7]
	v_cmp_neq_f32_e32 vcc, v53, v52
	v_cmp_class_f32_e64 s[2:3], v53, s4
	s_or_b64 s[4:5], vcc, s[2:3]
	v_mov_b32_e32 v51, v50
	s_and_saveexec_b64 s[2:3], s[4:5]
	s_cbranch_execz .LBB93_224
; %bb.223:
	v_sub_f32_e32 v51, v53, v52
	s_mov_b32 s4, 0x3fb8aa3b
	v_mul_f32_e32 v53, 0x3fb8aa3b, v51
	v_fma_f32 v54, v51, s4, -v53
	v_rndne_f32_e32 v55, v53
	v_fmamk_f32 v54, v51, 0x32a5705f, v54
	v_sub_f32_e32 v53, v53, v55
	v_add_f32_e32 v53, v53, v54
	v_exp_f32_e32 v53, v53
	v_cvt_i32_f32_e32 v54, v55
	s_mov_b32 s4, 0xc2ce8ed0
	v_cmp_ngt_f32_e32 vcc, s4, v51
	s_mov_b32 s4, 0x42b17218
	v_ldexp_f32 v53, v53, v54
	v_cndmask_b32_e32 v53, 0, v53, vcc
	v_mov_b32_e32 v54, 0x7f800000
	v_cmp_nlt_f32_e32 vcc, s4, v51
	s_mov_b32 s4, 0x3f2aaaab
	s_mov_b32 s5, 0x7f800000
	v_cndmask_b32_e32 v53, v54, v53, vcc
	v_add_f32_e32 v51, 1.0, v53
	v_add_f32_e32 v54, -1.0, v51
	v_sub_f32_e32 v55, v54, v51
	v_add_f32_e32 v55, 1.0, v55
	v_sub_f32_e32 v54, v53, v54
	v_add_f32_e32 v64, v54, v55
	v_frexp_mant_f32_e32 v65, v51
	v_cvt_f64_f32_e32 v[54:55], v51
	v_frexp_exp_i32_f64_e32 v54, v[54:55]
	v_cmp_gt_f32_e32 vcc, s4, v65
	s_mov_b32 s4, 0x3f317218
	s_nop 0
	v_subbrev_co_u32_e32 v119, vcc, 0, v54, vcc
	v_sub_u32_e32 v54, 0, v119
	v_ldexp_f32 v51, v51, v54
	v_ldexp_f32 v54, v64, v54
	v_add_f32_e32 v64, -1.0, v51
	v_add_f32_e32 v55, 1.0, v64
	v_sub_f32_e32 v55, v51, v55
	v_add_f32_e32 v65, v54, v55
	v_add_f32_e32 v55, 1.0, v51
	v_add_f32_e32 v66, -1.0, v55
	v_sub_f32_e32 v51, v51, v66
	v_add_f32_e32 v51, v54, v51
	v_add_f32_e32 v128, v55, v51
	v_rcp_f32_e32 v129, v128
	v_sub_f32_e32 v54, v55, v128
	v_add_f32_e32 v55, v64, v65
	v_add_f32_e32 v51, v51, v54
	v_mul_f32_e32 v131, v55, v129
	v_sub_f32_e32 v54, v64, v55
	v_mul_f32_e32 v64, v128, v131
	v_fma_f32 v66, v131, v128, -v64
	v_fmac_f32_e32 v66, v131, v51
	v_add_f32_e32 v130, v65, v54
	v_add_f32_e32 v54, v64, v66
	v_sub_f32_e32 v65, v55, v54
	v_pk_add_f32 v[68:69], v[54:55], v[64:65] neg_lo:[0,1] neg_hi:[0,1]
	v_mov_b32_e32 v67, v54
	v_pk_add_f32 v[54:55], v[68:69], v[66:67] neg_lo:[0,1] neg_hi:[0,1]
	v_cmp_eq_f32_e32 vcc, s5, v53
	v_add_f32_e32 v55, v130, v55
	v_add_f32_e32 v54, v54, v55
	;; [unrolled: 1-line block ×3, first 2 shown]
	v_mul_f32_e32 v130, v129, v55
	v_mul_f32_e32 v64, v128, v130
	v_fma_f32 v66, v130, v128, -v64
	v_fmac_f32_e32 v66, v130, v51
	v_sub_f32_e32 v51, v65, v55
	v_add_f32_e32 v51, v54, v51
	v_add_f32_e32 v54, v64, v66
	v_sub_f32_e32 v65, v55, v54
	v_pk_add_f32 v[68:69], v[54:55], v[64:65] neg_lo:[0,1] neg_hi:[0,1]
	v_mov_b32_e32 v67, v54
	v_pk_add_f32 v[54:55], v[68:69], v[66:67] neg_lo:[0,1] neg_hi:[0,1]
	v_cvt_f32_i32_e32 v64, v119
	v_add_f32_e32 v51, v51, v55
	v_add_f32_e32 v51, v54, v51
	;; [unrolled: 1-line block ×4, first 2 shown]
	v_sub_f32_e32 v55, v54, v131
	v_mul_f32_e32 v51, v129, v51
	v_sub_f32_e32 v55, v130, v55
	v_add_f32_e32 v51, v55, v51
	v_add_f32_e32 v65, v54, v51
	v_mul_f32_e32 v66, v65, v65
	v_mov_b32_e32 v55, 0x3ecc95a3
	v_fmac_f32_e32 v55, 0x3e9b6dac, v66
	v_sub_f32_e32 v54, v65, v54
	v_fmaak_f32 v55, v66, v55, 0x3f2aaada
	v_sub_f32_e32 v51, v51, v54
	v_ldexp_f32 v67, v65, 1
	v_mul_f32_e32 v65, v65, v66
	v_mov_b32_e32 v54, 0x3f317218
	v_pk_mul_f32 v[54:55], v[64:65], v[54:55]
	v_ldexp_f32 v51, v51, 1
	v_fma_f32 v65, v64, s4, -v54
	v_fmamk_f32 v66, v64, 0xb102e308, v65
	v_pk_add_f32 v[64:65], v[54:55], v[66:67]
	v_mov_b32_e32 v68, v54
	v_sub_f32_e32 v67, v65, v67
	v_sub_f32_e32 v67, v55, v67
	v_add_f32_e32 v69, v51, v67
	v_pk_add_f32 v[54:55], v[64:65], v[54:55] neg_lo:[0,1] neg_hi:[0,1]
	v_pk_add_f32 v[128:129], v[64:65], v[68:69]
	v_mov_b32_e32 v67, v64
	v_mov_b32_e32 v55, v129
	v_pk_add_f32 v[130:131], v[66:67], v[54:55] neg_lo:[0,1] neg_hi:[0,1]
	v_pk_add_f32 v[54:55], v[66:67], v[54:55]
	v_mov_b32_e32 v68, v69
	v_mov_b32_e32 v66, v55
	v_pk_add_f32 v[132:133], v[66:67], v[64:65] neg_lo:[0,1] neg_hi:[0,1]
	v_mov_b32_e32 v54, v129
	v_mov_b32_e32 v51, v132
	v_pk_add_f32 v[134:135], v[128:129], v[50:51] neg_lo:[0,1] neg_hi:[0,1]
	v_mov_b32_e32 v128, v65
	v_mov_b32_e32 v129, v132
	;; [unrolled: 1-line block ×3, first 2 shown]
	v_pk_add_f32 v[54:55], v[54:55], v[128:129] neg_lo:[0,1] neg_hi:[0,1]
	v_mov_b32_e32 v69, v64
	v_pk_add_f32 v[54:55], v[68:69], v[54:55] neg_lo:[0,1] neg_hi:[0,1]
	v_mov_b32_e32 v134, v130
	v_pk_add_f32 v[64:65], v[134:135], v[54:55]
	s_mov_b32 s4, 0x33800000
	v_mov_b32_e32 v68, v65
	v_pk_add_f32 v[68:69], v[64:65], v[68:69]
	v_cmp_lt_f32_e64 s[4:5], |v53|, s4
	v_pk_add_f32 v[66:67], v[66:67], v[68:69]
	v_mov_b32_e32 v55, v68
	v_mov_b32_e32 v65, v66
	v_pk_add_f32 v[128:129], v[64:65], v[130:131] neg_lo:[0,1] neg_hi:[0,1]
	s_or_b64 vcc, vcc, s[4:5]
	v_sub_f32_e32 v51, v64, v128
	v_pk_add_f32 v[54:55], v[54:55], v[128:129] neg_lo:[0,1] neg_hi:[0,1]
	v_sub_f32_e32 v51, v130, v51
	v_add_f32_e32 v51, v54, v51
	v_add_f32_e32 v51, v51, v55
	;; [unrolled: 1-line block ×3, first 2 shown]
	v_cndmask_b32_e32 v51, v51, v53, vcc
	v_add_f32_e32 v51, v52, v51
.LBB93_224:
	s_or_b64 exec, exec, s[2:3]
	v_max_f32_e32 v52, v51, v51
	v_min_f32_e32 v53, v52, v70
	v_cmp_u_f32_e32 vcc, v51, v51
	v_max_f32_e32 v52, v52, v70
	s_movk_i32 s4, 0x1f8
	v_cndmask_b32_e32 v53, v53, v51, vcc
	v_cndmask_b32_e32 v52, v52, v51, vcc
	v_cndmask_b32_e64 v54, v53, v36, s[8:9]
	v_cndmask_b32_e64 v53, v52, v36, s[8:9]
	v_cmp_neq_f32_e32 vcc, v54, v53
	v_cmp_class_f32_e64 s[2:3], v54, s4
	s_or_b64 s[6:7], vcc, s[2:3]
	v_mov_b32_e32 v52, v51
	s_and_saveexec_b64 s[2:3], s[6:7]
	s_cbranch_execz .LBB93_226
; %bb.225:
	v_sub_f32_e32 v52, v54, v53
	s_mov_b32 s5, 0x3fb8aa3b
	v_mul_f32_e32 v54, 0x3fb8aa3b, v52
	v_fma_f32 v55, v52, s5, -v54
	v_rndne_f32_e32 v64, v54
	v_fmamk_f32 v55, v52, 0x32a5705f, v55
	v_sub_f32_e32 v54, v54, v64
	v_add_f32_e32 v54, v54, v55
	v_exp_f32_e32 v54, v54
	v_cvt_i32_f32_e32 v55, v64
	s_mov_b32 s5, 0xc2ce8ed0
	v_cmp_ngt_f32_e32 vcc, s5, v52
	s_mov_b32 s5, 0x42b17218
	v_ldexp_f32 v54, v54, v55
	v_cndmask_b32_e32 v54, 0, v54, vcc
	v_mov_b32_e32 v55, 0x7f800000
	v_cmp_nlt_f32_e32 vcc, s5, v52
	s_mov_b32 s5, 0x3f2aaaab
	s_mov_b32 s6, 0x7f800000
	v_cndmask_b32_e32 v70, v55, v54, vcc
	v_add_f32_e32 v52, 1.0, v70
	v_add_f32_e32 v54, -1.0, v52
	v_sub_f32_e32 v55, v54, v52
	v_add_f32_e32 v55, 1.0, v55
	v_sub_f32_e32 v54, v70, v54
	v_add_f32_e32 v64, v54, v55
	v_frexp_mant_f32_e32 v65, v52
	v_cvt_f64_f32_e32 v[54:55], v52
	v_frexp_exp_i32_f64_e32 v54, v[54:55]
	v_cmp_gt_f32_e32 vcc, s5, v65
	s_mov_b32 s5, 0x3f317218
	s_nop 0
	v_subbrev_co_u32_e32 v119, vcc, 0, v54, vcc
	v_sub_u32_e32 v54, 0, v119
	v_ldexp_f32 v52, v52, v54
	v_ldexp_f32 v54, v64, v54
	v_add_f32_e32 v64, -1.0, v52
	v_add_f32_e32 v55, 1.0, v64
	v_sub_f32_e32 v55, v52, v55
	v_add_f32_e32 v65, v54, v55
	v_add_f32_e32 v55, 1.0, v52
	v_add_f32_e32 v66, -1.0, v55
	v_sub_f32_e32 v52, v52, v66
	v_add_f32_e32 v52, v54, v52
	v_add_f32_e32 v128, v55, v52
	v_rcp_f32_e32 v129, v128
	v_sub_f32_e32 v54, v55, v128
	v_add_f32_e32 v55, v64, v65
	v_add_f32_e32 v52, v52, v54
	v_mul_f32_e32 v131, v55, v129
	v_sub_f32_e32 v54, v64, v55
	v_mul_f32_e32 v64, v128, v131
	v_fma_f32 v66, v131, v128, -v64
	v_fmac_f32_e32 v66, v131, v52
	v_add_f32_e32 v130, v65, v54
	v_add_f32_e32 v54, v64, v66
	v_sub_f32_e32 v65, v55, v54
	v_pk_add_f32 v[68:69], v[54:55], v[64:65] neg_lo:[0,1] neg_hi:[0,1]
	v_mov_b32_e32 v67, v54
	v_pk_add_f32 v[54:55], v[68:69], v[66:67] neg_lo:[0,1] neg_hi:[0,1]
	v_cmp_eq_f32_e32 vcc, s6, v70
	v_add_f32_e32 v55, v130, v55
	v_add_f32_e32 v54, v54, v55
	;; [unrolled: 1-line block ×3, first 2 shown]
	v_mul_f32_e32 v130, v129, v55
	v_mul_f32_e32 v64, v128, v130
	v_fma_f32 v66, v130, v128, -v64
	v_fmac_f32_e32 v66, v130, v52
	v_sub_f32_e32 v52, v65, v55
	v_add_f32_e32 v52, v54, v52
	v_add_f32_e32 v54, v64, v66
	v_sub_f32_e32 v65, v55, v54
	v_pk_add_f32 v[68:69], v[54:55], v[64:65] neg_lo:[0,1] neg_hi:[0,1]
	v_mov_b32_e32 v67, v54
	v_pk_add_f32 v[54:55], v[68:69], v[66:67] neg_lo:[0,1] neg_hi:[0,1]
	v_cvt_f32_i32_e32 v64, v119
	v_add_f32_e32 v52, v52, v55
	v_add_f32_e32 v52, v54, v52
	;; [unrolled: 1-line block ×4, first 2 shown]
	v_sub_f32_e32 v55, v54, v131
	v_mul_f32_e32 v52, v129, v52
	v_sub_f32_e32 v55, v130, v55
	v_add_f32_e32 v52, v55, v52
	v_add_f32_e32 v65, v54, v52
	v_mul_f32_e32 v66, v65, v65
	v_mov_b32_e32 v55, 0x3ecc95a3
	v_fmac_f32_e32 v55, 0x3e9b6dac, v66
	v_sub_f32_e32 v54, v65, v54
	v_fmaak_f32 v55, v66, v55, 0x3f2aaada
	v_sub_f32_e32 v52, v52, v54
	v_ldexp_f32 v67, v65, 1
	v_mul_f32_e32 v65, v65, v66
	v_mov_b32_e32 v54, 0x3f317218
	v_pk_mul_f32 v[54:55], v[64:65], v[54:55]
	v_ldexp_f32 v52, v52, 1
	v_fma_f32 v65, v64, s5, -v54
	v_fmamk_f32 v66, v64, 0xb102e308, v65
	v_pk_add_f32 v[64:65], v[54:55], v[66:67]
	v_mov_b32_e32 v68, v54
	v_sub_f32_e32 v67, v65, v67
	v_sub_f32_e32 v67, v55, v67
	v_add_f32_e32 v69, v52, v67
	v_pk_add_f32 v[54:55], v[64:65], v[54:55] neg_lo:[0,1] neg_hi:[0,1]
	v_pk_add_f32 v[128:129], v[64:65], v[68:69]
	v_mov_b32_e32 v67, v64
	v_mov_b32_e32 v55, v129
	v_pk_add_f32 v[130:131], v[66:67], v[54:55] neg_lo:[0,1] neg_hi:[0,1]
	v_pk_add_f32 v[54:55], v[66:67], v[54:55]
	s_mov_b32 s5, 0x33800000
	v_mov_b32_e32 v52, v55
	v_pk_add_f32 v[66:67], v[52:53], v[64:65] neg_lo:[0,1] neg_hi:[0,1]
	v_mov_b32_e32 v54, v129
	v_mov_b32_e32 v67, v66
	v_pk_add_f32 v[132:133], v[128:129], v[66:67] neg_lo:[0,1] neg_hi:[0,1]
	v_mov_b32_e32 v128, v65
	v_mov_b32_e32 v129, v66
	;; [unrolled: 1-line block ×3, first 2 shown]
	v_pk_add_f32 v[54:55], v[54:55], v[128:129] neg_lo:[0,1] neg_hi:[0,1]
	v_mov_b32_e32 v66, v69
	v_mov_b32_e32 v67, v64
	v_pk_add_f32 v[54:55], v[66:67], v[54:55] neg_lo:[0,1] neg_hi:[0,1]
	v_mov_b32_e32 v132, v130
	v_pk_add_f32 v[64:65], v[132:133], v[54:55]
	v_cmp_lt_f32_e64 s[6:7], |v70|, s5
	v_mov_b32_e32 v66, v65
	v_pk_add_f32 v[66:67], v[64:65], v[66:67]
	s_or_b64 vcc, vcc, s[6:7]
	v_pk_add_f32 v[68:69], v[52:53], v[66:67]
	v_mov_b32_e32 v55, v66
	v_mov_b32_e32 v65, v68
	v_pk_add_f32 v[128:129], v[64:65], v[130:131] neg_lo:[0,1] neg_hi:[0,1]
	s_nop 0
	v_sub_f32_e32 v52, v64, v128
	v_pk_add_f32 v[54:55], v[54:55], v[128:129] neg_lo:[0,1] neg_hi:[0,1]
	v_sub_f32_e32 v52, v130, v52
	v_add_f32_e32 v52, v54, v52
	v_add_f32_e32 v52, v52, v55
	;; [unrolled: 1-line block ×3, first 2 shown]
	v_cndmask_b32_e32 v52, v52, v70, vcc
	v_add_f32_e32 v52, v53, v52
.LBB93_226:
	s_or_b64 exec, exec, s[2:3]
	v_max_f32_e32 v53, v52, v52
	v_min_f32_e32 v54, v53, v71
	v_cmp_u_f32_e32 vcc, v52, v52
	v_max_f32_e32 v53, v53, v71
	s_nop 0
	v_cndmask_b32_e32 v54, v54, v52, vcc
	v_cndmask_b32_e32 v53, v53, v52, vcc
	v_cndmask_b32_e64 v55, v54, v37, s[10:11]
	v_cndmask_b32_e64 v54, v53, v37, s[10:11]
	v_cmp_neq_f32_e32 vcc, v55, v54
	v_cmp_class_f32_e64 s[2:3], v55, s4
	s_or_b64 s[4:5], vcc, s[2:3]
	v_mov_b32_e32 v53, v52
	s_and_saveexec_b64 s[2:3], s[4:5]
	s_cbranch_execz .LBB93_228
; %bb.227:
	v_sub_f32_e32 v53, v55, v54
	s_mov_b32 s4, 0x3fb8aa3b
	v_mul_f32_e32 v55, 0x3fb8aa3b, v53
	v_fma_f32 v64, v53, s4, -v55
	v_rndne_f32_e32 v65, v55
	v_fmamk_f32 v64, v53, 0x32a5705f, v64
	v_sub_f32_e32 v55, v55, v65
	v_add_f32_e32 v55, v55, v64
	v_exp_f32_e32 v55, v55
	v_cvt_i32_f32_e32 v64, v65
	s_mov_b32 s4, 0xc2ce8ed0
	v_cmp_ngt_f32_e32 vcc, s4, v53
	s_mov_b32 s4, 0x42b17218
	v_ldexp_f32 v55, v55, v64
	v_cndmask_b32_e32 v55, 0, v55, vcc
	v_mov_b32_e32 v64, 0x7f800000
	v_cmp_nlt_f32_e32 vcc, s4, v53
	s_mov_b32 s4, 0x3f2aaaab
	s_mov_b32 s5, 0x7f800000
	v_cndmask_b32_e32 v55, v64, v55, vcc
	v_add_f32_e32 v53, 1.0, v55
	v_add_f32_e32 v64, -1.0, v53
	v_sub_f32_e32 v65, v64, v53
	v_add_f32_e32 v65, 1.0, v65
	v_sub_f32_e32 v64, v55, v64
	v_add_f32_e32 v66, v64, v65
	v_frexp_mant_f32_e32 v67, v53
	v_cvt_f64_f32_e32 v[64:65], v53
	v_frexp_exp_i32_f64_e32 v64, v[64:65]
	v_cmp_gt_f32_e32 vcc, s4, v67
	s_mov_b32 s4, 0x3f317218
	s_nop 0
	v_subbrev_co_u32_e32 v119, vcc, 0, v64, vcc
	v_sub_u32_e32 v64, 0, v119
	v_ldexp_f32 v53, v53, v64
	v_ldexp_f32 v64, v66, v64
	v_add_f32_e32 v66, -1.0, v53
	v_add_f32_e32 v65, 1.0, v66
	v_sub_f32_e32 v65, v53, v65
	v_add_f32_e32 v67, v64, v65
	v_add_f32_e32 v65, 1.0, v53
	v_add_f32_e32 v68, -1.0, v65
	v_sub_f32_e32 v53, v53, v68
	v_add_f32_e32 v53, v64, v53
	v_add_f32_e32 v128, v65, v53
	v_rcp_f32_e32 v129, v128
	v_sub_f32_e32 v64, v65, v128
	v_add_f32_e32 v65, v66, v67
	v_add_f32_e32 v53, v53, v64
	v_mul_f32_e32 v131, v65, v129
	v_sub_f32_e32 v64, v66, v65
	v_mul_f32_e32 v66, v128, v131
	v_fma_f32 v68, v131, v128, -v66
	v_fmac_f32_e32 v68, v131, v53
	v_add_f32_e32 v130, v67, v64
	v_add_f32_e32 v64, v66, v68
	v_sub_f32_e32 v67, v65, v64
	v_pk_add_f32 v[70:71], v[64:65], v[66:67] neg_lo:[0,1] neg_hi:[0,1]
	v_mov_b32_e32 v69, v64
	v_pk_add_f32 v[64:65], v[70:71], v[68:69] neg_lo:[0,1] neg_hi:[0,1]
	v_cmp_eq_f32_e32 vcc, s5, v55
	v_add_f32_e32 v65, v130, v65
	v_add_f32_e32 v64, v64, v65
	;; [unrolled: 1-line block ×3, first 2 shown]
	v_mul_f32_e32 v130, v129, v65
	v_mul_f32_e32 v66, v128, v130
	v_fma_f32 v68, v130, v128, -v66
	v_fmac_f32_e32 v68, v130, v53
	v_sub_f32_e32 v53, v67, v65
	v_add_f32_e32 v53, v64, v53
	v_add_f32_e32 v64, v66, v68
	v_sub_f32_e32 v67, v65, v64
	v_pk_add_f32 v[70:71], v[64:65], v[66:67] neg_lo:[0,1] neg_hi:[0,1]
	v_mov_b32_e32 v69, v64
	v_pk_add_f32 v[64:65], v[70:71], v[68:69] neg_lo:[0,1] neg_hi:[0,1]
	v_cvt_f32_i32_e32 v66, v119
	v_add_f32_e32 v53, v53, v65
	v_add_f32_e32 v53, v64, v53
	;; [unrolled: 1-line block ×4, first 2 shown]
	v_sub_f32_e32 v65, v64, v131
	v_mul_f32_e32 v53, v129, v53
	v_sub_f32_e32 v65, v130, v65
	v_add_f32_e32 v53, v65, v53
	v_add_f32_e32 v67, v64, v53
	v_mul_f32_e32 v68, v67, v67
	v_mov_b32_e32 v65, 0x3ecc95a3
	v_fmac_f32_e32 v65, 0x3e9b6dac, v68
	v_sub_f32_e32 v64, v67, v64
	v_fmaak_f32 v65, v68, v65, 0x3f2aaada
	v_sub_f32_e32 v53, v53, v64
	v_ldexp_f32 v69, v67, 1
	v_mul_f32_e32 v67, v67, v68
	v_mov_b32_e32 v64, 0x3f317218
	v_pk_mul_f32 v[64:65], v[66:67], v[64:65]
	v_ldexp_f32 v53, v53, 1
	v_fma_f32 v67, v66, s4, -v64
	v_fmamk_f32 v68, v66, 0xb102e308, v67
	v_pk_add_f32 v[66:67], v[64:65], v[68:69]
	v_mov_b32_e32 v70, v64
	v_sub_f32_e32 v69, v67, v69
	v_sub_f32_e32 v69, v65, v69
	v_add_f32_e32 v71, v53, v69
	v_pk_add_f32 v[64:65], v[66:67], v[64:65] neg_lo:[0,1] neg_hi:[0,1]
	v_pk_add_f32 v[128:129], v[66:67], v[70:71]
	v_mov_b32_e32 v69, v66
	v_mov_b32_e32 v65, v129
	v_pk_add_f32 v[130:131], v[68:69], v[64:65] neg_lo:[0,1] neg_hi:[0,1]
	v_pk_add_f32 v[64:65], v[68:69], v[64:65]
	v_mov_b32_e32 v70, v71
	v_mov_b32_e32 v68, v65
	v_pk_add_f32 v[132:133], v[68:69], v[66:67] neg_lo:[0,1] neg_hi:[0,1]
	v_mov_b32_e32 v64, v129
	v_mov_b32_e32 v53, v132
	v_pk_add_f32 v[134:135], v[128:129], v[52:53] neg_lo:[0,1] neg_hi:[0,1]
	v_mov_b32_e32 v128, v67
	v_mov_b32_e32 v129, v132
	;; [unrolled: 1-line block ×3, first 2 shown]
	v_pk_add_f32 v[64:65], v[64:65], v[128:129] neg_lo:[0,1] neg_hi:[0,1]
	v_mov_b32_e32 v71, v66
	v_pk_add_f32 v[64:65], v[70:71], v[64:65] neg_lo:[0,1] neg_hi:[0,1]
	v_mov_b32_e32 v134, v130
	v_pk_add_f32 v[66:67], v[134:135], v[64:65]
	s_mov_b32 s4, 0x33800000
	v_mov_b32_e32 v70, v67
	v_pk_add_f32 v[70:71], v[66:67], v[70:71]
	v_cmp_lt_f32_e64 s[4:5], |v55|, s4
	v_pk_add_f32 v[68:69], v[68:69], v[70:71]
	v_mov_b32_e32 v65, v70
	v_mov_b32_e32 v67, v68
	v_pk_add_f32 v[128:129], v[66:67], v[130:131] neg_lo:[0,1] neg_hi:[0,1]
	s_or_b64 vcc, vcc, s[4:5]
	v_sub_f32_e32 v53, v66, v128
	v_pk_add_f32 v[64:65], v[64:65], v[128:129] neg_lo:[0,1] neg_hi:[0,1]
	v_sub_f32_e32 v53, v130, v53
	v_add_f32_e32 v53, v64, v53
	v_add_f32_e32 v53, v53, v65
	;; [unrolled: 1-line block ×3, first 2 shown]
	v_cndmask_b32_e32 v53, v53, v55, vcc
	v_add_f32_e32 v53, v54, v53
.LBB93_228:
	s_or_b64 exec, exec, s[2:3]
	v_max_f32_e32 v54, v53, v53
	v_min_f32_e32 v55, v54, v80
	v_cmp_u_f32_e32 vcc, v53, v53
	v_max_f32_e32 v54, v54, v80
	s_movk_i32 s4, 0x1f8
	v_cndmask_b32_e32 v55, v55, v53, vcc
	v_cndmask_b32_e32 v54, v54, v53, vcc
	v_cndmask_b32_e64 v64, v55, v38, s[58:59]
	v_cndmask_b32_e64 v55, v54, v38, s[58:59]
	v_cmp_neq_f32_e32 vcc, v64, v55
	v_cmp_class_f32_e64 s[2:3], v64, s4
	s_or_b64 s[6:7], vcc, s[2:3]
	v_mov_b32_e32 v54, v53
	s_and_saveexec_b64 s[2:3], s[6:7]
	s_cbranch_execz .LBB93_230
; %bb.229:
	v_sub_f32_e32 v54, v64, v55
	s_mov_b32 s5, 0x3fb8aa3b
	v_mul_f32_e32 v64, 0x3fb8aa3b, v54
	v_fma_f32 v65, v54, s5, -v64
	v_rndne_f32_e32 v66, v64
	v_fmamk_f32 v65, v54, 0x32a5705f, v65
	v_sub_f32_e32 v64, v64, v66
	v_add_f32_e32 v64, v64, v65
	v_exp_f32_e32 v64, v64
	v_cvt_i32_f32_e32 v65, v66
	s_mov_b32 s5, 0xc2ce8ed0
	v_cmp_ngt_f32_e32 vcc, s5, v54
	s_mov_b32 s5, 0x42b17218
	v_ldexp_f32 v64, v64, v65
	v_cndmask_b32_e32 v64, 0, v64, vcc
	v_mov_b32_e32 v65, 0x7f800000
	v_cmp_nlt_f32_e32 vcc, s5, v54
	s_mov_b32 s5, 0x3f2aaaab
	s_mov_b32 s6, 0x7f800000
	v_cndmask_b32_e32 v80, v65, v64, vcc
	v_add_f32_e32 v54, 1.0, v80
	v_add_f32_e32 v64, -1.0, v54
	v_sub_f32_e32 v65, v64, v54
	v_add_f32_e32 v65, 1.0, v65
	v_sub_f32_e32 v64, v80, v64
	v_add_f32_e32 v66, v64, v65
	v_frexp_mant_f32_e32 v67, v54
	v_cvt_f64_f32_e32 v[64:65], v54
	v_frexp_exp_i32_f64_e32 v64, v[64:65]
	v_cmp_gt_f32_e32 vcc, s5, v67
	s_mov_b32 s5, 0x3f317218
	s_nop 0
	v_subbrev_co_u32_e32 v119, vcc, 0, v64, vcc
	v_sub_u32_e32 v64, 0, v119
	v_ldexp_f32 v54, v54, v64
	v_ldexp_f32 v64, v66, v64
	v_add_f32_e32 v66, -1.0, v54
	v_add_f32_e32 v65, 1.0, v66
	v_sub_f32_e32 v65, v54, v65
	v_add_f32_e32 v67, v64, v65
	v_add_f32_e32 v65, 1.0, v54
	v_add_f32_e32 v68, -1.0, v65
	v_sub_f32_e32 v54, v54, v68
	v_add_f32_e32 v54, v64, v54
	v_add_f32_e32 v128, v65, v54
	v_rcp_f32_e32 v129, v128
	v_sub_f32_e32 v64, v65, v128
	v_add_f32_e32 v65, v66, v67
	v_add_f32_e32 v54, v54, v64
	v_mul_f32_e32 v131, v65, v129
	v_sub_f32_e32 v64, v66, v65
	v_mul_f32_e32 v66, v128, v131
	v_fma_f32 v68, v131, v128, -v66
	v_fmac_f32_e32 v68, v131, v54
	v_add_f32_e32 v130, v67, v64
	v_add_f32_e32 v64, v66, v68
	v_sub_f32_e32 v67, v65, v64
	v_pk_add_f32 v[70:71], v[64:65], v[66:67] neg_lo:[0,1] neg_hi:[0,1]
	v_mov_b32_e32 v69, v64
	v_pk_add_f32 v[64:65], v[70:71], v[68:69] neg_lo:[0,1] neg_hi:[0,1]
	v_cmp_eq_f32_e32 vcc, s6, v80
	v_add_f32_e32 v65, v130, v65
	v_add_f32_e32 v64, v64, v65
	;; [unrolled: 1-line block ×3, first 2 shown]
	v_mul_f32_e32 v130, v129, v65
	v_mul_f32_e32 v66, v128, v130
	v_fma_f32 v68, v130, v128, -v66
	v_fmac_f32_e32 v68, v130, v54
	v_sub_f32_e32 v54, v67, v65
	v_add_f32_e32 v54, v64, v54
	v_add_f32_e32 v64, v66, v68
	v_sub_f32_e32 v67, v65, v64
	v_pk_add_f32 v[70:71], v[64:65], v[66:67] neg_lo:[0,1] neg_hi:[0,1]
	v_mov_b32_e32 v69, v64
	v_pk_add_f32 v[64:65], v[70:71], v[68:69] neg_lo:[0,1] neg_hi:[0,1]
	v_cvt_f32_i32_e32 v66, v119
	v_add_f32_e32 v54, v54, v65
	v_add_f32_e32 v54, v64, v54
	;; [unrolled: 1-line block ×4, first 2 shown]
	v_sub_f32_e32 v65, v64, v131
	v_mul_f32_e32 v54, v129, v54
	v_sub_f32_e32 v65, v130, v65
	v_add_f32_e32 v54, v65, v54
	v_add_f32_e32 v67, v64, v54
	v_mul_f32_e32 v68, v67, v67
	v_mov_b32_e32 v65, 0x3ecc95a3
	v_fmac_f32_e32 v65, 0x3e9b6dac, v68
	v_sub_f32_e32 v64, v67, v64
	v_fmaak_f32 v65, v68, v65, 0x3f2aaada
	v_sub_f32_e32 v54, v54, v64
	v_ldexp_f32 v69, v67, 1
	v_mul_f32_e32 v67, v67, v68
	v_mov_b32_e32 v64, 0x3f317218
	v_pk_mul_f32 v[64:65], v[66:67], v[64:65]
	v_ldexp_f32 v54, v54, 1
	v_fma_f32 v67, v66, s5, -v64
	v_fmamk_f32 v68, v66, 0xb102e308, v67
	v_pk_add_f32 v[66:67], v[64:65], v[68:69]
	v_mov_b32_e32 v70, v64
	v_sub_f32_e32 v69, v67, v69
	v_sub_f32_e32 v69, v65, v69
	v_add_f32_e32 v71, v54, v69
	v_pk_add_f32 v[64:65], v[66:67], v[64:65] neg_lo:[0,1] neg_hi:[0,1]
	v_pk_add_f32 v[128:129], v[66:67], v[70:71]
	v_mov_b32_e32 v69, v66
	v_mov_b32_e32 v65, v129
	v_pk_add_f32 v[130:131], v[68:69], v[64:65] neg_lo:[0,1] neg_hi:[0,1]
	v_pk_add_f32 v[64:65], v[68:69], v[64:65]
	s_mov_b32 s5, 0x33800000
	v_mov_b32_e32 v54, v65
	v_pk_add_f32 v[68:69], v[54:55], v[66:67] neg_lo:[0,1] neg_hi:[0,1]
	v_mov_b32_e32 v64, v129
	v_mov_b32_e32 v69, v68
	v_pk_add_f32 v[132:133], v[128:129], v[68:69] neg_lo:[0,1] neg_hi:[0,1]
	v_mov_b32_e32 v128, v67
	v_mov_b32_e32 v129, v68
	;; [unrolled: 1-line block ×3, first 2 shown]
	v_pk_add_f32 v[64:65], v[64:65], v[128:129] neg_lo:[0,1] neg_hi:[0,1]
	v_mov_b32_e32 v68, v71
	v_mov_b32_e32 v69, v66
	v_pk_add_f32 v[64:65], v[68:69], v[64:65] neg_lo:[0,1] neg_hi:[0,1]
	v_mov_b32_e32 v132, v130
	v_pk_add_f32 v[66:67], v[132:133], v[64:65]
	v_cmp_lt_f32_e64 s[6:7], |v80|, s5
	v_mov_b32_e32 v68, v67
	v_pk_add_f32 v[68:69], v[66:67], v[68:69]
	s_or_b64 vcc, vcc, s[6:7]
	v_pk_add_f32 v[70:71], v[54:55], v[68:69]
	v_mov_b32_e32 v65, v68
	v_mov_b32_e32 v67, v70
	v_pk_add_f32 v[128:129], v[66:67], v[130:131] neg_lo:[0,1] neg_hi:[0,1]
	s_nop 0
	v_sub_f32_e32 v54, v66, v128
	v_pk_add_f32 v[64:65], v[64:65], v[128:129] neg_lo:[0,1] neg_hi:[0,1]
	v_sub_f32_e32 v54, v130, v54
	v_add_f32_e32 v54, v64, v54
	v_add_f32_e32 v54, v54, v65
	;; [unrolled: 1-line block ×3, first 2 shown]
	v_cndmask_b32_e32 v54, v54, v80, vcc
	v_add_f32_e32 v54, v55, v54
.LBB93_230:
	s_or_b64 exec, exec, s[2:3]
	v_max_f32_e32 v55, v54, v54
	v_min_f32_e32 v64, v55, v81
	v_cmp_u_f32_e32 vcc, v54, v54
	v_max_f32_e32 v55, v55, v81
	s_nop 0
	v_cndmask_b32_e32 v64, v64, v54, vcc
	v_cndmask_b32_e32 v55, v55, v54, vcc
	v_cndmask_b32_e64 v65, v64, v39, s[14:15]
	v_cndmask_b32_e64 v64, v55, v39, s[14:15]
	v_cmp_neq_f32_e32 vcc, v65, v64
	v_cmp_class_f32_e64 s[2:3], v65, s4
	s_or_b64 s[4:5], vcc, s[2:3]
	v_mov_b32_e32 v55, v54
	s_and_saveexec_b64 s[2:3], s[4:5]
	s_cbranch_execz .LBB93_232
; %bb.231:
	v_sub_f32_e32 v55, v65, v64
	s_mov_b32 s4, 0x3fb8aa3b
	v_mul_f32_e32 v65, 0x3fb8aa3b, v55
	v_fma_f32 v66, v55, s4, -v65
	v_rndne_f32_e32 v67, v65
	v_fmamk_f32 v66, v55, 0x32a5705f, v66
	v_sub_f32_e32 v65, v65, v67
	v_add_f32_e32 v65, v65, v66
	v_exp_f32_e32 v65, v65
	v_cvt_i32_f32_e32 v66, v67
	s_mov_b32 s4, 0xc2ce8ed0
	v_cmp_ngt_f32_e32 vcc, s4, v55
	s_mov_b32 s4, 0x42b17218
	v_ldexp_f32 v65, v65, v66
	v_cndmask_b32_e32 v65, 0, v65, vcc
	v_mov_b32_e32 v66, 0x7f800000
	v_cmp_nlt_f32_e32 vcc, s4, v55
	s_mov_b32 s4, 0x3f2aaaab
	s_mov_b32 s5, 0x7f800000
	v_cndmask_b32_e32 v65, v66, v65, vcc
	v_add_f32_e32 v55, 1.0, v65
	v_add_f32_e32 v66, -1.0, v55
	v_sub_f32_e32 v67, v66, v55
	v_add_f32_e32 v67, 1.0, v67
	v_sub_f32_e32 v66, v65, v66
	v_add_f32_e32 v68, v66, v67
	v_frexp_mant_f32_e32 v69, v55
	v_cvt_f64_f32_e32 v[66:67], v55
	v_frexp_exp_i32_f64_e32 v66, v[66:67]
	v_cmp_gt_f32_e32 vcc, s4, v69
	s_mov_b32 s4, 0x3f317218
	s_nop 0
	v_subbrev_co_u32_e32 v119, vcc, 0, v66, vcc
	v_sub_u32_e32 v66, 0, v119
	v_ldexp_f32 v55, v55, v66
	v_ldexp_f32 v66, v68, v66
	v_add_f32_e32 v68, -1.0, v55
	v_add_f32_e32 v67, 1.0, v68
	v_sub_f32_e32 v67, v55, v67
	v_add_f32_e32 v69, v66, v67
	v_add_f32_e32 v67, 1.0, v55
	v_add_f32_e32 v70, -1.0, v67
	v_sub_f32_e32 v55, v55, v70
	v_add_f32_e32 v55, v66, v55
	v_add_f32_e32 v128, v67, v55
	v_rcp_f32_e32 v129, v128
	v_sub_f32_e32 v66, v67, v128
	v_add_f32_e32 v67, v68, v69
	v_add_f32_e32 v55, v55, v66
	v_mul_f32_e32 v131, v67, v129
	v_sub_f32_e32 v66, v68, v67
	v_mul_f32_e32 v68, v128, v131
	v_fma_f32 v70, v131, v128, -v68
	v_fmac_f32_e32 v70, v131, v55
	v_add_f32_e32 v130, v69, v66
	v_add_f32_e32 v66, v68, v70
	v_sub_f32_e32 v69, v67, v66
	v_pk_add_f32 v[80:81], v[66:67], v[68:69] neg_lo:[0,1] neg_hi:[0,1]
	v_mov_b32_e32 v71, v66
	v_pk_add_f32 v[66:67], v[80:81], v[70:71] neg_lo:[0,1] neg_hi:[0,1]
	v_cmp_eq_f32_e32 vcc, s5, v65
	v_add_f32_e32 v67, v130, v67
	v_add_f32_e32 v66, v66, v67
	;; [unrolled: 1-line block ×3, first 2 shown]
	v_mul_f32_e32 v130, v129, v67
	v_mul_f32_e32 v68, v128, v130
	v_fma_f32 v70, v130, v128, -v68
	v_fmac_f32_e32 v70, v130, v55
	v_sub_f32_e32 v55, v69, v67
	v_add_f32_e32 v55, v66, v55
	v_add_f32_e32 v66, v68, v70
	v_sub_f32_e32 v69, v67, v66
	v_pk_add_f32 v[80:81], v[66:67], v[68:69] neg_lo:[0,1] neg_hi:[0,1]
	v_mov_b32_e32 v71, v66
	v_pk_add_f32 v[66:67], v[80:81], v[70:71] neg_lo:[0,1] neg_hi:[0,1]
	v_cvt_f32_i32_e32 v68, v119
	v_add_f32_e32 v55, v55, v67
	v_add_f32_e32 v55, v66, v55
	;; [unrolled: 1-line block ×4, first 2 shown]
	v_sub_f32_e32 v67, v66, v131
	v_mul_f32_e32 v55, v129, v55
	v_sub_f32_e32 v67, v130, v67
	v_add_f32_e32 v55, v67, v55
	v_add_f32_e32 v69, v66, v55
	v_mul_f32_e32 v70, v69, v69
	v_mov_b32_e32 v67, 0x3ecc95a3
	v_fmac_f32_e32 v67, 0x3e9b6dac, v70
	v_sub_f32_e32 v66, v69, v66
	v_fmaak_f32 v67, v70, v67, 0x3f2aaada
	v_sub_f32_e32 v55, v55, v66
	v_ldexp_f32 v71, v69, 1
	v_mul_f32_e32 v69, v69, v70
	v_mov_b32_e32 v66, 0x3f317218
	v_pk_mul_f32 v[66:67], v[68:69], v[66:67]
	v_ldexp_f32 v55, v55, 1
	v_fma_f32 v69, v68, s4, -v66
	v_fmamk_f32 v70, v68, 0xb102e308, v69
	v_pk_add_f32 v[68:69], v[66:67], v[70:71]
	v_mov_b32_e32 v80, v66
	v_sub_f32_e32 v71, v69, v71
	v_sub_f32_e32 v71, v67, v71
	v_add_f32_e32 v81, v55, v71
	v_pk_add_f32 v[66:67], v[68:69], v[66:67] neg_lo:[0,1] neg_hi:[0,1]
	v_pk_add_f32 v[128:129], v[68:69], v[80:81]
	v_mov_b32_e32 v71, v68
	v_mov_b32_e32 v67, v129
	v_pk_add_f32 v[130:131], v[70:71], v[66:67] neg_lo:[0,1] neg_hi:[0,1]
	v_pk_add_f32 v[66:67], v[70:71], v[66:67]
	v_mov_b32_e32 v80, v81
	v_mov_b32_e32 v70, v67
	v_pk_add_f32 v[132:133], v[70:71], v[68:69] neg_lo:[0,1] neg_hi:[0,1]
	v_mov_b32_e32 v66, v129
	v_mov_b32_e32 v55, v132
	v_pk_add_f32 v[134:135], v[128:129], v[54:55] neg_lo:[0,1] neg_hi:[0,1]
	v_mov_b32_e32 v128, v69
	v_mov_b32_e32 v129, v132
	;; [unrolled: 1-line block ×3, first 2 shown]
	v_pk_add_f32 v[66:67], v[66:67], v[128:129] neg_lo:[0,1] neg_hi:[0,1]
	v_mov_b32_e32 v81, v68
	v_pk_add_f32 v[66:67], v[80:81], v[66:67] neg_lo:[0,1] neg_hi:[0,1]
	v_mov_b32_e32 v134, v130
	v_pk_add_f32 v[68:69], v[134:135], v[66:67]
	s_mov_b32 s4, 0x33800000
	v_mov_b32_e32 v80, v69
	v_pk_add_f32 v[80:81], v[68:69], v[80:81]
	v_cmp_lt_f32_e64 s[4:5], |v65|, s4
	v_pk_add_f32 v[70:71], v[70:71], v[80:81]
	v_mov_b32_e32 v67, v80
	v_mov_b32_e32 v69, v70
	v_pk_add_f32 v[128:129], v[68:69], v[130:131] neg_lo:[0,1] neg_hi:[0,1]
	s_or_b64 vcc, vcc, s[4:5]
	v_sub_f32_e32 v55, v68, v128
	v_pk_add_f32 v[66:67], v[66:67], v[128:129] neg_lo:[0,1] neg_hi:[0,1]
	v_sub_f32_e32 v55, v130, v55
	v_add_f32_e32 v55, v66, v55
	v_add_f32_e32 v55, v55, v67
	v_add_f32_e32 v55, v70, v55
	v_cndmask_b32_e32 v55, v55, v65, vcc
	v_add_f32_e32 v55, v64, v55
.LBB93_232:
	s_or_b64 exec, exec, s[2:3]
	v_max_f32_e32 v64, v55, v55
	v_min_f32_e32 v65, v64, v82
	v_cmp_u_f32_e32 vcc, v55, v55
	v_max_f32_e32 v64, v64, v82
	s_movk_i32 s4, 0x1f8
	v_cndmask_b32_e32 v65, v65, v55, vcc
	v_cndmask_b32_e32 v64, v64, v55, vcc
	v_cndmask_b32_e64 v66, v65, v32, s[16:17]
	v_cndmask_b32_e64 v65, v64, v32, s[16:17]
	v_cmp_neq_f32_e32 vcc, v66, v65
	v_cmp_class_f32_e64 s[2:3], v66, s4
	s_or_b64 s[6:7], vcc, s[2:3]
	v_mov_b32_e32 v64, v55
	s_and_saveexec_b64 s[2:3], s[6:7]
	s_cbranch_execz .LBB93_234
; %bb.233:
	v_sub_f32_e32 v64, v66, v65
	s_mov_b32 s5, 0x3fb8aa3b
	v_mul_f32_e32 v66, 0x3fb8aa3b, v64
	v_fma_f32 v67, v64, s5, -v66
	v_rndne_f32_e32 v68, v66
	v_fmamk_f32 v67, v64, 0x32a5705f, v67
	v_sub_f32_e32 v66, v66, v68
	v_add_f32_e32 v66, v66, v67
	v_exp_f32_e32 v66, v66
	v_cvt_i32_f32_e32 v67, v68
	s_mov_b32 s5, 0xc2ce8ed0
	v_cmp_ngt_f32_e32 vcc, s5, v64
	s_mov_b32 s5, 0x42b17218
	v_ldexp_f32 v66, v66, v67
	v_cndmask_b32_e32 v66, 0, v66, vcc
	v_mov_b32_e32 v67, 0x7f800000
	v_cmp_nlt_f32_e32 vcc, s5, v64
	s_mov_b32 s5, 0x3f2aaaab
	s_mov_b32 s6, 0x7f800000
	v_cndmask_b32_e32 v82, v67, v66, vcc
	v_add_f32_e32 v64, 1.0, v82
	v_add_f32_e32 v66, -1.0, v64
	v_sub_f32_e32 v67, v66, v64
	v_add_f32_e32 v67, 1.0, v67
	v_sub_f32_e32 v66, v82, v66
	v_add_f32_e32 v68, v66, v67
	v_frexp_mant_f32_e32 v69, v64
	v_cvt_f64_f32_e32 v[66:67], v64
	v_frexp_exp_i32_f64_e32 v66, v[66:67]
	v_cmp_gt_f32_e32 vcc, s5, v69
	s_mov_b32 s5, 0x3f317218
	s_nop 0
	v_subbrev_co_u32_e32 v119, vcc, 0, v66, vcc
	v_sub_u32_e32 v66, 0, v119
	v_ldexp_f32 v64, v64, v66
	v_ldexp_f32 v66, v68, v66
	v_add_f32_e32 v68, -1.0, v64
	v_add_f32_e32 v67, 1.0, v68
	v_sub_f32_e32 v67, v64, v67
	v_add_f32_e32 v69, v66, v67
	v_add_f32_e32 v67, 1.0, v64
	v_add_f32_e32 v70, -1.0, v67
	v_sub_f32_e32 v64, v64, v70
	v_add_f32_e32 v64, v66, v64
	v_add_f32_e32 v128, v67, v64
	v_rcp_f32_e32 v129, v128
	v_sub_f32_e32 v66, v67, v128
	v_add_f32_e32 v67, v68, v69
	v_add_f32_e32 v64, v64, v66
	v_mul_f32_e32 v131, v67, v129
	v_sub_f32_e32 v66, v68, v67
	v_mul_f32_e32 v68, v128, v131
	v_fma_f32 v70, v131, v128, -v68
	v_fmac_f32_e32 v70, v131, v64
	v_add_f32_e32 v130, v69, v66
	v_add_f32_e32 v66, v68, v70
	v_sub_f32_e32 v69, v67, v66
	v_pk_add_f32 v[80:81], v[66:67], v[68:69] neg_lo:[0,1] neg_hi:[0,1]
	v_mov_b32_e32 v71, v66
	v_pk_add_f32 v[66:67], v[80:81], v[70:71] neg_lo:[0,1] neg_hi:[0,1]
	v_cmp_eq_f32_e32 vcc, s6, v82
	v_add_f32_e32 v67, v130, v67
	v_add_f32_e32 v66, v66, v67
	;; [unrolled: 1-line block ×3, first 2 shown]
	v_mul_f32_e32 v130, v129, v67
	v_mul_f32_e32 v68, v128, v130
	v_fma_f32 v70, v130, v128, -v68
	v_fmac_f32_e32 v70, v130, v64
	v_sub_f32_e32 v64, v69, v67
	v_add_f32_e32 v64, v66, v64
	v_add_f32_e32 v66, v68, v70
	v_sub_f32_e32 v69, v67, v66
	v_pk_add_f32 v[80:81], v[66:67], v[68:69] neg_lo:[0,1] neg_hi:[0,1]
	v_mov_b32_e32 v71, v66
	v_pk_add_f32 v[66:67], v[80:81], v[70:71] neg_lo:[0,1] neg_hi:[0,1]
	v_cvt_f32_i32_e32 v68, v119
	v_add_f32_e32 v64, v64, v67
	v_add_f32_e32 v64, v66, v64
	;; [unrolled: 1-line block ×4, first 2 shown]
	v_sub_f32_e32 v67, v66, v131
	v_mul_f32_e32 v64, v129, v64
	v_sub_f32_e32 v67, v130, v67
	v_add_f32_e32 v64, v67, v64
	v_add_f32_e32 v69, v66, v64
	v_mul_f32_e32 v70, v69, v69
	v_mov_b32_e32 v67, 0x3ecc95a3
	v_fmac_f32_e32 v67, 0x3e9b6dac, v70
	v_sub_f32_e32 v66, v69, v66
	v_fmaak_f32 v67, v70, v67, 0x3f2aaada
	v_sub_f32_e32 v64, v64, v66
	v_ldexp_f32 v71, v69, 1
	v_mul_f32_e32 v69, v69, v70
	v_mov_b32_e32 v66, 0x3f317218
	v_pk_mul_f32 v[66:67], v[68:69], v[66:67]
	v_ldexp_f32 v64, v64, 1
	v_fma_f32 v69, v68, s5, -v66
	v_fmamk_f32 v70, v68, 0xb102e308, v69
	v_pk_add_f32 v[68:69], v[66:67], v[70:71]
	v_mov_b32_e32 v80, v66
	v_sub_f32_e32 v71, v69, v71
	v_sub_f32_e32 v71, v67, v71
	v_add_f32_e32 v81, v64, v71
	v_pk_add_f32 v[66:67], v[68:69], v[66:67] neg_lo:[0,1] neg_hi:[0,1]
	v_pk_add_f32 v[128:129], v[68:69], v[80:81]
	v_mov_b32_e32 v71, v68
	v_mov_b32_e32 v67, v129
	v_pk_add_f32 v[130:131], v[70:71], v[66:67] neg_lo:[0,1] neg_hi:[0,1]
	v_pk_add_f32 v[66:67], v[70:71], v[66:67]
	s_mov_b32 s5, 0x33800000
	v_mov_b32_e32 v64, v67
	v_pk_add_f32 v[70:71], v[64:65], v[68:69] neg_lo:[0,1] neg_hi:[0,1]
	v_mov_b32_e32 v66, v129
	v_mov_b32_e32 v71, v70
	v_pk_add_f32 v[132:133], v[128:129], v[70:71] neg_lo:[0,1] neg_hi:[0,1]
	v_mov_b32_e32 v128, v69
	v_mov_b32_e32 v129, v70
	;; [unrolled: 1-line block ×3, first 2 shown]
	v_pk_add_f32 v[66:67], v[66:67], v[128:129] neg_lo:[0,1] neg_hi:[0,1]
	v_mov_b32_e32 v70, v81
	v_mov_b32_e32 v71, v68
	v_pk_add_f32 v[66:67], v[70:71], v[66:67] neg_lo:[0,1] neg_hi:[0,1]
	v_mov_b32_e32 v132, v130
	v_pk_add_f32 v[68:69], v[132:133], v[66:67]
	v_cmp_lt_f32_e64 s[6:7], |v82|, s5
	v_mov_b32_e32 v70, v69
	v_pk_add_f32 v[70:71], v[68:69], v[70:71]
	s_or_b64 vcc, vcc, s[6:7]
	v_pk_add_f32 v[80:81], v[64:65], v[70:71]
	v_mov_b32_e32 v67, v70
	v_mov_b32_e32 v69, v80
	v_pk_add_f32 v[128:129], v[68:69], v[130:131] neg_lo:[0,1] neg_hi:[0,1]
	s_nop 0
	v_sub_f32_e32 v64, v68, v128
	v_pk_add_f32 v[66:67], v[66:67], v[128:129] neg_lo:[0,1] neg_hi:[0,1]
	v_sub_f32_e32 v64, v130, v64
	v_add_f32_e32 v64, v66, v64
	v_add_f32_e32 v64, v64, v67
	;; [unrolled: 1-line block ×3, first 2 shown]
	v_cndmask_b32_e32 v64, v64, v82, vcc
	v_add_f32_e32 v64, v65, v64
.LBB93_234:
	s_or_b64 exec, exec, s[2:3]
	v_max_f32_e32 v65, v64, v64
	v_min_f32_e32 v66, v65, v83
	v_cmp_u_f32_e32 vcc, v64, v64
	v_max_f32_e32 v65, v65, v83
	s_nop 0
	v_cndmask_b32_e32 v66, v66, v64, vcc
	v_cndmask_b32_e32 v65, v65, v64, vcc
	v_cndmask_b32_e64 v67, v66, v33, s[18:19]
	v_cndmask_b32_e64 v66, v65, v33, s[18:19]
	v_cmp_neq_f32_e32 vcc, v67, v66
	v_cmp_class_f32_e64 s[2:3], v67, s4
	s_or_b64 s[4:5], vcc, s[2:3]
	v_mov_b32_e32 v65, v64
	s_and_saveexec_b64 s[2:3], s[4:5]
	s_cbranch_execz .LBB93_236
; %bb.235:
	v_sub_f32_e32 v65, v67, v66
	s_mov_b32 s4, 0x3fb8aa3b
	v_mul_f32_e32 v67, 0x3fb8aa3b, v65
	v_fma_f32 v68, v65, s4, -v67
	v_rndne_f32_e32 v69, v67
	v_fmamk_f32 v68, v65, 0x32a5705f, v68
	v_sub_f32_e32 v67, v67, v69
	v_add_f32_e32 v67, v67, v68
	v_exp_f32_e32 v67, v67
	v_cvt_i32_f32_e32 v68, v69
	s_mov_b32 s4, 0xc2ce8ed0
	v_cmp_ngt_f32_e32 vcc, s4, v65
	s_mov_b32 s4, 0x42b17218
	v_ldexp_f32 v67, v67, v68
	v_cndmask_b32_e32 v67, 0, v67, vcc
	v_mov_b32_e32 v68, 0x7f800000
	v_cmp_nlt_f32_e32 vcc, s4, v65
	s_mov_b32 s4, 0x3f2aaaab
	s_mov_b32 s5, 0x7f800000
	v_cndmask_b32_e32 v67, v68, v67, vcc
	v_add_f32_e32 v65, 1.0, v67
	v_add_f32_e32 v68, -1.0, v65
	v_sub_f32_e32 v69, v68, v65
	v_add_f32_e32 v69, 1.0, v69
	v_sub_f32_e32 v68, v67, v68
	v_add_f32_e32 v70, v68, v69
	v_frexp_mant_f32_e32 v71, v65
	v_cvt_f64_f32_e32 v[68:69], v65
	v_frexp_exp_i32_f64_e32 v68, v[68:69]
	v_cmp_gt_f32_e32 vcc, s4, v71
	s_mov_b32 s4, 0x3f317218
	s_nop 0
	v_subbrev_co_u32_e32 v119, vcc, 0, v68, vcc
	v_sub_u32_e32 v68, 0, v119
	v_ldexp_f32 v65, v65, v68
	v_ldexp_f32 v68, v70, v68
	v_add_f32_e32 v70, -1.0, v65
	v_add_f32_e32 v69, 1.0, v70
	v_sub_f32_e32 v69, v65, v69
	v_add_f32_e32 v71, v68, v69
	v_add_f32_e32 v69, 1.0, v65
	v_add_f32_e32 v80, -1.0, v69
	v_sub_f32_e32 v65, v65, v80
	v_add_f32_e32 v65, v68, v65
	v_add_f32_e32 v128, v69, v65
	v_rcp_f32_e32 v129, v128
	v_sub_f32_e32 v68, v69, v128
	v_add_f32_e32 v69, v70, v71
	v_add_f32_e32 v65, v65, v68
	v_mul_f32_e32 v131, v69, v129
	v_sub_f32_e32 v68, v70, v69
	v_mul_f32_e32 v70, v128, v131
	v_fma_f32 v80, v131, v128, -v70
	v_fmac_f32_e32 v80, v131, v65
	v_add_f32_e32 v130, v71, v68
	v_add_f32_e32 v68, v70, v80
	v_sub_f32_e32 v71, v69, v68
	v_pk_add_f32 v[82:83], v[68:69], v[70:71] neg_lo:[0,1] neg_hi:[0,1]
	v_mov_b32_e32 v81, v68
	v_pk_add_f32 v[68:69], v[82:83], v[80:81] neg_lo:[0,1] neg_hi:[0,1]
	v_cmp_eq_f32_e32 vcc, s5, v67
	v_add_f32_e32 v69, v130, v69
	v_add_f32_e32 v68, v68, v69
	;; [unrolled: 1-line block ×3, first 2 shown]
	v_mul_f32_e32 v130, v129, v69
	v_mul_f32_e32 v70, v128, v130
	v_fma_f32 v80, v130, v128, -v70
	v_fmac_f32_e32 v80, v130, v65
	v_sub_f32_e32 v65, v71, v69
	v_add_f32_e32 v65, v68, v65
	v_add_f32_e32 v68, v70, v80
	v_sub_f32_e32 v71, v69, v68
	v_pk_add_f32 v[82:83], v[68:69], v[70:71] neg_lo:[0,1] neg_hi:[0,1]
	v_mov_b32_e32 v81, v68
	v_pk_add_f32 v[68:69], v[82:83], v[80:81] neg_lo:[0,1] neg_hi:[0,1]
	v_cvt_f32_i32_e32 v70, v119
	v_add_f32_e32 v65, v65, v69
	v_add_f32_e32 v65, v68, v65
	;; [unrolled: 1-line block ×4, first 2 shown]
	v_sub_f32_e32 v69, v68, v131
	v_mul_f32_e32 v65, v129, v65
	v_sub_f32_e32 v69, v130, v69
	v_add_f32_e32 v65, v69, v65
	v_add_f32_e32 v71, v68, v65
	v_mul_f32_e32 v80, v71, v71
	v_mov_b32_e32 v69, 0x3ecc95a3
	v_fmac_f32_e32 v69, 0x3e9b6dac, v80
	v_sub_f32_e32 v68, v71, v68
	v_fmaak_f32 v69, v80, v69, 0x3f2aaada
	v_sub_f32_e32 v65, v65, v68
	v_ldexp_f32 v81, v71, 1
	v_mul_f32_e32 v71, v71, v80
	v_mov_b32_e32 v68, 0x3f317218
	v_pk_mul_f32 v[68:69], v[70:71], v[68:69]
	v_ldexp_f32 v65, v65, 1
	v_fma_f32 v71, v70, s4, -v68
	v_fmamk_f32 v80, v70, 0xb102e308, v71
	v_pk_add_f32 v[70:71], v[68:69], v[80:81]
	v_mov_b32_e32 v82, v68
	v_sub_f32_e32 v81, v71, v81
	v_sub_f32_e32 v81, v69, v81
	v_add_f32_e32 v83, v65, v81
	v_pk_add_f32 v[68:69], v[70:71], v[68:69] neg_lo:[0,1] neg_hi:[0,1]
	v_pk_add_f32 v[128:129], v[70:71], v[82:83]
	v_mov_b32_e32 v81, v70
	v_mov_b32_e32 v69, v129
	v_pk_add_f32 v[130:131], v[80:81], v[68:69] neg_lo:[0,1] neg_hi:[0,1]
	v_pk_add_f32 v[68:69], v[80:81], v[68:69]
	v_mov_b32_e32 v82, v83
	v_mov_b32_e32 v80, v69
	v_pk_add_f32 v[132:133], v[80:81], v[70:71] neg_lo:[0,1] neg_hi:[0,1]
	v_mov_b32_e32 v68, v129
	v_mov_b32_e32 v65, v132
	v_pk_add_f32 v[134:135], v[128:129], v[64:65] neg_lo:[0,1] neg_hi:[0,1]
	v_mov_b32_e32 v128, v71
	v_mov_b32_e32 v129, v132
	v_mov_b32_e32 v131, v69
	v_pk_add_f32 v[68:69], v[68:69], v[128:129] neg_lo:[0,1] neg_hi:[0,1]
	v_mov_b32_e32 v83, v70
	v_pk_add_f32 v[68:69], v[82:83], v[68:69] neg_lo:[0,1] neg_hi:[0,1]
	v_mov_b32_e32 v134, v130
	v_pk_add_f32 v[70:71], v[134:135], v[68:69]
	s_mov_b32 s4, 0x33800000
	v_mov_b32_e32 v82, v71
	v_pk_add_f32 v[82:83], v[70:71], v[82:83]
	v_cmp_lt_f32_e64 s[4:5], |v67|, s4
	v_pk_add_f32 v[80:81], v[80:81], v[82:83]
	v_mov_b32_e32 v69, v82
	v_mov_b32_e32 v71, v80
	v_pk_add_f32 v[128:129], v[70:71], v[130:131] neg_lo:[0,1] neg_hi:[0,1]
	s_or_b64 vcc, vcc, s[4:5]
	v_sub_f32_e32 v65, v70, v128
	v_pk_add_f32 v[68:69], v[68:69], v[128:129] neg_lo:[0,1] neg_hi:[0,1]
	v_sub_f32_e32 v65, v130, v65
	v_add_f32_e32 v65, v68, v65
	v_add_f32_e32 v65, v65, v69
	;; [unrolled: 1-line block ×3, first 2 shown]
	v_cndmask_b32_e32 v65, v65, v67, vcc
	v_add_f32_e32 v65, v66, v65
.LBB93_236:
	s_or_b64 exec, exec, s[2:3]
	v_max_f32_e32 v66, v65, v65
	v_min_f32_e32 v67, v66, v84
	v_cmp_u_f32_e32 vcc, v65, v65
	v_max_f32_e32 v66, v66, v84
	s_movk_i32 s4, 0x1f8
	v_cndmask_b32_e32 v67, v67, v65, vcc
	v_cndmask_b32_e32 v66, v66, v65, vcc
	v_cndmask_b32_e64 v68, v67, v34, s[20:21]
	v_cndmask_b32_e64 v67, v66, v34, s[20:21]
	v_cmp_neq_f32_e32 vcc, v68, v67
	v_cmp_class_f32_e64 s[2:3], v68, s4
	s_or_b64 s[6:7], vcc, s[2:3]
	v_mov_b32_e32 v66, v65
	s_and_saveexec_b64 s[2:3], s[6:7]
	s_cbranch_execz .LBB93_238
; %bb.237:
	v_sub_f32_e32 v66, v68, v67
	s_mov_b32 s5, 0x3fb8aa3b
	v_mul_f32_e32 v68, 0x3fb8aa3b, v66
	v_fma_f32 v69, v66, s5, -v68
	v_rndne_f32_e32 v70, v68
	v_fmamk_f32 v69, v66, 0x32a5705f, v69
	v_sub_f32_e32 v68, v68, v70
	v_add_f32_e32 v68, v68, v69
	v_exp_f32_e32 v68, v68
	v_cvt_i32_f32_e32 v69, v70
	s_mov_b32 s5, 0xc2ce8ed0
	v_cmp_ngt_f32_e32 vcc, s5, v66
	s_mov_b32 s5, 0x42b17218
	v_ldexp_f32 v68, v68, v69
	v_cndmask_b32_e32 v68, 0, v68, vcc
	v_mov_b32_e32 v69, 0x7f800000
	v_cmp_nlt_f32_e32 vcc, s5, v66
	s_mov_b32 s5, 0x3f2aaaab
	s_mov_b32 s6, 0x7f800000
	v_cndmask_b32_e32 v84, v69, v68, vcc
	v_add_f32_e32 v66, 1.0, v84
	v_add_f32_e32 v68, -1.0, v66
	v_sub_f32_e32 v69, v68, v66
	v_add_f32_e32 v69, 1.0, v69
	v_sub_f32_e32 v68, v84, v68
	v_add_f32_e32 v70, v68, v69
	v_frexp_mant_f32_e32 v71, v66
	v_cvt_f64_f32_e32 v[68:69], v66
	v_frexp_exp_i32_f64_e32 v68, v[68:69]
	v_cmp_gt_f32_e32 vcc, s5, v71
	s_mov_b32 s5, 0x3f317218
	s_nop 0
	v_subbrev_co_u32_e32 v119, vcc, 0, v68, vcc
	v_sub_u32_e32 v68, 0, v119
	v_ldexp_f32 v66, v66, v68
	v_ldexp_f32 v68, v70, v68
	v_add_f32_e32 v70, -1.0, v66
	v_add_f32_e32 v69, 1.0, v70
	v_sub_f32_e32 v69, v66, v69
	v_add_f32_e32 v71, v68, v69
	v_add_f32_e32 v69, 1.0, v66
	v_add_f32_e32 v80, -1.0, v69
	v_sub_f32_e32 v66, v66, v80
	v_add_f32_e32 v66, v68, v66
	v_add_f32_e32 v128, v69, v66
	v_rcp_f32_e32 v129, v128
	v_sub_f32_e32 v68, v69, v128
	v_add_f32_e32 v69, v70, v71
	v_add_f32_e32 v66, v66, v68
	v_mul_f32_e32 v131, v69, v129
	v_sub_f32_e32 v68, v70, v69
	v_mul_f32_e32 v70, v128, v131
	v_fma_f32 v80, v131, v128, -v70
	v_fmac_f32_e32 v80, v131, v66
	v_add_f32_e32 v130, v71, v68
	v_add_f32_e32 v68, v70, v80
	v_sub_f32_e32 v71, v69, v68
	v_pk_add_f32 v[82:83], v[68:69], v[70:71] neg_lo:[0,1] neg_hi:[0,1]
	v_mov_b32_e32 v81, v68
	v_pk_add_f32 v[68:69], v[82:83], v[80:81] neg_lo:[0,1] neg_hi:[0,1]
	v_cmp_eq_f32_e32 vcc, s6, v84
	v_add_f32_e32 v69, v130, v69
	v_add_f32_e32 v68, v68, v69
	;; [unrolled: 1-line block ×3, first 2 shown]
	v_mul_f32_e32 v130, v129, v69
	v_mul_f32_e32 v70, v128, v130
	v_fma_f32 v80, v130, v128, -v70
	v_fmac_f32_e32 v80, v130, v66
	v_sub_f32_e32 v66, v71, v69
	v_add_f32_e32 v66, v68, v66
	v_add_f32_e32 v68, v70, v80
	v_sub_f32_e32 v71, v69, v68
	v_pk_add_f32 v[82:83], v[68:69], v[70:71] neg_lo:[0,1] neg_hi:[0,1]
	v_mov_b32_e32 v81, v68
	v_pk_add_f32 v[68:69], v[82:83], v[80:81] neg_lo:[0,1] neg_hi:[0,1]
	v_cvt_f32_i32_e32 v70, v119
	v_add_f32_e32 v66, v66, v69
	v_add_f32_e32 v66, v68, v66
	;; [unrolled: 1-line block ×4, first 2 shown]
	v_sub_f32_e32 v69, v68, v131
	v_mul_f32_e32 v66, v129, v66
	v_sub_f32_e32 v69, v130, v69
	v_add_f32_e32 v66, v69, v66
	v_add_f32_e32 v71, v68, v66
	v_mul_f32_e32 v80, v71, v71
	v_mov_b32_e32 v69, 0x3ecc95a3
	v_fmac_f32_e32 v69, 0x3e9b6dac, v80
	v_sub_f32_e32 v68, v71, v68
	v_fmaak_f32 v69, v80, v69, 0x3f2aaada
	v_sub_f32_e32 v66, v66, v68
	v_ldexp_f32 v81, v71, 1
	v_mul_f32_e32 v71, v71, v80
	v_mov_b32_e32 v68, 0x3f317218
	v_pk_mul_f32 v[68:69], v[70:71], v[68:69]
	v_ldexp_f32 v66, v66, 1
	v_fma_f32 v71, v70, s5, -v68
	v_fmamk_f32 v80, v70, 0xb102e308, v71
	v_pk_add_f32 v[70:71], v[68:69], v[80:81]
	v_mov_b32_e32 v82, v68
	v_sub_f32_e32 v81, v71, v81
	v_sub_f32_e32 v81, v69, v81
	v_add_f32_e32 v83, v66, v81
	v_pk_add_f32 v[68:69], v[70:71], v[68:69] neg_lo:[0,1] neg_hi:[0,1]
	v_pk_add_f32 v[128:129], v[70:71], v[82:83]
	v_mov_b32_e32 v81, v70
	v_mov_b32_e32 v69, v129
	v_pk_add_f32 v[130:131], v[80:81], v[68:69] neg_lo:[0,1] neg_hi:[0,1]
	v_pk_add_f32 v[68:69], v[80:81], v[68:69]
	s_mov_b32 s5, 0x33800000
	v_mov_b32_e32 v66, v69
	v_pk_add_f32 v[80:81], v[66:67], v[70:71] neg_lo:[0,1] neg_hi:[0,1]
	v_mov_b32_e32 v68, v129
	v_mov_b32_e32 v81, v80
	v_pk_add_f32 v[132:133], v[128:129], v[80:81] neg_lo:[0,1] neg_hi:[0,1]
	v_mov_b32_e32 v128, v71
	v_mov_b32_e32 v129, v80
	;; [unrolled: 1-line block ×3, first 2 shown]
	v_pk_add_f32 v[68:69], v[68:69], v[128:129] neg_lo:[0,1] neg_hi:[0,1]
	v_mov_b32_e32 v80, v83
	v_mov_b32_e32 v81, v70
	v_pk_add_f32 v[68:69], v[80:81], v[68:69] neg_lo:[0,1] neg_hi:[0,1]
	v_mov_b32_e32 v132, v130
	v_pk_add_f32 v[70:71], v[132:133], v[68:69]
	v_cmp_lt_f32_e64 s[6:7], |v84|, s5
	v_mov_b32_e32 v80, v71
	v_pk_add_f32 v[80:81], v[70:71], v[80:81]
	s_or_b64 vcc, vcc, s[6:7]
	v_pk_add_f32 v[82:83], v[66:67], v[80:81]
	v_mov_b32_e32 v69, v80
	v_mov_b32_e32 v71, v82
	v_pk_add_f32 v[128:129], v[70:71], v[130:131] neg_lo:[0,1] neg_hi:[0,1]
	s_nop 0
	v_sub_f32_e32 v66, v70, v128
	v_pk_add_f32 v[68:69], v[68:69], v[128:129] neg_lo:[0,1] neg_hi:[0,1]
	v_sub_f32_e32 v66, v130, v66
	v_add_f32_e32 v66, v68, v66
	v_add_f32_e32 v66, v66, v69
	;; [unrolled: 1-line block ×3, first 2 shown]
	v_cndmask_b32_e32 v66, v66, v84, vcc
	v_add_f32_e32 v66, v67, v66
.LBB93_238:
	s_or_b64 exec, exec, s[2:3]
	v_max_f32_e32 v67, v66, v66
	v_min_f32_e32 v68, v67, v85
	v_cmp_u_f32_e32 vcc, v66, v66
	v_max_f32_e32 v67, v67, v85
	s_nop 0
	v_cndmask_b32_e32 v68, v68, v66, vcc
	v_cndmask_b32_e32 v67, v67, v66, vcc
	v_cndmask_b32_e64 v69, v68, v35, s[22:23]
	v_cndmask_b32_e64 v68, v67, v35, s[22:23]
	v_cmp_neq_f32_e32 vcc, v69, v68
	v_cmp_class_f32_e64 s[2:3], v69, s4
	s_or_b64 s[4:5], vcc, s[2:3]
	v_mov_b32_e32 v67, v66
	s_and_saveexec_b64 s[2:3], s[4:5]
	s_cbranch_execz .LBB93_240
; %bb.239:
	v_sub_f32_e32 v67, v69, v68
	s_mov_b32 s4, 0x3fb8aa3b
	v_mul_f32_e32 v69, 0x3fb8aa3b, v67
	v_fma_f32 v70, v67, s4, -v69
	v_rndne_f32_e32 v71, v69
	v_fmamk_f32 v70, v67, 0x32a5705f, v70
	v_sub_f32_e32 v69, v69, v71
	v_add_f32_e32 v69, v69, v70
	v_exp_f32_e32 v69, v69
	v_cvt_i32_f32_e32 v70, v71
	s_mov_b32 s4, 0xc2ce8ed0
	v_cmp_ngt_f32_e32 vcc, s4, v67
	s_mov_b32 s4, 0x42b17218
	v_ldexp_f32 v69, v69, v70
	v_cndmask_b32_e32 v69, 0, v69, vcc
	v_mov_b32_e32 v70, 0x7f800000
	v_cmp_nlt_f32_e32 vcc, s4, v67
	s_mov_b32 s4, 0x3f2aaaab
	s_mov_b32 s5, 0x7f800000
	v_cndmask_b32_e32 v69, v70, v69, vcc
	v_add_f32_e32 v67, 1.0, v69
	v_add_f32_e32 v70, -1.0, v67
	v_sub_f32_e32 v71, v70, v67
	v_add_f32_e32 v71, 1.0, v71
	v_sub_f32_e32 v70, v69, v70
	v_add_f32_e32 v80, v70, v71
	v_frexp_mant_f32_e32 v81, v67
	v_cvt_f64_f32_e32 v[70:71], v67
	v_frexp_exp_i32_f64_e32 v70, v[70:71]
	v_cmp_gt_f32_e32 vcc, s4, v81
	s_mov_b32 s4, 0x3f317218
	s_nop 0
	v_subbrev_co_u32_e32 v119, vcc, 0, v70, vcc
	v_sub_u32_e32 v70, 0, v119
	v_ldexp_f32 v67, v67, v70
	v_ldexp_f32 v70, v80, v70
	v_add_f32_e32 v80, -1.0, v67
	v_add_f32_e32 v71, 1.0, v80
	v_sub_f32_e32 v71, v67, v71
	v_add_f32_e32 v81, v70, v71
	v_add_f32_e32 v71, 1.0, v67
	v_add_f32_e32 v82, -1.0, v71
	v_sub_f32_e32 v67, v67, v82
	v_add_f32_e32 v67, v70, v67
	v_add_f32_e32 v128, v71, v67
	v_rcp_f32_e32 v129, v128
	v_sub_f32_e32 v70, v71, v128
	v_add_f32_e32 v71, v80, v81
	v_add_f32_e32 v67, v67, v70
	v_mul_f32_e32 v131, v71, v129
	v_sub_f32_e32 v70, v80, v71
	v_mul_f32_e32 v80, v128, v131
	v_fma_f32 v82, v131, v128, -v80
	v_fmac_f32_e32 v82, v131, v67
	v_add_f32_e32 v130, v81, v70
	v_add_f32_e32 v70, v80, v82
	v_sub_f32_e32 v81, v71, v70
	v_pk_add_f32 v[84:85], v[70:71], v[80:81] neg_lo:[0,1] neg_hi:[0,1]
	v_mov_b32_e32 v83, v70
	v_pk_add_f32 v[70:71], v[84:85], v[82:83] neg_lo:[0,1] neg_hi:[0,1]
	v_cmp_eq_f32_e32 vcc, s5, v69
	v_add_f32_e32 v71, v130, v71
	v_add_f32_e32 v70, v70, v71
	;; [unrolled: 1-line block ×3, first 2 shown]
	v_mul_f32_e32 v130, v129, v71
	v_mul_f32_e32 v80, v128, v130
	v_fma_f32 v82, v130, v128, -v80
	v_fmac_f32_e32 v82, v130, v67
	v_sub_f32_e32 v67, v81, v71
	v_add_f32_e32 v67, v70, v67
	v_add_f32_e32 v70, v80, v82
	v_sub_f32_e32 v81, v71, v70
	v_pk_add_f32 v[84:85], v[70:71], v[80:81] neg_lo:[0,1] neg_hi:[0,1]
	v_mov_b32_e32 v83, v70
	v_pk_add_f32 v[70:71], v[84:85], v[82:83] neg_lo:[0,1] neg_hi:[0,1]
	v_cvt_f32_i32_e32 v80, v119
	v_add_f32_e32 v67, v67, v71
	v_add_f32_e32 v67, v70, v67
	;; [unrolled: 1-line block ×4, first 2 shown]
	v_sub_f32_e32 v71, v70, v131
	v_mul_f32_e32 v67, v129, v67
	v_sub_f32_e32 v71, v130, v71
	v_add_f32_e32 v67, v71, v67
	v_add_f32_e32 v81, v70, v67
	v_mul_f32_e32 v82, v81, v81
	v_mov_b32_e32 v71, 0x3ecc95a3
	v_fmac_f32_e32 v71, 0x3e9b6dac, v82
	v_sub_f32_e32 v70, v81, v70
	v_fmaak_f32 v71, v82, v71, 0x3f2aaada
	v_sub_f32_e32 v67, v67, v70
	v_ldexp_f32 v83, v81, 1
	v_mul_f32_e32 v81, v81, v82
	v_mov_b32_e32 v70, 0x3f317218
	v_pk_mul_f32 v[70:71], v[80:81], v[70:71]
	v_ldexp_f32 v67, v67, 1
	v_fma_f32 v81, v80, s4, -v70
	v_fmamk_f32 v82, v80, 0xb102e308, v81
	v_pk_add_f32 v[80:81], v[70:71], v[82:83]
	v_mov_b32_e32 v84, v70
	v_sub_f32_e32 v83, v81, v83
	v_sub_f32_e32 v83, v71, v83
	v_add_f32_e32 v85, v67, v83
	v_pk_add_f32 v[70:71], v[80:81], v[70:71] neg_lo:[0,1] neg_hi:[0,1]
	v_pk_add_f32 v[128:129], v[80:81], v[84:85]
	v_mov_b32_e32 v83, v80
	v_mov_b32_e32 v71, v129
	v_pk_add_f32 v[130:131], v[82:83], v[70:71] neg_lo:[0,1] neg_hi:[0,1]
	v_pk_add_f32 v[70:71], v[82:83], v[70:71]
	v_mov_b32_e32 v84, v85
	v_mov_b32_e32 v82, v71
	v_pk_add_f32 v[132:133], v[82:83], v[80:81] neg_lo:[0,1] neg_hi:[0,1]
	v_mov_b32_e32 v70, v129
	v_mov_b32_e32 v67, v132
	v_pk_add_f32 v[134:135], v[128:129], v[66:67] neg_lo:[0,1] neg_hi:[0,1]
	v_mov_b32_e32 v128, v81
	v_mov_b32_e32 v129, v132
	;; [unrolled: 1-line block ×3, first 2 shown]
	v_pk_add_f32 v[70:71], v[70:71], v[128:129] neg_lo:[0,1] neg_hi:[0,1]
	v_mov_b32_e32 v85, v80
	v_pk_add_f32 v[70:71], v[84:85], v[70:71] neg_lo:[0,1] neg_hi:[0,1]
	v_mov_b32_e32 v134, v130
	v_pk_add_f32 v[80:81], v[134:135], v[70:71]
	s_mov_b32 s4, 0x33800000
	v_mov_b32_e32 v84, v81
	v_pk_add_f32 v[84:85], v[80:81], v[84:85]
	v_cmp_lt_f32_e64 s[4:5], |v69|, s4
	v_pk_add_f32 v[82:83], v[82:83], v[84:85]
	v_mov_b32_e32 v71, v84
	v_mov_b32_e32 v81, v82
	v_pk_add_f32 v[128:129], v[80:81], v[130:131] neg_lo:[0,1] neg_hi:[0,1]
	s_or_b64 vcc, vcc, s[4:5]
	v_sub_f32_e32 v67, v80, v128
	v_pk_add_f32 v[70:71], v[70:71], v[128:129] neg_lo:[0,1] neg_hi:[0,1]
	v_sub_f32_e32 v67, v130, v67
	v_add_f32_e32 v67, v70, v67
	v_add_f32_e32 v67, v67, v71
	;; [unrolled: 1-line block ×3, first 2 shown]
	v_cndmask_b32_e32 v67, v67, v69, vcc
	v_add_f32_e32 v67, v68, v67
.LBB93_240:
	s_or_b64 exec, exec, s[2:3]
	v_max_f32_e32 v68, v67, v67
	v_min_f32_e32 v69, v68, v86
	v_cmp_u_f32_e32 vcc, v67, v67
	v_max_f32_e32 v68, v68, v86
	s_movk_i32 s4, 0x1f8
	v_cndmask_b32_e32 v69, v69, v67, vcc
	v_cndmask_b32_e32 v68, v68, v67, vcc
	v_cndmask_b32_e64 v70, v69, v28, s[24:25]
	v_cndmask_b32_e64 v69, v68, v28, s[24:25]
	v_cmp_neq_f32_e32 vcc, v70, v69
	v_cmp_class_f32_e64 s[2:3], v70, s4
	s_or_b64 s[6:7], vcc, s[2:3]
	v_mov_b32_e32 v68, v67
	s_and_saveexec_b64 s[2:3], s[6:7]
	s_cbranch_execz .LBB93_242
; %bb.241:
	v_sub_f32_e32 v68, v70, v69
	s_mov_b32 s5, 0x3fb8aa3b
	v_mul_f32_e32 v70, 0x3fb8aa3b, v68
	v_fma_f32 v71, v68, s5, -v70
	v_rndne_f32_e32 v80, v70
	v_fmamk_f32 v71, v68, 0x32a5705f, v71
	v_sub_f32_e32 v70, v70, v80
	v_add_f32_e32 v70, v70, v71
	v_exp_f32_e32 v70, v70
	v_cvt_i32_f32_e32 v71, v80
	s_mov_b32 s5, 0xc2ce8ed0
	v_cmp_ngt_f32_e32 vcc, s5, v68
	s_mov_b32 s5, 0x42b17218
	v_ldexp_f32 v70, v70, v71
	v_cndmask_b32_e32 v70, 0, v70, vcc
	v_mov_b32_e32 v71, 0x7f800000
	v_cmp_nlt_f32_e32 vcc, s5, v68
	s_mov_b32 s5, 0x3f2aaaab
	s_mov_b32 s6, 0x7f800000
	v_cndmask_b32_e32 v86, v71, v70, vcc
	v_add_f32_e32 v68, 1.0, v86
	v_add_f32_e32 v70, -1.0, v68
	v_sub_f32_e32 v71, v70, v68
	v_add_f32_e32 v71, 1.0, v71
	v_sub_f32_e32 v70, v86, v70
	v_add_f32_e32 v80, v70, v71
	v_frexp_mant_f32_e32 v81, v68
	v_cvt_f64_f32_e32 v[70:71], v68
	v_frexp_exp_i32_f64_e32 v70, v[70:71]
	v_cmp_gt_f32_e32 vcc, s5, v81
	s_mov_b32 s5, 0x3f317218
	s_nop 0
	v_subbrev_co_u32_e32 v119, vcc, 0, v70, vcc
	v_sub_u32_e32 v70, 0, v119
	v_ldexp_f32 v68, v68, v70
	v_ldexp_f32 v70, v80, v70
	v_add_f32_e32 v80, -1.0, v68
	v_add_f32_e32 v71, 1.0, v80
	v_sub_f32_e32 v71, v68, v71
	v_add_f32_e32 v81, v70, v71
	v_add_f32_e32 v71, 1.0, v68
	v_add_f32_e32 v82, -1.0, v71
	v_sub_f32_e32 v68, v68, v82
	v_add_f32_e32 v68, v70, v68
	v_add_f32_e32 v128, v71, v68
	v_rcp_f32_e32 v129, v128
	v_sub_f32_e32 v70, v71, v128
	v_add_f32_e32 v71, v80, v81
	v_add_f32_e32 v68, v68, v70
	v_mul_f32_e32 v131, v71, v129
	v_sub_f32_e32 v70, v80, v71
	v_mul_f32_e32 v80, v128, v131
	v_fma_f32 v82, v131, v128, -v80
	v_fmac_f32_e32 v82, v131, v68
	v_add_f32_e32 v130, v81, v70
	v_add_f32_e32 v70, v80, v82
	v_sub_f32_e32 v81, v71, v70
	v_pk_add_f32 v[84:85], v[70:71], v[80:81] neg_lo:[0,1] neg_hi:[0,1]
	v_mov_b32_e32 v83, v70
	v_pk_add_f32 v[70:71], v[84:85], v[82:83] neg_lo:[0,1] neg_hi:[0,1]
	v_cmp_eq_f32_e32 vcc, s6, v86
	v_add_f32_e32 v71, v130, v71
	v_add_f32_e32 v70, v70, v71
	;; [unrolled: 1-line block ×3, first 2 shown]
	v_mul_f32_e32 v130, v129, v71
	v_mul_f32_e32 v80, v128, v130
	v_fma_f32 v82, v130, v128, -v80
	v_fmac_f32_e32 v82, v130, v68
	v_sub_f32_e32 v68, v81, v71
	v_add_f32_e32 v68, v70, v68
	v_add_f32_e32 v70, v80, v82
	v_sub_f32_e32 v81, v71, v70
	v_pk_add_f32 v[84:85], v[70:71], v[80:81] neg_lo:[0,1] neg_hi:[0,1]
	v_mov_b32_e32 v83, v70
	v_pk_add_f32 v[70:71], v[84:85], v[82:83] neg_lo:[0,1] neg_hi:[0,1]
	v_cvt_f32_i32_e32 v80, v119
	v_add_f32_e32 v68, v68, v71
	v_add_f32_e32 v68, v70, v68
	v_add_f32_e32 v70, v131, v130
	v_add_f32_e32 v68, v81, v68
	v_sub_f32_e32 v71, v70, v131
	v_mul_f32_e32 v68, v129, v68
	v_sub_f32_e32 v71, v130, v71
	v_add_f32_e32 v68, v71, v68
	v_add_f32_e32 v81, v70, v68
	v_mul_f32_e32 v82, v81, v81
	v_mov_b32_e32 v71, 0x3ecc95a3
	v_fmac_f32_e32 v71, 0x3e9b6dac, v82
	v_sub_f32_e32 v70, v81, v70
	v_fmaak_f32 v71, v82, v71, 0x3f2aaada
	v_sub_f32_e32 v68, v68, v70
	v_ldexp_f32 v83, v81, 1
	v_mul_f32_e32 v81, v81, v82
	v_mov_b32_e32 v70, 0x3f317218
	v_pk_mul_f32 v[70:71], v[80:81], v[70:71]
	v_ldexp_f32 v68, v68, 1
	v_fma_f32 v81, v80, s5, -v70
	v_fmamk_f32 v82, v80, 0xb102e308, v81
	v_pk_add_f32 v[80:81], v[70:71], v[82:83]
	v_mov_b32_e32 v84, v70
	v_sub_f32_e32 v83, v81, v83
	v_sub_f32_e32 v83, v71, v83
	v_add_f32_e32 v85, v68, v83
	v_pk_add_f32 v[70:71], v[80:81], v[70:71] neg_lo:[0,1] neg_hi:[0,1]
	v_pk_add_f32 v[128:129], v[80:81], v[84:85]
	v_mov_b32_e32 v83, v80
	v_mov_b32_e32 v71, v129
	v_pk_add_f32 v[130:131], v[82:83], v[70:71] neg_lo:[0,1] neg_hi:[0,1]
	v_pk_add_f32 v[70:71], v[82:83], v[70:71]
	s_mov_b32 s5, 0x33800000
	v_mov_b32_e32 v68, v71
	v_pk_add_f32 v[82:83], v[68:69], v[80:81] neg_lo:[0,1] neg_hi:[0,1]
	v_mov_b32_e32 v70, v129
	v_mov_b32_e32 v83, v82
	v_pk_add_f32 v[132:133], v[128:129], v[82:83] neg_lo:[0,1] neg_hi:[0,1]
	v_mov_b32_e32 v128, v81
	v_mov_b32_e32 v129, v82
	;; [unrolled: 1-line block ×3, first 2 shown]
	v_pk_add_f32 v[70:71], v[70:71], v[128:129] neg_lo:[0,1] neg_hi:[0,1]
	v_mov_b32_e32 v82, v85
	v_mov_b32_e32 v83, v80
	v_pk_add_f32 v[70:71], v[82:83], v[70:71] neg_lo:[0,1] neg_hi:[0,1]
	v_mov_b32_e32 v132, v130
	v_pk_add_f32 v[80:81], v[132:133], v[70:71]
	v_cmp_lt_f32_e64 s[6:7], |v86|, s5
	v_mov_b32_e32 v82, v81
	v_pk_add_f32 v[82:83], v[80:81], v[82:83]
	s_or_b64 vcc, vcc, s[6:7]
	v_pk_add_f32 v[84:85], v[68:69], v[82:83]
	v_mov_b32_e32 v71, v82
	v_mov_b32_e32 v81, v84
	v_pk_add_f32 v[128:129], v[80:81], v[130:131] neg_lo:[0,1] neg_hi:[0,1]
	s_nop 0
	v_sub_f32_e32 v68, v80, v128
	v_pk_add_f32 v[70:71], v[70:71], v[128:129] neg_lo:[0,1] neg_hi:[0,1]
	v_sub_f32_e32 v68, v130, v68
	v_add_f32_e32 v68, v70, v68
	v_add_f32_e32 v68, v68, v71
	v_add_f32_e32 v68, v84, v68
	v_cndmask_b32_e32 v68, v68, v86, vcc
	v_add_f32_e32 v68, v69, v68
.LBB93_242:
	s_or_b64 exec, exec, s[2:3]
	v_max_f32_e32 v69, v68, v68
	v_min_f32_e32 v70, v69, v87
	v_cmp_u_f32_e32 vcc, v68, v68
	v_max_f32_e32 v69, v69, v87
	s_nop 0
	v_cndmask_b32_e32 v70, v70, v68, vcc
	v_cndmask_b32_e32 v69, v69, v68, vcc
	v_cndmask_b32_e64 v71, v70, v29, s[26:27]
	v_cndmask_b32_e64 v70, v69, v29, s[26:27]
	v_cmp_neq_f32_e32 vcc, v71, v70
	v_cmp_class_f32_e64 s[2:3], v71, s4
	s_or_b64 s[4:5], vcc, s[2:3]
	v_mov_b32_e32 v69, v68
	s_and_saveexec_b64 s[2:3], s[4:5]
	s_cbranch_execz .LBB93_244
; %bb.243:
	v_sub_f32_e32 v69, v71, v70
	s_mov_b32 s4, 0x3fb8aa3b
	v_mul_f32_e32 v71, 0x3fb8aa3b, v69
	v_fma_f32 v80, v69, s4, -v71
	v_rndne_f32_e32 v81, v71
	v_fmamk_f32 v80, v69, 0x32a5705f, v80
	v_sub_f32_e32 v71, v71, v81
	v_add_f32_e32 v71, v71, v80
	v_exp_f32_e32 v71, v71
	v_cvt_i32_f32_e32 v80, v81
	s_mov_b32 s4, 0xc2ce8ed0
	v_cmp_ngt_f32_e32 vcc, s4, v69
	s_mov_b32 s4, 0x42b17218
	v_ldexp_f32 v71, v71, v80
	v_cndmask_b32_e32 v71, 0, v71, vcc
	v_mov_b32_e32 v80, 0x7f800000
	v_cmp_nlt_f32_e32 vcc, s4, v69
	s_mov_b32 s4, 0x3f2aaaab
	s_mov_b32 s5, 0x7f800000
	v_cndmask_b32_e32 v71, v80, v71, vcc
	v_add_f32_e32 v69, 1.0, v71
	v_add_f32_e32 v80, -1.0, v69
	v_sub_f32_e32 v81, v80, v69
	v_add_f32_e32 v81, 1.0, v81
	v_sub_f32_e32 v80, v71, v80
	v_add_f32_e32 v82, v80, v81
	v_frexp_mant_f32_e32 v83, v69
	v_cvt_f64_f32_e32 v[80:81], v69
	v_frexp_exp_i32_f64_e32 v80, v[80:81]
	v_cmp_gt_f32_e32 vcc, s4, v83
	s_mov_b32 s4, 0x3f317218
	s_nop 0
	v_subbrev_co_u32_e32 v119, vcc, 0, v80, vcc
	v_sub_u32_e32 v80, 0, v119
	v_ldexp_f32 v69, v69, v80
	v_ldexp_f32 v80, v82, v80
	v_add_f32_e32 v82, -1.0, v69
	v_add_f32_e32 v81, 1.0, v82
	v_sub_f32_e32 v81, v69, v81
	v_add_f32_e32 v83, v80, v81
	v_add_f32_e32 v81, 1.0, v69
	v_add_f32_e32 v84, -1.0, v81
	v_sub_f32_e32 v69, v69, v84
	v_add_f32_e32 v69, v80, v69
	v_add_f32_e32 v128, v81, v69
	v_rcp_f32_e32 v129, v128
	v_sub_f32_e32 v80, v81, v128
	v_add_f32_e32 v81, v82, v83
	v_add_f32_e32 v69, v69, v80
	v_mul_f32_e32 v131, v81, v129
	v_sub_f32_e32 v80, v82, v81
	v_mul_f32_e32 v82, v128, v131
	v_fma_f32 v84, v131, v128, -v82
	v_fmac_f32_e32 v84, v131, v69
	v_add_f32_e32 v130, v83, v80
	v_add_f32_e32 v80, v82, v84
	v_sub_f32_e32 v83, v81, v80
	v_pk_add_f32 v[86:87], v[80:81], v[82:83] neg_lo:[0,1] neg_hi:[0,1]
	v_mov_b32_e32 v85, v80
	v_pk_add_f32 v[80:81], v[86:87], v[84:85] neg_lo:[0,1] neg_hi:[0,1]
	v_cmp_eq_f32_e32 vcc, s5, v71
	v_add_f32_e32 v81, v130, v81
	v_add_f32_e32 v80, v80, v81
	;; [unrolled: 1-line block ×3, first 2 shown]
	v_mul_f32_e32 v130, v129, v81
	v_mul_f32_e32 v82, v128, v130
	v_fma_f32 v84, v130, v128, -v82
	v_fmac_f32_e32 v84, v130, v69
	v_sub_f32_e32 v69, v83, v81
	v_add_f32_e32 v69, v80, v69
	v_add_f32_e32 v80, v82, v84
	v_sub_f32_e32 v83, v81, v80
	v_pk_add_f32 v[86:87], v[80:81], v[82:83] neg_lo:[0,1] neg_hi:[0,1]
	v_mov_b32_e32 v85, v80
	v_pk_add_f32 v[80:81], v[86:87], v[84:85] neg_lo:[0,1] neg_hi:[0,1]
	v_cvt_f32_i32_e32 v82, v119
	v_add_f32_e32 v69, v69, v81
	v_add_f32_e32 v69, v80, v69
	;; [unrolled: 1-line block ×4, first 2 shown]
	v_sub_f32_e32 v81, v80, v131
	v_mul_f32_e32 v69, v129, v69
	v_sub_f32_e32 v81, v130, v81
	v_add_f32_e32 v69, v81, v69
	v_add_f32_e32 v83, v80, v69
	v_mul_f32_e32 v84, v83, v83
	v_mov_b32_e32 v81, 0x3ecc95a3
	v_fmac_f32_e32 v81, 0x3e9b6dac, v84
	v_sub_f32_e32 v80, v83, v80
	v_fmaak_f32 v81, v84, v81, 0x3f2aaada
	v_sub_f32_e32 v69, v69, v80
	v_ldexp_f32 v85, v83, 1
	v_mul_f32_e32 v83, v83, v84
	v_mov_b32_e32 v80, 0x3f317218
	v_pk_mul_f32 v[80:81], v[82:83], v[80:81]
	v_ldexp_f32 v69, v69, 1
	v_fma_f32 v83, v82, s4, -v80
	v_fmamk_f32 v84, v82, 0xb102e308, v83
	v_pk_add_f32 v[82:83], v[80:81], v[84:85]
	v_mov_b32_e32 v86, v80
	v_sub_f32_e32 v85, v83, v85
	v_sub_f32_e32 v85, v81, v85
	v_add_f32_e32 v87, v69, v85
	v_pk_add_f32 v[80:81], v[82:83], v[80:81] neg_lo:[0,1] neg_hi:[0,1]
	v_pk_add_f32 v[128:129], v[82:83], v[86:87]
	v_mov_b32_e32 v85, v82
	v_mov_b32_e32 v81, v129
	v_pk_add_f32 v[130:131], v[84:85], v[80:81] neg_lo:[0,1] neg_hi:[0,1]
	v_pk_add_f32 v[80:81], v[84:85], v[80:81]
	v_mov_b32_e32 v86, v87
	v_mov_b32_e32 v84, v81
	v_pk_add_f32 v[132:133], v[84:85], v[82:83] neg_lo:[0,1] neg_hi:[0,1]
	v_mov_b32_e32 v80, v129
	v_mov_b32_e32 v69, v132
	v_pk_add_f32 v[134:135], v[128:129], v[68:69] neg_lo:[0,1] neg_hi:[0,1]
	v_mov_b32_e32 v128, v83
	v_mov_b32_e32 v129, v132
	;; [unrolled: 1-line block ×3, first 2 shown]
	v_pk_add_f32 v[80:81], v[80:81], v[128:129] neg_lo:[0,1] neg_hi:[0,1]
	v_mov_b32_e32 v87, v82
	v_pk_add_f32 v[80:81], v[86:87], v[80:81] neg_lo:[0,1] neg_hi:[0,1]
	v_mov_b32_e32 v134, v130
	v_pk_add_f32 v[82:83], v[134:135], v[80:81]
	s_mov_b32 s4, 0x33800000
	v_mov_b32_e32 v86, v83
	v_pk_add_f32 v[86:87], v[82:83], v[86:87]
	v_cmp_lt_f32_e64 s[4:5], |v71|, s4
	v_pk_add_f32 v[84:85], v[84:85], v[86:87]
	v_mov_b32_e32 v81, v86
	v_mov_b32_e32 v83, v84
	v_pk_add_f32 v[128:129], v[82:83], v[130:131] neg_lo:[0,1] neg_hi:[0,1]
	s_or_b64 vcc, vcc, s[4:5]
	v_sub_f32_e32 v69, v82, v128
	v_pk_add_f32 v[80:81], v[80:81], v[128:129] neg_lo:[0,1] neg_hi:[0,1]
	v_sub_f32_e32 v69, v130, v69
	v_add_f32_e32 v69, v80, v69
	v_add_f32_e32 v69, v69, v81
	v_add_f32_e32 v69, v84, v69
	v_cndmask_b32_e32 v69, v69, v71, vcc
	v_add_f32_e32 v69, v70, v69
.LBB93_244:
	s_or_b64 exec, exec, s[2:3]
	v_max_f32_e32 v70, v69, v69
	v_min_f32_e32 v71, v70, v101
	v_cmp_u_f32_e32 vcc, v69, v69
	v_max_f32_e32 v70, v70, v101
	s_movk_i32 s4, 0x1f8
	v_cndmask_b32_e32 v71, v71, v69, vcc
	v_cndmask_b32_e32 v70, v70, v69, vcc
	v_cndmask_b32_e64 v80, v71, v30, s[28:29]
	v_cndmask_b32_e64 v71, v70, v30, s[28:29]
	v_cmp_neq_f32_e32 vcc, v80, v71
	v_cmp_class_f32_e64 s[2:3], v80, s4
	s_or_b64 s[6:7], vcc, s[2:3]
	v_mov_b32_e32 v70, v69
	s_and_saveexec_b64 s[2:3], s[6:7]
	s_cbranch_execz .LBB93_246
; %bb.245:
	v_sub_f32_e32 v70, v80, v71
	s_mov_b32 s5, 0x3fb8aa3b
	v_mul_f32_e32 v80, 0x3fb8aa3b, v70
	v_fma_f32 v81, v70, s5, -v80
	v_rndne_f32_e32 v82, v80
	v_fmamk_f32 v81, v70, 0x32a5705f, v81
	v_sub_f32_e32 v80, v80, v82
	v_add_f32_e32 v80, v80, v81
	v_exp_f32_e32 v80, v80
	v_cvt_i32_f32_e32 v81, v82
	s_mov_b32 s5, 0xc2ce8ed0
	v_cmp_ngt_f32_e32 vcc, s5, v70
	s_mov_b32 s5, 0x42b17218
	v_ldexp_f32 v80, v80, v81
	v_cndmask_b32_e32 v80, 0, v80, vcc
	v_mov_b32_e32 v81, 0x7f800000
	v_cmp_nlt_f32_e32 vcc, s5, v70
	s_mov_b32 s5, 0x3f2aaaab
	s_mov_b32 s6, 0x7f800000
	v_cndmask_b32_e32 v101, v81, v80, vcc
	v_add_f32_e32 v70, 1.0, v101
	v_add_f32_e32 v80, -1.0, v70
	v_sub_f32_e32 v81, v80, v70
	v_add_f32_e32 v81, 1.0, v81
	v_sub_f32_e32 v80, v101, v80
	v_add_f32_e32 v82, v80, v81
	v_frexp_mant_f32_e32 v83, v70
	v_cvt_f64_f32_e32 v[80:81], v70
	v_frexp_exp_i32_f64_e32 v80, v[80:81]
	v_cmp_gt_f32_e32 vcc, s5, v83
	s_mov_b32 s5, 0x3f317218
	s_nop 0
	v_subbrev_co_u32_e32 v119, vcc, 0, v80, vcc
	v_sub_u32_e32 v80, 0, v119
	v_ldexp_f32 v70, v70, v80
	v_ldexp_f32 v80, v82, v80
	v_add_f32_e32 v82, -1.0, v70
	v_add_f32_e32 v81, 1.0, v82
	v_sub_f32_e32 v81, v70, v81
	v_add_f32_e32 v83, v80, v81
	v_add_f32_e32 v81, 1.0, v70
	v_add_f32_e32 v84, -1.0, v81
	v_sub_f32_e32 v70, v70, v84
	v_add_f32_e32 v70, v80, v70
	v_add_f32_e32 v128, v81, v70
	v_rcp_f32_e32 v129, v128
	v_sub_f32_e32 v80, v81, v128
	v_add_f32_e32 v81, v82, v83
	v_add_f32_e32 v70, v70, v80
	v_mul_f32_e32 v131, v81, v129
	v_sub_f32_e32 v80, v82, v81
	v_mul_f32_e32 v82, v128, v131
	v_fma_f32 v84, v131, v128, -v82
	v_fmac_f32_e32 v84, v131, v70
	v_add_f32_e32 v130, v83, v80
	v_add_f32_e32 v80, v82, v84
	v_sub_f32_e32 v83, v81, v80
	v_pk_add_f32 v[86:87], v[80:81], v[82:83] neg_lo:[0,1] neg_hi:[0,1]
	v_mov_b32_e32 v85, v80
	v_pk_add_f32 v[80:81], v[86:87], v[84:85] neg_lo:[0,1] neg_hi:[0,1]
	v_cmp_eq_f32_e32 vcc, s6, v101
	v_add_f32_e32 v81, v130, v81
	v_add_f32_e32 v80, v80, v81
	;; [unrolled: 1-line block ×3, first 2 shown]
	v_mul_f32_e32 v130, v129, v81
	v_mul_f32_e32 v82, v128, v130
	v_fma_f32 v84, v130, v128, -v82
	v_fmac_f32_e32 v84, v130, v70
	v_sub_f32_e32 v70, v83, v81
	v_add_f32_e32 v70, v80, v70
	v_add_f32_e32 v80, v82, v84
	v_sub_f32_e32 v83, v81, v80
	v_pk_add_f32 v[86:87], v[80:81], v[82:83] neg_lo:[0,1] neg_hi:[0,1]
	v_mov_b32_e32 v85, v80
	v_pk_add_f32 v[80:81], v[86:87], v[84:85] neg_lo:[0,1] neg_hi:[0,1]
	v_cvt_f32_i32_e32 v82, v119
	v_add_f32_e32 v70, v70, v81
	v_add_f32_e32 v70, v80, v70
	;; [unrolled: 1-line block ×4, first 2 shown]
	v_sub_f32_e32 v81, v80, v131
	v_mul_f32_e32 v70, v129, v70
	v_sub_f32_e32 v81, v130, v81
	v_add_f32_e32 v70, v81, v70
	v_add_f32_e32 v83, v80, v70
	v_mul_f32_e32 v84, v83, v83
	v_mov_b32_e32 v81, 0x3ecc95a3
	v_fmac_f32_e32 v81, 0x3e9b6dac, v84
	v_sub_f32_e32 v80, v83, v80
	v_fmaak_f32 v81, v84, v81, 0x3f2aaada
	v_sub_f32_e32 v70, v70, v80
	v_ldexp_f32 v85, v83, 1
	v_mul_f32_e32 v83, v83, v84
	v_mov_b32_e32 v80, 0x3f317218
	v_pk_mul_f32 v[80:81], v[82:83], v[80:81]
	v_ldexp_f32 v70, v70, 1
	v_fma_f32 v83, v82, s5, -v80
	v_fmamk_f32 v84, v82, 0xb102e308, v83
	v_pk_add_f32 v[82:83], v[80:81], v[84:85]
	v_mov_b32_e32 v86, v80
	v_sub_f32_e32 v85, v83, v85
	v_sub_f32_e32 v85, v81, v85
	v_add_f32_e32 v87, v70, v85
	v_pk_add_f32 v[80:81], v[82:83], v[80:81] neg_lo:[0,1] neg_hi:[0,1]
	v_pk_add_f32 v[128:129], v[82:83], v[86:87]
	v_mov_b32_e32 v85, v82
	v_mov_b32_e32 v81, v129
	v_pk_add_f32 v[130:131], v[84:85], v[80:81] neg_lo:[0,1] neg_hi:[0,1]
	v_pk_add_f32 v[80:81], v[84:85], v[80:81]
	s_mov_b32 s5, 0x33800000
	v_mov_b32_e32 v70, v81
	v_pk_add_f32 v[84:85], v[70:71], v[82:83] neg_lo:[0,1] neg_hi:[0,1]
	v_mov_b32_e32 v80, v129
	v_mov_b32_e32 v85, v84
	v_pk_add_f32 v[132:133], v[128:129], v[84:85] neg_lo:[0,1] neg_hi:[0,1]
	v_mov_b32_e32 v128, v83
	v_mov_b32_e32 v129, v84
	;; [unrolled: 1-line block ×3, first 2 shown]
	v_pk_add_f32 v[80:81], v[80:81], v[128:129] neg_lo:[0,1] neg_hi:[0,1]
	v_mov_b32_e32 v84, v87
	v_mov_b32_e32 v85, v82
	v_pk_add_f32 v[80:81], v[84:85], v[80:81] neg_lo:[0,1] neg_hi:[0,1]
	v_mov_b32_e32 v132, v130
	v_pk_add_f32 v[82:83], v[132:133], v[80:81]
	v_cmp_lt_f32_e64 s[6:7], |v101|, s5
	v_mov_b32_e32 v84, v83
	v_pk_add_f32 v[84:85], v[82:83], v[84:85]
	s_or_b64 vcc, vcc, s[6:7]
	v_pk_add_f32 v[86:87], v[70:71], v[84:85]
	v_mov_b32_e32 v81, v84
	v_mov_b32_e32 v83, v86
	v_pk_add_f32 v[128:129], v[82:83], v[130:131] neg_lo:[0,1] neg_hi:[0,1]
	s_nop 0
	v_sub_f32_e32 v70, v82, v128
	v_pk_add_f32 v[80:81], v[80:81], v[128:129] neg_lo:[0,1] neg_hi:[0,1]
	v_sub_f32_e32 v70, v130, v70
	v_add_f32_e32 v70, v80, v70
	v_add_f32_e32 v70, v70, v81
	;; [unrolled: 1-line block ×3, first 2 shown]
	v_cndmask_b32_e32 v70, v70, v101, vcc
	v_add_f32_e32 v70, v71, v70
.LBB93_246:
	s_or_b64 exec, exec, s[2:3]
	v_max_f32_e32 v71, v70, v70
	v_min_f32_e32 v80, v71, v102
	v_cmp_u_f32_e32 vcc, v70, v70
	v_max_f32_e32 v71, v71, v102
	s_nop 0
	v_cndmask_b32_e32 v80, v80, v70, vcc
	v_cndmask_b32_e32 v71, v71, v70, vcc
	v_cndmask_b32_e64 v81, v80, v31, s[30:31]
	v_cndmask_b32_e64 v80, v71, v31, s[30:31]
	v_cmp_neq_f32_e32 vcc, v81, v80
	v_cmp_class_f32_e64 s[2:3], v81, s4
	s_or_b64 s[4:5], vcc, s[2:3]
	v_mov_b32_e32 v71, v70
	s_and_saveexec_b64 s[2:3], s[4:5]
	s_cbranch_execz .LBB93_248
; %bb.247:
	v_sub_f32_e32 v71, v81, v80
	s_mov_b32 s4, 0x3fb8aa3b
	v_mul_f32_e32 v81, 0x3fb8aa3b, v71
	v_fma_f32 v82, v71, s4, -v81
	v_rndne_f32_e32 v83, v81
	v_fmamk_f32 v82, v71, 0x32a5705f, v82
	v_sub_f32_e32 v81, v81, v83
	v_add_f32_e32 v81, v81, v82
	v_exp_f32_e32 v81, v81
	v_cvt_i32_f32_e32 v82, v83
	s_mov_b32 s4, 0xc2ce8ed0
	v_cmp_ngt_f32_e32 vcc, s4, v71
	s_mov_b32 s4, 0x42b17218
	v_ldexp_f32 v81, v81, v82
	v_cndmask_b32_e32 v81, 0, v81, vcc
	v_mov_b32_e32 v82, 0x7f800000
	v_cmp_nlt_f32_e32 vcc, s4, v71
	s_mov_b32 s4, 0x3f2aaaab
	s_mov_b32 s5, 0x7f800000
	v_cndmask_b32_e32 v81, v82, v81, vcc
	v_add_f32_e32 v71, 1.0, v81
	v_add_f32_e32 v82, -1.0, v71
	v_sub_f32_e32 v83, v82, v71
	v_add_f32_e32 v83, 1.0, v83
	v_sub_f32_e32 v82, v81, v82
	v_add_f32_e32 v84, v82, v83
	v_frexp_mant_f32_e32 v85, v71
	v_cvt_f64_f32_e32 v[82:83], v71
	v_frexp_exp_i32_f64_e32 v82, v[82:83]
	v_cmp_gt_f32_e32 vcc, s4, v85
	s_mov_b32 s4, 0x3f317218
	s_nop 0
	v_subbrev_co_u32_e32 v101, vcc, 0, v82, vcc
	v_sub_u32_e32 v82, 0, v101
	v_ldexp_f32 v71, v71, v82
	v_ldexp_f32 v82, v84, v82
	v_add_f32_e32 v84, -1.0, v71
	v_add_f32_e32 v83, 1.0, v84
	v_sub_f32_e32 v83, v71, v83
	v_add_f32_e32 v85, v82, v83
	v_add_f32_e32 v83, 1.0, v71
	v_add_f32_e32 v86, -1.0, v83
	v_sub_f32_e32 v71, v71, v86
	v_add_f32_e32 v71, v82, v71
	v_add_f32_e32 v102, v83, v71
	v_rcp_f32_e32 v119, v102
	v_sub_f32_e32 v82, v83, v102
	v_add_f32_e32 v83, v84, v85
	v_add_f32_e32 v71, v71, v82
	v_mul_f32_e32 v131, v83, v119
	v_sub_f32_e32 v82, v84, v83
	v_mul_f32_e32 v84, v102, v131
	v_fma_f32 v86, v131, v102, -v84
	v_fmac_f32_e32 v86, v131, v71
	v_add_f32_e32 v130, v85, v82
	v_add_f32_e32 v82, v84, v86
	v_sub_f32_e32 v85, v83, v82
	v_pk_add_f32 v[128:129], v[82:83], v[84:85] neg_lo:[0,1] neg_hi:[0,1]
	v_mov_b32_e32 v87, v82
	v_pk_add_f32 v[82:83], v[128:129], v[86:87] neg_lo:[0,1] neg_hi:[0,1]
	v_cmp_eq_f32_e32 vcc, s5, v81
	v_add_f32_e32 v83, v130, v83
	v_add_f32_e32 v82, v82, v83
	;; [unrolled: 1-line block ×3, first 2 shown]
	v_mul_f32_e32 v130, v119, v83
	v_mul_f32_e32 v84, v102, v130
	v_fma_f32 v86, v130, v102, -v84
	v_fmac_f32_e32 v86, v130, v71
	v_sub_f32_e32 v71, v85, v83
	v_add_f32_e32 v71, v82, v71
	v_add_f32_e32 v82, v84, v86
	v_sub_f32_e32 v85, v83, v82
	v_pk_add_f32 v[128:129], v[82:83], v[84:85] neg_lo:[0,1] neg_hi:[0,1]
	v_mov_b32_e32 v87, v82
	v_pk_add_f32 v[82:83], v[128:129], v[86:87] neg_lo:[0,1] neg_hi:[0,1]
	v_cvt_f32_i32_e32 v84, v101
	v_add_f32_e32 v71, v71, v83
	v_add_f32_e32 v71, v82, v71
	;; [unrolled: 1-line block ×4, first 2 shown]
	v_sub_f32_e32 v83, v82, v131
	v_mul_f32_e32 v71, v119, v71
	v_sub_f32_e32 v83, v130, v83
	v_add_f32_e32 v71, v83, v71
	v_add_f32_e32 v85, v82, v71
	v_mul_f32_e32 v86, v85, v85
	v_mov_b32_e32 v83, 0x3ecc95a3
	v_fmac_f32_e32 v83, 0x3e9b6dac, v86
	v_sub_f32_e32 v82, v85, v82
	v_fmaak_f32 v83, v86, v83, 0x3f2aaada
	v_sub_f32_e32 v71, v71, v82
	v_ldexp_f32 v87, v85, 1
	v_mul_f32_e32 v85, v85, v86
	v_mov_b32_e32 v82, 0x3f317218
	v_pk_mul_f32 v[82:83], v[84:85], v[82:83]
	v_ldexp_f32 v71, v71, 1
	v_fma_f32 v85, v84, s4, -v82
	v_fmamk_f32 v86, v84, 0xb102e308, v85
	v_pk_add_f32 v[84:85], v[82:83], v[86:87]
	v_mov_b32_e32 v128, v82
	v_sub_f32_e32 v87, v85, v87
	v_sub_f32_e32 v87, v83, v87
	v_add_f32_e32 v129, v71, v87
	v_pk_add_f32 v[82:83], v[84:85], v[82:83] neg_lo:[0,1] neg_hi:[0,1]
	v_pk_add_f32 v[130:131], v[84:85], v[128:129]
	v_mov_b32_e32 v87, v84
	v_mov_b32_e32 v83, v131
	v_pk_add_f32 v[132:133], v[86:87], v[82:83] neg_lo:[0,1] neg_hi:[0,1]
	v_pk_add_f32 v[82:83], v[86:87], v[82:83]
	v_mov_b32_e32 v128, v129
	v_mov_b32_e32 v86, v83
	v_pk_add_f32 v[134:135], v[86:87], v[84:85] neg_lo:[0,1] neg_hi:[0,1]
	v_mov_b32_e32 v82, v131
	v_mov_b32_e32 v71, v134
	v_pk_add_f32 v[144:145], v[130:131], v[70:71] neg_lo:[0,1] neg_hi:[0,1]
	v_mov_b32_e32 v130, v85
	v_mov_b32_e32 v131, v134
	v_mov_b32_e32 v133, v83
	v_pk_add_f32 v[82:83], v[82:83], v[130:131] neg_lo:[0,1] neg_hi:[0,1]
	v_mov_b32_e32 v129, v84
	v_pk_add_f32 v[82:83], v[128:129], v[82:83] neg_lo:[0,1] neg_hi:[0,1]
	v_mov_b32_e32 v144, v132
	v_pk_add_f32 v[84:85], v[144:145], v[82:83]
	s_mov_b32 s4, 0x33800000
	v_mov_b32_e32 v102, v85
	v_pk_add_f32 v[128:129], v[84:85], v[102:103]
	v_cmp_lt_f32_e64 s[4:5], |v81|, s4
	v_pk_add_f32 v[86:87], v[86:87], v[128:129]
	v_mov_b32_e32 v83, v128
	v_mov_b32_e32 v85, v86
	v_pk_add_f32 v[130:131], v[84:85], v[132:133] neg_lo:[0,1] neg_hi:[0,1]
	s_or_b64 vcc, vcc, s[4:5]
	v_sub_f32_e32 v71, v84, v130
	v_pk_add_f32 v[82:83], v[82:83], v[130:131] neg_lo:[0,1] neg_hi:[0,1]
	v_sub_f32_e32 v71, v132, v71
	v_add_f32_e32 v71, v82, v71
	v_add_f32_e32 v71, v71, v83
	;; [unrolled: 1-line block ×3, first 2 shown]
	v_cndmask_b32_e32 v71, v71, v81, vcc
	v_add_f32_e32 v71, v80, v71
.LBB93_248:
	s_or_b64 exec, exec, s[2:3]
	v_max_f32_e32 v80, v71, v71
	v_min_f32_e32 v81, v80, v103
	v_cmp_u_f32_e32 vcc, v71, v71
	v_max_f32_e32 v80, v80, v103
	s_movk_i32 s4, 0x1f8
	v_cndmask_b32_e32 v81, v81, v71, vcc
	v_cndmask_b32_e32 v80, v80, v71, vcc
	v_cndmask_b32_e64 v82, v81, v24, s[34:35]
	v_cndmask_b32_e64 v81, v80, v24, s[34:35]
	v_cmp_neq_f32_e32 vcc, v82, v81
	v_cmp_class_f32_e64 s[2:3], v82, s4
	s_or_b64 s[6:7], vcc, s[2:3]
	v_mov_b32_e32 v80, v71
	s_and_saveexec_b64 s[2:3], s[6:7]
	s_cbranch_execz .LBB93_250
; %bb.249:
	v_sub_f32_e32 v80, v82, v81
	s_mov_b32 s5, 0x3fb8aa3b
	v_mul_f32_e32 v82, 0x3fb8aa3b, v80
	v_fma_f32 v83, v80, s5, -v82
	v_rndne_f32_e32 v84, v82
	v_fmamk_f32 v83, v80, 0x32a5705f, v83
	v_sub_f32_e32 v82, v82, v84
	v_add_f32_e32 v82, v82, v83
	v_exp_f32_e32 v82, v82
	v_cvt_i32_f32_e32 v83, v84
	s_mov_b32 s5, 0xc2ce8ed0
	v_cmp_ngt_f32_e32 vcc, s5, v80
	s_mov_b32 s5, 0x42b17218
	v_ldexp_f32 v82, v82, v83
	v_cndmask_b32_e32 v82, 0, v82, vcc
	v_mov_b32_e32 v83, 0x7f800000
	v_cmp_nlt_f32_e32 vcc, s5, v80
	s_mov_b32 s5, 0x3f2aaaab
	s_mov_b32 s6, 0x7f800000
	v_cndmask_b32_e32 v101, v83, v82, vcc
	v_add_f32_e32 v80, 1.0, v101
	v_add_f32_e32 v82, -1.0, v80
	v_sub_f32_e32 v83, v82, v80
	v_add_f32_e32 v83, 1.0, v83
	v_sub_f32_e32 v82, v101, v82
	v_add_f32_e32 v84, v82, v83
	v_frexp_mant_f32_e32 v85, v80
	v_cvt_f64_f32_e32 v[82:83], v80
	v_frexp_exp_i32_f64_e32 v82, v[82:83]
	v_cmp_gt_f32_e32 vcc, s5, v85
	s_mov_b32 s5, 0x3f317218
	s_nop 0
	v_subbrev_co_u32_e32 v119, vcc, 0, v82, vcc
	v_sub_u32_e32 v82, 0, v119
	v_ldexp_f32 v80, v80, v82
	v_ldexp_f32 v82, v84, v82
	v_add_f32_e32 v84, -1.0, v80
	v_add_f32_e32 v83, 1.0, v84
	v_sub_f32_e32 v83, v80, v83
	v_add_f32_e32 v85, v82, v83
	v_add_f32_e32 v83, 1.0, v80
	v_add_f32_e32 v86, -1.0, v83
	v_sub_f32_e32 v80, v80, v86
	v_add_f32_e32 v80, v82, v80
	v_add_f32_e32 v128, v83, v80
	v_rcp_f32_e32 v129, v128
	v_sub_f32_e32 v82, v83, v128
	v_add_f32_e32 v83, v84, v85
	v_add_f32_e32 v80, v80, v82
	v_mul_f32_e32 v131, v83, v129
	v_sub_f32_e32 v82, v84, v83
	v_mul_f32_e32 v84, v128, v131
	v_fma_f32 v86, v131, v128, -v84
	v_fmac_f32_e32 v86, v131, v80
	v_add_f32_e32 v130, v85, v82
	v_add_f32_e32 v82, v84, v86
	v_sub_f32_e32 v85, v83, v82
	v_pk_add_f32 v[102:103], v[82:83], v[84:85] neg_lo:[0,1] neg_hi:[0,1]
	v_mov_b32_e32 v87, v82
	v_pk_add_f32 v[82:83], v[102:103], v[86:87] neg_lo:[0,1] neg_hi:[0,1]
	v_cmp_eq_f32_e32 vcc, s6, v101
	v_add_f32_e32 v83, v130, v83
	v_add_f32_e32 v82, v82, v83
	;; [unrolled: 1-line block ×3, first 2 shown]
	v_mul_f32_e32 v130, v129, v83
	v_mul_f32_e32 v84, v128, v130
	v_fma_f32 v86, v130, v128, -v84
	v_fmac_f32_e32 v86, v130, v80
	v_sub_f32_e32 v80, v85, v83
	v_add_f32_e32 v80, v82, v80
	v_add_f32_e32 v82, v84, v86
	v_sub_f32_e32 v85, v83, v82
	v_pk_add_f32 v[102:103], v[82:83], v[84:85] neg_lo:[0,1] neg_hi:[0,1]
	v_mov_b32_e32 v87, v82
	v_pk_add_f32 v[82:83], v[102:103], v[86:87] neg_lo:[0,1] neg_hi:[0,1]
	v_cvt_f32_i32_e32 v84, v119
	v_add_f32_e32 v80, v80, v83
	v_add_f32_e32 v80, v82, v80
	;; [unrolled: 1-line block ×4, first 2 shown]
	v_sub_f32_e32 v83, v82, v131
	v_mul_f32_e32 v80, v129, v80
	v_sub_f32_e32 v83, v130, v83
	v_add_f32_e32 v80, v83, v80
	v_add_f32_e32 v85, v82, v80
	v_mul_f32_e32 v86, v85, v85
	v_mov_b32_e32 v83, 0x3ecc95a3
	v_fmac_f32_e32 v83, 0x3e9b6dac, v86
	v_sub_f32_e32 v82, v85, v82
	v_fmaak_f32 v83, v86, v83, 0x3f2aaada
	v_sub_f32_e32 v80, v80, v82
	v_ldexp_f32 v87, v85, 1
	v_mul_f32_e32 v85, v85, v86
	v_mov_b32_e32 v82, 0x3f317218
	v_pk_mul_f32 v[82:83], v[84:85], v[82:83]
	v_ldexp_f32 v80, v80, 1
	v_fma_f32 v85, v84, s5, -v82
	v_fmamk_f32 v86, v84, 0xb102e308, v85
	v_pk_add_f32 v[84:85], v[82:83], v[86:87]
	v_mov_b32_e32 v102, v82
	v_sub_f32_e32 v87, v85, v87
	v_sub_f32_e32 v87, v83, v87
	v_add_f32_e32 v103, v80, v87
	v_pk_add_f32 v[82:83], v[84:85], v[82:83] neg_lo:[0,1] neg_hi:[0,1]
	v_pk_add_f32 v[128:129], v[84:85], v[102:103]
	v_mov_b32_e32 v87, v84
	v_mov_b32_e32 v83, v129
	v_pk_add_f32 v[130:131], v[86:87], v[82:83] neg_lo:[0,1] neg_hi:[0,1]
	v_pk_add_f32 v[82:83], v[86:87], v[82:83]
	s_mov_b32 s5, 0x33800000
	v_mov_b32_e32 v80, v83
	v_pk_add_f32 v[86:87], v[80:81], v[84:85] neg_lo:[0,1] neg_hi:[0,1]
	v_mov_b32_e32 v82, v129
	v_mov_b32_e32 v87, v86
	v_pk_add_f32 v[132:133], v[128:129], v[86:87] neg_lo:[0,1] neg_hi:[0,1]
	v_mov_b32_e32 v128, v85
	v_mov_b32_e32 v129, v86
	;; [unrolled: 1-line block ×3, first 2 shown]
	v_pk_add_f32 v[82:83], v[82:83], v[128:129] neg_lo:[0,1] neg_hi:[0,1]
	v_mov_b32_e32 v86, v103
	v_mov_b32_e32 v87, v84
	v_pk_add_f32 v[82:83], v[86:87], v[82:83] neg_lo:[0,1] neg_hi:[0,1]
	v_mov_b32_e32 v132, v130
	v_pk_add_f32 v[84:85], v[132:133], v[82:83]
	v_cmp_lt_f32_e64 s[6:7], |v101|, s5
	v_mov_b32_e32 v86, v85
	v_pk_add_f32 v[86:87], v[84:85], v[86:87]
	s_or_b64 vcc, vcc, s[6:7]
	v_pk_add_f32 v[102:103], v[80:81], v[86:87]
	v_mov_b32_e32 v83, v86
	v_mov_b32_e32 v85, v102
	v_pk_add_f32 v[128:129], v[84:85], v[130:131] neg_lo:[0,1] neg_hi:[0,1]
	s_nop 0
	v_sub_f32_e32 v80, v84, v128
	v_pk_add_f32 v[82:83], v[82:83], v[128:129] neg_lo:[0,1] neg_hi:[0,1]
	v_sub_f32_e32 v80, v130, v80
	v_add_f32_e32 v80, v82, v80
	v_add_f32_e32 v80, v80, v83
	;; [unrolled: 1-line block ×3, first 2 shown]
	v_cndmask_b32_e32 v80, v80, v101, vcc
	v_add_f32_e32 v80, v81, v80
.LBB93_250:
	s_or_b64 exec, exec, s[2:3]
	v_max_f32_e32 v81, v80, v80
	v_min_f32_e32 v82, v81, v112
	v_cmp_u_f32_e32 vcc, v80, v80
	v_max_f32_e32 v81, v81, v112
	s_nop 0
	v_cndmask_b32_e32 v82, v82, v80, vcc
	v_cndmask_b32_e32 v81, v81, v80, vcc
	v_cndmask_b32_e64 v83, v82, v25, s[36:37]
	v_cndmask_b32_e64 v82, v81, v25, s[36:37]
	v_cmp_neq_f32_e32 vcc, v83, v82
	v_cmp_class_f32_e64 s[2:3], v83, s4
	s_or_b64 s[4:5], vcc, s[2:3]
	v_mov_b32_e32 v81, v80
	s_and_saveexec_b64 s[2:3], s[4:5]
	s_cbranch_execz .LBB93_252
; %bb.251:
	v_sub_f32_e32 v81, v83, v82
	s_mov_b32 s4, 0x3fb8aa3b
	v_mul_f32_e32 v83, 0x3fb8aa3b, v81
	v_fma_f32 v84, v81, s4, -v83
	v_rndne_f32_e32 v85, v83
	v_fmamk_f32 v84, v81, 0x32a5705f, v84
	v_sub_f32_e32 v83, v83, v85
	v_add_f32_e32 v83, v83, v84
	v_exp_f32_e32 v83, v83
	v_cvt_i32_f32_e32 v84, v85
	s_mov_b32 s4, 0xc2ce8ed0
	v_cmp_ngt_f32_e32 vcc, s4, v81
	s_mov_b32 s4, 0x42b17218
	v_ldexp_f32 v83, v83, v84
	v_cndmask_b32_e32 v83, 0, v83, vcc
	v_mov_b32_e32 v84, 0x7f800000
	v_cmp_nlt_f32_e32 vcc, s4, v81
	s_mov_b32 s4, 0x3f2aaaab
	s_mov_b32 s5, 0x7f800000
	v_cndmask_b32_e32 v83, v84, v83, vcc
	v_add_f32_e32 v81, 1.0, v83
	v_add_f32_e32 v84, -1.0, v81
	v_sub_f32_e32 v85, v84, v81
	v_add_f32_e32 v85, 1.0, v85
	v_sub_f32_e32 v84, v83, v84
	v_add_f32_e32 v86, v84, v85
	v_frexp_mant_f32_e32 v87, v81
	v_cvt_f64_f32_e32 v[84:85], v81
	v_frexp_exp_i32_f64_e32 v84, v[84:85]
	v_cmp_gt_f32_e32 vcc, s4, v87
	s_mov_b32 s4, 0x3f317218
	s_nop 0
	v_subbrev_co_u32_e32 v101, vcc, 0, v84, vcc
	v_sub_u32_e32 v84, 0, v101
	v_ldexp_f32 v81, v81, v84
	v_ldexp_f32 v84, v86, v84
	v_add_f32_e32 v86, -1.0, v81
	v_add_f32_e32 v85, 1.0, v86
	v_sub_f32_e32 v85, v81, v85
	v_add_f32_e32 v87, v84, v85
	v_add_f32_e32 v85, 1.0, v81
	v_add_f32_e32 v102, -1.0, v85
	v_sub_f32_e32 v81, v81, v102
	v_add_f32_e32 v81, v84, v81
	v_add_f32_e32 v112, v85, v81
	v_rcp_f32_e32 v119, v112
	v_sub_f32_e32 v84, v85, v112
	v_add_f32_e32 v85, v86, v87
	v_add_f32_e32 v81, v81, v84
	v_mul_f32_e32 v131, v85, v119
	v_sub_f32_e32 v84, v86, v85
	v_mul_f32_e32 v86, v112, v131
	v_fma_f32 v102, v131, v112, -v86
	v_fmac_f32_e32 v102, v131, v81
	v_add_f32_e32 v130, v87, v84
	v_add_f32_e32 v84, v86, v102
	v_sub_f32_e32 v87, v85, v84
	v_pk_add_f32 v[128:129], v[84:85], v[86:87] neg_lo:[0,1] neg_hi:[0,1]
	v_mov_b32_e32 v103, v84
	v_pk_add_f32 v[84:85], v[128:129], v[102:103] neg_lo:[0,1] neg_hi:[0,1]
	v_cmp_eq_f32_e32 vcc, s5, v83
	v_add_f32_e32 v85, v130, v85
	v_add_f32_e32 v84, v84, v85
	;; [unrolled: 1-line block ×3, first 2 shown]
	v_mul_f32_e32 v130, v119, v85
	v_mul_f32_e32 v86, v112, v130
	v_fma_f32 v102, v130, v112, -v86
	v_fmac_f32_e32 v102, v130, v81
	v_sub_f32_e32 v81, v87, v85
	v_add_f32_e32 v81, v84, v81
	v_add_f32_e32 v84, v86, v102
	v_sub_f32_e32 v87, v85, v84
	v_pk_add_f32 v[128:129], v[84:85], v[86:87] neg_lo:[0,1] neg_hi:[0,1]
	v_mov_b32_e32 v103, v84
	v_pk_add_f32 v[84:85], v[128:129], v[102:103] neg_lo:[0,1] neg_hi:[0,1]
	v_cvt_f32_i32_e32 v86, v101
	v_add_f32_e32 v81, v81, v85
	v_add_f32_e32 v81, v84, v81
	;; [unrolled: 1-line block ×4, first 2 shown]
	v_sub_f32_e32 v85, v84, v131
	v_mul_f32_e32 v81, v119, v81
	v_sub_f32_e32 v85, v130, v85
	v_add_f32_e32 v81, v85, v81
	v_add_f32_e32 v87, v84, v81
	v_mul_f32_e32 v102, v87, v87
	v_mov_b32_e32 v85, 0x3ecc95a3
	v_fmac_f32_e32 v85, 0x3e9b6dac, v102
	v_sub_f32_e32 v84, v87, v84
	v_fmaak_f32 v85, v102, v85, 0x3f2aaada
	v_sub_f32_e32 v81, v81, v84
	v_ldexp_f32 v103, v87, 1
	v_mul_f32_e32 v87, v87, v102
	v_mov_b32_e32 v84, 0x3f317218
	v_pk_mul_f32 v[84:85], v[86:87], v[84:85]
	v_ldexp_f32 v81, v81, 1
	v_fma_f32 v87, v86, s4, -v84
	v_fmamk_f32 v102, v86, 0xb102e308, v87
	v_pk_add_f32 v[86:87], v[84:85], v[102:103]
	v_mov_b32_e32 v128, v84
	v_sub_f32_e32 v101, v87, v103
	v_sub_f32_e32 v101, v85, v101
	v_add_f32_e32 v129, v81, v101
	v_pk_add_f32 v[84:85], v[86:87], v[84:85] neg_lo:[0,1] neg_hi:[0,1]
	v_pk_add_f32 v[130:131], v[86:87], v[128:129]
	v_mov_b32_e32 v103, v86
	v_mov_b32_e32 v85, v131
	v_pk_add_f32 v[132:133], v[102:103], v[84:85] neg_lo:[0,1] neg_hi:[0,1]
	v_pk_add_f32 v[84:85], v[102:103], v[84:85]
	v_mov_b32_e32 v128, v129
	v_mov_b32_e32 v102, v85
	v_pk_add_f32 v[134:135], v[102:103], v[86:87] neg_lo:[0,1] neg_hi:[0,1]
	v_mov_b32_e32 v84, v131
	v_mov_b32_e32 v81, v134
	v_pk_add_f32 v[144:145], v[130:131], v[80:81] neg_lo:[0,1] neg_hi:[0,1]
	v_mov_b32_e32 v130, v87
	v_mov_b32_e32 v131, v134
	;; [unrolled: 1-line block ×3, first 2 shown]
	v_pk_add_f32 v[84:85], v[84:85], v[130:131] neg_lo:[0,1] neg_hi:[0,1]
	v_mov_b32_e32 v129, v86
	v_pk_add_f32 v[84:85], v[128:129], v[84:85] neg_lo:[0,1] neg_hi:[0,1]
	v_mov_b32_e32 v144, v132
	v_pk_add_f32 v[86:87], v[144:145], v[84:85]
	s_mov_b32 s4, 0x33800000
	v_mov_b32_e32 v112, v87
	v_pk_add_f32 v[128:129], v[86:87], v[112:113]
	v_cmp_lt_f32_e64 s[4:5], |v83|, s4
	v_pk_add_f32 v[102:103], v[102:103], v[128:129]
	v_mov_b32_e32 v85, v128
	v_mov_b32_e32 v87, v102
	v_pk_add_f32 v[130:131], v[86:87], v[132:133] neg_lo:[0,1] neg_hi:[0,1]
	s_or_b64 vcc, vcc, s[4:5]
	v_sub_f32_e32 v81, v86, v130
	v_pk_add_f32 v[84:85], v[84:85], v[130:131] neg_lo:[0,1] neg_hi:[0,1]
	v_sub_f32_e32 v81, v132, v81
	v_add_f32_e32 v81, v84, v81
	v_add_f32_e32 v81, v81, v85
	;; [unrolled: 1-line block ×3, first 2 shown]
	v_cndmask_b32_e32 v81, v81, v83, vcc
	v_add_f32_e32 v81, v82, v81
.LBB93_252:
	s_or_b64 exec, exec, s[2:3]
	v_max_f32_e32 v82, v81, v81
	v_min_f32_e32 v83, v82, v113
	v_cmp_u_f32_e32 vcc, v81, v81
	v_max_f32_e32 v82, v82, v113
	s_movk_i32 s4, 0x1f8
	v_cndmask_b32_e32 v83, v83, v81, vcc
	v_cndmask_b32_e32 v82, v82, v81, vcc
	v_cndmask_b32_e64 v84, v83, v26, s[38:39]
	v_cndmask_b32_e64 v83, v82, v26, s[38:39]
	v_cmp_neq_f32_e32 vcc, v84, v83
	v_cmp_class_f32_e64 s[2:3], v84, s4
	s_or_b64 s[6:7], vcc, s[2:3]
	v_mov_b32_e32 v82, v81
	s_and_saveexec_b64 s[2:3], s[6:7]
	s_cbranch_execz .LBB93_254
; %bb.253:
	v_sub_f32_e32 v82, v84, v83
	s_mov_b32 s5, 0x3fb8aa3b
	v_mul_f32_e32 v84, 0x3fb8aa3b, v82
	v_fma_f32 v85, v82, s5, -v84
	v_rndne_f32_e32 v86, v84
	v_fmamk_f32 v85, v82, 0x32a5705f, v85
	v_sub_f32_e32 v84, v84, v86
	v_add_f32_e32 v84, v84, v85
	v_exp_f32_e32 v84, v84
	v_cvt_i32_f32_e32 v85, v86
	s_mov_b32 s5, 0xc2ce8ed0
	v_cmp_ngt_f32_e32 vcc, s5, v82
	s_mov_b32 s5, 0x42b17218
	v_ldexp_f32 v84, v84, v85
	v_cndmask_b32_e32 v84, 0, v84, vcc
	v_mov_b32_e32 v85, 0x7f800000
	v_cmp_nlt_f32_e32 vcc, s5, v82
	s_mov_b32 s5, 0x3f2aaaab
	s_mov_b32 s6, 0x7f800000
	v_cndmask_b32_e32 v119, v85, v84, vcc
	v_add_f32_e32 v82, 1.0, v119
	v_add_f32_e32 v84, -1.0, v82
	v_sub_f32_e32 v85, v84, v82
	v_add_f32_e32 v85, 1.0, v85
	v_sub_f32_e32 v84, v119, v84
	v_add_f32_e32 v86, v84, v85
	v_frexp_mant_f32_e32 v87, v82
	v_cvt_f64_f32_e32 v[84:85], v82
	v_frexp_exp_i32_f64_e32 v84, v[84:85]
	v_cmp_gt_f32_e32 vcc, s5, v87
	s_mov_b32 s5, 0x3f317218
	s_nop 0
	v_subbrev_co_u32_e32 v101, vcc, 0, v84, vcc
	v_sub_u32_e32 v84, 0, v101
	v_ldexp_f32 v82, v82, v84
	v_ldexp_f32 v84, v86, v84
	v_add_f32_e32 v86, -1.0, v82
	v_add_f32_e32 v85, 1.0, v86
	v_sub_f32_e32 v85, v82, v85
	v_add_f32_e32 v87, v84, v85
	v_add_f32_e32 v85, 1.0, v82
	v_add_f32_e32 v102, -1.0, v85
	v_sub_f32_e32 v82, v82, v102
	v_add_f32_e32 v82, v84, v82
	v_add_f32_e32 v128, v85, v82
	v_rcp_f32_e32 v129, v128
	v_sub_f32_e32 v84, v85, v128
	v_add_f32_e32 v85, v86, v87
	v_add_f32_e32 v82, v82, v84
	v_mul_f32_e32 v131, v85, v129
	v_sub_f32_e32 v84, v86, v85
	v_mul_f32_e32 v86, v128, v131
	v_fma_f32 v102, v131, v128, -v86
	v_fmac_f32_e32 v102, v131, v82
	v_add_f32_e32 v130, v87, v84
	v_add_f32_e32 v84, v86, v102
	v_sub_f32_e32 v87, v85, v84
	v_pk_add_f32 v[112:113], v[84:85], v[86:87] neg_lo:[0,1] neg_hi:[0,1]
	v_mov_b32_e32 v103, v84
	v_pk_add_f32 v[84:85], v[112:113], v[102:103] neg_lo:[0,1] neg_hi:[0,1]
	v_cmp_eq_f32_e32 vcc, s6, v119
	v_add_f32_e32 v85, v130, v85
	v_add_f32_e32 v84, v84, v85
	;; [unrolled: 1-line block ×3, first 2 shown]
	v_mul_f32_e32 v130, v129, v85
	v_mul_f32_e32 v86, v128, v130
	v_fma_f32 v102, v130, v128, -v86
	v_fmac_f32_e32 v102, v130, v82
	v_sub_f32_e32 v82, v87, v85
	v_add_f32_e32 v82, v84, v82
	v_add_f32_e32 v84, v86, v102
	v_sub_f32_e32 v87, v85, v84
	v_pk_add_f32 v[112:113], v[84:85], v[86:87] neg_lo:[0,1] neg_hi:[0,1]
	v_mov_b32_e32 v103, v84
	v_pk_add_f32 v[84:85], v[112:113], v[102:103] neg_lo:[0,1] neg_hi:[0,1]
	v_cvt_f32_i32_e32 v86, v101
	v_add_f32_e32 v82, v82, v85
	v_add_f32_e32 v82, v84, v82
	;; [unrolled: 1-line block ×4, first 2 shown]
	v_sub_f32_e32 v85, v84, v131
	v_mul_f32_e32 v82, v129, v82
	v_sub_f32_e32 v85, v130, v85
	v_add_f32_e32 v82, v85, v82
	v_add_f32_e32 v87, v84, v82
	v_mul_f32_e32 v102, v87, v87
	v_mov_b32_e32 v85, 0x3ecc95a3
	v_fmac_f32_e32 v85, 0x3e9b6dac, v102
	v_sub_f32_e32 v84, v87, v84
	v_fmaak_f32 v85, v102, v85, 0x3f2aaada
	v_sub_f32_e32 v82, v82, v84
	v_ldexp_f32 v103, v87, 1
	v_mul_f32_e32 v87, v87, v102
	v_mov_b32_e32 v84, 0x3f317218
	v_pk_mul_f32 v[84:85], v[86:87], v[84:85]
	v_ldexp_f32 v82, v82, 1
	v_fma_f32 v87, v86, s5, -v84
	v_fmamk_f32 v102, v86, 0xb102e308, v87
	v_pk_add_f32 v[86:87], v[84:85], v[102:103]
	v_mov_b32_e32 v112, v84
	v_sub_f32_e32 v101, v87, v103
	v_sub_f32_e32 v101, v85, v101
	v_add_f32_e32 v113, v82, v101
	v_pk_add_f32 v[84:85], v[86:87], v[84:85] neg_lo:[0,1] neg_hi:[0,1]
	v_pk_add_f32 v[128:129], v[86:87], v[112:113]
	v_mov_b32_e32 v103, v86
	v_mov_b32_e32 v85, v129
	v_pk_add_f32 v[130:131], v[102:103], v[84:85] neg_lo:[0,1] neg_hi:[0,1]
	v_pk_add_f32 v[84:85], v[102:103], v[84:85]
	s_mov_b32 s5, 0x33800000
	v_mov_b32_e32 v82, v85
	v_pk_add_f32 v[102:103], v[82:83], v[86:87] neg_lo:[0,1] neg_hi:[0,1]
	v_mov_b32_e32 v84, v129
	v_mov_b32_e32 v101, v102
	v_pk_add_f32 v[132:133], v[128:129], v[100:101] neg_lo:[0,1] neg_hi:[0,1]
	v_mov_b32_e32 v128, v87
	v_mov_b32_e32 v129, v102
	;; [unrolled: 1-line block ×3, first 2 shown]
	v_pk_add_f32 v[84:85], v[84:85], v[128:129] neg_lo:[0,1] neg_hi:[0,1]
	v_mov_b32_e32 v102, v113
	v_mov_b32_e32 v103, v86
	v_pk_add_f32 v[84:85], v[102:103], v[84:85] neg_lo:[0,1] neg_hi:[0,1]
	v_mov_b32_e32 v132, v130
	v_pk_add_f32 v[86:87], v[132:133], v[84:85]
	v_cmp_lt_f32_e64 s[6:7], |v119|, s5
	v_mov_b32_e32 v102, v87
	v_pk_add_f32 v[102:103], v[86:87], v[102:103]
	s_or_b64 vcc, vcc, s[6:7]
	v_pk_add_f32 v[112:113], v[82:83], v[102:103]
	v_mov_b32_e32 v85, v102
	v_mov_b32_e32 v87, v112
	v_pk_add_f32 v[128:129], v[86:87], v[130:131] neg_lo:[0,1] neg_hi:[0,1]
	s_nop 0
	v_sub_f32_e32 v82, v86, v128
	v_pk_add_f32 v[84:85], v[84:85], v[128:129] neg_lo:[0,1] neg_hi:[0,1]
	v_sub_f32_e32 v82, v130, v82
	v_add_f32_e32 v82, v84, v82
	v_add_f32_e32 v82, v82, v85
	;; [unrolled: 1-line block ×3, first 2 shown]
	v_cndmask_b32_e32 v82, v82, v119, vcc
	v_add_f32_e32 v82, v83, v82
.LBB93_254:
	s_or_b64 exec, exec, s[2:3]
	v_max_f32_e32 v83, v82, v82
	v_min_f32_e32 v84, v83, v114
	v_cmp_u_f32_e32 vcc, v82, v82
	v_max_f32_e32 v83, v83, v114
	s_nop 0
	v_cndmask_b32_e32 v84, v84, v82, vcc
	v_cndmask_b32_e32 v83, v83, v82, vcc
	v_cndmask_b32_e64 v85, v84, v27, s[40:41]
	v_cndmask_b32_e64 v84, v83, v27, s[40:41]
	v_cmp_neq_f32_e32 vcc, v85, v84
	v_cmp_class_f32_e64 s[2:3], v85, s4
	s_or_b64 s[4:5], vcc, s[2:3]
	v_mov_b32_e32 v83, v82
	s_and_saveexec_b64 s[2:3], s[4:5]
	s_cbranch_execz .LBB93_256
; %bb.255:
	v_sub_f32_e32 v83, v85, v84
	s_mov_b32 s4, 0x3fb8aa3b
	v_mul_f32_e32 v85, 0x3fb8aa3b, v83
	v_fma_f32 v86, v83, s4, -v85
	v_rndne_f32_e32 v87, v85
	v_fmamk_f32 v86, v83, 0x32a5705f, v86
	v_sub_f32_e32 v85, v85, v87
	v_add_f32_e32 v85, v85, v86
	v_exp_f32_e32 v85, v85
	v_cvt_i32_f32_e32 v86, v87
	s_mov_b32 s4, 0xc2ce8ed0
	v_cmp_ngt_f32_e32 vcc, s4, v83
	s_mov_b32 s4, 0x42b17218
	v_ldexp_f32 v85, v85, v86
	v_cndmask_b32_e32 v85, 0, v85, vcc
	v_mov_b32_e32 v86, 0x7f800000
	v_cmp_nlt_f32_e32 vcc, s4, v83
	s_mov_b32 s4, 0x3f2aaaab
	s_mov_b32 s5, 0x7f800000
	v_cndmask_b32_e32 v85, v86, v85, vcc
	v_add_f32_e32 v83, 1.0, v85
	v_add_f32_e32 v86, -1.0, v83
	v_sub_f32_e32 v87, v86, v83
	v_add_f32_e32 v87, 1.0, v87
	v_sub_f32_e32 v86, v85, v86
	v_add_f32_e32 v101, v86, v87
	v_frexp_mant_f32_e32 v102, v83
	v_cvt_f64_f32_e32 v[86:87], v83
	v_frexp_exp_i32_f64_e32 v86, v[86:87]
	v_cmp_gt_f32_e32 vcc, s4, v102
	s_mov_b32 s4, 0x3f317218
	s_nop 0
	v_subbrev_co_u32_e32 v114, vcc, 0, v86, vcc
	v_sub_u32_e32 v86, 0, v114
	v_ldexp_f32 v83, v83, v86
	v_ldexp_f32 v86, v101, v86
	v_add_f32_e32 v101, -1.0, v83
	v_add_f32_e32 v87, 1.0, v101
	v_sub_f32_e32 v87, v83, v87
	v_add_f32_e32 v102, v86, v87
	v_add_f32_e32 v87, 1.0, v83
	v_add_f32_e32 v103, -1.0, v87
	v_sub_f32_e32 v83, v83, v103
	v_add_f32_e32 v83, v86, v83
	v_add_f32_e32 v119, v87, v83
	v_rcp_f32_e32 v130, v119
	v_sub_f32_e32 v86, v87, v119
	v_add_f32_e32 v87, v101, v102
	v_add_f32_e32 v83, v83, v86
	v_sub_f32_e32 v86, v101, v87
	v_mul_f32_e32 v131, v87, v130
	v_add_f32_e32 v101, v102, v86
	v_mul_f32_e32 v102, v119, v131
	v_fma_f32 v112, v131, v119, -v102
	v_fmac_f32_e32 v112, v131, v83
	v_add_f32_e32 v86, v102, v112
	v_sub_f32_e32 v103, v87, v86
	v_pk_add_f32 v[128:129], v[86:87], v[102:103] neg_lo:[0,1] neg_hi:[0,1]
	v_mov_b32_e32 v113, v86
	v_pk_add_f32 v[86:87], v[128:129], v[112:113] neg_lo:[0,1] neg_hi:[0,1]
	v_cmp_eq_f32_e32 vcc, s5, v85
	v_add_f32_e32 v87, v101, v87
	v_add_f32_e32 v86, v86, v87
	;; [unrolled: 1-line block ×3, first 2 shown]
	v_mul_f32_e32 v101, v130, v87
	v_mul_f32_e32 v102, v119, v101
	v_fma_f32 v112, v101, v119, -v102
	v_fmac_f32_e32 v112, v101, v83
	v_sub_f32_e32 v83, v103, v87
	v_add_f32_e32 v83, v86, v83
	v_add_f32_e32 v86, v102, v112
	v_sub_f32_e32 v103, v87, v86
	v_pk_add_f32 v[128:129], v[86:87], v[102:103] neg_lo:[0,1] neg_hi:[0,1]
	v_mov_b32_e32 v113, v86
	v_pk_add_f32 v[86:87], v[128:129], v[112:113] neg_lo:[0,1] neg_hi:[0,1]
	v_cvt_f32_i32_e32 v102, v114
	v_add_f32_e32 v83, v83, v87
	v_add_f32_e32 v83, v86, v83
	;; [unrolled: 1-line block ×4, first 2 shown]
	v_sub_f32_e32 v87, v86, v131
	v_mul_f32_e32 v83, v130, v83
	v_sub_f32_e32 v87, v101, v87
	v_add_f32_e32 v83, v87, v83
	v_add_f32_e32 v101, v86, v83
	v_mul_f32_e32 v103, v101, v101
	v_mov_b32_e32 v87, 0x3ecc95a3
	v_fmac_f32_e32 v87, 0x3e9b6dac, v103
	v_sub_f32_e32 v86, v101, v86
	v_fmaak_f32 v87, v103, v87, 0x3f2aaada
	v_sub_f32_e32 v83, v83, v86
	v_mul_f32_e32 v103, v101, v103
	v_mov_b32_e32 v86, 0x3f317218
	v_pk_mul_f32 v[86:87], v[102:103], v[86:87]
	v_ldexp_f32 v113, v101, 1
	v_fma_f32 v101, v102, s4, -v86
	v_fmamk_f32 v112, v102, 0xb102e308, v101
	v_pk_add_f32 v[102:103], v[86:87], v[112:113]
	v_ldexp_f32 v83, v83, 1
	v_sub_f32_e32 v101, v103, v113
	v_sub_f32_e32 v101, v87, v101
	v_add_f32_e32 v129, v83, v101
	v_mov_b32_e32 v128, v86
	v_pk_add_f32 v[86:87], v[102:103], v[86:87] neg_lo:[0,1] neg_hi:[0,1]
	v_pk_add_f32 v[130:131], v[102:103], v[128:129]
	v_mov_b32_e32 v113, v102
	v_mov_b32_e32 v87, v131
	v_pk_add_f32 v[132:133], v[112:113], v[86:87] neg_lo:[0,1] neg_hi:[0,1]
	v_pk_add_f32 v[86:87], v[112:113], v[86:87]
	v_mov_b32_e32 v128, v129
	v_mov_b32_e32 v112, v87
	v_pk_add_f32 v[134:135], v[112:113], v[102:103] neg_lo:[0,1] neg_hi:[0,1]
	v_mov_b32_e32 v86, v131
	v_mov_b32_e32 v83, v134
	v_pk_add_f32 v[144:145], v[130:131], v[82:83] neg_lo:[0,1] neg_hi:[0,1]
	v_mov_b32_e32 v130, v103
	v_mov_b32_e32 v131, v134
	;; [unrolled: 1-line block ×3, first 2 shown]
	v_pk_add_f32 v[86:87], v[86:87], v[130:131] neg_lo:[0,1] neg_hi:[0,1]
	v_mov_b32_e32 v129, v102
	v_pk_add_f32 v[86:87], v[128:129], v[86:87] neg_lo:[0,1] neg_hi:[0,1]
	v_mov_b32_e32 v144, v132
	v_pk_add_f32 v[102:103], v[144:145], v[86:87]
	s_mov_b32 s4, 0x33800000
	v_mov_b32_e32 v114, v103
	v_pk_add_f32 v[128:129], v[102:103], v[114:115]
	v_cmp_lt_f32_e64 s[4:5], |v85|, s4
	v_pk_add_f32 v[112:113], v[112:113], v[128:129]
	v_mov_b32_e32 v87, v128
	v_mov_b32_e32 v103, v112
	v_pk_add_f32 v[130:131], v[102:103], v[132:133] neg_lo:[0,1] neg_hi:[0,1]
	s_or_b64 vcc, vcc, s[4:5]
	v_sub_f32_e32 v83, v102, v130
	v_pk_add_f32 v[86:87], v[86:87], v[130:131] neg_lo:[0,1] neg_hi:[0,1]
	v_sub_f32_e32 v83, v132, v83
	v_add_f32_e32 v83, v86, v83
	v_add_f32_e32 v83, v83, v87
	;; [unrolled: 1-line block ×3, first 2 shown]
	v_cndmask_b32_e32 v83, v83, v85, vcc
	v_add_f32_e32 v83, v84, v83
.LBB93_256:
	s_or_b64 exec, exec, s[2:3]
	v_max_f32_e32 v84, v83, v83
	v_min_f32_e32 v85, v84, v115
	v_cmp_u_f32_e32 vcc, v83, v83
	v_max_f32_e32 v84, v84, v115
	s_movk_i32 s4, 0x1f8
	v_cndmask_b32_e32 v85, v85, v83, vcc
	v_cndmask_b32_e32 v84, v84, v83, vcc
	v_cndmask_b32_e64 v86, v85, v20, s[42:43]
	v_cndmask_b32_e64 v85, v84, v20, s[42:43]
	v_cmp_neq_f32_e32 vcc, v86, v85
	v_cmp_class_f32_e64 s[2:3], v86, s4
	s_or_b64 s[6:7], vcc, s[2:3]
	v_mov_b32_e32 v84, v83
	s_and_saveexec_b64 s[2:3], s[6:7]
	s_cbranch_execz .LBB93_258
; %bb.257:
	v_sub_f32_e32 v84, v86, v85
	s_mov_b32 s5, 0x3fb8aa3b
	v_mul_f32_e32 v86, 0x3fb8aa3b, v84
	v_fma_f32 v87, v84, s5, -v86
	v_rndne_f32_e32 v101, v86
	v_fmamk_f32 v87, v84, 0x32a5705f, v87
	v_sub_f32_e32 v86, v86, v101
	v_add_f32_e32 v86, v86, v87
	v_exp_f32_e32 v86, v86
	v_cvt_i32_f32_e32 v87, v101
	s_mov_b32 s5, 0xc2ce8ed0
	v_cmp_ngt_f32_e32 vcc, s5, v84
	s_mov_b32 s5, 0x42b17218
	v_ldexp_f32 v86, v86, v87
	v_cndmask_b32_e32 v86, 0, v86, vcc
	v_mov_b32_e32 v87, 0x7f800000
	v_cmp_nlt_f32_e32 vcc, s5, v84
	s_mov_b32 s5, 0x3f2aaaab
	s_mov_b32 s6, 0x7f800000
	v_cndmask_b32_e32 v119, v87, v86, vcc
	v_add_f32_e32 v84, 1.0, v119
	v_add_f32_e32 v86, -1.0, v84
	v_sub_f32_e32 v87, v86, v84
	v_add_f32_e32 v87, 1.0, v87
	v_sub_f32_e32 v86, v119, v86
	v_add_f32_e32 v101, v86, v87
	v_frexp_mant_f32_e32 v102, v84
	v_cvt_f64_f32_e32 v[86:87], v84
	v_frexp_exp_i32_f64_e32 v86, v[86:87]
	v_cmp_gt_f32_e32 vcc, s5, v102
	s_mov_b32 s5, 0x3f317218
	s_nop 0
	v_subbrev_co_u32_e32 v128, vcc, 0, v86, vcc
	v_sub_u32_e32 v86, 0, v128
	v_ldexp_f32 v84, v84, v86
	v_ldexp_f32 v86, v101, v86
	v_add_f32_e32 v101, -1.0, v84
	v_add_f32_e32 v87, 1.0, v101
	v_sub_f32_e32 v87, v84, v87
	v_add_f32_e32 v102, v86, v87
	v_add_f32_e32 v87, 1.0, v84
	v_add_f32_e32 v103, -1.0, v87
	v_sub_f32_e32 v84, v84, v103
	v_add_f32_e32 v84, v86, v84
	v_add_f32_e32 v129, v87, v84
	v_rcp_f32_e32 v130, v129
	v_sub_f32_e32 v86, v87, v129
	v_add_f32_e32 v87, v101, v102
	v_add_f32_e32 v84, v84, v86
	v_sub_f32_e32 v86, v101, v87
	v_mul_f32_e32 v131, v87, v130
	v_add_f32_e32 v101, v102, v86
	v_mul_f32_e32 v102, v129, v131
	v_fma_f32 v112, v131, v129, -v102
	v_fmac_f32_e32 v112, v131, v84
	v_add_f32_e32 v86, v102, v112
	v_sub_f32_e32 v103, v87, v86
	v_pk_add_f32 v[114:115], v[86:87], v[102:103] neg_lo:[0,1] neg_hi:[0,1]
	v_mov_b32_e32 v113, v86
	v_pk_add_f32 v[86:87], v[114:115], v[112:113] neg_lo:[0,1] neg_hi:[0,1]
	v_cmp_eq_f32_e32 vcc, s6, v119
	v_add_f32_e32 v87, v101, v87
	v_add_f32_e32 v86, v86, v87
	;; [unrolled: 1-line block ×3, first 2 shown]
	v_mul_f32_e32 v101, v130, v87
	v_mul_f32_e32 v102, v129, v101
	v_fma_f32 v112, v101, v129, -v102
	v_fmac_f32_e32 v112, v101, v84
	v_sub_f32_e32 v84, v103, v87
	v_add_f32_e32 v84, v86, v84
	v_add_f32_e32 v86, v102, v112
	v_sub_f32_e32 v103, v87, v86
	v_pk_add_f32 v[114:115], v[86:87], v[102:103] neg_lo:[0,1] neg_hi:[0,1]
	v_mov_b32_e32 v113, v86
	v_pk_add_f32 v[86:87], v[114:115], v[112:113] neg_lo:[0,1] neg_hi:[0,1]
	v_cvt_f32_i32_e32 v102, v128
	v_add_f32_e32 v84, v84, v87
	v_add_f32_e32 v84, v86, v84
	;; [unrolled: 1-line block ×4, first 2 shown]
	v_sub_f32_e32 v87, v86, v131
	v_mul_f32_e32 v84, v130, v84
	v_sub_f32_e32 v87, v101, v87
	v_add_f32_e32 v84, v87, v84
	v_add_f32_e32 v101, v86, v84
	v_mul_f32_e32 v103, v101, v101
	v_mov_b32_e32 v87, 0x3ecc95a3
	v_fmac_f32_e32 v87, 0x3e9b6dac, v103
	v_sub_f32_e32 v86, v101, v86
	v_fmaak_f32 v87, v103, v87, 0x3f2aaada
	v_sub_f32_e32 v84, v84, v86
	v_mul_f32_e32 v103, v101, v103
	v_mov_b32_e32 v86, 0x3f317218
	v_pk_mul_f32 v[86:87], v[102:103], v[86:87]
	v_ldexp_f32 v113, v101, 1
	v_fma_f32 v101, v102, s5, -v86
	v_fmamk_f32 v112, v102, 0xb102e308, v101
	v_pk_add_f32 v[102:103], v[86:87], v[112:113]
	v_ldexp_f32 v84, v84, 1
	v_sub_f32_e32 v101, v103, v113
	v_sub_f32_e32 v101, v87, v101
	v_add_f32_e32 v115, v84, v101
	v_mov_b32_e32 v114, v86
	v_pk_add_f32 v[86:87], v[102:103], v[86:87] neg_lo:[0,1] neg_hi:[0,1]
	v_pk_add_f32 v[128:129], v[102:103], v[114:115]
	v_mov_b32_e32 v113, v102
	v_mov_b32_e32 v87, v129
	v_pk_add_f32 v[130:131], v[112:113], v[86:87] neg_lo:[0,1] neg_hi:[0,1]
	v_pk_add_f32 v[86:87], v[112:113], v[86:87]
	s_mov_b32 s5, 0x33800000
	v_mov_b32_e32 v84, v87
	v_pk_add_f32 v[112:113], v[84:85], v[102:103] neg_lo:[0,1] neg_hi:[0,1]
	v_mov_b32_e32 v86, v129
	v_mov_b32_e32 v101, v112
	v_pk_add_f32 v[132:133], v[128:129], v[100:101] neg_lo:[0,1] neg_hi:[0,1]
	v_mov_b32_e32 v128, v103
	v_mov_b32_e32 v129, v112
	;; [unrolled: 1-line block ×3, first 2 shown]
	v_pk_add_f32 v[86:87], v[86:87], v[128:129] neg_lo:[0,1] neg_hi:[0,1]
	v_mov_b32_e32 v112, v115
	v_mov_b32_e32 v113, v102
	v_pk_add_f32 v[86:87], v[112:113], v[86:87] neg_lo:[0,1] neg_hi:[0,1]
	v_mov_b32_e32 v132, v130
	v_pk_add_f32 v[102:103], v[132:133], v[86:87]
	v_cmp_lt_f32_e64 s[6:7], |v119|, s5
	v_mov_b32_e32 v112, v103
	v_pk_add_f32 v[112:113], v[102:103], v[112:113]
	s_or_b64 vcc, vcc, s[6:7]
	v_pk_add_f32 v[114:115], v[84:85], v[112:113]
	v_mov_b32_e32 v87, v112
	v_mov_b32_e32 v103, v114
	v_pk_add_f32 v[128:129], v[102:103], v[130:131] neg_lo:[0,1] neg_hi:[0,1]
	s_nop 0
	v_sub_f32_e32 v84, v102, v128
	v_pk_add_f32 v[86:87], v[86:87], v[128:129] neg_lo:[0,1] neg_hi:[0,1]
	v_sub_f32_e32 v84, v130, v84
	v_add_f32_e32 v84, v86, v84
	v_add_f32_e32 v84, v84, v87
	;; [unrolled: 1-line block ×3, first 2 shown]
	v_cndmask_b32_e32 v84, v84, v119, vcc
	v_add_f32_e32 v84, v85, v84
.LBB93_258:
	s_or_b64 exec, exec, s[2:3]
	v_max_f32_e32 v85, v84, v84
	v_min_f32_e32 v86, v85, v116
	v_cmp_u_f32_e32 vcc, v84, v84
	v_max_f32_e32 v85, v85, v116
	s_nop 0
	v_cndmask_b32_e32 v86, v86, v84, vcc
	v_cndmask_b32_e32 v85, v85, v84, vcc
	v_cndmask_b32_e64 v87, v86, v21, s[44:45]
	v_cndmask_b32_e64 v86, v85, v21, s[44:45]
	v_cmp_neq_f32_e32 vcc, v87, v86
	v_cmp_class_f32_e64 s[2:3], v87, s4
	s_or_b64 s[4:5], vcc, s[2:3]
	v_mov_b32_e32 v85, v84
	s_and_saveexec_b64 s[2:3], s[4:5]
	s_cbranch_execz .LBB93_260
; %bb.259:
	v_sub_f32_e32 v85, v87, v86
	s_mov_b32 s4, 0x3fb8aa3b
	v_mul_f32_e32 v87, 0x3fb8aa3b, v85
	v_fma_f32 v101, v85, s4, -v87
	v_rndne_f32_e32 v102, v87
	v_fmamk_f32 v101, v85, 0x32a5705f, v101
	v_sub_f32_e32 v87, v87, v102
	v_add_f32_e32 v87, v87, v101
	v_exp_f32_e32 v87, v87
	v_cvt_i32_f32_e32 v101, v102
	s_mov_b32 s4, 0xc2ce8ed0
	v_cmp_ngt_f32_e32 vcc, s4, v85
	s_mov_b32 s4, 0x42b17218
	v_ldexp_f32 v87, v87, v101
	v_cndmask_b32_e32 v87, 0, v87, vcc
	v_mov_b32_e32 v101, 0x7f800000
	v_cmp_nlt_f32_e32 vcc, s4, v85
	s_mov_b32 s4, 0x3f2aaaab
	s_mov_b32 s5, 0x7f800000
	v_cndmask_b32_e32 v87, v101, v87, vcc
	v_add_f32_e32 v85, 1.0, v87
	v_add_f32_e32 v101, -1.0, v85
	v_sub_f32_e32 v102, v101, v85
	v_add_f32_e32 v102, 1.0, v102
	v_sub_f32_e32 v101, v87, v101
	v_add_f32_e32 v101, v101, v102
	v_frexp_mant_f32_e32 v112, v85
	v_cvt_f64_f32_e32 v[102:103], v85
	v_frexp_exp_i32_f64_e32 v102, v[102:103]
	v_cmp_gt_f32_e32 vcc, s4, v112
	s_mov_b32 s4, 0x3f317218
	s_nop 0
	v_subbrev_co_u32_e32 v116, vcc, 0, v102, vcc
	v_sub_u32_e32 v102, 0, v116
	v_ldexp_f32 v85, v85, v102
	v_ldexp_f32 v101, v101, v102
	v_add_f32_e32 v102, -1.0, v85
	v_add_f32_e32 v103, 1.0, v102
	v_sub_f32_e32 v103, v85, v103
	v_add_f32_e32 v112, v101, v103
	v_add_f32_e32 v103, 1.0, v85
	v_add_f32_e32 v113, -1.0, v103
	v_sub_f32_e32 v85, v85, v113
	v_add_f32_e32 v85, v101, v85
	v_add_f32_e32 v101, v103, v85
	v_rcp_f32_e32 v119, v101
	v_sub_f32_e32 v103, v103, v101
	v_add_f32_e32 v85, v85, v103
	v_add_f32_e32 v103, v102, v112
	v_sub_f32_e32 v102, v102, v103
	v_mul_f32_e32 v131, v103, v119
	v_add_f32_e32 v130, v112, v102
	v_mul_f32_e32 v112, v101, v131
	v_fma_f32 v114, v131, v101, -v112
	v_fmac_f32_e32 v114, v131, v85
	v_add_f32_e32 v102, v112, v114
	v_sub_f32_e32 v113, v103, v102
	v_pk_add_f32 v[128:129], v[102:103], v[112:113] neg_lo:[0,1] neg_hi:[0,1]
	v_mov_b32_e32 v115, v102
	v_pk_add_f32 v[102:103], v[128:129], v[114:115] neg_lo:[0,1] neg_hi:[0,1]
	v_cmp_eq_f32_e32 vcc, s5, v87
	v_add_f32_e32 v103, v130, v103
	v_add_f32_e32 v102, v102, v103
	;; [unrolled: 1-line block ×3, first 2 shown]
	v_mul_f32_e32 v130, v119, v103
	v_mul_f32_e32 v112, v101, v130
	v_fma_f32 v114, v130, v101, -v112
	v_fmac_f32_e32 v114, v130, v85
	v_sub_f32_e32 v85, v113, v103
	v_add_f32_e32 v85, v102, v85
	v_add_f32_e32 v102, v112, v114
	v_sub_f32_e32 v113, v103, v102
	v_pk_add_f32 v[128:129], v[102:103], v[112:113] neg_lo:[0,1] neg_hi:[0,1]
	v_mov_b32_e32 v115, v102
	v_pk_add_f32 v[102:103], v[128:129], v[114:115] neg_lo:[0,1] neg_hi:[0,1]
	v_add_f32_e32 v101, v131, v130
	v_add_f32_e32 v85, v85, v103
	v_add_f32_e32 v85, v102, v85
	v_add_f32_e32 v85, v113, v85
	v_sub_f32_e32 v102, v101, v131
	v_mul_f32_e32 v85, v119, v85
	v_sub_f32_e32 v102, v130, v102
	v_add_f32_e32 v85, v102, v85
	v_add_f32_e32 v102, v101, v85
	v_cvt_f32_i32_e32 v112, v116
	v_mul_f32_e32 v113, v102, v102
	v_mov_b32_e32 v103, 0x3ecc95a3
	v_fmac_f32_e32 v103, 0x3e9b6dac, v113
	v_fmaak_f32 v103, v113, v103, 0x3f2aaada
	v_sub_f32_e32 v101, v102, v101
	v_ldexp_f32 v115, v102, 1
	v_mul_f32_e32 v113, v102, v113
	v_mov_b32_e32 v102, 0x3f317218
	v_pk_mul_f32 v[102:103], v[112:113], v[102:103]
	v_sub_f32_e32 v85, v85, v101
	v_fma_f32 v101, v112, s4, -v102
	v_fmamk_f32 v114, v112, 0xb102e308, v101
	v_pk_add_f32 v[112:113], v[102:103], v[114:115]
	v_ldexp_f32 v85, v85, 1
	v_sub_f32_e32 v101, v113, v115
	v_sub_f32_e32 v101, v103, v101
	v_add_f32_e32 v129, v85, v101
	v_mov_b32_e32 v128, v102
	v_pk_add_f32 v[102:103], v[112:113], v[102:103] neg_lo:[0,1] neg_hi:[0,1]
	v_pk_add_f32 v[130:131], v[112:113], v[128:129]
	v_mov_b32_e32 v115, v112
	v_mov_b32_e32 v103, v131
	v_pk_add_f32 v[132:133], v[114:115], v[102:103] neg_lo:[0,1] neg_hi:[0,1]
	v_pk_add_f32 v[102:103], v[114:115], v[102:103]
	v_mov_b32_e32 v128, v129
	v_mov_b32_e32 v114, v103
	v_pk_add_f32 v[134:135], v[114:115], v[112:113] neg_lo:[0,1] neg_hi:[0,1]
	v_mov_b32_e32 v102, v131
	v_mov_b32_e32 v85, v134
	v_pk_add_f32 v[144:145], v[130:131], v[84:85] neg_lo:[0,1] neg_hi:[0,1]
	v_mov_b32_e32 v130, v113
	v_mov_b32_e32 v131, v134
	;; [unrolled: 1-line block ×3, first 2 shown]
	v_pk_add_f32 v[102:103], v[102:103], v[130:131] neg_lo:[0,1] neg_hi:[0,1]
	v_mov_b32_e32 v129, v112
	v_pk_add_f32 v[102:103], v[128:129], v[102:103] neg_lo:[0,1] neg_hi:[0,1]
	v_mov_b32_e32 v144, v132
	v_pk_add_f32 v[112:113], v[144:145], v[102:103]
	s_mov_b32 s4, 0x33800000
	v_mov_b32_e32 v116, v113
	v_pk_add_f32 v[128:129], v[112:113], v[116:117]
	v_cmp_lt_f32_e64 s[4:5], |v87|, s4
	v_pk_add_f32 v[114:115], v[114:115], v[128:129]
	v_mov_b32_e32 v103, v128
	v_mov_b32_e32 v113, v114
	v_pk_add_f32 v[130:131], v[112:113], v[132:133] neg_lo:[0,1] neg_hi:[0,1]
	s_or_b64 vcc, vcc, s[4:5]
	v_sub_f32_e32 v85, v112, v130
	v_pk_add_f32 v[102:103], v[102:103], v[130:131] neg_lo:[0,1] neg_hi:[0,1]
	v_sub_f32_e32 v85, v132, v85
	v_add_f32_e32 v85, v102, v85
	v_add_f32_e32 v85, v85, v103
	v_add_f32_e32 v85, v114, v85
	v_cndmask_b32_e32 v85, v85, v87, vcc
	v_add_f32_e32 v85, v86, v85
.LBB93_260:
	s_or_b64 exec, exec, s[2:3]
	v_max_f32_e32 v86, v85, v85
	v_min_f32_e32 v87, v86, v117
	v_cmp_u_f32_e32 vcc, v85, v85
	v_max_f32_e32 v86, v86, v117
	s_movk_i32 s4, 0x1f8
	v_cndmask_b32_e32 v87, v87, v85, vcc
	v_cndmask_b32_e32 v86, v86, v85, vcc
	v_cndmask_b32_e64 v101, v87, v22, s[46:47]
	v_cndmask_b32_e64 v87, v86, v22, s[46:47]
	v_cmp_neq_f32_e32 vcc, v101, v87
	v_cmp_class_f32_e64 s[2:3], v101, s4
	s_or_b64 s[6:7], vcc, s[2:3]
	v_mov_b32_e32 v86, v85
	s_and_saveexec_b64 s[2:3], s[6:7]
	s_cbranch_execz .LBB93_262
; %bb.261:
	v_sub_f32_e32 v86, v101, v87
	s_mov_b32 s5, 0x3fb8aa3b
	v_mul_f32_e32 v101, 0x3fb8aa3b, v86
	v_fma_f32 v102, v86, s5, -v101
	v_rndne_f32_e32 v103, v101
	v_fmamk_f32 v102, v86, 0x32a5705f, v102
	v_sub_f32_e32 v101, v101, v103
	v_add_f32_e32 v101, v101, v102
	v_exp_f32_e32 v101, v101
	v_cvt_i32_f32_e32 v102, v103
	s_mov_b32 s5, 0xc2ce8ed0
	v_cmp_ngt_f32_e32 vcc, s5, v86
	s_mov_b32 s5, 0x42b17218
	v_ldexp_f32 v101, v101, v102
	v_cndmask_b32_e32 v101, 0, v101, vcc
	v_mov_b32_e32 v102, 0x7f800000
	v_cmp_nlt_f32_e32 vcc, s5, v86
	s_mov_b32 s5, 0x3f2aaaab
	s_mov_b32 s6, 0x7f800000
	v_cndmask_b32_e32 v119, v102, v101, vcc
	v_add_f32_e32 v86, 1.0, v119
	v_add_f32_e32 v101, -1.0, v86
	v_sub_f32_e32 v102, v101, v86
	v_add_f32_e32 v102, 1.0, v102
	v_sub_f32_e32 v101, v119, v101
	v_add_f32_e32 v101, v101, v102
	v_frexp_mant_f32_e32 v112, v86
	v_cvt_f64_f32_e32 v[102:103], v86
	v_frexp_exp_i32_f64_e32 v102, v[102:103]
	v_cmp_gt_f32_e32 vcc, s5, v112
	s_mov_b32 s5, 0x3f317218
	s_nop 0
	v_subbrev_co_u32_e32 v128, vcc, 0, v102, vcc
	v_sub_u32_e32 v102, 0, v128
	v_ldexp_f32 v86, v86, v102
	v_ldexp_f32 v101, v101, v102
	v_add_f32_e32 v102, -1.0, v86
	v_add_f32_e32 v103, 1.0, v102
	v_sub_f32_e32 v103, v86, v103
	v_add_f32_e32 v112, v101, v103
	v_add_f32_e32 v103, 1.0, v86
	v_add_f32_e32 v113, -1.0, v103
	v_sub_f32_e32 v86, v86, v113
	v_add_f32_e32 v86, v101, v86
	v_add_f32_e32 v101, v103, v86
	v_rcp_f32_e32 v129, v101
	v_sub_f32_e32 v103, v103, v101
	v_add_f32_e32 v86, v86, v103
	v_add_f32_e32 v103, v102, v112
	v_sub_f32_e32 v102, v102, v103
	v_mul_f32_e32 v131, v103, v129
	v_add_f32_e32 v130, v112, v102
	v_mul_f32_e32 v112, v101, v131
	v_fma_f32 v114, v131, v101, -v112
	v_fmac_f32_e32 v114, v131, v86
	v_add_f32_e32 v102, v112, v114
	v_sub_f32_e32 v113, v103, v102
	v_pk_add_f32 v[116:117], v[102:103], v[112:113] neg_lo:[0,1] neg_hi:[0,1]
	v_mov_b32_e32 v115, v102
	v_pk_add_f32 v[102:103], v[116:117], v[114:115] neg_lo:[0,1] neg_hi:[0,1]
	v_cmp_eq_f32_e32 vcc, s6, v119
	v_add_f32_e32 v103, v130, v103
	v_add_f32_e32 v102, v102, v103
	;; [unrolled: 1-line block ×3, first 2 shown]
	v_mul_f32_e32 v130, v129, v103
	v_mul_f32_e32 v112, v101, v130
	v_fma_f32 v114, v130, v101, -v112
	v_fmac_f32_e32 v114, v130, v86
	v_sub_f32_e32 v86, v113, v103
	v_add_f32_e32 v86, v102, v86
	v_add_f32_e32 v102, v112, v114
	v_sub_f32_e32 v113, v103, v102
	v_pk_add_f32 v[116:117], v[102:103], v[112:113] neg_lo:[0,1] neg_hi:[0,1]
	v_mov_b32_e32 v115, v102
	v_pk_add_f32 v[102:103], v[116:117], v[114:115] neg_lo:[0,1] neg_hi:[0,1]
	v_add_f32_e32 v101, v131, v130
	v_add_f32_e32 v86, v86, v103
	;; [unrolled: 1-line block ×4, first 2 shown]
	v_sub_f32_e32 v102, v101, v131
	v_mul_f32_e32 v86, v129, v86
	v_sub_f32_e32 v102, v130, v102
	v_add_f32_e32 v86, v102, v86
	v_add_f32_e32 v102, v101, v86
	v_cvt_f32_i32_e32 v112, v128
	v_mul_f32_e32 v113, v102, v102
	v_mov_b32_e32 v103, 0x3ecc95a3
	v_fmac_f32_e32 v103, 0x3e9b6dac, v113
	v_fmaak_f32 v103, v113, v103, 0x3f2aaada
	v_sub_f32_e32 v101, v102, v101
	v_ldexp_f32 v115, v102, 1
	v_mul_f32_e32 v113, v102, v113
	v_mov_b32_e32 v102, 0x3f317218
	v_pk_mul_f32 v[102:103], v[112:113], v[102:103]
	v_sub_f32_e32 v86, v86, v101
	v_fma_f32 v101, v112, s5, -v102
	v_fmamk_f32 v114, v112, 0xb102e308, v101
	v_pk_add_f32 v[112:113], v[102:103], v[114:115]
	v_ldexp_f32 v86, v86, 1
	v_sub_f32_e32 v101, v113, v115
	v_sub_f32_e32 v101, v103, v101
	v_add_f32_e32 v117, v86, v101
	v_mov_b32_e32 v116, v102
	v_pk_add_f32 v[102:103], v[112:113], v[102:103] neg_lo:[0,1] neg_hi:[0,1]
	v_pk_add_f32 v[128:129], v[112:113], v[116:117]
	v_mov_b32_e32 v115, v112
	v_mov_b32_e32 v103, v129
	v_pk_add_f32 v[130:131], v[114:115], v[102:103] neg_lo:[0,1] neg_hi:[0,1]
	v_pk_add_f32 v[102:103], v[114:115], v[102:103]
	s_mov_b32 s5, 0x33800000
	v_mov_b32_e32 v86, v103
	v_pk_add_f32 v[114:115], v[86:87], v[112:113] neg_lo:[0,1] neg_hi:[0,1]
	v_mov_b32_e32 v102, v129
	v_mov_b32_e32 v101, v114
	v_pk_add_f32 v[132:133], v[128:129], v[100:101] neg_lo:[0,1] neg_hi:[0,1]
	v_mov_b32_e32 v128, v113
	v_mov_b32_e32 v129, v114
	;; [unrolled: 1-line block ×3, first 2 shown]
	v_pk_add_f32 v[102:103], v[102:103], v[128:129] neg_lo:[0,1] neg_hi:[0,1]
	v_mov_b32_e32 v114, v117
	v_mov_b32_e32 v115, v112
	v_pk_add_f32 v[102:103], v[114:115], v[102:103] neg_lo:[0,1] neg_hi:[0,1]
	v_mov_b32_e32 v132, v130
	v_pk_add_f32 v[112:113], v[132:133], v[102:103]
	v_cmp_lt_f32_e64 s[6:7], |v119|, s5
	v_mov_b32_e32 v114, v113
	v_pk_add_f32 v[114:115], v[112:113], v[114:115]
	s_or_b64 vcc, vcc, s[6:7]
	v_pk_add_f32 v[116:117], v[86:87], v[114:115]
	v_mov_b32_e32 v103, v114
	v_mov_b32_e32 v113, v116
	v_pk_add_f32 v[128:129], v[112:113], v[130:131] neg_lo:[0,1] neg_hi:[0,1]
	s_nop 0
	v_sub_f32_e32 v86, v112, v128
	v_pk_add_f32 v[102:103], v[102:103], v[128:129] neg_lo:[0,1] neg_hi:[0,1]
	v_sub_f32_e32 v86, v130, v86
	v_add_f32_e32 v86, v102, v86
	v_add_f32_e32 v86, v86, v103
	;; [unrolled: 1-line block ×3, first 2 shown]
	v_cndmask_b32_e32 v86, v86, v119, vcc
	v_add_f32_e32 v86, v87, v86
.LBB93_262:
	s_or_b64 exec, exec, s[2:3]
	v_max_f32_e32 v87, v86, v86
	v_min_f32_e32 v101, v87, v118
	v_cmp_u_f32_e32 vcc, v86, v86
	v_max_f32_e32 v87, v87, v118
	s_nop 0
	v_cndmask_b32_e32 v101, v101, v86, vcc
	v_cndmask_b32_e32 v87, v87, v86, vcc
	v_cndmask_b32_e64 v102, v101, v23, s[48:49]
	v_cndmask_b32_e64 v101, v87, v23, s[48:49]
	v_cmp_neq_f32_e32 vcc, v102, v101
	v_cmp_class_f32_e64 s[2:3], v102, s4
	s_or_b64 s[4:5], vcc, s[2:3]
	v_mov_b32_e32 v87, v86
	s_and_saveexec_b64 s[2:3], s[4:5]
	s_cbranch_execz .LBB93_264
; %bb.263:
	v_sub_f32_e32 v87, v102, v101
	s_mov_b32 s4, 0x3fb8aa3b
	v_mul_f32_e32 v102, 0x3fb8aa3b, v87
	v_fma_f32 v103, v87, s4, -v102
	v_rndne_f32_e32 v112, v102
	v_fmamk_f32 v103, v87, 0x32a5705f, v103
	v_sub_f32_e32 v102, v102, v112
	v_add_f32_e32 v102, v102, v103
	v_exp_f32_e32 v102, v102
	v_cvt_i32_f32_e32 v103, v112
	s_mov_b32 s4, 0xc2ce8ed0
	v_cmp_ngt_f32_e32 vcc, s4, v87
	s_mov_b32 s4, 0x42b17218
	v_ldexp_f32 v102, v102, v103
	v_cndmask_b32_e32 v102, 0, v102, vcc
	v_mov_b32_e32 v103, 0x7f800000
	v_cmp_nlt_f32_e32 vcc, s4, v87
	s_mov_b32 s4, 0x3f2aaaab
	s_mov_b32 s5, 0x7f800000
	v_cndmask_b32_e32 v134, v103, v102, vcc
	v_add_f32_e32 v87, 1.0, v134
	v_add_f32_e32 v102, -1.0, v87
	v_sub_f32_e32 v103, v102, v87
	v_add_f32_e32 v103, 1.0, v103
	v_sub_f32_e32 v102, v134, v102
	v_add_f32_e32 v112, v102, v103
	v_frexp_mant_f32_e32 v113, v87
	v_cvt_f64_f32_e32 v[102:103], v87
	v_frexp_exp_i32_f64_e32 v102, v[102:103]
	v_cmp_gt_f32_e32 vcc, s4, v113
	s_mov_b32 s4, 0x3f317218
	s_nop 0
	v_subbrev_co_u32_e32 v118, vcc, 0, v102, vcc
	v_sub_u32_e32 v102, 0, v118
	v_ldexp_f32 v87, v87, v102
	v_ldexp_f32 v102, v112, v102
	v_add_f32_e32 v112, -1.0, v87
	v_add_f32_e32 v103, 1.0, v112
	v_sub_f32_e32 v103, v87, v103
	v_add_f32_e32 v113, v102, v103
	v_add_f32_e32 v103, 1.0, v87
	v_add_f32_e32 v114, -1.0, v103
	v_sub_f32_e32 v87, v87, v114
	v_add_f32_e32 v87, v102, v87
	v_add_f32_e32 v119, v103, v87
	v_rcp_f32_e32 v128, v119
	v_sub_f32_e32 v102, v103, v119
	v_add_f32_e32 v103, v112, v113
	v_add_f32_e32 v87, v87, v102
	v_mul_f32_e32 v130, v103, v128
	v_sub_f32_e32 v102, v112, v103
	v_mul_f32_e32 v112, v119, v130
	v_fma_f32 v114, v130, v119, -v112
	v_fmac_f32_e32 v114, v130, v87
	v_add_f32_e32 v129, v113, v102
	v_add_f32_e32 v102, v112, v114
	v_sub_f32_e32 v113, v103, v102
	v_pk_add_f32 v[116:117], v[102:103], v[112:113] neg_lo:[0,1] neg_hi:[0,1]
	v_mov_b32_e32 v115, v102
	v_pk_add_f32 v[102:103], v[116:117], v[114:115] neg_lo:[0,1] neg_hi:[0,1]
	v_cmp_eq_f32_e32 vcc, s5, v134
	v_add_f32_e32 v103, v129, v103
	v_add_f32_e32 v102, v102, v103
	;; [unrolled: 1-line block ×3, first 2 shown]
	v_mul_f32_e32 v129, v128, v103
	v_mul_f32_e32 v112, v119, v129
	v_fma_f32 v114, v129, v119, -v112
	v_fmac_f32_e32 v114, v129, v87
	v_sub_f32_e32 v87, v113, v103
	v_add_f32_e32 v87, v102, v87
	v_add_f32_e32 v102, v112, v114
	v_sub_f32_e32 v113, v103, v102
	v_pk_add_f32 v[116:117], v[102:103], v[112:113] neg_lo:[0,1] neg_hi:[0,1]
	v_mov_b32_e32 v115, v102
	v_pk_add_f32 v[102:103], v[116:117], v[114:115] neg_lo:[0,1] neg_hi:[0,1]
	v_cvt_f32_i32_e32 v112, v118
	v_add_f32_e32 v87, v87, v103
	v_add_f32_e32 v87, v102, v87
	;; [unrolled: 1-line block ×4, first 2 shown]
	v_sub_f32_e32 v103, v102, v130
	v_mul_f32_e32 v87, v128, v87
	v_sub_f32_e32 v103, v129, v103
	v_add_f32_e32 v87, v103, v87
	v_add_f32_e32 v113, v102, v87
	v_mul_f32_e32 v114, v113, v113
	v_mov_b32_e32 v103, 0x3ecc95a3
	v_fmac_f32_e32 v103, 0x3e9b6dac, v114
	v_sub_f32_e32 v102, v113, v102
	v_fmaak_f32 v103, v114, v103, 0x3f2aaada
	v_sub_f32_e32 v87, v87, v102
	v_ldexp_f32 v115, v113, 1
	v_mul_f32_e32 v113, v113, v114
	v_mov_b32_e32 v102, 0x3f317218
	v_pk_mul_f32 v[102:103], v[112:113], v[102:103]
	v_ldexp_f32 v87, v87, 1
	v_fma_f32 v113, v112, s4, -v102
	v_fmamk_f32 v114, v112, 0xb102e308, v113
	v_pk_add_f32 v[112:113], v[102:103], v[114:115]
	v_mov_b32_e32 v116, v102
	v_sub_f32_e32 v115, v113, v115
	v_sub_f32_e32 v115, v103, v115
	v_add_f32_e32 v117, v87, v115
	v_pk_add_f32 v[102:103], v[112:113], v[102:103] neg_lo:[0,1] neg_hi:[0,1]
	v_pk_add_f32 v[118:119], v[112:113], v[116:117]
	v_mov_b32_e32 v115, v112
	v_mov_b32_e32 v103, v119
	v_pk_add_f32 v[128:129], v[114:115], v[102:103] neg_lo:[0,1] neg_hi:[0,1]
	v_pk_add_f32 v[102:103], v[114:115], v[102:103]
	v_mov_b32_e32 v116, v117
	v_mov_b32_e32 v114, v103
	v_pk_add_f32 v[130:131], v[114:115], v[112:113] neg_lo:[0,1] neg_hi:[0,1]
	v_mov_b32_e32 v102, v119
	v_mov_b32_e32 v87, v130
	v_pk_add_f32 v[132:133], v[118:119], v[86:87] neg_lo:[0,1] neg_hi:[0,1]
	v_mov_b32_e32 v118, v113
	v_mov_b32_e32 v119, v130
	;; [unrolled: 1-line block ×3, first 2 shown]
	v_pk_add_f32 v[102:103], v[102:103], v[118:119] neg_lo:[0,1] neg_hi:[0,1]
	v_mov_b32_e32 v117, v112
	v_pk_add_f32 v[102:103], v[116:117], v[102:103] neg_lo:[0,1] neg_hi:[0,1]
	v_mov_b32_e32 v132, v128
	v_pk_add_f32 v[112:113], v[132:133], v[102:103]
	s_mov_b32 s4, 0x33800000
	v_mov_b32_e32 v116, v113
	v_pk_add_f32 v[116:117], v[112:113], v[116:117]
	v_cmp_lt_f32_e64 s[4:5], |v134|, s4
	v_pk_add_f32 v[114:115], v[114:115], v[116:117]
	v_mov_b32_e32 v103, v116
	v_mov_b32_e32 v113, v114
	v_pk_add_f32 v[118:119], v[112:113], v[128:129] neg_lo:[0,1] neg_hi:[0,1]
	s_or_b64 vcc, vcc, s[4:5]
	v_sub_f32_e32 v87, v112, v118
	v_pk_add_f32 v[102:103], v[102:103], v[118:119] neg_lo:[0,1] neg_hi:[0,1]
	v_sub_f32_e32 v87, v128, v87
	v_add_f32_e32 v87, v102, v87
	v_add_f32_e32 v87, v87, v103
	;; [unrolled: 1-line block ×3, first 2 shown]
	v_cndmask_b32_e32 v87, v87, v134, vcc
	v_add_f32_e32 v87, v101, v87
.LBB93_264:
	s_or_b64 exec, exec, s[2:3]
	s_branch .LBB93_411
.LBB93_265:
                                        ; implicit-def: $vgpr87
                                        ; implicit-def: $vgpr82_vgpr83
                                        ; implicit-def: $vgpr70_vgpr71
                                        ; implicit-def: $vgpr66_vgpr67
                                        ; implicit-def: $vgpr54_vgpr55
                                        ; implicit-def: $vgpr50_vgpr51
	s_cbranch_execz .LBB93_411
; %bb.266:
	v_cmp_ne_u64_e64 s[2:3], 0, v[6:7]
	v_cmp_eq_u32_e64 s[52:53], 0, v0
	v_cmp_ne_u32_e32 vcc, 0, v0
	s_and_b64 s[2:3], s[52:53], s[2:3]
	s_and_saveexec_b64 s[4:5], s[2:3]
	s_cbranch_execz .LBB93_270
; %bb.267:
	flat_load_dword v3, v[2:3]
	v_max_f32_e32 v2, v16, v16
	s_movk_i32 s6, 0x1f8
	s_waitcnt vmcnt(0) lgkmcnt(0)
	v_max_f32_e32 v6, v3, v3
	v_min_f32_e32 v7, v6, v2
	v_max_f32_e32 v2, v6, v2
	v_cmp_u_f32_e64 s[2:3], v3, v3
	s_nop 1
	v_cndmask_b32_e64 v6, v7, v3, s[2:3]
	v_cndmask_b32_e64 v2, v2, v3, s[2:3]
	v_cmp_u_f32_e64 s[2:3], v16, v16
	s_nop 1
	v_cndmask_b32_e64 v6, v6, v16, s[2:3]
	v_cndmask_b32_e64 v2, v2, v16, s[2:3]
	v_cmp_neq_f32_e64 s[2:3], v6, v2
	v_cmp_class_f32_e64 s[6:7], v6, s6
	s_or_b64 s[2:3], s[2:3], s[6:7]
	s_and_saveexec_b64 s[6:7], s[2:3]
	s_cbranch_execz .LBB93_269
; %bb.268:
	v_sub_f32_e32 v3, v6, v2
	s_mov_b32 s2, 0x3fb8aa3b
	v_mul_f32_e32 v6, 0x3fb8aa3b, v3
	v_fma_f32 v7, v3, s2, -v6
	v_rndne_f32_e32 v16, v6
	v_fmamk_f32 v7, v3, 0x32a5705f, v7
	v_sub_f32_e32 v6, v6, v16
	v_add_f32_e32 v6, v6, v7
	v_exp_f32_e32 v6, v6
	v_cvt_i32_f32_e32 v7, v16
	s_mov_b32 s2, 0xc2ce8ed0
	v_cmp_ngt_f32_e64 s[2:3], s2, v3
	s_mov_b32 s8, 0x7f800000
	v_ldexp_f32 v6, v6, v7
	v_cndmask_b32_e64 v6, 0, v6, s[2:3]
	s_mov_b32 s2, 0x42b17218
	v_mov_b32_e32 v7, 0x7f800000
	v_cmp_nlt_f32_e64 s[2:3], s2, v3
	s_nop 1
	v_cndmask_b32_e64 v68, v7, v6, s[2:3]
	v_add_f32_e32 v3, 1.0, v68
	v_add_f32_e32 v6, -1.0, v3
	v_sub_f32_e32 v7, v6, v3
	v_add_f32_e32 v7, 1.0, v7
	v_sub_f32_e32 v6, v68, v6
	v_add_f32_e32 v16, v6, v7
	v_frexp_mant_f32_e32 v48, v3
	s_mov_b32 s2, 0x3f2aaaab
	v_cvt_f64_f32_e32 v[6:7], v3
	v_frexp_exp_i32_f64_e32 v6, v[6:7]
	v_cmp_gt_f32_e64 s[2:3], s2, v48
	s_nop 1
	v_subbrev_co_u32_e64 v54, s[2:3], 0, v6, s[2:3]
	v_sub_u32_e32 v6, 0, v54
	v_ldexp_f32 v3, v3, v6
	v_ldexp_f32 v6, v16, v6
	v_add_f32_e32 v16, -1.0, v3
	v_add_f32_e32 v7, 1.0, v16
	v_sub_f32_e32 v7, v3, v7
	v_add_f32_e32 v48, v6, v7
	v_add_f32_e32 v7, 1.0, v3
	v_add_f32_e32 v49, -1.0, v7
	v_sub_f32_e32 v3, v3, v49
	v_add_f32_e32 v3, v6, v3
	v_add_f32_e32 v55, v7, v3
	v_rcp_f32_e32 v64, v55
	v_sub_f32_e32 v6, v7, v55
	v_add_f32_e32 v7, v16, v48
	v_add_f32_e32 v3, v3, v6
	v_sub_f32_e32 v6, v16, v7
	v_mul_f32_e32 v65, v7, v64
	v_add_f32_e32 v16, v48, v6
	v_mul_f32_e32 v48, v55, v65
	v_fma_f32 v50, v65, v55, -v48
	v_fmac_f32_e32 v50, v65, v3
	v_add_f32_e32 v6, v48, v50
	v_sub_f32_e32 v49, v7, v6
	v_pk_add_f32 v[52:53], v[6:7], v[48:49] neg_lo:[0,1] neg_hi:[0,1]
	v_mov_b32_e32 v51, v6
	v_pk_add_f32 v[6:7], v[52:53], v[50:51] neg_lo:[0,1] neg_hi:[0,1]
	s_mov_b32 s2, 0x3f317218
	v_add_f32_e32 v7, v16, v7
	v_add_f32_e32 v6, v6, v7
	v_add_f32_e32 v7, v49, v6
	v_mul_f32_e32 v16, v64, v7
	v_mul_f32_e32 v48, v55, v16
	v_fma_f32 v50, v16, v55, -v48
	v_fmac_f32_e32 v50, v16, v3
	v_sub_f32_e32 v3, v49, v7
	v_add_f32_e32 v3, v6, v3
	v_add_f32_e32 v6, v48, v50
	v_sub_f32_e32 v49, v7, v6
	v_pk_add_f32 v[52:53], v[6:7], v[48:49] neg_lo:[0,1] neg_hi:[0,1]
	v_mov_b32_e32 v51, v6
	v_pk_add_f32 v[6:7], v[52:53], v[50:51] neg_lo:[0,1] neg_hi:[0,1]
	v_cvt_f32_i32_e32 v48, v54
	v_add_f32_e32 v3, v3, v7
	v_add_f32_e32 v3, v6, v3
	;; [unrolled: 1-line block ×4, first 2 shown]
	v_sub_f32_e32 v7, v6, v65
	v_mul_f32_e32 v3, v64, v3
	v_sub_f32_e32 v7, v16, v7
	v_add_f32_e32 v3, v7, v3
	v_add_f32_e32 v16, v6, v3
	v_mul_f32_e32 v49, v16, v16
	v_mov_b32_e32 v7, 0x3ecc95a3
	v_fmac_f32_e32 v7, 0x3e9b6dac, v49
	v_sub_f32_e32 v6, v16, v6
	v_fmaak_f32 v7, v49, v7, 0x3f2aaada
	v_sub_f32_e32 v3, v3, v6
	v_mul_f32_e32 v49, v16, v49
	v_mov_b32_e32 v6, 0x3f317218
	v_pk_mul_f32 v[6:7], v[48:49], v[6:7]
	v_ldexp_f32 v51, v16, 1
	v_fma_f32 v16, v48, s2, -v6
	v_fmamk_f32 v50, v48, 0xb102e308, v16
	v_pk_add_f32 v[48:49], v[6:7], v[50:51]
	v_ldexp_f32 v3, v3, 1
	v_sub_f32_e32 v16, v49, v51
	v_sub_f32_e32 v16, v7, v16
	v_add_f32_e32 v53, v3, v16
	v_mov_b32_e32 v52, v6
	v_pk_add_f32 v[6:7], v[48:49], v[6:7] neg_lo:[0,1] neg_hi:[0,1]
	v_pk_add_f32 v[54:55], v[48:49], v[52:53]
	v_mov_b32_e32 v51, v48
	v_mov_b32_e32 v7, v55
	v_pk_add_f32 v[64:65], v[50:51], v[6:7] neg_lo:[0,1] neg_hi:[0,1]
	v_pk_add_f32 v[6:7], v[50:51], v[6:7]
	v_cmp_eq_f32_e64 s[2:3], s8, v68
	v_mov_b32_e32 v16, v7
	v_pk_add_f32 v[50:51], v[16:17], v[48:49] neg_lo:[0,1] neg_hi:[0,1]
	v_mov_b32_e32 v6, v55
	v_mov_b32_e32 v3, v50
	v_pk_add_f32 v[66:67], v[54:55], v[2:3] neg_lo:[0,1] neg_hi:[0,1]
	v_mov_b32_e32 v54, v49
	v_mov_b32_e32 v55, v50
	;; [unrolled: 1-line block ×3, first 2 shown]
	v_pk_add_f32 v[6:7], v[6:7], v[54:55] neg_lo:[0,1] neg_hi:[0,1]
	v_mov_b32_e32 v50, v53
	v_mov_b32_e32 v51, v48
	v_pk_add_f32 v[6:7], v[50:51], v[6:7] neg_lo:[0,1] neg_hi:[0,1]
	v_mov_b32_e32 v66, v64
	v_pk_add_f32 v[48:49], v[66:67], v[6:7]
	s_mov_b32 s8, 0x33800000
	v_mov_b32_e32 v50, v49
	v_pk_add_f32 v[50:51], v[48:49], v[50:51]
	v_cmp_lt_f32_e64 s[8:9], |v68|, s8
	v_pk_add_f32 v[52:53], v[16:17], v[50:51]
	v_mov_b32_e32 v7, v50
	v_mov_b32_e32 v49, v52
	v_pk_add_f32 v[54:55], v[48:49], v[64:65] neg_lo:[0,1] neg_hi:[0,1]
	s_or_b64 s[2:3], s[2:3], s[8:9]
	v_sub_f32_e32 v3, v48, v54
	v_pk_add_f32 v[6:7], v[6:7], v[54:55] neg_lo:[0,1] neg_hi:[0,1]
	v_sub_f32_e32 v3, v64, v3
	v_add_f32_e32 v3, v6, v3
	v_add_f32_e32 v3, v3, v7
	;; [unrolled: 1-line block ×3, first 2 shown]
	v_cndmask_b32_e64 v3, v3, v68, s[2:3]
	v_add_f32_e32 v3, v2, v3
.LBB93_269:
	s_or_b64 exec, exec, s[6:7]
	v_mov_b32_e32 v16, v3
.LBB93_270:
	s_or_b64 exec, exec, s[4:5]
	v_max_f32_e32 v51, v16, v16
	v_min_f32_e32 v50, v51, v11
	v_cmp_u_f32_e64 s[50:51], v16, v16
	v_cmp_u_f32_e64 s[2:3], v17, v17
	v_max_f32_e32 v52, v51, v11
	v_cndmask_b32_e64 v2, v50, v16, s[50:51]
	v_cndmask_b32_e64 v3, v2, v17, s[2:3]
	;; [unrolled: 1-line block ×4, first 2 shown]
	s_movk_i32 s8, 0x1f8
	v_cmp_neq_f32_e64 s[4:5], v3, v2
	v_cmp_class_f32_e64 s[6:7], v3, s8
	s_or_b64 s[4:5], s[4:5], s[6:7]
	v_mov_b32_e32 v53, v16
	s_and_saveexec_b64 s[6:7], s[4:5]
	s_cbranch_execz .LBB93_272
; %bb.271:
	v_sub_f32_e32 v3, v3, v2
	s_mov_b32 s4, 0x3fb8aa3b
	v_mul_f32_e32 v6, 0x3fb8aa3b, v3
	v_fma_f32 v7, v3, s4, -v6
	v_rndne_f32_e32 v48, v6
	v_fmamk_f32 v7, v3, 0x32a5705f, v7
	v_sub_f32_e32 v6, v6, v48
	v_add_f32_e32 v6, v6, v7
	v_exp_f32_e32 v6, v6
	v_cvt_i32_f32_e32 v7, v48
	s_mov_b32 s4, 0xc2ce8ed0
	v_cmp_ngt_f32_e64 s[4:5], s4, v3
	s_mov_b32 s9, 0x7f800000
	v_ldexp_f32 v6, v6, v7
	v_cndmask_b32_e64 v6, 0, v6, s[4:5]
	s_mov_b32 s4, 0x42b17218
	v_mov_b32_e32 v7, 0x7f800000
	v_cmp_nlt_f32_e64 s[4:5], s4, v3
	s_nop 1
	v_cndmask_b32_e64 v53, v7, v6, s[4:5]
	v_add_f32_e32 v3, 1.0, v53
	v_add_f32_e32 v6, -1.0, v3
	v_sub_f32_e32 v7, v6, v3
	v_add_f32_e32 v7, 1.0, v7
	v_sub_f32_e32 v6, v53, v6
	v_add_f32_e32 v48, v6, v7
	v_frexp_mant_f32_e32 v49, v3
	s_mov_b32 s4, 0x3f2aaaab
	v_cvt_f64_f32_e32 v[6:7], v3
	v_frexp_exp_i32_f64_e32 v6, v[6:7]
	v_cmp_gt_f32_e64 s[4:5], s4, v49
	s_nop 1
	v_subbrev_co_u32_e64 v66, s[4:5], 0, v6, s[4:5]
	v_sub_u32_e32 v6, 0, v66
	v_ldexp_f32 v3, v3, v6
	v_ldexp_f32 v6, v48, v6
	v_add_f32_e32 v48, -1.0, v3
	v_add_f32_e32 v7, 1.0, v48
	v_sub_f32_e32 v7, v3, v7
	v_add_f32_e32 v49, v6, v7
	v_add_f32_e32 v7, 1.0, v3
	v_add_f32_e32 v54, -1.0, v7
	v_sub_f32_e32 v3, v3, v54
	v_add_f32_e32 v3, v6, v3
	v_add_f32_e32 v67, v7, v3
	v_rcp_f32_e32 v68, v67
	v_sub_f32_e32 v6, v7, v67
	v_add_f32_e32 v7, v48, v49
	v_add_f32_e32 v3, v3, v6
	v_mul_f32_e32 v70, v7, v68
	v_sub_f32_e32 v6, v48, v7
	v_mul_f32_e32 v48, v67, v70
	v_fma_f32 v54, v70, v67, -v48
	v_fmac_f32_e32 v54, v70, v3
	v_add_f32_e32 v69, v49, v6
	v_add_f32_e32 v6, v48, v54
	v_sub_f32_e32 v49, v7, v6
	v_pk_add_f32 v[64:65], v[6:7], v[48:49] neg_lo:[0,1] neg_hi:[0,1]
	v_mov_b32_e32 v55, v6
	v_pk_add_f32 v[6:7], v[64:65], v[54:55] neg_lo:[0,1] neg_hi:[0,1]
	s_mov_b32 s4, 0x3f317218
	v_add_f32_e32 v7, v69, v7
	v_add_f32_e32 v6, v6, v7
	;; [unrolled: 1-line block ×3, first 2 shown]
	v_mul_f32_e32 v69, v68, v7
	v_mul_f32_e32 v48, v67, v69
	v_fma_f32 v54, v69, v67, -v48
	v_fmac_f32_e32 v54, v69, v3
	v_sub_f32_e32 v3, v49, v7
	v_add_f32_e32 v3, v6, v3
	v_add_f32_e32 v6, v48, v54
	v_sub_f32_e32 v49, v7, v6
	v_pk_add_f32 v[64:65], v[6:7], v[48:49] neg_lo:[0,1] neg_hi:[0,1]
	v_mov_b32_e32 v55, v6
	v_pk_add_f32 v[6:7], v[64:65], v[54:55] neg_lo:[0,1] neg_hi:[0,1]
	v_cvt_f32_i32_e32 v48, v66
	v_add_f32_e32 v3, v3, v7
	v_add_f32_e32 v3, v6, v3
	;; [unrolled: 1-line block ×4, first 2 shown]
	v_sub_f32_e32 v7, v6, v70
	v_mul_f32_e32 v3, v68, v3
	v_sub_f32_e32 v7, v69, v7
	v_add_f32_e32 v3, v7, v3
	v_add_f32_e32 v49, v6, v3
	v_mul_f32_e32 v54, v49, v49
	v_mov_b32_e32 v7, 0x3ecc95a3
	v_fmac_f32_e32 v7, 0x3e9b6dac, v54
	v_sub_f32_e32 v6, v49, v6
	v_fmaak_f32 v7, v54, v7, 0x3f2aaada
	v_sub_f32_e32 v3, v3, v6
	v_ldexp_f32 v55, v49, 1
	v_mul_f32_e32 v49, v49, v54
	v_mov_b32_e32 v6, 0x3f317218
	v_pk_mul_f32 v[6:7], v[48:49], v[6:7]
	v_ldexp_f32 v3, v3, 1
	v_fma_f32 v49, v48, s4, -v6
	v_fmamk_f32 v54, v48, 0xb102e308, v49
	v_pk_add_f32 v[48:49], v[6:7], v[54:55]
	v_mov_b32_e32 v64, v6
	v_sub_f32_e32 v55, v49, v55
	v_sub_f32_e32 v55, v7, v55
	v_add_f32_e32 v65, v3, v55
	v_pk_add_f32 v[6:7], v[48:49], v[6:7] neg_lo:[0,1] neg_hi:[0,1]
	v_pk_add_f32 v[66:67], v[48:49], v[64:65]
	v_mov_b32_e32 v55, v48
	v_mov_b32_e32 v7, v67
	v_pk_add_f32 v[68:69], v[54:55], v[6:7] neg_lo:[0,1] neg_hi:[0,1]
	v_pk_add_f32 v[6:7], v[54:55], v[6:7]
	v_mov_b32_e32 v64, v65
	v_mov_b32_e32 v54, v7
	v_pk_add_f32 v[70:71], v[54:55], v[48:49] neg_lo:[0,1] neg_hi:[0,1]
	v_mov_b32_e32 v6, v67
	v_mov_b32_e32 v3, v70
	v_pk_add_f32 v[80:81], v[66:67], v[2:3] neg_lo:[0,1] neg_hi:[0,1]
	v_mov_b32_e32 v66, v49
	v_mov_b32_e32 v67, v70
	;; [unrolled: 1-line block ×3, first 2 shown]
	v_pk_add_f32 v[6:7], v[6:7], v[66:67] neg_lo:[0,1] neg_hi:[0,1]
	v_mov_b32_e32 v65, v48
	v_pk_add_f32 v[6:7], v[64:65], v[6:7] neg_lo:[0,1] neg_hi:[0,1]
	v_mov_b32_e32 v80, v68
	v_pk_add_f32 v[48:49], v[80:81], v[6:7]
	v_cmp_eq_f32_e64 s[4:5], s9, v53
	v_mov_b32_e32 v64, v49
	v_pk_add_f32 v[64:65], v[48:49], v[64:65]
	s_mov_b32 s9, 0x33800000
	v_pk_add_f32 v[54:55], v[54:55], v[64:65]
	v_mov_b32_e32 v7, v64
	v_mov_b32_e32 v49, v54
	v_pk_add_f32 v[66:67], v[48:49], v[68:69] neg_lo:[0,1] neg_hi:[0,1]
	v_cmp_lt_f32_e64 s[10:11], |v53|, s9
	v_sub_f32_e32 v3, v48, v66
	v_pk_add_f32 v[6:7], v[6:7], v[66:67] neg_lo:[0,1] neg_hi:[0,1]
	v_sub_f32_e32 v3, v68, v3
	v_add_f32_e32 v3, v6, v3
	v_add_f32_e32 v3, v3, v7
	;; [unrolled: 1-line block ×3, first 2 shown]
	s_or_b64 s[4:5], s[4:5], s[10:11]
	v_cndmask_b32_e64 v3, v3, v53, s[4:5]
	v_add_f32_e32 v53, v2, v3
.LBB93_272:
	s_or_b64 exec, exec, s[6:7]
	v_max_f32_e32 v6, v18, v18
	v_max_f32_e32 v2, v53, v53
	v_min_f32_e32 v3, v2, v6
	v_cmp_u_f32_e64 s[6:7], v53, v53
	v_max_f32_e32 v2, v2, v6
	v_cmp_u_f32_e64 s[4:5], v18, v18
	v_cndmask_b32_e64 v3, v3, v53, s[6:7]
	v_cndmask_b32_e64 v2, v2, v53, s[6:7]
	v_cndmask_b32_e64 v3, v3, v18, s[4:5]
	v_cndmask_b32_e64 v2, v2, v18, s[4:5]
	v_cmp_neq_f32_e64 s[6:7], v3, v2
	v_cmp_class_f32_e64 s[8:9], v3, s8
	s_or_b64 s[6:7], s[6:7], s[8:9]
	s_and_saveexec_b64 s[8:9], s[6:7]
	s_cbranch_execz .LBB93_274
; %bb.273:
	v_sub_f32_e32 v3, v3, v2
	s_mov_b32 s6, 0x3fb8aa3b
	v_mul_f32_e32 v7, 0x3fb8aa3b, v3
	v_fma_f32 v48, v3, s6, -v7
	v_rndne_f32_e32 v49, v7
	v_fmamk_f32 v48, v3, 0x32a5705f, v48
	v_sub_f32_e32 v7, v7, v49
	v_add_f32_e32 v7, v7, v48
	v_exp_f32_e32 v7, v7
	v_cvt_i32_f32_e32 v48, v49
	s_mov_b32 s6, 0xc2ce8ed0
	v_cmp_ngt_f32_e64 s[6:7], s6, v3
	s_mov_b32 s10, 0x7f800000
	v_ldexp_f32 v7, v7, v48
	v_cndmask_b32_e64 v7, 0, v7, s[6:7]
	s_mov_b32 s6, 0x42b17218
	v_mov_b32_e32 v48, 0x7f800000
	v_cmp_nlt_f32_e64 s[6:7], s6, v3
	s_nop 1
	v_cndmask_b32_e64 v7, v48, v7, s[6:7]
	v_add_f32_e32 v3, 1.0, v7
	v_add_f32_e32 v48, -1.0, v3
	v_sub_f32_e32 v49, v48, v3
	v_add_f32_e32 v49, 1.0, v49
	v_sub_f32_e32 v48, v7, v48
	v_add_f32_e32 v53, v48, v49
	v_frexp_mant_f32_e32 v54, v3
	s_mov_b32 s6, 0x3f2aaaab
	v_cvt_f64_f32_e32 v[48:49], v3
	v_frexp_exp_i32_f64_e32 v48, v[48:49]
	v_cmp_gt_f32_e64 s[6:7], s6, v54
	s_nop 1
	v_subbrev_co_u32_e64 v68, s[6:7], 0, v48, s[6:7]
	v_sub_u32_e32 v48, 0, v68
	v_ldexp_f32 v3, v3, v48
	v_ldexp_f32 v48, v53, v48
	v_add_f32_e32 v53, -1.0, v3
	v_add_f32_e32 v49, 1.0, v53
	v_sub_f32_e32 v49, v3, v49
	v_add_f32_e32 v54, v48, v49
	v_add_f32_e32 v49, 1.0, v3
	v_add_f32_e32 v55, -1.0, v49
	v_sub_f32_e32 v3, v3, v55
	v_add_f32_e32 v3, v48, v3
	v_add_f32_e32 v69, v49, v3
	v_rcp_f32_e32 v70, v69
	v_sub_f32_e32 v48, v49, v69
	v_add_f32_e32 v49, v53, v54
	v_add_f32_e32 v3, v3, v48
	v_sub_f32_e32 v48, v53, v49
	v_mul_f32_e32 v71, v49, v70
	v_add_f32_e32 v53, v54, v48
	v_mul_f32_e32 v54, v69, v71
	v_fma_f32 v64, v71, v69, -v54
	v_fmac_f32_e32 v64, v71, v3
	v_add_f32_e32 v48, v54, v64
	v_sub_f32_e32 v55, v49, v48
	v_pk_add_f32 v[66:67], v[48:49], v[54:55] neg_lo:[0,1] neg_hi:[0,1]
	v_mov_b32_e32 v65, v48
	v_pk_add_f32 v[48:49], v[66:67], v[64:65] neg_lo:[0,1] neg_hi:[0,1]
	s_mov_b32 s6, 0x3f317218
	v_add_f32_e32 v49, v53, v49
	v_add_f32_e32 v48, v48, v49
	;; [unrolled: 1-line block ×3, first 2 shown]
	v_mul_f32_e32 v53, v70, v49
	v_mul_f32_e32 v54, v69, v53
	v_fma_f32 v64, v53, v69, -v54
	v_fmac_f32_e32 v64, v53, v3
	v_sub_f32_e32 v3, v55, v49
	v_add_f32_e32 v3, v48, v3
	v_add_f32_e32 v48, v54, v64
	v_sub_f32_e32 v55, v49, v48
	v_pk_add_f32 v[66:67], v[48:49], v[54:55] neg_lo:[0,1] neg_hi:[0,1]
	v_mov_b32_e32 v65, v48
	v_pk_add_f32 v[48:49], v[66:67], v[64:65] neg_lo:[0,1] neg_hi:[0,1]
	v_cvt_f32_i32_e32 v54, v68
	v_add_f32_e32 v3, v3, v49
	v_add_f32_e32 v3, v48, v3
	;; [unrolled: 1-line block ×4, first 2 shown]
	v_sub_f32_e32 v49, v48, v71
	v_mul_f32_e32 v3, v70, v3
	v_sub_f32_e32 v49, v53, v49
	v_add_f32_e32 v3, v49, v3
	v_add_f32_e32 v53, v48, v3
	v_mul_f32_e32 v55, v53, v53
	v_mov_b32_e32 v49, 0x3ecc95a3
	v_fmac_f32_e32 v49, 0x3e9b6dac, v55
	v_sub_f32_e32 v48, v53, v48
	v_fmaak_f32 v49, v55, v49, 0x3f2aaada
	v_sub_f32_e32 v3, v3, v48
	v_mul_f32_e32 v55, v53, v55
	v_mov_b32_e32 v48, 0x3f317218
	v_pk_mul_f32 v[48:49], v[54:55], v[48:49]
	v_ldexp_f32 v65, v53, 1
	v_fma_f32 v53, v54, s6, -v48
	v_fmamk_f32 v64, v54, 0xb102e308, v53
	v_pk_add_f32 v[54:55], v[48:49], v[64:65]
	v_ldexp_f32 v3, v3, 1
	v_sub_f32_e32 v53, v55, v65
	v_sub_f32_e32 v53, v49, v53
	v_add_f32_e32 v67, v3, v53
	v_mov_b32_e32 v66, v48
	v_pk_add_f32 v[48:49], v[54:55], v[48:49] neg_lo:[0,1] neg_hi:[0,1]
	v_pk_add_f32 v[68:69], v[54:55], v[66:67]
	v_mov_b32_e32 v65, v54
	v_mov_b32_e32 v49, v69
	v_pk_add_f32 v[70:71], v[64:65], v[48:49] neg_lo:[0,1] neg_hi:[0,1]
	v_pk_add_f32 v[48:49], v[64:65], v[48:49]
	v_mov_b32_e32 v66, v67
	v_mov_b32_e32 v64, v49
	v_pk_add_f32 v[80:81], v[64:65], v[54:55] neg_lo:[0,1] neg_hi:[0,1]
	v_mov_b32_e32 v48, v69
	v_mov_b32_e32 v3, v80
	v_pk_add_f32 v[82:83], v[68:69], v[2:3] neg_lo:[0,1] neg_hi:[0,1]
	v_mov_b32_e32 v68, v55
	v_mov_b32_e32 v69, v80
	;; [unrolled: 1-line block ×3, first 2 shown]
	v_pk_add_f32 v[48:49], v[48:49], v[68:69] neg_lo:[0,1] neg_hi:[0,1]
	v_mov_b32_e32 v67, v54
	v_pk_add_f32 v[48:49], v[66:67], v[48:49] neg_lo:[0,1] neg_hi:[0,1]
	v_mov_b32_e32 v82, v70
	v_pk_add_f32 v[54:55], v[82:83], v[48:49]
	v_cmp_eq_f32_e64 s[6:7], s10, v7
	v_mov_b32_e32 v66, v55
	v_pk_add_f32 v[66:67], v[54:55], v[66:67]
	s_mov_b32 s10, 0x33800000
	v_pk_add_f32 v[64:65], v[64:65], v[66:67]
	v_mov_b32_e32 v49, v66
	v_mov_b32_e32 v55, v64
	v_pk_add_f32 v[68:69], v[54:55], v[70:71] neg_lo:[0,1] neg_hi:[0,1]
	v_cmp_lt_f32_e64 s[10:11], |v7|, s10
	v_sub_f32_e32 v3, v54, v68
	v_pk_add_f32 v[48:49], v[48:49], v[68:69] neg_lo:[0,1] neg_hi:[0,1]
	v_sub_f32_e32 v3, v70, v3
	v_add_f32_e32 v3, v48, v3
	v_add_f32_e32 v3, v3, v49
	;; [unrolled: 1-line block ×3, first 2 shown]
	s_or_b64 s[6:7], s[6:7], s[10:11]
	v_cndmask_b32_e64 v3, v3, v7, s[6:7]
	v_add_f32_e32 v53, v2, v3
.LBB93_274:
	s_or_b64 exec, exec, s[8:9]
	v_max_f32_e32 v7, v19, v19
	v_max_f32_e32 v2, v53, v53
	v_min_f32_e32 v3, v2, v7
	v_cmp_u_f32_e64 s[8:9], v53, v53
	v_max_f32_e32 v2, v2, v7
	v_cmp_u_f32_e64 s[6:7], v19, v19
	v_cndmask_b32_e64 v3, v3, v53, s[8:9]
	v_cndmask_b32_e64 v2, v2, v53, s[8:9]
	;; [unrolled: 1-line block ×4, first 2 shown]
	s_movk_i32 s12, 0x1f8
	v_cmp_neq_f32_e64 s[8:9], v3, v2
	v_cmp_class_f32_e64 s[10:11], v3, s12
	s_or_b64 s[8:9], s[8:9], s[10:11]
	s_and_saveexec_b64 s[10:11], s[8:9]
	s_cbranch_execz .LBB93_276
; %bb.275:
	v_sub_f32_e32 v3, v3, v2
	s_mov_b32 s8, 0x3fb8aa3b
	v_mul_f32_e32 v48, 0x3fb8aa3b, v3
	v_fma_f32 v49, v3, s8, -v48
	v_rndne_f32_e32 v53, v48
	v_fmamk_f32 v49, v3, 0x32a5705f, v49
	v_sub_f32_e32 v48, v48, v53
	v_add_f32_e32 v48, v48, v49
	v_exp_f32_e32 v48, v48
	v_cvt_i32_f32_e32 v49, v53
	s_mov_b32 s8, 0xc2ce8ed0
	v_cmp_ngt_f32_e64 s[8:9], s8, v3
	s_mov_b32 s13, 0x7f800000
	v_ldexp_f32 v48, v48, v49
	v_cndmask_b32_e64 v48, 0, v48, s[8:9]
	s_mov_b32 s8, 0x42b17218
	v_mov_b32_e32 v49, 0x7f800000
	v_cmp_nlt_f32_e64 s[8:9], s8, v3
	s_nop 1
	v_cndmask_b32_e64 v53, v49, v48, s[8:9]
	v_add_f32_e32 v3, 1.0, v53
	v_add_f32_e32 v48, -1.0, v3
	v_sub_f32_e32 v49, v48, v3
	v_add_f32_e32 v49, 1.0, v49
	v_sub_f32_e32 v48, v53, v48
	v_add_f32_e32 v54, v48, v49
	v_frexp_mant_f32_e32 v55, v3
	s_mov_b32 s8, 0x3f2aaaab
	v_cvt_f64_f32_e32 v[48:49], v3
	v_frexp_exp_i32_f64_e32 v48, v[48:49]
	v_cmp_gt_f32_e64 s[8:9], s8, v55
	s_nop 1
	v_subbrev_co_u32_e64 v68, s[8:9], 0, v48, s[8:9]
	v_sub_u32_e32 v48, 0, v68
	v_ldexp_f32 v3, v3, v48
	v_ldexp_f32 v48, v54, v48
	v_add_f32_e32 v54, -1.0, v3
	v_add_f32_e32 v49, 1.0, v54
	v_sub_f32_e32 v49, v3, v49
	v_add_f32_e32 v55, v48, v49
	v_add_f32_e32 v49, 1.0, v3
	v_add_f32_e32 v64, -1.0, v49
	v_sub_f32_e32 v3, v3, v64
	v_add_f32_e32 v3, v48, v3
	v_add_f32_e32 v69, v49, v3
	v_rcp_f32_e32 v70, v69
	v_sub_f32_e32 v48, v49, v69
	v_add_f32_e32 v49, v54, v55
	v_add_f32_e32 v3, v3, v48
	v_mul_f32_e32 v80, v49, v70
	v_sub_f32_e32 v48, v54, v49
	v_mul_f32_e32 v54, v69, v80
	v_fma_f32 v64, v80, v69, -v54
	v_fmac_f32_e32 v64, v80, v3
	v_add_f32_e32 v71, v55, v48
	v_add_f32_e32 v48, v54, v64
	v_sub_f32_e32 v55, v49, v48
	v_pk_add_f32 v[66:67], v[48:49], v[54:55] neg_lo:[0,1] neg_hi:[0,1]
	v_mov_b32_e32 v65, v48
	v_pk_add_f32 v[48:49], v[66:67], v[64:65] neg_lo:[0,1] neg_hi:[0,1]
	s_mov_b32 s8, 0x3f317218
	v_add_f32_e32 v49, v71, v49
	v_add_f32_e32 v48, v48, v49
	;; [unrolled: 1-line block ×3, first 2 shown]
	v_mul_f32_e32 v71, v70, v49
	v_mul_f32_e32 v54, v69, v71
	v_fma_f32 v64, v71, v69, -v54
	v_fmac_f32_e32 v64, v71, v3
	v_sub_f32_e32 v3, v55, v49
	v_add_f32_e32 v3, v48, v3
	v_add_f32_e32 v48, v54, v64
	v_sub_f32_e32 v55, v49, v48
	v_pk_add_f32 v[66:67], v[48:49], v[54:55] neg_lo:[0,1] neg_hi:[0,1]
	v_mov_b32_e32 v65, v48
	v_pk_add_f32 v[48:49], v[66:67], v[64:65] neg_lo:[0,1] neg_hi:[0,1]
	v_cvt_f32_i32_e32 v54, v68
	v_add_f32_e32 v3, v3, v49
	v_add_f32_e32 v3, v48, v3
	;; [unrolled: 1-line block ×4, first 2 shown]
	v_sub_f32_e32 v49, v48, v80
	v_mul_f32_e32 v3, v70, v3
	v_sub_f32_e32 v49, v71, v49
	v_add_f32_e32 v3, v49, v3
	v_add_f32_e32 v55, v48, v3
	v_mul_f32_e32 v64, v55, v55
	v_mov_b32_e32 v49, 0x3ecc95a3
	v_fmac_f32_e32 v49, 0x3e9b6dac, v64
	v_sub_f32_e32 v48, v55, v48
	v_fmaak_f32 v49, v64, v49, 0x3f2aaada
	v_sub_f32_e32 v3, v3, v48
	v_ldexp_f32 v65, v55, 1
	v_mul_f32_e32 v55, v55, v64
	v_mov_b32_e32 v48, 0x3f317218
	v_pk_mul_f32 v[48:49], v[54:55], v[48:49]
	v_ldexp_f32 v3, v3, 1
	v_fma_f32 v55, v54, s8, -v48
	v_fmamk_f32 v64, v54, 0xb102e308, v55
	v_pk_add_f32 v[54:55], v[48:49], v[64:65]
	v_mov_b32_e32 v66, v48
	v_sub_f32_e32 v65, v55, v65
	v_sub_f32_e32 v65, v49, v65
	v_add_f32_e32 v67, v3, v65
	v_pk_add_f32 v[48:49], v[54:55], v[48:49] neg_lo:[0,1] neg_hi:[0,1]
	v_pk_add_f32 v[68:69], v[54:55], v[66:67]
	v_mov_b32_e32 v65, v54
	v_mov_b32_e32 v49, v69
	v_pk_add_f32 v[70:71], v[64:65], v[48:49] neg_lo:[0,1] neg_hi:[0,1]
	v_pk_add_f32 v[48:49], v[64:65], v[48:49]
	v_mov_b32_e32 v66, v67
	v_mov_b32_e32 v64, v49
	v_pk_add_f32 v[80:81], v[64:65], v[54:55] neg_lo:[0,1] neg_hi:[0,1]
	v_mov_b32_e32 v48, v69
	v_mov_b32_e32 v3, v80
	v_pk_add_f32 v[82:83], v[68:69], v[2:3] neg_lo:[0,1] neg_hi:[0,1]
	v_mov_b32_e32 v68, v55
	v_mov_b32_e32 v69, v80
	;; [unrolled: 1-line block ×3, first 2 shown]
	v_pk_add_f32 v[48:49], v[48:49], v[68:69] neg_lo:[0,1] neg_hi:[0,1]
	v_mov_b32_e32 v67, v54
	v_pk_add_f32 v[48:49], v[66:67], v[48:49] neg_lo:[0,1] neg_hi:[0,1]
	v_mov_b32_e32 v82, v70
	v_pk_add_f32 v[54:55], v[82:83], v[48:49]
	v_cmp_eq_f32_e64 s[8:9], s13, v53
	v_mov_b32_e32 v66, v55
	v_pk_add_f32 v[66:67], v[54:55], v[66:67]
	s_mov_b32 s13, 0x33800000
	v_pk_add_f32 v[64:65], v[64:65], v[66:67]
	v_mov_b32_e32 v49, v66
	v_mov_b32_e32 v55, v64
	v_pk_add_f32 v[68:69], v[54:55], v[70:71] neg_lo:[0,1] neg_hi:[0,1]
	v_cmp_lt_f32_e64 s[14:15], |v53|, s13
	v_sub_f32_e32 v3, v54, v68
	v_pk_add_f32 v[48:49], v[48:49], v[68:69] neg_lo:[0,1] neg_hi:[0,1]
	v_sub_f32_e32 v3, v70, v3
	v_add_f32_e32 v3, v48, v3
	v_add_f32_e32 v3, v3, v49
	;; [unrolled: 1-line block ×3, first 2 shown]
	s_or_b64 s[8:9], s[8:9], s[14:15]
	v_cndmask_b32_e64 v3, v3, v53, s[8:9]
	v_add_f32_e32 v53, v2, v3
.LBB93_276:
	s_or_b64 exec, exec, s[10:11]
	v_max_f32_e32 v48, v36, v36
	v_max_f32_e32 v2, v53, v53
	v_min_f32_e32 v3, v2, v48
	v_cmp_u_f32_e64 s[10:11], v53, v53
	v_max_f32_e32 v2, v2, v48
	v_cmp_u_f32_e64 s[8:9], v36, v36
	v_cndmask_b32_e64 v3, v3, v53, s[10:11]
	v_cndmask_b32_e64 v2, v2, v53, s[10:11]
	v_cndmask_b32_e64 v3, v3, v36, s[8:9]
	v_cndmask_b32_e64 v2, v2, v36, s[8:9]
	v_cmp_neq_f32_e64 s[10:11], v3, v2
	v_cmp_class_f32_e64 s[12:13], v3, s12
	s_or_b64 s[10:11], s[10:11], s[12:13]
	s_and_saveexec_b64 s[12:13], s[10:11]
	s_cbranch_execz .LBB93_278
; %bb.277:
	v_sub_f32_e32 v3, v3, v2
	s_mov_b32 s10, 0x3fb8aa3b
	v_mul_f32_e32 v49, 0x3fb8aa3b, v3
	v_fma_f32 v53, v3, s10, -v49
	v_rndne_f32_e32 v54, v49
	v_fmamk_f32 v53, v3, 0x32a5705f, v53
	v_sub_f32_e32 v49, v49, v54
	v_add_f32_e32 v49, v49, v53
	v_exp_f32_e32 v49, v49
	v_cvt_i32_f32_e32 v53, v54
	s_mov_b32 s10, 0xc2ce8ed0
	v_cmp_ngt_f32_e64 s[10:11], s10, v3
	s_mov_b32 s14, 0x7f800000
	v_ldexp_f32 v49, v49, v53
	v_cndmask_b32_e64 v49, 0, v49, s[10:11]
	s_mov_b32 s10, 0x42b17218
	v_mov_b32_e32 v53, 0x7f800000
	v_cmp_nlt_f32_e64 s[10:11], s10, v3
	s_nop 1
	v_cndmask_b32_e64 v49, v53, v49, s[10:11]
	v_add_f32_e32 v3, 1.0, v49
	v_add_f32_e32 v53, -1.0, v3
	v_sub_f32_e32 v54, v53, v3
	v_add_f32_e32 v54, 1.0, v54
	v_sub_f32_e32 v53, v49, v53
	v_add_f32_e32 v53, v53, v54
	v_frexp_mant_f32_e32 v64, v3
	s_mov_b32 s10, 0x3f2aaaab
	v_cvt_f64_f32_e32 v[54:55], v3
	v_frexp_exp_i32_f64_e32 v54, v[54:55]
	v_cmp_gt_f32_e64 s[10:11], s10, v64
	s_nop 1
	v_subbrev_co_u32_e64 v70, s[10:11], 0, v54, s[10:11]
	v_sub_u32_e32 v54, 0, v70
	v_ldexp_f32 v3, v3, v54
	v_ldexp_f32 v53, v53, v54
	v_add_f32_e32 v54, -1.0, v3
	v_add_f32_e32 v55, 1.0, v54
	v_sub_f32_e32 v55, v3, v55
	v_add_f32_e32 v64, v53, v55
	v_add_f32_e32 v55, 1.0, v3
	v_add_f32_e32 v65, -1.0, v55
	v_sub_f32_e32 v3, v3, v65
	v_add_f32_e32 v3, v53, v3
	v_add_f32_e32 v53, v55, v3
	v_rcp_f32_e32 v71, v53
	v_sub_f32_e32 v55, v55, v53
	v_add_f32_e32 v3, v3, v55
	v_add_f32_e32 v55, v54, v64
	v_sub_f32_e32 v54, v54, v55
	v_mul_f32_e32 v81, v55, v71
	v_add_f32_e32 v80, v64, v54
	v_mul_f32_e32 v64, v53, v81
	v_fma_f32 v66, v81, v53, -v64
	v_fmac_f32_e32 v66, v81, v3
	v_add_f32_e32 v54, v64, v66
	v_sub_f32_e32 v65, v55, v54
	v_pk_add_f32 v[68:69], v[54:55], v[64:65] neg_lo:[0,1] neg_hi:[0,1]
	v_mov_b32_e32 v67, v54
	v_pk_add_f32 v[54:55], v[68:69], v[66:67] neg_lo:[0,1] neg_hi:[0,1]
	s_mov_b32 s10, 0x3f317218
	v_add_f32_e32 v55, v80, v55
	v_add_f32_e32 v54, v54, v55
	;; [unrolled: 1-line block ×3, first 2 shown]
	v_mul_f32_e32 v80, v71, v55
	v_mul_f32_e32 v64, v53, v80
	v_fma_f32 v66, v80, v53, -v64
	v_fmac_f32_e32 v66, v80, v3
	v_sub_f32_e32 v3, v65, v55
	v_add_f32_e32 v3, v54, v3
	v_add_f32_e32 v54, v64, v66
	v_sub_f32_e32 v65, v55, v54
	v_pk_add_f32 v[68:69], v[54:55], v[64:65] neg_lo:[0,1] neg_hi:[0,1]
	v_mov_b32_e32 v67, v54
	v_pk_add_f32 v[54:55], v[68:69], v[66:67] neg_lo:[0,1] neg_hi:[0,1]
	v_add_f32_e32 v53, v81, v80
	v_add_f32_e32 v3, v3, v55
	;; [unrolled: 1-line block ×4, first 2 shown]
	v_sub_f32_e32 v54, v53, v81
	v_mul_f32_e32 v3, v71, v3
	v_sub_f32_e32 v54, v80, v54
	v_add_f32_e32 v3, v54, v3
	v_add_f32_e32 v54, v53, v3
	v_cvt_f32_i32_e32 v64, v70
	v_mul_f32_e32 v65, v54, v54
	v_mov_b32_e32 v55, 0x3ecc95a3
	v_fmac_f32_e32 v55, 0x3e9b6dac, v65
	v_fmaak_f32 v55, v65, v55, 0x3f2aaada
	v_sub_f32_e32 v53, v54, v53
	v_ldexp_f32 v67, v54, 1
	v_mul_f32_e32 v65, v54, v65
	v_mov_b32_e32 v54, 0x3f317218
	v_pk_mul_f32 v[54:55], v[64:65], v[54:55]
	v_sub_f32_e32 v3, v3, v53
	v_fma_f32 v53, v64, s10, -v54
	v_fmamk_f32 v66, v64, 0xb102e308, v53
	v_pk_add_f32 v[64:65], v[54:55], v[66:67]
	v_ldexp_f32 v3, v3, 1
	v_sub_f32_e32 v53, v65, v67
	v_sub_f32_e32 v53, v55, v53
	v_add_f32_e32 v69, v3, v53
	v_mov_b32_e32 v68, v54
	v_pk_add_f32 v[54:55], v[64:65], v[54:55] neg_lo:[0,1] neg_hi:[0,1]
	v_pk_add_f32 v[70:71], v[64:65], v[68:69]
	v_mov_b32_e32 v67, v64
	v_mov_b32_e32 v55, v71
	v_pk_add_f32 v[80:81], v[66:67], v[54:55] neg_lo:[0,1] neg_hi:[0,1]
	v_pk_add_f32 v[54:55], v[66:67], v[54:55]
	v_mov_b32_e32 v68, v69
	v_mov_b32_e32 v66, v55
	v_pk_add_f32 v[82:83], v[66:67], v[64:65] neg_lo:[0,1] neg_hi:[0,1]
	v_mov_b32_e32 v54, v71
	v_mov_b32_e32 v3, v82
	v_pk_add_f32 v[84:85], v[70:71], v[2:3] neg_lo:[0,1] neg_hi:[0,1]
	v_mov_b32_e32 v70, v65
	v_mov_b32_e32 v71, v82
	;; [unrolled: 1-line block ×3, first 2 shown]
	v_pk_add_f32 v[54:55], v[54:55], v[70:71] neg_lo:[0,1] neg_hi:[0,1]
	v_mov_b32_e32 v69, v64
	v_pk_add_f32 v[54:55], v[68:69], v[54:55] neg_lo:[0,1] neg_hi:[0,1]
	v_mov_b32_e32 v84, v80
	v_pk_add_f32 v[64:65], v[84:85], v[54:55]
	v_cmp_eq_f32_e64 s[10:11], s14, v49
	v_mov_b32_e32 v68, v65
	v_pk_add_f32 v[68:69], v[64:65], v[68:69]
	s_mov_b32 s14, 0x33800000
	v_pk_add_f32 v[66:67], v[66:67], v[68:69]
	v_mov_b32_e32 v55, v68
	v_mov_b32_e32 v65, v66
	v_pk_add_f32 v[70:71], v[64:65], v[80:81] neg_lo:[0,1] neg_hi:[0,1]
	v_cmp_lt_f32_e64 s[14:15], |v49|, s14
	v_sub_f32_e32 v3, v64, v70
	v_pk_add_f32 v[54:55], v[54:55], v[70:71] neg_lo:[0,1] neg_hi:[0,1]
	v_sub_f32_e32 v3, v80, v3
	v_add_f32_e32 v3, v54, v3
	v_add_f32_e32 v3, v3, v55
	;; [unrolled: 1-line block ×3, first 2 shown]
	s_or_b64 s[10:11], s[10:11], s[14:15]
	v_cndmask_b32_e64 v3, v3, v49, s[10:11]
	v_add_f32_e32 v53, v2, v3
.LBB93_278:
	s_or_b64 exec, exec, s[12:13]
	v_max_f32_e32 v49, v37, v37
	v_max_f32_e32 v2, v53, v53
	v_min_f32_e32 v3, v2, v49
	v_cmp_u_f32_e64 s[12:13], v53, v53
	v_max_f32_e32 v2, v2, v49
	v_cmp_u_f32_e64 s[10:11], v37, v37
	v_cndmask_b32_e64 v3, v3, v53, s[12:13]
	v_cndmask_b32_e64 v2, v2, v53, s[12:13]
	;; [unrolled: 1-line block ×4, first 2 shown]
	s_movk_i32 s16, 0x1f8
	v_cmp_neq_f32_e64 s[12:13], v3, v2
	v_cmp_class_f32_e64 s[14:15], v3, s16
	s_or_b64 s[12:13], s[12:13], s[14:15]
	s_and_saveexec_b64 s[14:15], s[12:13]
	s_cbranch_execz .LBB93_280
; %bb.279:
	v_sub_f32_e32 v3, v3, v2
	s_mov_b32 s12, 0x3fb8aa3b
	v_mul_f32_e32 v53, 0x3fb8aa3b, v3
	v_fma_f32 v54, v3, s12, -v53
	v_rndne_f32_e32 v55, v53
	v_fmamk_f32 v54, v3, 0x32a5705f, v54
	v_sub_f32_e32 v53, v53, v55
	v_add_f32_e32 v53, v53, v54
	v_exp_f32_e32 v53, v53
	v_cvt_i32_f32_e32 v54, v55
	s_mov_b32 s12, 0xc2ce8ed0
	v_cmp_ngt_f32_e64 s[12:13], s12, v3
	s_mov_b32 s17, 0x7f800000
	v_ldexp_f32 v53, v53, v54
	v_cndmask_b32_e64 v53, 0, v53, s[12:13]
	s_mov_b32 s12, 0x42b17218
	v_mov_b32_e32 v54, 0x7f800000
	v_cmp_nlt_f32_e64 s[12:13], s12, v3
	s_nop 1
	v_cndmask_b32_e64 v53, v54, v53, s[12:13]
	v_add_f32_e32 v3, 1.0, v53
	v_add_f32_e32 v54, -1.0, v3
	v_sub_f32_e32 v55, v54, v3
	v_add_f32_e32 v55, 1.0, v55
	v_sub_f32_e32 v54, v53, v54
	v_add_f32_e32 v64, v54, v55
	v_frexp_mant_f32_e32 v65, v3
	s_mov_b32 s12, 0x3f2aaaab
	v_cvt_f64_f32_e32 v[54:55], v3
	v_frexp_exp_i32_f64_e32 v54, v[54:55]
	v_cmp_gt_f32_e64 s[12:13], s12, v65
	s_nop 1
	v_subbrev_co_u32_e64 v70, s[12:13], 0, v54, s[12:13]
	v_sub_u32_e32 v54, 0, v70
	v_ldexp_f32 v3, v3, v54
	v_ldexp_f32 v54, v64, v54
	v_add_f32_e32 v64, -1.0, v3
	v_add_f32_e32 v55, 1.0, v64
	v_sub_f32_e32 v55, v3, v55
	v_add_f32_e32 v65, v54, v55
	v_add_f32_e32 v55, 1.0, v3
	v_add_f32_e32 v66, -1.0, v55
	v_sub_f32_e32 v3, v3, v66
	v_add_f32_e32 v3, v54, v3
	v_add_f32_e32 v71, v55, v3
	v_rcp_f32_e32 v80, v71
	v_sub_f32_e32 v54, v55, v71
	v_add_f32_e32 v55, v64, v65
	v_add_f32_e32 v3, v3, v54
	v_mul_f32_e32 v82, v55, v80
	v_sub_f32_e32 v54, v64, v55
	v_mul_f32_e32 v64, v71, v82
	v_fma_f32 v66, v82, v71, -v64
	v_fmac_f32_e32 v66, v82, v3
	v_add_f32_e32 v81, v65, v54
	v_add_f32_e32 v54, v64, v66
	v_sub_f32_e32 v65, v55, v54
	v_pk_add_f32 v[68:69], v[54:55], v[64:65] neg_lo:[0,1] neg_hi:[0,1]
	v_mov_b32_e32 v67, v54
	v_pk_add_f32 v[54:55], v[68:69], v[66:67] neg_lo:[0,1] neg_hi:[0,1]
	s_mov_b32 s12, 0x3f317218
	v_add_f32_e32 v55, v81, v55
	v_add_f32_e32 v54, v54, v55
	;; [unrolled: 1-line block ×3, first 2 shown]
	v_mul_f32_e32 v81, v80, v55
	v_mul_f32_e32 v64, v71, v81
	v_fma_f32 v66, v81, v71, -v64
	v_fmac_f32_e32 v66, v81, v3
	v_sub_f32_e32 v3, v65, v55
	v_add_f32_e32 v3, v54, v3
	v_add_f32_e32 v54, v64, v66
	v_sub_f32_e32 v65, v55, v54
	v_pk_add_f32 v[68:69], v[54:55], v[64:65] neg_lo:[0,1] neg_hi:[0,1]
	v_mov_b32_e32 v67, v54
	v_pk_add_f32 v[54:55], v[68:69], v[66:67] neg_lo:[0,1] neg_hi:[0,1]
	v_cvt_f32_i32_e32 v64, v70
	v_add_f32_e32 v3, v3, v55
	v_add_f32_e32 v3, v54, v3
	;; [unrolled: 1-line block ×4, first 2 shown]
	v_sub_f32_e32 v55, v54, v82
	v_mul_f32_e32 v3, v80, v3
	v_sub_f32_e32 v55, v81, v55
	v_add_f32_e32 v3, v55, v3
	v_add_f32_e32 v65, v54, v3
	v_mul_f32_e32 v66, v65, v65
	v_mov_b32_e32 v55, 0x3ecc95a3
	v_fmac_f32_e32 v55, 0x3e9b6dac, v66
	v_sub_f32_e32 v54, v65, v54
	v_fmaak_f32 v55, v66, v55, 0x3f2aaada
	v_sub_f32_e32 v3, v3, v54
	v_ldexp_f32 v67, v65, 1
	v_mul_f32_e32 v65, v65, v66
	v_mov_b32_e32 v54, 0x3f317218
	v_pk_mul_f32 v[54:55], v[64:65], v[54:55]
	v_ldexp_f32 v3, v3, 1
	v_fma_f32 v65, v64, s12, -v54
	v_fmamk_f32 v66, v64, 0xb102e308, v65
	v_pk_add_f32 v[64:65], v[54:55], v[66:67]
	v_mov_b32_e32 v68, v54
	v_sub_f32_e32 v67, v65, v67
	v_sub_f32_e32 v67, v55, v67
	v_add_f32_e32 v69, v3, v67
	v_pk_add_f32 v[54:55], v[64:65], v[54:55] neg_lo:[0,1] neg_hi:[0,1]
	v_pk_add_f32 v[70:71], v[64:65], v[68:69]
	v_mov_b32_e32 v67, v64
	v_mov_b32_e32 v55, v71
	v_pk_add_f32 v[80:81], v[66:67], v[54:55] neg_lo:[0,1] neg_hi:[0,1]
	v_pk_add_f32 v[54:55], v[66:67], v[54:55]
	v_mov_b32_e32 v68, v69
	v_mov_b32_e32 v66, v55
	v_pk_add_f32 v[82:83], v[66:67], v[64:65] neg_lo:[0,1] neg_hi:[0,1]
	v_mov_b32_e32 v54, v71
	v_mov_b32_e32 v3, v82
	v_pk_add_f32 v[84:85], v[70:71], v[2:3] neg_lo:[0,1] neg_hi:[0,1]
	v_mov_b32_e32 v70, v65
	v_mov_b32_e32 v71, v82
	;; [unrolled: 1-line block ×3, first 2 shown]
	v_pk_add_f32 v[54:55], v[54:55], v[70:71] neg_lo:[0,1] neg_hi:[0,1]
	v_mov_b32_e32 v69, v64
	v_pk_add_f32 v[54:55], v[68:69], v[54:55] neg_lo:[0,1] neg_hi:[0,1]
	v_mov_b32_e32 v84, v80
	v_pk_add_f32 v[64:65], v[84:85], v[54:55]
	v_cmp_eq_f32_e64 s[12:13], s17, v53
	v_mov_b32_e32 v68, v65
	v_pk_add_f32 v[68:69], v[64:65], v[68:69]
	s_mov_b32 s17, 0x33800000
	v_pk_add_f32 v[66:67], v[66:67], v[68:69]
	v_mov_b32_e32 v55, v68
	v_mov_b32_e32 v65, v66
	v_pk_add_f32 v[70:71], v[64:65], v[80:81] neg_lo:[0,1] neg_hi:[0,1]
	v_cmp_lt_f32_e64 s[18:19], |v53|, s17
	v_sub_f32_e32 v3, v64, v70
	v_pk_add_f32 v[54:55], v[54:55], v[70:71] neg_lo:[0,1] neg_hi:[0,1]
	v_sub_f32_e32 v3, v80, v3
	v_add_f32_e32 v3, v54, v3
	v_add_f32_e32 v3, v3, v55
	;; [unrolled: 1-line block ×3, first 2 shown]
	s_or_b64 s[12:13], s[12:13], s[18:19]
	v_cndmask_b32_e64 v3, v3, v53, s[12:13]
	v_add_f32_e32 v53, v2, v3
.LBB93_280:
	s_or_b64 exec, exec, s[14:15]
	v_max_f32_e32 v54, v38, v38
	v_max_f32_e32 v2, v53, v53
	v_min_f32_e32 v3, v2, v54
	v_cmp_u_f32_e64 s[14:15], v53, v53
	v_max_f32_e32 v2, v2, v54
	v_cmp_u_f32_e64 s[12:13], v38, v38
	v_cndmask_b32_e64 v3, v3, v53, s[14:15]
	v_cndmask_b32_e64 v2, v2, v53, s[14:15]
	;; [unrolled: 1-line block ×4, first 2 shown]
	v_cmp_neq_f32_e64 s[14:15], v3, v2
	v_cmp_class_f32_e64 s[16:17], v3, s16
	s_or_b64 s[14:15], s[14:15], s[16:17]
	s_and_saveexec_b64 s[16:17], s[14:15]
	s_cbranch_execz .LBB93_282
; %bb.281:
	v_sub_f32_e32 v3, v3, v2
	s_mov_b32 s14, 0x3fb8aa3b
	v_mul_f32_e32 v53, 0x3fb8aa3b, v3
	v_fma_f32 v55, v3, s14, -v53
	v_rndne_f32_e32 v64, v53
	v_fmamk_f32 v55, v3, 0x32a5705f, v55
	v_sub_f32_e32 v53, v53, v64
	v_add_f32_e32 v53, v53, v55
	v_exp_f32_e32 v53, v53
	v_cvt_i32_f32_e32 v55, v64
	s_mov_b32 s14, 0xc2ce8ed0
	v_cmp_ngt_f32_e64 s[14:15], s14, v3
	s_mov_b32 s18, 0x7f800000
	v_ldexp_f32 v53, v53, v55
	v_cndmask_b32_e64 v53, 0, v53, s[14:15]
	s_mov_b32 s14, 0x42b17218
	v_mov_b32_e32 v55, 0x7f800000
	v_cmp_nlt_f32_e64 s[14:15], s14, v3
	s_nop 1
	v_cndmask_b32_e64 v53, v55, v53, s[14:15]
	v_add_f32_e32 v3, 1.0, v53
	v_add_f32_e32 v55, -1.0, v3
	v_sub_f32_e32 v64, v55, v3
	v_add_f32_e32 v64, 1.0, v64
	v_sub_f32_e32 v55, v53, v55
	v_add_f32_e32 v55, v55, v64
	v_frexp_mant_f32_e32 v66, v3
	s_mov_b32 s14, 0x3f2aaaab
	v_cvt_f64_f32_e32 v[64:65], v3
	v_frexp_exp_i32_f64_e32 v64, v[64:65]
	v_cmp_gt_f32_e64 s[14:15], s14, v66
	s_nop 1
	v_subbrev_co_u32_e64 v80, s[14:15], 0, v64, s[14:15]
	v_sub_u32_e32 v64, 0, v80
	v_ldexp_f32 v3, v3, v64
	v_ldexp_f32 v55, v55, v64
	v_add_f32_e32 v64, -1.0, v3
	v_add_f32_e32 v65, 1.0, v64
	v_sub_f32_e32 v65, v3, v65
	v_add_f32_e32 v66, v55, v65
	v_add_f32_e32 v65, 1.0, v3
	v_add_f32_e32 v67, -1.0, v65
	v_sub_f32_e32 v3, v3, v67
	v_add_f32_e32 v3, v55, v3
	v_add_f32_e32 v55, v65, v3
	v_rcp_f32_e32 v81, v55
	v_sub_f32_e32 v65, v65, v55
	v_add_f32_e32 v3, v3, v65
	v_add_f32_e32 v65, v64, v66
	v_sub_f32_e32 v64, v64, v65
	v_mul_f32_e32 v83, v65, v81
	v_add_f32_e32 v82, v66, v64
	v_mul_f32_e32 v66, v55, v83
	v_fma_f32 v68, v83, v55, -v66
	v_fmac_f32_e32 v68, v83, v3
	v_add_f32_e32 v64, v66, v68
	v_sub_f32_e32 v67, v65, v64
	v_pk_add_f32 v[70:71], v[64:65], v[66:67] neg_lo:[0,1] neg_hi:[0,1]
	v_mov_b32_e32 v69, v64
	v_pk_add_f32 v[64:65], v[70:71], v[68:69] neg_lo:[0,1] neg_hi:[0,1]
	s_mov_b32 s14, 0x3f317218
	v_add_f32_e32 v65, v82, v65
	v_add_f32_e32 v64, v64, v65
	;; [unrolled: 1-line block ×3, first 2 shown]
	v_mul_f32_e32 v82, v81, v65
	v_mul_f32_e32 v66, v55, v82
	v_fma_f32 v68, v82, v55, -v66
	v_fmac_f32_e32 v68, v82, v3
	v_sub_f32_e32 v3, v67, v65
	v_add_f32_e32 v3, v64, v3
	v_add_f32_e32 v64, v66, v68
	v_sub_f32_e32 v67, v65, v64
	v_pk_add_f32 v[70:71], v[64:65], v[66:67] neg_lo:[0,1] neg_hi:[0,1]
	v_mov_b32_e32 v69, v64
	v_pk_add_f32 v[64:65], v[70:71], v[68:69] neg_lo:[0,1] neg_hi:[0,1]
	v_add_f32_e32 v55, v83, v82
	v_add_f32_e32 v3, v3, v65
	v_add_f32_e32 v3, v64, v3
	v_add_f32_e32 v3, v67, v3
	v_sub_f32_e32 v64, v55, v83
	v_mul_f32_e32 v3, v81, v3
	v_sub_f32_e32 v64, v82, v64
	v_add_f32_e32 v3, v64, v3
	v_add_f32_e32 v64, v55, v3
	v_cvt_f32_i32_e32 v66, v80
	v_mul_f32_e32 v67, v64, v64
	v_mov_b32_e32 v65, 0x3ecc95a3
	v_fmac_f32_e32 v65, 0x3e9b6dac, v67
	v_fmaak_f32 v65, v67, v65, 0x3f2aaada
	v_sub_f32_e32 v55, v64, v55
	v_ldexp_f32 v69, v64, 1
	v_mul_f32_e32 v67, v64, v67
	v_mov_b32_e32 v64, 0x3f317218
	v_pk_mul_f32 v[64:65], v[66:67], v[64:65]
	v_sub_f32_e32 v3, v3, v55
	v_fma_f32 v55, v66, s14, -v64
	v_fmamk_f32 v68, v66, 0xb102e308, v55
	v_pk_add_f32 v[66:67], v[64:65], v[68:69]
	v_ldexp_f32 v3, v3, 1
	v_sub_f32_e32 v55, v67, v69
	v_sub_f32_e32 v55, v65, v55
	v_add_f32_e32 v71, v3, v55
	v_mov_b32_e32 v70, v64
	v_pk_add_f32 v[64:65], v[66:67], v[64:65] neg_lo:[0,1] neg_hi:[0,1]
	v_pk_add_f32 v[80:81], v[66:67], v[70:71]
	v_mov_b32_e32 v69, v66
	v_mov_b32_e32 v65, v81
	v_pk_add_f32 v[82:83], v[68:69], v[64:65] neg_lo:[0,1] neg_hi:[0,1]
	v_pk_add_f32 v[64:65], v[68:69], v[64:65]
	v_mov_b32_e32 v70, v71
	v_mov_b32_e32 v68, v65
	v_pk_add_f32 v[84:85], v[68:69], v[66:67] neg_lo:[0,1] neg_hi:[0,1]
	v_mov_b32_e32 v64, v81
	v_mov_b32_e32 v3, v84
	v_pk_add_f32 v[86:87], v[80:81], v[2:3] neg_lo:[0,1] neg_hi:[0,1]
	v_mov_b32_e32 v80, v67
	v_mov_b32_e32 v81, v84
	;; [unrolled: 1-line block ×3, first 2 shown]
	v_pk_add_f32 v[64:65], v[64:65], v[80:81] neg_lo:[0,1] neg_hi:[0,1]
	v_mov_b32_e32 v71, v66
	v_pk_add_f32 v[64:65], v[70:71], v[64:65] neg_lo:[0,1] neg_hi:[0,1]
	v_mov_b32_e32 v86, v82
	v_pk_add_f32 v[66:67], v[86:87], v[64:65]
	v_cmp_eq_f32_e64 s[14:15], s18, v53
	v_mov_b32_e32 v70, v67
	v_pk_add_f32 v[70:71], v[66:67], v[70:71]
	s_mov_b32 s18, 0x33800000
	v_pk_add_f32 v[68:69], v[68:69], v[70:71]
	v_mov_b32_e32 v65, v70
	v_mov_b32_e32 v67, v68
	v_pk_add_f32 v[80:81], v[66:67], v[82:83] neg_lo:[0,1] neg_hi:[0,1]
	v_cmp_lt_f32_e64 s[18:19], |v53|, s18
	v_sub_f32_e32 v3, v66, v80
	v_pk_add_f32 v[64:65], v[64:65], v[80:81] neg_lo:[0,1] neg_hi:[0,1]
	v_sub_f32_e32 v3, v82, v3
	v_add_f32_e32 v3, v64, v3
	v_add_f32_e32 v3, v3, v65
	;; [unrolled: 1-line block ×3, first 2 shown]
	s_or_b64 s[14:15], s[14:15], s[18:19]
	v_cndmask_b32_e64 v3, v3, v53, s[14:15]
	v_add_f32_e32 v53, v2, v3
.LBB93_282:
	s_or_b64 exec, exec, s[16:17]
	v_max_f32_e32 v55, v39, v39
	v_max_f32_e32 v2, v53, v53
	v_min_f32_e32 v3, v2, v55
	v_cmp_u_f32_e64 s[16:17], v53, v53
	v_max_f32_e32 v2, v2, v55
	v_cmp_u_f32_e64 s[14:15], v39, v39
	v_cndmask_b32_e64 v3, v3, v53, s[16:17]
	v_cndmask_b32_e64 v2, v2, v53, s[16:17]
	;; [unrolled: 1-line block ×4, first 2 shown]
	s_movk_i32 s20, 0x1f8
	v_cmp_neq_f32_e64 s[16:17], v3, v2
	v_cmp_class_f32_e64 s[18:19], v3, s20
	s_or_b64 s[16:17], s[16:17], s[18:19]
	s_and_saveexec_b64 s[18:19], s[16:17]
	s_cbranch_execz .LBB93_284
; %bb.283:
	v_sub_f32_e32 v3, v3, v2
	s_mov_b32 s16, 0x3fb8aa3b
	v_mul_f32_e32 v53, 0x3fb8aa3b, v3
	v_fma_f32 v64, v3, s16, -v53
	v_rndne_f32_e32 v65, v53
	v_fmamk_f32 v64, v3, 0x32a5705f, v64
	v_sub_f32_e32 v53, v53, v65
	v_add_f32_e32 v53, v53, v64
	v_exp_f32_e32 v53, v53
	v_cvt_i32_f32_e32 v64, v65
	s_mov_b32 s16, 0xc2ce8ed0
	v_cmp_ngt_f32_e64 s[16:17], s16, v3
	s_mov_b32 s21, 0x7f800000
	v_ldexp_f32 v53, v53, v64
	v_cndmask_b32_e64 v53, 0, v53, s[16:17]
	s_mov_b32 s16, 0x42b17218
	v_mov_b32_e32 v64, 0x7f800000
	v_cmp_nlt_f32_e64 s[16:17], s16, v3
	s_nop 1
	v_cndmask_b32_e64 v53, v64, v53, s[16:17]
	v_add_f32_e32 v3, 1.0, v53
	v_add_f32_e32 v64, -1.0, v3
	v_sub_f32_e32 v65, v64, v3
	v_add_f32_e32 v65, 1.0, v65
	v_sub_f32_e32 v64, v53, v64
	v_add_f32_e32 v66, v64, v65
	v_frexp_mant_f32_e32 v67, v3
	s_mov_b32 s16, 0x3f2aaaab
	v_cvt_f64_f32_e32 v[64:65], v3
	v_frexp_exp_i32_f64_e32 v64, v[64:65]
	v_cmp_gt_f32_e64 s[16:17], s16, v67
	s_nop 1
	v_subbrev_co_u32_e64 v80, s[16:17], 0, v64, s[16:17]
	v_sub_u32_e32 v64, 0, v80
	v_ldexp_f32 v3, v3, v64
	v_ldexp_f32 v64, v66, v64
	v_add_f32_e32 v66, -1.0, v3
	v_add_f32_e32 v65, 1.0, v66
	v_sub_f32_e32 v65, v3, v65
	v_add_f32_e32 v67, v64, v65
	v_add_f32_e32 v65, 1.0, v3
	v_add_f32_e32 v68, -1.0, v65
	v_sub_f32_e32 v3, v3, v68
	v_add_f32_e32 v3, v64, v3
	v_add_f32_e32 v81, v65, v3
	v_rcp_f32_e32 v82, v81
	v_sub_f32_e32 v64, v65, v81
	v_add_f32_e32 v65, v66, v67
	v_add_f32_e32 v3, v3, v64
	v_mul_f32_e32 v84, v65, v82
	v_sub_f32_e32 v64, v66, v65
	v_mul_f32_e32 v66, v81, v84
	v_fma_f32 v68, v84, v81, -v66
	v_fmac_f32_e32 v68, v84, v3
	v_add_f32_e32 v83, v67, v64
	v_add_f32_e32 v64, v66, v68
	v_sub_f32_e32 v67, v65, v64
	v_pk_add_f32 v[70:71], v[64:65], v[66:67] neg_lo:[0,1] neg_hi:[0,1]
	v_mov_b32_e32 v69, v64
	v_pk_add_f32 v[64:65], v[70:71], v[68:69] neg_lo:[0,1] neg_hi:[0,1]
	s_mov_b32 s16, 0x3f317218
	v_add_f32_e32 v65, v83, v65
	v_add_f32_e32 v64, v64, v65
	;; [unrolled: 1-line block ×3, first 2 shown]
	v_mul_f32_e32 v83, v82, v65
	v_mul_f32_e32 v66, v81, v83
	v_fma_f32 v68, v83, v81, -v66
	v_fmac_f32_e32 v68, v83, v3
	v_sub_f32_e32 v3, v67, v65
	v_add_f32_e32 v3, v64, v3
	v_add_f32_e32 v64, v66, v68
	v_sub_f32_e32 v67, v65, v64
	v_pk_add_f32 v[70:71], v[64:65], v[66:67] neg_lo:[0,1] neg_hi:[0,1]
	v_mov_b32_e32 v69, v64
	v_pk_add_f32 v[64:65], v[70:71], v[68:69] neg_lo:[0,1] neg_hi:[0,1]
	v_cvt_f32_i32_e32 v66, v80
	v_add_f32_e32 v3, v3, v65
	v_add_f32_e32 v3, v64, v3
	;; [unrolled: 1-line block ×4, first 2 shown]
	v_sub_f32_e32 v65, v64, v84
	v_mul_f32_e32 v3, v82, v3
	v_sub_f32_e32 v65, v83, v65
	v_add_f32_e32 v3, v65, v3
	v_add_f32_e32 v67, v64, v3
	v_mul_f32_e32 v68, v67, v67
	v_mov_b32_e32 v65, 0x3ecc95a3
	v_fmac_f32_e32 v65, 0x3e9b6dac, v68
	v_sub_f32_e32 v64, v67, v64
	v_fmaak_f32 v65, v68, v65, 0x3f2aaada
	v_sub_f32_e32 v3, v3, v64
	v_ldexp_f32 v69, v67, 1
	v_mul_f32_e32 v67, v67, v68
	v_mov_b32_e32 v64, 0x3f317218
	v_pk_mul_f32 v[64:65], v[66:67], v[64:65]
	v_ldexp_f32 v3, v3, 1
	v_fma_f32 v67, v66, s16, -v64
	v_fmamk_f32 v68, v66, 0xb102e308, v67
	v_pk_add_f32 v[66:67], v[64:65], v[68:69]
	v_mov_b32_e32 v70, v64
	v_sub_f32_e32 v69, v67, v69
	v_sub_f32_e32 v69, v65, v69
	v_add_f32_e32 v71, v3, v69
	v_pk_add_f32 v[64:65], v[66:67], v[64:65] neg_lo:[0,1] neg_hi:[0,1]
	v_pk_add_f32 v[80:81], v[66:67], v[70:71]
	v_mov_b32_e32 v69, v66
	v_mov_b32_e32 v65, v81
	v_pk_add_f32 v[82:83], v[68:69], v[64:65] neg_lo:[0,1] neg_hi:[0,1]
	v_pk_add_f32 v[64:65], v[68:69], v[64:65]
	v_mov_b32_e32 v70, v71
	v_mov_b32_e32 v68, v65
	v_pk_add_f32 v[84:85], v[68:69], v[66:67] neg_lo:[0,1] neg_hi:[0,1]
	v_mov_b32_e32 v64, v81
	v_mov_b32_e32 v3, v84
	v_pk_add_f32 v[86:87], v[80:81], v[2:3] neg_lo:[0,1] neg_hi:[0,1]
	v_mov_b32_e32 v80, v67
	v_mov_b32_e32 v81, v84
	;; [unrolled: 1-line block ×3, first 2 shown]
	v_pk_add_f32 v[64:65], v[64:65], v[80:81] neg_lo:[0,1] neg_hi:[0,1]
	v_mov_b32_e32 v71, v66
	v_pk_add_f32 v[64:65], v[70:71], v[64:65] neg_lo:[0,1] neg_hi:[0,1]
	v_mov_b32_e32 v86, v82
	v_pk_add_f32 v[66:67], v[86:87], v[64:65]
	v_cmp_eq_f32_e64 s[16:17], s21, v53
	v_mov_b32_e32 v70, v67
	v_pk_add_f32 v[70:71], v[66:67], v[70:71]
	s_mov_b32 s21, 0x33800000
	v_pk_add_f32 v[68:69], v[68:69], v[70:71]
	v_mov_b32_e32 v65, v70
	v_mov_b32_e32 v67, v68
	v_pk_add_f32 v[80:81], v[66:67], v[82:83] neg_lo:[0,1] neg_hi:[0,1]
	v_cmp_lt_f32_e64 s[22:23], |v53|, s21
	v_sub_f32_e32 v3, v66, v80
	v_pk_add_f32 v[64:65], v[64:65], v[80:81] neg_lo:[0,1] neg_hi:[0,1]
	v_sub_f32_e32 v3, v82, v3
	v_add_f32_e32 v3, v64, v3
	v_add_f32_e32 v3, v3, v65
	;; [unrolled: 1-line block ×3, first 2 shown]
	s_or_b64 s[16:17], s[16:17], s[22:23]
	v_cndmask_b32_e64 v3, v3, v53, s[16:17]
	v_add_f32_e32 v53, v2, v3
.LBB93_284:
	s_or_b64 exec, exec, s[18:19]
	v_max_f32_e32 v64, v32, v32
	v_max_f32_e32 v2, v53, v53
	v_min_f32_e32 v3, v2, v64
	v_cmp_u_f32_e64 s[18:19], v53, v53
	v_max_f32_e32 v2, v2, v64
	v_cmp_u_f32_e64 s[16:17], v32, v32
	v_cndmask_b32_e64 v3, v3, v53, s[18:19]
	v_cndmask_b32_e64 v2, v2, v53, s[18:19]
	;; [unrolled: 1-line block ×4, first 2 shown]
	v_cmp_neq_f32_e64 s[18:19], v3, v2
	v_cmp_class_f32_e64 s[20:21], v3, s20
	s_or_b64 s[18:19], s[18:19], s[20:21]
	s_and_saveexec_b64 s[20:21], s[18:19]
	s_cbranch_execz .LBB93_286
; %bb.285:
	v_sub_f32_e32 v3, v3, v2
	s_mov_b32 s18, 0x3fb8aa3b
	v_mul_f32_e32 v53, 0x3fb8aa3b, v3
	v_fma_f32 v65, v3, s18, -v53
	v_rndne_f32_e32 v66, v53
	v_fmamk_f32 v65, v3, 0x32a5705f, v65
	v_sub_f32_e32 v53, v53, v66
	v_add_f32_e32 v53, v53, v65
	v_exp_f32_e32 v53, v53
	v_cvt_i32_f32_e32 v65, v66
	s_mov_b32 s18, 0xc2ce8ed0
	v_cmp_ngt_f32_e64 s[18:19], s18, v3
	s_mov_b32 s22, 0x7f800000
	v_ldexp_f32 v53, v53, v65
	v_cndmask_b32_e64 v53, 0, v53, s[18:19]
	s_mov_b32 s18, 0x42b17218
	v_mov_b32_e32 v65, 0x7f800000
	v_cmp_nlt_f32_e64 s[18:19], s18, v3
	s_nop 1
	v_cndmask_b32_e64 v53, v65, v53, s[18:19]
	v_add_f32_e32 v3, 1.0, v53
	v_add_f32_e32 v65, -1.0, v3
	v_sub_f32_e32 v66, v65, v3
	v_add_f32_e32 v66, 1.0, v66
	v_sub_f32_e32 v65, v53, v65
	v_add_f32_e32 v65, v65, v66
	v_frexp_mant_f32_e32 v68, v3
	s_mov_b32 s18, 0x3f2aaaab
	v_cvt_f64_f32_e32 v[66:67], v3
	v_frexp_exp_i32_f64_e32 v66, v[66:67]
	v_cmp_gt_f32_e64 s[18:19], s18, v68
	s_nop 1
	v_subbrev_co_u32_e64 v82, s[18:19], 0, v66, s[18:19]
	v_sub_u32_e32 v66, 0, v82
	v_ldexp_f32 v3, v3, v66
	v_ldexp_f32 v65, v65, v66
	v_add_f32_e32 v66, -1.0, v3
	v_add_f32_e32 v67, 1.0, v66
	v_sub_f32_e32 v67, v3, v67
	v_add_f32_e32 v68, v65, v67
	v_add_f32_e32 v67, 1.0, v3
	v_add_f32_e32 v69, -1.0, v67
	v_sub_f32_e32 v3, v3, v69
	v_add_f32_e32 v3, v65, v3
	v_add_f32_e32 v65, v67, v3
	v_rcp_f32_e32 v83, v65
	v_sub_f32_e32 v67, v67, v65
	v_add_f32_e32 v3, v3, v67
	v_add_f32_e32 v67, v66, v68
	v_sub_f32_e32 v66, v66, v67
	v_mul_f32_e32 v85, v67, v83
	v_add_f32_e32 v84, v68, v66
	v_mul_f32_e32 v68, v65, v85
	v_fma_f32 v70, v85, v65, -v68
	v_fmac_f32_e32 v70, v85, v3
	v_add_f32_e32 v66, v68, v70
	v_sub_f32_e32 v69, v67, v66
	v_pk_add_f32 v[80:81], v[66:67], v[68:69] neg_lo:[0,1] neg_hi:[0,1]
	v_mov_b32_e32 v71, v66
	v_pk_add_f32 v[66:67], v[80:81], v[70:71] neg_lo:[0,1] neg_hi:[0,1]
	s_mov_b32 s18, 0x3f317218
	v_add_f32_e32 v67, v84, v67
	v_add_f32_e32 v66, v66, v67
	;; [unrolled: 1-line block ×3, first 2 shown]
	v_mul_f32_e32 v84, v83, v67
	v_mul_f32_e32 v68, v65, v84
	v_fma_f32 v70, v84, v65, -v68
	v_fmac_f32_e32 v70, v84, v3
	v_sub_f32_e32 v3, v69, v67
	v_add_f32_e32 v3, v66, v3
	v_add_f32_e32 v66, v68, v70
	v_sub_f32_e32 v69, v67, v66
	v_pk_add_f32 v[80:81], v[66:67], v[68:69] neg_lo:[0,1] neg_hi:[0,1]
	v_mov_b32_e32 v71, v66
	v_pk_add_f32 v[66:67], v[80:81], v[70:71] neg_lo:[0,1] neg_hi:[0,1]
	v_add_f32_e32 v65, v85, v84
	v_add_f32_e32 v3, v3, v67
	;; [unrolled: 1-line block ×4, first 2 shown]
	v_sub_f32_e32 v66, v65, v85
	v_mul_f32_e32 v3, v83, v3
	v_sub_f32_e32 v66, v84, v66
	v_add_f32_e32 v3, v66, v3
	v_add_f32_e32 v66, v65, v3
	v_cvt_f32_i32_e32 v68, v82
	v_mul_f32_e32 v69, v66, v66
	v_mov_b32_e32 v67, 0x3ecc95a3
	v_fmac_f32_e32 v67, 0x3e9b6dac, v69
	v_fmaak_f32 v67, v69, v67, 0x3f2aaada
	v_sub_f32_e32 v65, v66, v65
	v_ldexp_f32 v71, v66, 1
	v_mul_f32_e32 v69, v66, v69
	v_mov_b32_e32 v66, 0x3f317218
	v_pk_mul_f32 v[66:67], v[68:69], v[66:67]
	v_sub_f32_e32 v3, v3, v65
	v_fma_f32 v65, v68, s18, -v66
	v_fmamk_f32 v70, v68, 0xb102e308, v65
	v_pk_add_f32 v[68:69], v[66:67], v[70:71]
	v_ldexp_f32 v3, v3, 1
	v_sub_f32_e32 v65, v69, v71
	v_sub_f32_e32 v65, v67, v65
	v_add_f32_e32 v81, v3, v65
	v_mov_b32_e32 v80, v66
	v_pk_add_f32 v[66:67], v[68:69], v[66:67] neg_lo:[0,1] neg_hi:[0,1]
	v_pk_add_f32 v[82:83], v[68:69], v[80:81]
	v_mov_b32_e32 v71, v68
	v_mov_b32_e32 v67, v83
	v_pk_add_f32 v[84:85], v[70:71], v[66:67] neg_lo:[0,1] neg_hi:[0,1]
	v_pk_add_f32 v[66:67], v[70:71], v[66:67]
	v_mov_b32_e32 v80, v81
	v_mov_b32_e32 v70, v67
	v_pk_add_f32 v[86:87], v[70:71], v[68:69] neg_lo:[0,1] neg_hi:[0,1]
	v_mov_b32_e32 v66, v83
	v_mov_b32_e32 v3, v86
	v_pk_add_f32 v[102:103], v[82:83], v[2:3] neg_lo:[0,1] neg_hi:[0,1]
	v_mov_b32_e32 v82, v69
	v_mov_b32_e32 v83, v86
	;; [unrolled: 1-line block ×3, first 2 shown]
	v_pk_add_f32 v[66:67], v[66:67], v[82:83] neg_lo:[0,1] neg_hi:[0,1]
	v_mov_b32_e32 v81, v68
	v_pk_add_f32 v[66:67], v[80:81], v[66:67] neg_lo:[0,1] neg_hi:[0,1]
	v_mov_b32_e32 v102, v84
	v_pk_add_f32 v[68:69], v[102:103], v[66:67]
	v_cmp_eq_f32_e64 s[18:19], s22, v53
	v_mov_b32_e32 v80, v69
	v_pk_add_f32 v[80:81], v[68:69], v[80:81]
	s_mov_b32 s22, 0x33800000
	v_pk_add_f32 v[70:71], v[70:71], v[80:81]
	v_mov_b32_e32 v67, v80
	v_mov_b32_e32 v69, v70
	v_pk_add_f32 v[82:83], v[68:69], v[84:85] neg_lo:[0,1] neg_hi:[0,1]
	v_cmp_lt_f32_e64 s[22:23], |v53|, s22
	v_sub_f32_e32 v3, v68, v82
	v_pk_add_f32 v[66:67], v[66:67], v[82:83] neg_lo:[0,1] neg_hi:[0,1]
	v_sub_f32_e32 v3, v84, v3
	v_add_f32_e32 v3, v66, v3
	v_add_f32_e32 v3, v3, v67
	;; [unrolled: 1-line block ×3, first 2 shown]
	s_or_b64 s[18:19], s[18:19], s[22:23]
	v_cndmask_b32_e64 v3, v3, v53, s[18:19]
	v_add_f32_e32 v53, v2, v3
.LBB93_286:
	s_or_b64 exec, exec, s[20:21]
	v_max_f32_e32 v65, v33, v33
	v_max_f32_e32 v2, v53, v53
	v_min_f32_e32 v3, v2, v65
	v_cmp_u_f32_e64 s[20:21], v53, v53
	v_max_f32_e32 v2, v2, v65
	v_cmp_u_f32_e64 s[18:19], v33, v33
	v_cndmask_b32_e64 v3, v3, v53, s[20:21]
	v_cndmask_b32_e64 v2, v2, v53, s[20:21]
	;; [unrolled: 1-line block ×4, first 2 shown]
	s_movk_i32 s24, 0x1f8
	v_cmp_neq_f32_e64 s[20:21], v3, v2
	v_cmp_class_f32_e64 s[22:23], v3, s24
	s_or_b64 s[20:21], s[20:21], s[22:23]
	s_and_saveexec_b64 s[22:23], s[20:21]
	s_cbranch_execz .LBB93_288
; %bb.287:
	v_sub_f32_e32 v3, v3, v2
	s_mov_b32 s20, 0x3fb8aa3b
	v_mul_f32_e32 v53, 0x3fb8aa3b, v3
	v_fma_f32 v66, v3, s20, -v53
	v_rndne_f32_e32 v67, v53
	v_fmamk_f32 v66, v3, 0x32a5705f, v66
	v_sub_f32_e32 v53, v53, v67
	v_add_f32_e32 v53, v53, v66
	v_exp_f32_e32 v53, v53
	v_cvt_i32_f32_e32 v66, v67
	s_mov_b32 s20, 0xc2ce8ed0
	v_cmp_ngt_f32_e64 s[20:21], s20, v3
	s_mov_b32 s25, 0x7f800000
	v_ldexp_f32 v53, v53, v66
	v_cndmask_b32_e64 v53, 0, v53, s[20:21]
	s_mov_b32 s20, 0x42b17218
	v_mov_b32_e32 v66, 0x7f800000
	v_cmp_nlt_f32_e64 s[20:21], s20, v3
	s_nop 1
	v_cndmask_b32_e64 v53, v66, v53, s[20:21]
	v_add_f32_e32 v3, 1.0, v53
	v_add_f32_e32 v66, -1.0, v3
	v_sub_f32_e32 v67, v66, v3
	v_add_f32_e32 v67, 1.0, v67
	v_sub_f32_e32 v66, v53, v66
	v_add_f32_e32 v68, v66, v67
	v_frexp_mant_f32_e32 v69, v3
	s_mov_b32 s20, 0x3f2aaaab
	v_cvt_f64_f32_e32 v[66:67], v3
	v_frexp_exp_i32_f64_e32 v66, v[66:67]
	v_cmp_gt_f32_e64 s[20:21], s20, v69
	s_nop 1
	v_subbrev_co_u32_e64 v82, s[20:21], 0, v66, s[20:21]
	v_sub_u32_e32 v66, 0, v82
	v_ldexp_f32 v3, v3, v66
	v_ldexp_f32 v66, v68, v66
	v_add_f32_e32 v68, -1.0, v3
	v_add_f32_e32 v67, 1.0, v68
	v_sub_f32_e32 v67, v3, v67
	v_add_f32_e32 v69, v66, v67
	v_add_f32_e32 v67, 1.0, v3
	v_add_f32_e32 v70, -1.0, v67
	v_sub_f32_e32 v3, v3, v70
	v_add_f32_e32 v3, v66, v3
	v_add_f32_e32 v83, v67, v3
	v_rcp_f32_e32 v84, v83
	v_sub_f32_e32 v66, v67, v83
	v_add_f32_e32 v67, v68, v69
	v_add_f32_e32 v3, v3, v66
	v_mul_f32_e32 v86, v67, v84
	v_sub_f32_e32 v66, v68, v67
	v_mul_f32_e32 v68, v83, v86
	v_fma_f32 v70, v86, v83, -v68
	v_fmac_f32_e32 v70, v86, v3
	v_add_f32_e32 v85, v69, v66
	v_add_f32_e32 v66, v68, v70
	v_sub_f32_e32 v69, v67, v66
	v_pk_add_f32 v[80:81], v[66:67], v[68:69] neg_lo:[0,1] neg_hi:[0,1]
	v_mov_b32_e32 v71, v66
	v_pk_add_f32 v[66:67], v[80:81], v[70:71] neg_lo:[0,1] neg_hi:[0,1]
	s_mov_b32 s20, 0x3f317218
	v_add_f32_e32 v67, v85, v67
	v_add_f32_e32 v66, v66, v67
	;; [unrolled: 1-line block ×3, first 2 shown]
	v_mul_f32_e32 v85, v84, v67
	v_mul_f32_e32 v68, v83, v85
	v_fma_f32 v70, v85, v83, -v68
	v_fmac_f32_e32 v70, v85, v3
	v_sub_f32_e32 v3, v69, v67
	v_add_f32_e32 v3, v66, v3
	v_add_f32_e32 v66, v68, v70
	v_sub_f32_e32 v69, v67, v66
	v_pk_add_f32 v[80:81], v[66:67], v[68:69] neg_lo:[0,1] neg_hi:[0,1]
	v_mov_b32_e32 v71, v66
	v_pk_add_f32 v[66:67], v[80:81], v[70:71] neg_lo:[0,1] neg_hi:[0,1]
	v_cvt_f32_i32_e32 v68, v82
	v_add_f32_e32 v3, v3, v67
	v_add_f32_e32 v3, v66, v3
	;; [unrolled: 1-line block ×4, first 2 shown]
	v_sub_f32_e32 v67, v66, v86
	v_mul_f32_e32 v3, v84, v3
	v_sub_f32_e32 v67, v85, v67
	v_add_f32_e32 v3, v67, v3
	v_add_f32_e32 v69, v66, v3
	v_mul_f32_e32 v70, v69, v69
	v_mov_b32_e32 v67, 0x3ecc95a3
	v_fmac_f32_e32 v67, 0x3e9b6dac, v70
	v_sub_f32_e32 v66, v69, v66
	v_fmaak_f32 v67, v70, v67, 0x3f2aaada
	v_sub_f32_e32 v3, v3, v66
	v_ldexp_f32 v71, v69, 1
	v_mul_f32_e32 v69, v69, v70
	v_mov_b32_e32 v66, 0x3f317218
	v_pk_mul_f32 v[66:67], v[68:69], v[66:67]
	v_ldexp_f32 v3, v3, 1
	v_fma_f32 v69, v68, s20, -v66
	v_fmamk_f32 v70, v68, 0xb102e308, v69
	v_pk_add_f32 v[68:69], v[66:67], v[70:71]
	v_mov_b32_e32 v80, v66
	v_sub_f32_e32 v71, v69, v71
	v_sub_f32_e32 v71, v67, v71
	v_add_f32_e32 v81, v3, v71
	v_pk_add_f32 v[66:67], v[68:69], v[66:67] neg_lo:[0,1] neg_hi:[0,1]
	v_pk_add_f32 v[82:83], v[68:69], v[80:81]
	v_mov_b32_e32 v71, v68
	v_mov_b32_e32 v67, v83
	v_pk_add_f32 v[84:85], v[70:71], v[66:67] neg_lo:[0,1] neg_hi:[0,1]
	v_pk_add_f32 v[66:67], v[70:71], v[66:67]
	v_mov_b32_e32 v80, v81
	v_mov_b32_e32 v70, v67
	v_pk_add_f32 v[86:87], v[70:71], v[68:69] neg_lo:[0,1] neg_hi:[0,1]
	v_mov_b32_e32 v66, v83
	v_mov_b32_e32 v3, v86
	v_pk_add_f32 v[102:103], v[82:83], v[2:3] neg_lo:[0,1] neg_hi:[0,1]
	v_mov_b32_e32 v82, v69
	v_mov_b32_e32 v83, v86
	;; [unrolled: 1-line block ×3, first 2 shown]
	v_pk_add_f32 v[66:67], v[66:67], v[82:83] neg_lo:[0,1] neg_hi:[0,1]
	v_mov_b32_e32 v81, v68
	v_pk_add_f32 v[66:67], v[80:81], v[66:67] neg_lo:[0,1] neg_hi:[0,1]
	v_mov_b32_e32 v102, v84
	v_pk_add_f32 v[68:69], v[102:103], v[66:67]
	v_cmp_eq_f32_e64 s[20:21], s25, v53
	v_mov_b32_e32 v80, v69
	v_pk_add_f32 v[80:81], v[68:69], v[80:81]
	s_mov_b32 s25, 0x33800000
	v_pk_add_f32 v[70:71], v[70:71], v[80:81]
	v_mov_b32_e32 v67, v80
	v_mov_b32_e32 v69, v70
	v_pk_add_f32 v[82:83], v[68:69], v[84:85] neg_lo:[0,1] neg_hi:[0,1]
	v_cmp_lt_f32_e64 s[26:27], |v53|, s25
	v_sub_f32_e32 v3, v68, v82
	v_pk_add_f32 v[66:67], v[66:67], v[82:83] neg_lo:[0,1] neg_hi:[0,1]
	v_sub_f32_e32 v3, v84, v3
	v_add_f32_e32 v3, v66, v3
	v_add_f32_e32 v3, v3, v67
	;; [unrolled: 1-line block ×3, first 2 shown]
	s_or_b64 s[20:21], s[20:21], s[26:27]
	v_cndmask_b32_e64 v3, v3, v53, s[20:21]
	v_add_f32_e32 v53, v2, v3
.LBB93_288:
	s_or_b64 exec, exec, s[22:23]
	v_max_f32_e32 v66, v34, v34
	v_max_f32_e32 v2, v53, v53
	v_min_f32_e32 v3, v2, v66
	v_cmp_u_f32_e64 s[22:23], v53, v53
	v_max_f32_e32 v2, v2, v66
	v_cmp_u_f32_e64 s[20:21], v34, v34
	v_cndmask_b32_e64 v3, v3, v53, s[22:23]
	v_cndmask_b32_e64 v2, v2, v53, s[22:23]
	;; [unrolled: 1-line block ×4, first 2 shown]
	v_cmp_neq_f32_e64 s[22:23], v3, v2
	v_cmp_class_f32_e64 s[24:25], v3, s24
	s_or_b64 s[22:23], s[22:23], s[24:25]
	s_and_saveexec_b64 s[24:25], s[22:23]
	s_cbranch_execz .LBB93_290
; %bb.289:
	v_sub_f32_e32 v3, v3, v2
	s_mov_b32 s22, 0x3fb8aa3b
	v_mul_f32_e32 v53, 0x3fb8aa3b, v3
	v_fma_f32 v67, v3, s22, -v53
	v_rndne_f32_e32 v68, v53
	v_fmamk_f32 v67, v3, 0x32a5705f, v67
	v_sub_f32_e32 v53, v53, v68
	v_add_f32_e32 v53, v53, v67
	v_exp_f32_e32 v53, v53
	v_cvt_i32_f32_e32 v67, v68
	s_mov_b32 s22, 0xc2ce8ed0
	v_cmp_ngt_f32_e64 s[22:23], s22, v3
	s_mov_b32 s26, 0x7f800000
	v_ldexp_f32 v53, v53, v67
	v_cndmask_b32_e64 v53, 0, v53, s[22:23]
	s_mov_b32 s22, 0x42b17218
	v_mov_b32_e32 v67, 0x7f800000
	v_cmp_nlt_f32_e64 s[22:23], s22, v3
	s_nop 1
	v_cndmask_b32_e64 v53, v67, v53, s[22:23]
	v_add_f32_e32 v3, 1.0, v53
	v_add_f32_e32 v67, -1.0, v3
	v_sub_f32_e32 v68, v67, v3
	v_add_f32_e32 v68, 1.0, v68
	v_sub_f32_e32 v67, v53, v67
	v_add_f32_e32 v67, v67, v68
	v_frexp_mant_f32_e32 v70, v3
	s_mov_b32 s22, 0x3f2aaaab
	v_cvt_f64_f32_e32 v[68:69], v3
	v_frexp_exp_i32_f64_e32 v68, v[68:69]
	v_cmp_gt_f32_e64 s[22:23], s22, v70
	s_nop 1
	v_subbrev_co_u32_e64 v84, s[22:23], 0, v68, s[22:23]
	v_sub_u32_e32 v68, 0, v84
	v_ldexp_f32 v3, v3, v68
	v_ldexp_f32 v67, v67, v68
	v_add_f32_e32 v68, -1.0, v3
	v_add_f32_e32 v69, 1.0, v68
	v_sub_f32_e32 v69, v3, v69
	v_add_f32_e32 v70, v67, v69
	v_add_f32_e32 v69, 1.0, v3
	v_add_f32_e32 v71, -1.0, v69
	v_sub_f32_e32 v3, v3, v71
	v_add_f32_e32 v3, v67, v3
	v_add_f32_e32 v67, v69, v3
	v_rcp_f32_e32 v85, v67
	v_sub_f32_e32 v69, v69, v67
	v_add_f32_e32 v3, v3, v69
	v_add_f32_e32 v69, v68, v70
	v_sub_f32_e32 v68, v68, v69
	v_mul_f32_e32 v87, v69, v85
	v_add_f32_e32 v86, v70, v68
	v_mul_f32_e32 v70, v67, v87
	v_fma_f32 v80, v87, v67, -v70
	v_fmac_f32_e32 v80, v87, v3
	v_add_f32_e32 v68, v70, v80
	v_sub_f32_e32 v71, v69, v68
	v_pk_add_f32 v[82:83], v[68:69], v[70:71] neg_lo:[0,1] neg_hi:[0,1]
	v_mov_b32_e32 v81, v68
	v_pk_add_f32 v[68:69], v[82:83], v[80:81] neg_lo:[0,1] neg_hi:[0,1]
	s_mov_b32 s22, 0x3f317218
	v_add_f32_e32 v69, v86, v69
	v_add_f32_e32 v68, v68, v69
	;; [unrolled: 1-line block ×3, first 2 shown]
	v_mul_f32_e32 v86, v85, v69
	v_mul_f32_e32 v70, v67, v86
	v_fma_f32 v80, v86, v67, -v70
	v_fmac_f32_e32 v80, v86, v3
	v_sub_f32_e32 v3, v71, v69
	v_add_f32_e32 v3, v68, v3
	v_add_f32_e32 v68, v70, v80
	v_sub_f32_e32 v71, v69, v68
	v_pk_add_f32 v[82:83], v[68:69], v[70:71] neg_lo:[0,1] neg_hi:[0,1]
	v_mov_b32_e32 v81, v68
	v_pk_add_f32 v[68:69], v[82:83], v[80:81] neg_lo:[0,1] neg_hi:[0,1]
	v_add_f32_e32 v67, v87, v86
	v_add_f32_e32 v3, v3, v69
	;; [unrolled: 1-line block ×4, first 2 shown]
	v_sub_f32_e32 v68, v67, v87
	v_mul_f32_e32 v3, v85, v3
	v_sub_f32_e32 v68, v86, v68
	v_add_f32_e32 v3, v68, v3
	v_add_f32_e32 v68, v67, v3
	v_cvt_f32_i32_e32 v70, v84
	v_mul_f32_e32 v71, v68, v68
	v_mov_b32_e32 v69, 0x3ecc95a3
	v_fmac_f32_e32 v69, 0x3e9b6dac, v71
	v_fmaak_f32 v69, v71, v69, 0x3f2aaada
	v_sub_f32_e32 v67, v68, v67
	v_ldexp_f32 v81, v68, 1
	v_mul_f32_e32 v71, v68, v71
	v_mov_b32_e32 v68, 0x3f317218
	v_pk_mul_f32 v[68:69], v[70:71], v[68:69]
	v_sub_f32_e32 v3, v3, v67
	v_fma_f32 v67, v70, s22, -v68
	v_fmamk_f32 v80, v70, 0xb102e308, v67
	v_pk_add_f32 v[70:71], v[68:69], v[80:81]
	v_ldexp_f32 v3, v3, 1
	v_sub_f32_e32 v67, v71, v81
	v_sub_f32_e32 v67, v69, v67
	v_add_f32_e32 v83, v3, v67
	v_mov_b32_e32 v82, v68
	v_pk_add_f32 v[68:69], v[70:71], v[68:69] neg_lo:[0,1] neg_hi:[0,1]
	v_pk_add_f32 v[84:85], v[70:71], v[82:83]
	v_mov_b32_e32 v81, v70
	v_mov_b32_e32 v69, v85
	v_pk_add_f32 v[86:87], v[80:81], v[68:69] neg_lo:[0,1] neg_hi:[0,1]
	v_pk_add_f32 v[68:69], v[80:81], v[68:69]
	v_mov_b32_e32 v82, v83
	v_mov_b32_e32 v80, v69
	v_pk_add_f32 v[102:103], v[80:81], v[70:71] neg_lo:[0,1] neg_hi:[0,1]
	v_mov_b32_e32 v68, v85
	v_mov_b32_e32 v3, v102
	v_pk_add_f32 v[112:113], v[84:85], v[2:3] neg_lo:[0,1] neg_hi:[0,1]
	v_mov_b32_e32 v84, v71
	v_mov_b32_e32 v85, v102
	;; [unrolled: 1-line block ×3, first 2 shown]
	v_pk_add_f32 v[68:69], v[68:69], v[84:85] neg_lo:[0,1] neg_hi:[0,1]
	v_mov_b32_e32 v83, v70
	v_pk_add_f32 v[68:69], v[82:83], v[68:69] neg_lo:[0,1] neg_hi:[0,1]
	v_mov_b32_e32 v112, v86
	v_pk_add_f32 v[70:71], v[112:113], v[68:69]
	v_cmp_eq_f32_e64 s[22:23], s26, v53
	v_mov_b32_e32 v82, v71
	v_pk_add_f32 v[82:83], v[70:71], v[82:83]
	s_mov_b32 s26, 0x33800000
	v_pk_add_f32 v[80:81], v[80:81], v[82:83]
	v_mov_b32_e32 v69, v82
	v_mov_b32_e32 v71, v80
	v_pk_add_f32 v[84:85], v[70:71], v[86:87] neg_lo:[0,1] neg_hi:[0,1]
	v_cmp_lt_f32_e64 s[26:27], |v53|, s26
	v_sub_f32_e32 v3, v70, v84
	v_pk_add_f32 v[68:69], v[68:69], v[84:85] neg_lo:[0,1] neg_hi:[0,1]
	v_sub_f32_e32 v3, v86, v3
	v_add_f32_e32 v3, v68, v3
	v_add_f32_e32 v3, v3, v69
	;; [unrolled: 1-line block ×3, first 2 shown]
	s_or_b64 s[22:23], s[22:23], s[26:27]
	v_cndmask_b32_e64 v3, v3, v53, s[22:23]
	v_add_f32_e32 v53, v2, v3
.LBB93_290:
	s_or_b64 exec, exec, s[24:25]
	v_max_f32_e32 v67, v35, v35
	v_max_f32_e32 v2, v53, v53
	v_min_f32_e32 v3, v2, v67
	v_cmp_u_f32_e64 s[24:25], v53, v53
	v_max_f32_e32 v2, v2, v67
	v_cmp_u_f32_e64 s[22:23], v35, v35
	v_cndmask_b32_e64 v3, v3, v53, s[24:25]
	v_cndmask_b32_e64 v2, v2, v53, s[24:25]
	;; [unrolled: 1-line block ×4, first 2 shown]
	s_movk_i32 s28, 0x1f8
	v_cmp_neq_f32_e64 s[24:25], v3, v2
	v_cmp_class_f32_e64 s[26:27], v3, s28
	s_or_b64 s[24:25], s[24:25], s[26:27]
	s_and_saveexec_b64 s[26:27], s[24:25]
	s_cbranch_execz .LBB93_292
; %bb.291:
	v_sub_f32_e32 v3, v3, v2
	s_mov_b32 s24, 0x3fb8aa3b
	v_mul_f32_e32 v53, 0x3fb8aa3b, v3
	v_fma_f32 v68, v3, s24, -v53
	v_rndne_f32_e32 v69, v53
	v_fmamk_f32 v68, v3, 0x32a5705f, v68
	v_sub_f32_e32 v53, v53, v69
	v_add_f32_e32 v53, v53, v68
	v_exp_f32_e32 v53, v53
	v_cvt_i32_f32_e32 v68, v69
	s_mov_b32 s24, 0xc2ce8ed0
	v_cmp_ngt_f32_e64 s[24:25], s24, v3
	s_mov_b32 s29, 0x7f800000
	v_ldexp_f32 v53, v53, v68
	v_cndmask_b32_e64 v53, 0, v53, s[24:25]
	s_mov_b32 s24, 0x42b17218
	v_mov_b32_e32 v68, 0x7f800000
	v_cmp_nlt_f32_e64 s[24:25], s24, v3
	s_nop 1
	v_cndmask_b32_e64 v53, v68, v53, s[24:25]
	v_add_f32_e32 v3, 1.0, v53
	v_add_f32_e32 v68, -1.0, v3
	v_sub_f32_e32 v69, v68, v3
	v_add_f32_e32 v69, 1.0, v69
	v_sub_f32_e32 v68, v53, v68
	v_add_f32_e32 v70, v68, v69
	v_frexp_mant_f32_e32 v71, v3
	s_mov_b32 s24, 0x3f2aaaab
	v_cvt_f64_f32_e32 v[68:69], v3
	v_frexp_exp_i32_f64_e32 v68, v[68:69]
	v_cmp_gt_f32_e64 s[24:25], s24, v71
	s_nop 1
	v_subbrev_co_u32_e64 v84, s[24:25], 0, v68, s[24:25]
	v_sub_u32_e32 v68, 0, v84
	v_ldexp_f32 v3, v3, v68
	v_ldexp_f32 v68, v70, v68
	v_add_f32_e32 v70, -1.0, v3
	v_add_f32_e32 v69, 1.0, v70
	v_sub_f32_e32 v69, v3, v69
	v_add_f32_e32 v71, v68, v69
	v_add_f32_e32 v69, 1.0, v3
	v_add_f32_e32 v80, -1.0, v69
	v_sub_f32_e32 v3, v3, v80
	v_add_f32_e32 v3, v68, v3
	v_add_f32_e32 v85, v69, v3
	v_rcp_f32_e32 v86, v85
	v_sub_f32_e32 v68, v69, v85
	v_add_f32_e32 v69, v70, v71
	v_add_f32_e32 v3, v3, v68
	v_mul_f32_e32 v101, v69, v86
	v_sub_f32_e32 v68, v70, v69
	v_mul_f32_e32 v70, v85, v101
	v_fma_f32 v80, v101, v85, -v70
	v_fmac_f32_e32 v80, v101, v3
	v_add_f32_e32 v87, v71, v68
	v_add_f32_e32 v68, v70, v80
	v_sub_f32_e32 v71, v69, v68
	v_pk_add_f32 v[82:83], v[68:69], v[70:71] neg_lo:[0,1] neg_hi:[0,1]
	v_mov_b32_e32 v81, v68
	v_pk_add_f32 v[68:69], v[82:83], v[80:81] neg_lo:[0,1] neg_hi:[0,1]
	s_mov_b32 s24, 0x3f317218
	v_add_f32_e32 v69, v87, v69
	v_add_f32_e32 v68, v68, v69
	;; [unrolled: 1-line block ×3, first 2 shown]
	v_mul_f32_e32 v87, v86, v69
	v_mul_f32_e32 v70, v85, v87
	v_fma_f32 v80, v87, v85, -v70
	v_fmac_f32_e32 v80, v87, v3
	v_sub_f32_e32 v3, v71, v69
	v_add_f32_e32 v3, v68, v3
	v_add_f32_e32 v68, v70, v80
	v_sub_f32_e32 v71, v69, v68
	v_pk_add_f32 v[82:83], v[68:69], v[70:71] neg_lo:[0,1] neg_hi:[0,1]
	v_mov_b32_e32 v81, v68
	v_pk_add_f32 v[68:69], v[82:83], v[80:81] neg_lo:[0,1] neg_hi:[0,1]
	v_cvt_f32_i32_e32 v70, v84
	v_add_f32_e32 v3, v3, v69
	v_add_f32_e32 v3, v68, v3
	;; [unrolled: 1-line block ×4, first 2 shown]
	v_sub_f32_e32 v69, v68, v101
	v_mul_f32_e32 v3, v86, v3
	v_sub_f32_e32 v69, v87, v69
	v_add_f32_e32 v3, v69, v3
	v_add_f32_e32 v71, v68, v3
	v_mul_f32_e32 v80, v71, v71
	v_mov_b32_e32 v69, 0x3ecc95a3
	v_fmac_f32_e32 v69, 0x3e9b6dac, v80
	v_sub_f32_e32 v68, v71, v68
	v_fmaak_f32 v69, v80, v69, 0x3f2aaada
	v_sub_f32_e32 v3, v3, v68
	v_ldexp_f32 v81, v71, 1
	v_mul_f32_e32 v71, v71, v80
	v_mov_b32_e32 v68, 0x3f317218
	v_pk_mul_f32 v[68:69], v[70:71], v[68:69]
	v_ldexp_f32 v3, v3, 1
	v_fma_f32 v71, v70, s24, -v68
	v_fmamk_f32 v80, v70, 0xb102e308, v71
	v_pk_add_f32 v[70:71], v[68:69], v[80:81]
	v_mov_b32_e32 v82, v68
	v_sub_f32_e32 v81, v71, v81
	v_sub_f32_e32 v81, v69, v81
	v_add_f32_e32 v83, v3, v81
	v_pk_add_f32 v[68:69], v[70:71], v[68:69] neg_lo:[0,1] neg_hi:[0,1]
	v_pk_add_f32 v[84:85], v[70:71], v[82:83]
	v_mov_b32_e32 v81, v70
	v_mov_b32_e32 v69, v85
	v_pk_add_f32 v[86:87], v[80:81], v[68:69] neg_lo:[0,1] neg_hi:[0,1]
	v_pk_add_f32 v[68:69], v[80:81], v[68:69]
	v_mov_b32_e32 v82, v83
	v_mov_b32_e32 v80, v69
	v_pk_add_f32 v[102:103], v[80:81], v[70:71] neg_lo:[0,1] neg_hi:[0,1]
	v_mov_b32_e32 v68, v85
	v_mov_b32_e32 v3, v102
	v_pk_add_f32 v[112:113], v[84:85], v[2:3] neg_lo:[0,1] neg_hi:[0,1]
	v_mov_b32_e32 v84, v71
	v_mov_b32_e32 v85, v102
	;; [unrolled: 1-line block ×3, first 2 shown]
	v_pk_add_f32 v[68:69], v[68:69], v[84:85] neg_lo:[0,1] neg_hi:[0,1]
	v_mov_b32_e32 v83, v70
	v_pk_add_f32 v[68:69], v[82:83], v[68:69] neg_lo:[0,1] neg_hi:[0,1]
	v_mov_b32_e32 v112, v86
	v_pk_add_f32 v[70:71], v[112:113], v[68:69]
	v_cmp_eq_f32_e64 s[24:25], s29, v53
	v_mov_b32_e32 v82, v71
	v_pk_add_f32 v[82:83], v[70:71], v[82:83]
	s_mov_b32 s29, 0x33800000
	v_pk_add_f32 v[80:81], v[80:81], v[82:83]
	v_mov_b32_e32 v69, v82
	v_mov_b32_e32 v71, v80
	v_pk_add_f32 v[84:85], v[70:71], v[86:87] neg_lo:[0,1] neg_hi:[0,1]
	v_cmp_lt_f32_e64 s[30:31], |v53|, s29
	v_sub_f32_e32 v3, v70, v84
	v_pk_add_f32 v[68:69], v[68:69], v[84:85] neg_lo:[0,1] neg_hi:[0,1]
	v_sub_f32_e32 v3, v86, v3
	v_add_f32_e32 v3, v68, v3
	v_add_f32_e32 v3, v3, v69
	;; [unrolled: 1-line block ×3, first 2 shown]
	s_or_b64 s[24:25], s[24:25], s[30:31]
	v_cndmask_b32_e64 v3, v3, v53, s[24:25]
	v_add_f32_e32 v53, v2, v3
.LBB93_292:
	s_or_b64 exec, exec, s[26:27]
	v_max_f32_e32 v68, v28, v28
	v_max_f32_e32 v2, v53, v53
	v_min_f32_e32 v3, v2, v68
	v_cmp_u_f32_e64 s[26:27], v53, v53
	v_max_f32_e32 v2, v2, v68
	v_cmp_u_f32_e64 s[24:25], v28, v28
	v_cndmask_b32_e64 v3, v3, v53, s[26:27]
	v_cndmask_b32_e64 v2, v2, v53, s[26:27]
	;; [unrolled: 1-line block ×4, first 2 shown]
	v_cmp_neq_f32_e64 s[26:27], v3, v2
	v_cmp_class_f32_e64 s[28:29], v3, s28
	s_or_b64 s[26:27], s[26:27], s[28:29]
	s_and_saveexec_b64 s[28:29], s[26:27]
	s_cbranch_execz .LBB93_294
; %bb.293:
	v_sub_f32_e32 v3, v3, v2
	s_mov_b32 s26, 0x3fb8aa3b
	v_mul_f32_e32 v53, 0x3fb8aa3b, v3
	v_fma_f32 v69, v3, s26, -v53
	v_rndne_f32_e32 v70, v53
	v_fmamk_f32 v69, v3, 0x32a5705f, v69
	v_sub_f32_e32 v53, v53, v70
	v_add_f32_e32 v53, v53, v69
	v_exp_f32_e32 v53, v53
	v_cvt_i32_f32_e32 v69, v70
	s_mov_b32 s26, 0xc2ce8ed0
	v_cmp_ngt_f32_e64 s[26:27], s26, v3
	s_mov_b32 s30, 0x7f800000
	v_ldexp_f32 v53, v53, v69
	v_cndmask_b32_e64 v53, 0, v53, s[26:27]
	s_mov_b32 s26, 0x42b17218
	v_mov_b32_e32 v69, 0x7f800000
	v_cmp_nlt_f32_e64 s[26:27], s26, v3
	s_nop 1
	v_cndmask_b32_e64 v53, v69, v53, s[26:27]
	v_add_f32_e32 v3, 1.0, v53
	v_add_f32_e32 v69, -1.0, v3
	v_sub_f32_e32 v70, v69, v3
	v_add_f32_e32 v70, 1.0, v70
	v_sub_f32_e32 v69, v53, v69
	v_add_f32_e32 v69, v69, v70
	v_frexp_mant_f32_e32 v80, v3
	s_mov_b32 s26, 0x3f2aaaab
	v_cvt_f64_f32_e32 v[70:71], v3
	v_frexp_exp_i32_f64_e32 v70, v[70:71]
	v_cmp_gt_f32_e64 s[26:27], s26, v80
	s_nop 1
	v_subbrev_co_u32_e64 v86, s[26:27], 0, v70, s[26:27]
	v_sub_u32_e32 v70, 0, v86
	v_ldexp_f32 v3, v3, v70
	v_ldexp_f32 v69, v69, v70
	v_add_f32_e32 v70, -1.0, v3
	v_add_f32_e32 v71, 1.0, v70
	v_sub_f32_e32 v71, v3, v71
	v_add_f32_e32 v80, v69, v71
	v_add_f32_e32 v71, 1.0, v3
	v_add_f32_e32 v81, -1.0, v71
	v_sub_f32_e32 v3, v3, v81
	v_add_f32_e32 v3, v69, v3
	v_add_f32_e32 v69, v71, v3
	v_rcp_f32_e32 v87, v69
	v_sub_f32_e32 v71, v71, v69
	v_add_f32_e32 v3, v3, v71
	v_add_f32_e32 v71, v70, v80
	v_sub_f32_e32 v70, v70, v71
	v_mul_f32_e32 v102, v71, v87
	v_add_f32_e32 v101, v80, v70
	v_mul_f32_e32 v80, v69, v102
	v_fma_f32 v82, v102, v69, -v80
	v_fmac_f32_e32 v82, v102, v3
	v_add_f32_e32 v70, v80, v82
	v_sub_f32_e32 v81, v71, v70
	v_pk_add_f32 v[84:85], v[70:71], v[80:81] neg_lo:[0,1] neg_hi:[0,1]
	v_mov_b32_e32 v83, v70
	v_pk_add_f32 v[70:71], v[84:85], v[82:83] neg_lo:[0,1] neg_hi:[0,1]
	s_mov_b32 s26, 0x3f317218
	v_add_f32_e32 v71, v101, v71
	v_add_f32_e32 v70, v70, v71
	;; [unrolled: 1-line block ×3, first 2 shown]
	v_mul_f32_e32 v101, v87, v71
	v_mul_f32_e32 v80, v69, v101
	v_fma_f32 v82, v101, v69, -v80
	v_fmac_f32_e32 v82, v101, v3
	v_sub_f32_e32 v3, v81, v71
	v_add_f32_e32 v3, v70, v3
	v_add_f32_e32 v70, v80, v82
	v_sub_f32_e32 v81, v71, v70
	v_pk_add_f32 v[84:85], v[70:71], v[80:81] neg_lo:[0,1] neg_hi:[0,1]
	v_mov_b32_e32 v83, v70
	v_pk_add_f32 v[70:71], v[84:85], v[82:83] neg_lo:[0,1] neg_hi:[0,1]
	v_add_f32_e32 v69, v102, v101
	v_add_f32_e32 v3, v3, v71
	;; [unrolled: 1-line block ×4, first 2 shown]
	v_sub_f32_e32 v70, v69, v102
	v_mul_f32_e32 v3, v87, v3
	v_sub_f32_e32 v70, v101, v70
	v_add_f32_e32 v3, v70, v3
	v_add_f32_e32 v70, v69, v3
	v_cvt_f32_i32_e32 v80, v86
	v_mul_f32_e32 v81, v70, v70
	v_mov_b32_e32 v71, 0x3ecc95a3
	v_fmac_f32_e32 v71, 0x3e9b6dac, v81
	v_fmaak_f32 v71, v81, v71, 0x3f2aaada
	v_sub_f32_e32 v69, v70, v69
	v_ldexp_f32 v83, v70, 1
	v_mul_f32_e32 v81, v70, v81
	v_mov_b32_e32 v70, 0x3f317218
	v_pk_mul_f32 v[70:71], v[80:81], v[70:71]
	v_sub_f32_e32 v3, v3, v69
	v_fma_f32 v69, v80, s26, -v70
	v_fmamk_f32 v82, v80, 0xb102e308, v69
	v_pk_add_f32 v[80:81], v[70:71], v[82:83]
	v_ldexp_f32 v3, v3, 1
	v_sub_f32_e32 v69, v81, v83
	v_sub_f32_e32 v69, v71, v69
	v_add_f32_e32 v85, v3, v69
	v_mov_b32_e32 v84, v70
	v_pk_add_f32 v[70:71], v[80:81], v[70:71] neg_lo:[0,1] neg_hi:[0,1]
	v_pk_add_f32 v[86:87], v[80:81], v[84:85]
	v_mov_b32_e32 v83, v80
	v_mov_b32_e32 v71, v87
	v_pk_add_f32 v[102:103], v[82:83], v[70:71] neg_lo:[0,1] neg_hi:[0,1]
	v_pk_add_f32 v[70:71], v[82:83], v[70:71]
	v_mov_b32_e32 v84, v85
	v_mov_b32_e32 v82, v71
	v_pk_add_f32 v[112:113], v[82:83], v[80:81] neg_lo:[0,1] neg_hi:[0,1]
	v_mov_b32_e32 v70, v87
	v_mov_b32_e32 v3, v112
	v_pk_add_f32 v[114:115], v[86:87], v[2:3] neg_lo:[0,1] neg_hi:[0,1]
	v_mov_b32_e32 v86, v81
	v_mov_b32_e32 v87, v112
	;; [unrolled: 1-line block ×3, first 2 shown]
	v_pk_add_f32 v[70:71], v[70:71], v[86:87] neg_lo:[0,1] neg_hi:[0,1]
	v_mov_b32_e32 v85, v80
	v_pk_add_f32 v[70:71], v[84:85], v[70:71] neg_lo:[0,1] neg_hi:[0,1]
	v_mov_b32_e32 v114, v102
	v_pk_add_f32 v[80:81], v[114:115], v[70:71]
	v_cmp_eq_f32_e64 s[26:27], s30, v53
	v_mov_b32_e32 v84, v81
	v_pk_add_f32 v[84:85], v[80:81], v[84:85]
	s_mov_b32 s30, 0x33800000
	v_pk_add_f32 v[82:83], v[82:83], v[84:85]
	v_mov_b32_e32 v71, v84
	v_mov_b32_e32 v81, v82
	v_pk_add_f32 v[86:87], v[80:81], v[102:103] neg_lo:[0,1] neg_hi:[0,1]
	v_cmp_lt_f32_e64 s[30:31], |v53|, s30
	v_sub_f32_e32 v3, v80, v86
	v_pk_add_f32 v[70:71], v[70:71], v[86:87] neg_lo:[0,1] neg_hi:[0,1]
	v_sub_f32_e32 v3, v102, v3
	v_add_f32_e32 v3, v70, v3
	v_add_f32_e32 v3, v3, v71
	;; [unrolled: 1-line block ×3, first 2 shown]
	s_or_b64 s[26:27], s[26:27], s[30:31]
	v_cndmask_b32_e64 v3, v3, v53, s[26:27]
	v_add_f32_e32 v53, v2, v3
.LBB93_294:
	s_or_b64 exec, exec, s[28:29]
	v_max_f32_e32 v69, v29, v29
	v_max_f32_e32 v2, v53, v53
	v_min_f32_e32 v3, v2, v69
	v_cmp_u_f32_e64 s[28:29], v53, v53
	v_max_f32_e32 v2, v2, v69
	v_cmp_u_f32_e64 s[26:27], v29, v29
	v_cndmask_b32_e64 v3, v3, v53, s[28:29]
	v_cndmask_b32_e64 v2, v2, v53, s[28:29]
	;; [unrolled: 1-line block ×4, first 2 shown]
	s_movk_i32 s34, 0x1f8
	v_cmp_neq_f32_e64 s[28:29], v3, v2
	v_cmp_class_f32_e64 s[30:31], v3, s34
	s_or_b64 s[28:29], s[28:29], s[30:31]
	s_and_saveexec_b64 s[30:31], s[28:29]
	s_cbranch_execz .LBB93_296
; %bb.295:
	v_sub_f32_e32 v3, v3, v2
	s_mov_b32 s28, 0x3fb8aa3b
	v_mul_f32_e32 v53, 0x3fb8aa3b, v3
	v_fma_f32 v70, v3, s28, -v53
	v_rndne_f32_e32 v71, v53
	v_fmamk_f32 v70, v3, 0x32a5705f, v70
	v_sub_f32_e32 v53, v53, v71
	v_add_f32_e32 v53, v53, v70
	v_exp_f32_e32 v53, v53
	v_cvt_i32_f32_e32 v70, v71
	s_mov_b32 s28, 0xc2ce8ed0
	v_cmp_ngt_f32_e64 s[28:29], s28, v3
	s_mov_b32 s35, 0x7f800000
	v_ldexp_f32 v53, v53, v70
	v_cndmask_b32_e64 v53, 0, v53, s[28:29]
	s_mov_b32 s28, 0x42b17218
	v_mov_b32_e32 v70, 0x7f800000
	v_cmp_nlt_f32_e64 s[28:29], s28, v3
	s_nop 1
	v_cndmask_b32_e64 v53, v70, v53, s[28:29]
	v_add_f32_e32 v3, 1.0, v53
	v_add_f32_e32 v70, -1.0, v3
	v_sub_f32_e32 v71, v70, v3
	v_add_f32_e32 v71, 1.0, v71
	v_sub_f32_e32 v70, v53, v70
	v_add_f32_e32 v80, v70, v71
	v_frexp_mant_f32_e32 v81, v3
	s_mov_b32 s28, 0x3f2aaaab
	v_cvt_f64_f32_e32 v[70:71], v3
	v_frexp_exp_i32_f64_e32 v70, v[70:71]
	v_cmp_gt_f32_e64 s[28:29], s28, v81
	s_nop 1
	v_subbrev_co_u32_e64 v86, s[28:29], 0, v70, s[28:29]
	v_sub_u32_e32 v70, 0, v86
	v_ldexp_f32 v3, v3, v70
	v_ldexp_f32 v70, v80, v70
	v_add_f32_e32 v80, -1.0, v3
	v_add_f32_e32 v71, 1.0, v80
	v_sub_f32_e32 v71, v3, v71
	v_add_f32_e32 v81, v70, v71
	v_add_f32_e32 v71, 1.0, v3
	v_add_f32_e32 v82, -1.0, v71
	v_sub_f32_e32 v3, v3, v82
	v_add_f32_e32 v3, v70, v3
	v_add_f32_e32 v87, v71, v3
	v_rcp_f32_e32 v101, v87
	v_sub_f32_e32 v70, v71, v87
	v_add_f32_e32 v71, v80, v81
	v_add_f32_e32 v3, v3, v70
	v_mul_f32_e32 v103, v71, v101
	v_sub_f32_e32 v70, v80, v71
	v_mul_f32_e32 v80, v87, v103
	v_fma_f32 v82, v103, v87, -v80
	v_fmac_f32_e32 v82, v103, v3
	v_add_f32_e32 v102, v81, v70
	v_add_f32_e32 v70, v80, v82
	v_sub_f32_e32 v81, v71, v70
	v_pk_add_f32 v[84:85], v[70:71], v[80:81] neg_lo:[0,1] neg_hi:[0,1]
	v_mov_b32_e32 v83, v70
	v_pk_add_f32 v[70:71], v[84:85], v[82:83] neg_lo:[0,1] neg_hi:[0,1]
	s_mov_b32 s28, 0x3f317218
	v_add_f32_e32 v71, v102, v71
	v_add_f32_e32 v70, v70, v71
	;; [unrolled: 1-line block ×3, first 2 shown]
	v_mul_f32_e32 v102, v101, v71
	v_mul_f32_e32 v80, v87, v102
	v_fma_f32 v82, v102, v87, -v80
	v_fmac_f32_e32 v82, v102, v3
	v_sub_f32_e32 v3, v81, v71
	v_add_f32_e32 v3, v70, v3
	v_add_f32_e32 v70, v80, v82
	v_sub_f32_e32 v81, v71, v70
	v_pk_add_f32 v[84:85], v[70:71], v[80:81] neg_lo:[0,1] neg_hi:[0,1]
	v_mov_b32_e32 v83, v70
	v_pk_add_f32 v[70:71], v[84:85], v[82:83] neg_lo:[0,1] neg_hi:[0,1]
	v_cvt_f32_i32_e32 v80, v86
	v_add_f32_e32 v3, v3, v71
	v_add_f32_e32 v3, v70, v3
	;; [unrolled: 1-line block ×4, first 2 shown]
	v_sub_f32_e32 v71, v70, v103
	v_mul_f32_e32 v3, v101, v3
	v_sub_f32_e32 v71, v102, v71
	v_add_f32_e32 v3, v71, v3
	v_add_f32_e32 v81, v70, v3
	v_mul_f32_e32 v82, v81, v81
	v_mov_b32_e32 v71, 0x3ecc95a3
	v_fmac_f32_e32 v71, 0x3e9b6dac, v82
	v_sub_f32_e32 v70, v81, v70
	v_fmaak_f32 v71, v82, v71, 0x3f2aaada
	v_sub_f32_e32 v3, v3, v70
	v_ldexp_f32 v83, v81, 1
	v_mul_f32_e32 v81, v81, v82
	v_mov_b32_e32 v70, 0x3f317218
	v_pk_mul_f32 v[70:71], v[80:81], v[70:71]
	v_ldexp_f32 v3, v3, 1
	v_fma_f32 v81, v80, s28, -v70
	v_fmamk_f32 v82, v80, 0xb102e308, v81
	v_pk_add_f32 v[80:81], v[70:71], v[82:83]
	v_mov_b32_e32 v84, v70
	v_sub_f32_e32 v83, v81, v83
	v_sub_f32_e32 v83, v71, v83
	v_add_f32_e32 v85, v3, v83
	v_pk_add_f32 v[70:71], v[80:81], v[70:71] neg_lo:[0,1] neg_hi:[0,1]
	v_pk_add_f32 v[86:87], v[80:81], v[84:85]
	v_mov_b32_e32 v83, v80
	v_mov_b32_e32 v71, v87
	v_pk_add_f32 v[102:103], v[82:83], v[70:71] neg_lo:[0,1] neg_hi:[0,1]
	v_pk_add_f32 v[70:71], v[82:83], v[70:71]
	v_mov_b32_e32 v84, v85
	v_mov_b32_e32 v82, v71
	v_pk_add_f32 v[112:113], v[82:83], v[80:81] neg_lo:[0,1] neg_hi:[0,1]
	v_mov_b32_e32 v70, v87
	v_mov_b32_e32 v3, v112
	v_pk_add_f32 v[114:115], v[86:87], v[2:3] neg_lo:[0,1] neg_hi:[0,1]
	v_mov_b32_e32 v86, v81
	v_mov_b32_e32 v87, v112
	;; [unrolled: 1-line block ×3, first 2 shown]
	v_pk_add_f32 v[70:71], v[70:71], v[86:87] neg_lo:[0,1] neg_hi:[0,1]
	v_mov_b32_e32 v85, v80
	v_pk_add_f32 v[70:71], v[84:85], v[70:71] neg_lo:[0,1] neg_hi:[0,1]
	v_mov_b32_e32 v114, v102
	v_pk_add_f32 v[80:81], v[114:115], v[70:71]
	v_cmp_eq_f32_e64 s[28:29], s35, v53
	v_mov_b32_e32 v84, v81
	v_pk_add_f32 v[84:85], v[80:81], v[84:85]
	s_mov_b32 s35, 0x33800000
	v_pk_add_f32 v[82:83], v[82:83], v[84:85]
	v_mov_b32_e32 v71, v84
	v_mov_b32_e32 v81, v82
	v_pk_add_f32 v[86:87], v[80:81], v[102:103] neg_lo:[0,1] neg_hi:[0,1]
	v_cmp_lt_f32_e64 s[36:37], |v53|, s35
	v_sub_f32_e32 v3, v80, v86
	v_pk_add_f32 v[70:71], v[70:71], v[86:87] neg_lo:[0,1] neg_hi:[0,1]
	v_sub_f32_e32 v3, v102, v3
	v_add_f32_e32 v3, v70, v3
	v_add_f32_e32 v3, v3, v71
	;; [unrolled: 1-line block ×3, first 2 shown]
	s_or_b64 s[28:29], s[28:29], s[36:37]
	v_cndmask_b32_e64 v3, v3, v53, s[28:29]
	v_add_f32_e32 v53, v2, v3
.LBB93_296:
	s_or_b64 exec, exec, s[30:31]
	v_max_f32_e32 v70, v30, v30
	v_max_f32_e32 v2, v53, v53
	v_min_f32_e32 v3, v2, v70
	v_cmp_u_f32_e64 s[30:31], v53, v53
	v_max_f32_e32 v2, v2, v70
	v_cmp_u_f32_e64 s[28:29], v30, v30
	v_cndmask_b32_e64 v3, v3, v53, s[30:31]
	v_cndmask_b32_e64 v2, v2, v53, s[30:31]
	;; [unrolled: 1-line block ×4, first 2 shown]
	v_cmp_neq_f32_e64 s[30:31], v3, v2
	v_cmp_class_f32_e64 s[34:35], v3, s34
	s_or_b64 s[30:31], s[30:31], s[34:35]
	s_and_saveexec_b64 s[34:35], s[30:31]
	s_cbranch_execz .LBB93_298
; %bb.297:
	v_sub_f32_e32 v3, v3, v2
	s_mov_b32 s30, 0x3fb8aa3b
	v_mul_f32_e32 v53, 0x3fb8aa3b, v3
	v_fma_f32 v71, v3, s30, -v53
	v_rndne_f32_e32 v80, v53
	v_fmamk_f32 v71, v3, 0x32a5705f, v71
	v_sub_f32_e32 v53, v53, v80
	v_add_f32_e32 v53, v53, v71
	v_exp_f32_e32 v53, v53
	v_cvt_i32_f32_e32 v71, v80
	s_mov_b32 s30, 0xc2ce8ed0
	v_cmp_ngt_f32_e64 s[30:31], s30, v3
	s_mov_b32 s36, 0x7f800000
	v_ldexp_f32 v53, v53, v71
	v_cndmask_b32_e64 v53, 0, v53, s[30:31]
	s_mov_b32 s30, 0x42b17218
	v_mov_b32_e32 v71, 0x7f800000
	v_cmp_nlt_f32_e64 s[30:31], s30, v3
	s_nop 1
	v_cndmask_b32_e64 v53, v71, v53, s[30:31]
	v_add_f32_e32 v3, 1.0, v53
	v_add_f32_e32 v71, -1.0, v3
	v_sub_f32_e32 v80, v71, v3
	v_add_f32_e32 v80, 1.0, v80
	v_sub_f32_e32 v71, v53, v71
	v_add_f32_e32 v71, v71, v80
	v_frexp_mant_f32_e32 v82, v3
	s_mov_b32 s30, 0x3f2aaaab
	v_cvt_f64_f32_e32 v[80:81], v3
	v_frexp_exp_i32_f64_e32 v80, v[80:81]
	v_cmp_gt_f32_e64 s[30:31], s30, v82
	s_nop 1
	v_subbrev_co_u32_e64 v101, s[30:31], 0, v80, s[30:31]
	v_sub_u32_e32 v80, 0, v101
	v_ldexp_f32 v3, v3, v80
	v_ldexp_f32 v71, v71, v80
	v_add_f32_e32 v80, -1.0, v3
	v_add_f32_e32 v81, 1.0, v80
	v_sub_f32_e32 v81, v3, v81
	v_add_f32_e32 v82, v71, v81
	v_add_f32_e32 v81, 1.0, v3
	v_add_f32_e32 v83, -1.0, v81
	v_sub_f32_e32 v3, v3, v83
	v_add_f32_e32 v3, v71, v3
	v_add_f32_e32 v71, v81, v3
	v_rcp_f32_e32 v102, v71
	v_sub_f32_e32 v81, v81, v71
	v_add_f32_e32 v3, v3, v81
	v_add_f32_e32 v81, v80, v82
	v_sub_f32_e32 v80, v80, v81
	v_mul_f32_e32 v112, v81, v102
	v_add_f32_e32 v103, v82, v80
	v_mul_f32_e32 v82, v71, v112
	v_fma_f32 v84, v112, v71, -v82
	v_fmac_f32_e32 v84, v112, v3
	v_add_f32_e32 v80, v82, v84
	v_sub_f32_e32 v83, v81, v80
	v_pk_add_f32 v[86:87], v[80:81], v[82:83] neg_lo:[0,1] neg_hi:[0,1]
	v_mov_b32_e32 v85, v80
	v_pk_add_f32 v[80:81], v[86:87], v[84:85] neg_lo:[0,1] neg_hi:[0,1]
	s_mov_b32 s30, 0x3f317218
	v_add_f32_e32 v81, v103, v81
	v_add_f32_e32 v80, v80, v81
	;; [unrolled: 1-line block ×3, first 2 shown]
	v_mul_f32_e32 v103, v102, v81
	v_mul_f32_e32 v82, v71, v103
	v_fma_f32 v84, v103, v71, -v82
	v_fmac_f32_e32 v84, v103, v3
	v_sub_f32_e32 v3, v83, v81
	v_add_f32_e32 v3, v80, v3
	v_add_f32_e32 v80, v82, v84
	v_sub_f32_e32 v83, v81, v80
	v_pk_add_f32 v[86:87], v[80:81], v[82:83] neg_lo:[0,1] neg_hi:[0,1]
	v_mov_b32_e32 v85, v80
	v_pk_add_f32 v[80:81], v[86:87], v[84:85] neg_lo:[0,1] neg_hi:[0,1]
	v_add_f32_e32 v71, v112, v103
	v_add_f32_e32 v3, v3, v81
	;; [unrolled: 1-line block ×4, first 2 shown]
	v_sub_f32_e32 v80, v71, v112
	v_mul_f32_e32 v3, v102, v3
	v_sub_f32_e32 v80, v103, v80
	v_add_f32_e32 v3, v80, v3
	v_add_f32_e32 v80, v71, v3
	v_cvt_f32_i32_e32 v82, v101
	v_mul_f32_e32 v83, v80, v80
	v_mov_b32_e32 v81, 0x3ecc95a3
	v_fmac_f32_e32 v81, 0x3e9b6dac, v83
	v_fmaak_f32 v81, v83, v81, 0x3f2aaada
	v_sub_f32_e32 v71, v80, v71
	v_ldexp_f32 v85, v80, 1
	v_mul_f32_e32 v83, v80, v83
	v_mov_b32_e32 v80, 0x3f317218
	v_pk_mul_f32 v[80:81], v[82:83], v[80:81]
	v_sub_f32_e32 v3, v3, v71
	v_fma_f32 v71, v82, s30, -v80
	v_fmamk_f32 v84, v82, 0xb102e308, v71
	v_pk_add_f32 v[82:83], v[80:81], v[84:85]
	v_ldexp_f32 v3, v3, 1
	v_sub_f32_e32 v71, v83, v85
	v_sub_f32_e32 v71, v81, v71
	v_add_f32_e32 v87, v3, v71
	v_mov_b32_e32 v86, v80
	v_pk_add_f32 v[80:81], v[82:83], v[80:81] neg_lo:[0,1] neg_hi:[0,1]
	v_pk_add_f32 v[102:103], v[82:83], v[86:87]
	v_mov_b32_e32 v85, v82
	v_mov_b32_e32 v81, v103
	v_pk_add_f32 v[112:113], v[84:85], v[80:81] neg_lo:[0,1] neg_hi:[0,1]
	v_pk_add_f32 v[80:81], v[84:85], v[80:81]
	v_mov_b32_e32 v86, v87
	v_mov_b32_e32 v84, v81
	v_pk_add_f32 v[114:115], v[84:85], v[82:83] neg_lo:[0,1] neg_hi:[0,1]
	v_mov_b32_e32 v80, v103
	v_mov_b32_e32 v3, v114
	v_pk_add_f32 v[116:117], v[102:103], v[2:3] neg_lo:[0,1] neg_hi:[0,1]
	v_mov_b32_e32 v102, v83
	v_mov_b32_e32 v103, v114
	v_mov_b32_e32 v113, v81
	v_pk_add_f32 v[80:81], v[80:81], v[102:103] neg_lo:[0,1] neg_hi:[0,1]
	v_mov_b32_e32 v87, v82
	v_pk_add_f32 v[80:81], v[86:87], v[80:81] neg_lo:[0,1] neg_hi:[0,1]
	v_mov_b32_e32 v116, v112
	v_pk_add_f32 v[82:83], v[116:117], v[80:81]
	v_cmp_eq_f32_e64 s[30:31], s36, v53
	v_mov_b32_e32 v86, v83
	v_pk_add_f32 v[86:87], v[82:83], v[86:87]
	s_mov_b32 s36, 0x33800000
	v_pk_add_f32 v[84:85], v[84:85], v[86:87]
	v_mov_b32_e32 v81, v86
	v_mov_b32_e32 v83, v84
	v_pk_add_f32 v[102:103], v[82:83], v[112:113] neg_lo:[0,1] neg_hi:[0,1]
	v_cmp_lt_f32_e64 s[36:37], |v53|, s36
	v_sub_f32_e32 v3, v82, v102
	v_pk_add_f32 v[80:81], v[80:81], v[102:103] neg_lo:[0,1] neg_hi:[0,1]
	v_sub_f32_e32 v3, v112, v3
	v_add_f32_e32 v3, v80, v3
	v_add_f32_e32 v3, v3, v81
	;; [unrolled: 1-line block ×3, first 2 shown]
	s_or_b64 s[30:31], s[30:31], s[36:37]
	v_cndmask_b32_e64 v3, v3, v53, s[30:31]
	v_add_f32_e32 v53, v2, v3
.LBB93_298:
	s_or_b64 exec, exec, s[34:35]
	v_max_f32_e32 v71, v31, v31
	v_max_f32_e32 v2, v53, v53
	v_min_f32_e32 v3, v2, v71
	v_cmp_u_f32_e64 s[34:35], v53, v53
	v_max_f32_e32 v2, v2, v71
	v_cmp_u_f32_e64 s[30:31], v31, v31
	v_cndmask_b32_e64 v3, v3, v53, s[34:35]
	v_cndmask_b32_e64 v2, v2, v53, s[34:35]
	;; [unrolled: 1-line block ×4, first 2 shown]
	s_movk_i32 s38, 0x1f8
	v_cmp_neq_f32_e64 s[34:35], v3, v2
	v_cmp_class_f32_e64 s[36:37], v3, s38
	s_or_b64 s[34:35], s[34:35], s[36:37]
	s_and_saveexec_b64 s[36:37], s[34:35]
	s_cbranch_execz .LBB93_300
; %bb.299:
	v_sub_f32_e32 v3, v3, v2
	s_mov_b32 s34, 0x3fb8aa3b
	v_mul_f32_e32 v53, 0x3fb8aa3b, v3
	v_fma_f32 v80, v3, s34, -v53
	v_rndne_f32_e32 v81, v53
	v_fmamk_f32 v80, v3, 0x32a5705f, v80
	v_sub_f32_e32 v53, v53, v81
	v_add_f32_e32 v53, v53, v80
	v_exp_f32_e32 v53, v53
	v_cvt_i32_f32_e32 v80, v81
	s_mov_b32 s34, 0xc2ce8ed0
	v_cmp_ngt_f32_e64 s[34:35], s34, v3
	s_mov_b32 s39, 0x7f800000
	v_ldexp_f32 v53, v53, v80
	v_cndmask_b32_e64 v53, 0, v53, s[34:35]
	s_mov_b32 s34, 0x42b17218
	v_mov_b32_e32 v80, 0x7f800000
	v_cmp_nlt_f32_e64 s[34:35], s34, v3
	s_nop 1
	v_cndmask_b32_e64 v53, v80, v53, s[34:35]
	v_add_f32_e32 v3, 1.0, v53
	v_add_f32_e32 v80, -1.0, v3
	v_sub_f32_e32 v81, v80, v3
	v_add_f32_e32 v81, 1.0, v81
	v_sub_f32_e32 v80, v53, v80
	v_add_f32_e32 v82, v80, v81
	v_frexp_mant_f32_e32 v83, v3
	s_mov_b32 s34, 0x3f2aaaab
	v_cvt_f64_f32_e32 v[80:81], v3
	v_frexp_exp_i32_f64_e32 v80, v[80:81]
	v_cmp_gt_f32_e64 s[34:35], s34, v83
	s_nop 1
	v_subbrev_co_u32_e64 v101, s[34:35], 0, v80, s[34:35]
	v_sub_u32_e32 v80, 0, v101
	v_ldexp_f32 v3, v3, v80
	v_ldexp_f32 v80, v82, v80
	v_add_f32_e32 v82, -1.0, v3
	v_add_f32_e32 v81, 1.0, v82
	v_sub_f32_e32 v81, v3, v81
	v_add_f32_e32 v83, v80, v81
	v_add_f32_e32 v81, 1.0, v3
	v_add_f32_e32 v84, -1.0, v81
	v_sub_f32_e32 v3, v3, v84
	v_add_f32_e32 v3, v80, v3
	v_add_f32_e32 v102, v81, v3
	v_rcp_f32_e32 v103, v102
	v_sub_f32_e32 v80, v81, v102
	v_add_f32_e32 v81, v82, v83
	v_add_f32_e32 v3, v3, v80
	v_mul_f32_e32 v113, v81, v103
	v_sub_f32_e32 v80, v82, v81
	v_mul_f32_e32 v82, v102, v113
	v_fma_f32 v84, v113, v102, -v82
	v_fmac_f32_e32 v84, v113, v3
	v_add_f32_e32 v112, v83, v80
	v_add_f32_e32 v80, v82, v84
	v_sub_f32_e32 v83, v81, v80
	v_pk_add_f32 v[86:87], v[80:81], v[82:83] neg_lo:[0,1] neg_hi:[0,1]
	v_mov_b32_e32 v85, v80
	v_pk_add_f32 v[80:81], v[86:87], v[84:85] neg_lo:[0,1] neg_hi:[0,1]
	s_mov_b32 s34, 0x3f317218
	v_add_f32_e32 v81, v112, v81
	v_add_f32_e32 v80, v80, v81
	;; [unrolled: 1-line block ×3, first 2 shown]
	v_mul_f32_e32 v112, v103, v81
	v_mul_f32_e32 v82, v102, v112
	v_fma_f32 v84, v112, v102, -v82
	v_fmac_f32_e32 v84, v112, v3
	v_sub_f32_e32 v3, v83, v81
	v_add_f32_e32 v3, v80, v3
	v_add_f32_e32 v80, v82, v84
	v_sub_f32_e32 v83, v81, v80
	v_pk_add_f32 v[86:87], v[80:81], v[82:83] neg_lo:[0,1] neg_hi:[0,1]
	v_mov_b32_e32 v85, v80
	v_pk_add_f32 v[80:81], v[86:87], v[84:85] neg_lo:[0,1] neg_hi:[0,1]
	v_cvt_f32_i32_e32 v82, v101
	v_add_f32_e32 v3, v3, v81
	v_add_f32_e32 v3, v80, v3
	;; [unrolled: 1-line block ×4, first 2 shown]
	v_sub_f32_e32 v81, v80, v113
	v_mul_f32_e32 v3, v103, v3
	v_sub_f32_e32 v81, v112, v81
	v_add_f32_e32 v3, v81, v3
	v_add_f32_e32 v83, v80, v3
	v_mul_f32_e32 v84, v83, v83
	v_mov_b32_e32 v81, 0x3ecc95a3
	v_fmac_f32_e32 v81, 0x3e9b6dac, v84
	v_sub_f32_e32 v80, v83, v80
	v_fmaak_f32 v81, v84, v81, 0x3f2aaada
	v_sub_f32_e32 v3, v3, v80
	v_ldexp_f32 v85, v83, 1
	v_mul_f32_e32 v83, v83, v84
	v_mov_b32_e32 v80, 0x3f317218
	v_pk_mul_f32 v[80:81], v[82:83], v[80:81]
	v_ldexp_f32 v3, v3, 1
	v_fma_f32 v83, v82, s34, -v80
	v_fmamk_f32 v84, v82, 0xb102e308, v83
	v_pk_add_f32 v[82:83], v[80:81], v[84:85]
	v_mov_b32_e32 v86, v80
	v_sub_f32_e32 v85, v83, v85
	v_sub_f32_e32 v85, v81, v85
	v_add_f32_e32 v87, v3, v85
	v_pk_add_f32 v[80:81], v[82:83], v[80:81] neg_lo:[0,1] neg_hi:[0,1]
	v_pk_add_f32 v[102:103], v[82:83], v[86:87]
	v_mov_b32_e32 v85, v82
	v_mov_b32_e32 v81, v103
	v_pk_add_f32 v[112:113], v[84:85], v[80:81] neg_lo:[0,1] neg_hi:[0,1]
	v_pk_add_f32 v[80:81], v[84:85], v[80:81]
	v_mov_b32_e32 v86, v87
	v_mov_b32_e32 v84, v81
	v_pk_add_f32 v[114:115], v[84:85], v[82:83] neg_lo:[0,1] neg_hi:[0,1]
	v_mov_b32_e32 v80, v103
	v_mov_b32_e32 v3, v114
	v_pk_add_f32 v[116:117], v[102:103], v[2:3] neg_lo:[0,1] neg_hi:[0,1]
	v_mov_b32_e32 v102, v83
	v_mov_b32_e32 v103, v114
	v_mov_b32_e32 v113, v81
	v_pk_add_f32 v[80:81], v[80:81], v[102:103] neg_lo:[0,1] neg_hi:[0,1]
	v_mov_b32_e32 v87, v82
	v_pk_add_f32 v[80:81], v[86:87], v[80:81] neg_lo:[0,1] neg_hi:[0,1]
	v_mov_b32_e32 v116, v112
	v_pk_add_f32 v[82:83], v[116:117], v[80:81]
	v_cmp_eq_f32_e64 s[34:35], s39, v53
	v_mov_b32_e32 v86, v83
	v_pk_add_f32 v[86:87], v[82:83], v[86:87]
	s_mov_b32 s39, 0x33800000
	v_pk_add_f32 v[84:85], v[84:85], v[86:87]
	v_mov_b32_e32 v81, v86
	v_mov_b32_e32 v83, v84
	v_pk_add_f32 v[102:103], v[82:83], v[112:113] neg_lo:[0,1] neg_hi:[0,1]
	v_cmp_lt_f32_e64 s[40:41], |v53|, s39
	v_sub_f32_e32 v3, v82, v102
	v_pk_add_f32 v[80:81], v[80:81], v[102:103] neg_lo:[0,1] neg_hi:[0,1]
	v_sub_f32_e32 v3, v112, v3
	v_add_f32_e32 v3, v80, v3
	v_add_f32_e32 v3, v3, v81
	;; [unrolled: 1-line block ×3, first 2 shown]
	s_or_b64 s[34:35], s[34:35], s[40:41]
	v_cndmask_b32_e64 v3, v3, v53, s[34:35]
	v_add_f32_e32 v53, v2, v3
.LBB93_300:
	s_or_b64 exec, exec, s[36:37]
	v_max_f32_e32 v80, v24, v24
	v_max_f32_e32 v2, v53, v53
	v_min_f32_e32 v3, v2, v80
	v_cmp_u_f32_e64 s[36:37], v53, v53
	v_max_f32_e32 v2, v2, v80
	v_cmp_u_f32_e64 s[34:35], v24, v24
	v_cndmask_b32_e64 v3, v3, v53, s[36:37]
	v_cndmask_b32_e64 v2, v2, v53, s[36:37]
	;; [unrolled: 1-line block ×4, first 2 shown]
	v_cmp_neq_f32_e64 s[36:37], v3, v2
	v_cmp_class_f32_e64 s[38:39], v3, s38
	s_or_b64 s[36:37], s[36:37], s[38:39]
	s_and_saveexec_b64 s[38:39], s[36:37]
	s_cbranch_execz .LBB93_302
; %bb.301:
	v_sub_f32_e32 v3, v3, v2
	s_mov_b32 s36, 0x3fb8aa3b
	v_mul_f32_e32 v53, 0x3fb8aa3b, v3
	v_fma_f32 v81, v3, s36, -v53
	v_rndne_f32_e32 v82, v53
	v_fmamk_f32 v81, v3, 0x32a5705f, v81
	v_sub_f32_e32 v53, v53, v82
	v_add_f32_e32 v53, v53, v81
	v_exp_f32_e32 v53, v53
	v_cvt_i32_f32_e32 v81, v82
	s_mov_b32 s36, 0xc2ce8ed0
	v_cmp_ngt_f32_e64 s[36:37], s36, v3
	s_mov_b32 s40, 0x7f800000
	v_ldexp_f32 v53, v53, v81
	v_cndmask_b32_e64 v53, 0, v53, s[36:37]
	s_mov_b32 s36, 0x42b17218
	v_mov_b32_e32 v81, 0x7f800000
	v_cmp_nlt_f32_e64 s[36:37], s36, v3
	s_nop 1
	v_cndmask_b32_e64 v53, v81, v53, s[36:37]
	v_add_f32_e32 v3, 1.0, v53
	v_add_f32_e32 v81, -1.0, v3
	v_sub_f32_e32 v82, v81, v3
	v_add_f32_e32 v82, 1.0, v82
	v_sub_f32_e32 v81, v53, v81
	v_add_f32_e32 v81, v81, v82
	v_frexp_mant_f32_e32 v84, v3
	s_mov_b32 s36, 0x3f2aaaab
	v_cvt_f64_f32_e32 v[82:83], v3
	v_frexp_exp_i32_f64_e32 v82, v[82:83]
	v_cmp_gt_f32_e64 s[36:37], s36, v84
	s_nop 1
	v_subbrev_co_u32_e64 v101, s[36:37], 0, v82, s[36:37]
	v_sub_u32_e32 v82, 0, v101
	v_ldexp_f32 v3, v3, v82
	v_ldexp_f32 v81, v81, v82
	v_add_f32_e32 v82, -1.0, v3
	v_add_f32_e32 v83, 1.0, v82
	v_sub_f32_e32 v83, v3, v83
	v_add_f32_e32 v84, v81, v83
	v_add_f32_e32 v83, 1.0, v3
	v_add_f32_e32 v85, -1.0, v83
	v_sub_f32_e32 v3, v3, v85
	v_add_f32_e32 v3, v81, v3
	v_add_f32_e32 v81, v83, v3
	v_rcp_f32_e32 v112, v81
	v_sub_f32_e32 v83, v83, v81
	v_add_f32_e32 v3, v3, v83
	v_add_f32_e32 v83, v82, v84
	v_sub_f32_e32 v82, v82, v83
	v_mul_f32_e32 v114, v83, v112
	v_add_f32_e32 v113, v84, v82
	v_mul_f32_e32 v84, v81, v114
	v_fma_f32 v86, v114, v81, -v84
	v_fmac_f32_e32 v86, v114, v3
	v_add_f32_e32 v82, v84, v86
	v_sub_f32_e32 v85, v83, v82
	v_pk_add_f32 v[102:103], v[82:83], v[84:85] neg_lo:[0,1] neg_hi:[0,1]
	v_mov_b32_e32 v87, v82
	v_pk_add_f32 v[82:83], v[102:103], v[86:87] neg_lo:[0,1] neg_hi:[0,1]
	s_mov_b32 s36, 0x3f317218
	v_add_f32_e32 v83, v113, v83
	v_add_f32_e32 v82, v82, v83
	;; [unrolled: 1-line block ×3, first 2 shown]
	v_mul_f32_e32 v113, v112, v83
	v_mul_f32_e32 v84, v81, v113
	v_fma_f32 v86, v113, v81, -v84
	v_fmac_f32_e32 v86, v113, v3
	v_sub_f32_e32 v3, v85, v83
	v_add_f32_e32 v3, v82, v3
	v_add_f32_e32 v82, v84, v86
	v_sub_f32_e32 v85, v83, v82
	v_pk_add_f32 v[102:103], v[82:83], v[84:85] neg_lo:[0,1] neg_hi:[0,1]
	v_mov_b32_e32 v87, v82
	v_pk_add_f32 v[82:83], v[102:103], v[86:87] neg_lo:[0,1] neg_hi:[0,1]
	v_add_f32_e32 v81, v114, v113
	v_add_f32_e32 v3, v3, v83
	;; [unrolled: 1-line block ×4, first 2 shown]
	v_sub_f32_e32 v82, v81, v114
	v_mul_f32_e32 v3, v112, v3
	v_sub_f32_e32 v82, v113, v82
	v_add_f32_e32 v3, v82, v3
	v_add_f32_e32 v82, v81, v3
	v_cvt_f32_i32_e32 v84, v101
	v_mul_f32_e32 v85, v82, v82
	v_mov_b32_e32 v83, 0x3ecc95a3
	v_fmac_f32_e32 v83, 0x3e9b6dac, v85
	v_fmaak_f32 v83, v85, v83, 0x3f2aaada
	v_sub_f32_e32 v81, v82, v81
	v_ldexp_f32 v87, v82, 1
	v_mul_f32_e32 v85, v82, v85
	v_mov_b32_e32 v82, 0x3f317218
	v_pk_mul_f32 v[82:83], v[84:85], v[82:83]
	v_sub_f32_e32 v3, v3, v81
	v_fma_f32 v81, v84, s36, -v82
	v_fmamk_f32 v86, v84, 0xb102e308, v81
	v_pk_add_f32 v[84:85], v[82:83], v[86:87]
	v_ldexp_f32 v3, v3, 1
	v_sub_f32_e32 v81, v85, v87
	v_sub_f32_e32 v81, v83, v81
	v_add_f32_e32 v103, v3, v81
	v_mov_b32_e32 v102, v82
	v_pk_add_f32 v[82:83], v[84:85], v[82:83] neg_lo:[0,1] neg_hi:[0,1]
	v_pk_add_f32 v[112:113], v[84:85], v[102:103]
	v_mov_b32_e32 v87, v84
	v_mov_b32_e32 v83, v113
	v_pk_add_f32 v[114:115], v[86:87], v[82:83] neg_lo:[0,1] neg_hi:[0,1]
	v_pk_add_f32 v[82:83], v[86:87], v[82:83]
	v_mov_b32_e32 v102, v103
	v_mov_b32_e32 v86, v83
	v_pk_add_f32 v[116:117], v[86:87], v[84:85] neg_lo:[0,1] neg_hi:[0,1]
	v_mov_b32_e32 v82, v113
	v_mov_b32_e32 v3, v116
	v_pk_add_f32 v[118:119], v[112:113], v[2:3] neg_lo:[0,1] neg_hi:[0,1]
	v_mov_b32_e32 v112, v85
	v_mov_b32_e32 v113, v116
	;; [unrolled: 1-line block ×3, first 2 shown]
	v_pk_add_f32 v[82:83], v[82:83], v[112:113] neg_lo:[0,1] neg_hi:[0,1]
	v_mov_b32_e32 v103, v84
	v_pk_add_f32 v[82:83], v[102:103], v[82:83] neg_lo:[0,1] neg_hi:[0,1]
	v_mov_b32_e32 v118, v114
	v_pk_add_f32 v[84:85], v[118:119], v[82:83]
	v_cmp_eq_f32_e64 s[36:37], s40, v53
	v_mov_b32_e32 v102, v85
	v_pk_add_f32 v[102:103], v[84:85], v[102:103]
	s_mov_b32 s40, 0x33800000
	v_pk_add_f32 v[86:87], v[86:87], v[102:103]
	v_mov_b32_e32 v83, v102
	v_mov_b32_e32 v85, v86
	v_pk_add_f32 v[112:113], v[84:85], v[114:115] neg_lo:[0,1] neg_hi:[0,1]
	v_cmp_lt_f32_e64 s[40:41], |v53|, s40
	v_sub_f32_e32 v3, v84, v112
	v_pk_add_f32 v[82:83], v[82:83], v[112:113] neg_lo:[0,1] neg_hi:[0,1]
	v_sub_f32_e32 v3, v114, v3
	v_add_f32_e32 v3, v82, v3
	v_add_f32_e32 v3, v3, v83
	;; [unrolled: 1-line block ×3, first 2 shown]
	s_or_b64 s[36:37], s[36:37], s[40:41]
	v_cndmask_b32_e64 v3, v3, v53, s[36:37]
	v_add_f32_e32 v53, v2, v3
.LBB93_302:
	s_or_b64 exec, exec, s[38:39]
	v_max_f32_e32 v81, v25, v25
	v_max_f32_e32 v2, v53, v53
	v_min_f32_e32 v3, v2, v81
	v_cmp_u_f32_e64 s[38:39], v53, v53
	v_max_f32_e32 v2, v2, v81
	v_cmp_u_f32_e64 s[36:37], v25, v25
	v_cndmask_b32_e64 v3, v3, v53, s[38:39]
	v_cndmask_b32_e64 v2, v2, v53, s[38:39]
	v_cndmask_b32_e64 v3, v3, v25, s[36:37]
	v_cndmask_b32_e64 v2, v2, v25, s[36:37]
	s_movk_i32 s42, 0x1f8
	v_cmp_neq_f32_e64 s[38:39], v3, v2
	v_cmp_class_f32_e64 s[40:41], v3, s42
	s_or_b64 s[38:39], s[38:39], s[40:41]
	s_and_saveexec_b64 s[40:41], s[38:39]
	s_cbranch_execz .LBB93_304
; %bb.303:
	v_sub_f32_e32 v3, v3, v2
	s_mov_b32 s38, 0x3fb8aa3b
	v_mul_f32_e32 v53, 0x3fb8aa3b, v3
	v_fma_f32 v82, v3, s38, -v53
	v_rndne_f32_e32 v83, v53
	v_fmamk_f32 v82, v3, 0x32a5705f, v82
	v_sub_f32_e32 v53, v53, v83
	v_add_f32_e32 v53, v53, v82
	v_exp_f32_e32 v53, v53
	v_cvt_i32_f32_e32 v82, v83
	s_mov_b32 s38, 0xc2ce8ed0
	v_cmp_ngt_f32_e64 s[38:39], s38, v3
	s_mov_b32 s43, 0x7f800000
	v_ldexp_f32 v53, v53, v82
	v_cndmask_b32_e64 v53, 0, v53, s[38:39]
	s_mov_b32 s38, 0x42b17218
	v_mov_b32_e32 v82, 0x7f800000
	v_cmp_nlt_f32_e64 s[38:39], s38, v3
	s_nop 1
	v_cndmask_b32_e64 v53, v82, v53, s[38:39]
	v_add_f32_e32 v3, 1.0, v53
	v_add_f32_e32 v82, -1.0, v3
	v_sub_f32_e32 v83, v82, v3
	v_add_f32_e32 v83, 1.0, v83
	v_sub_f32_e32 v82, v53, v82
	v_add_f32_e32 v84, v82, v83
	v_frexp_mant_f32_e32 v85, v3
	s_mov_b32 s38, 0x3f2aaaab
	v_cvt_f64_f32_e32 v[82:83], v3
	v_frexp_exp_i32_f64_e32 v82, v[82:83]
	v_cmp_gt_f32_e64 s[38:39], s38, v85
	s_nop 1
	v_subbrev_co_u32_e64 v101, s[38:39], 0, v82, s[38:39]
	v_sub_u32_e32 v82, 0, v101
	v_ldexp_f32 v3, v3, v82
	v_ldexp_f32 v82, v84, v82
	v_add_f32_e32 v84, -1.0, v3
	v_add_f32_e32 v83, 1.0, v84
	v_sub_f32_e32 v83, v3, v83
	v_add_f32_e32 v85, v82, v83
	v_add_f32_e32 v83, 1.0, v3
	v_add_f32_e32 v86, -1.0, v83
	v_sub_f32_e32 v3, v3, v86
	v_add_f32_e32 v3, v82, v3
	v_add_f32_e32 v112, v83, v3
	v_rcp_f32_e32 v113, v112
	v_sub_f32_e32 v82, v83, v112
	v_add_f32_e32 v83, v84, v85
	v_add_f32_e32 v3, v3, v82
	v_mul_f32_e32 v115, v83, v113
	v_sub_f32_e32 v82, v84, v83
	v_mul_f32_e32 v84, v112, v115
	v_fma_f32 v86, v115, v112, -v84
	v_fmac_f32_e32 v86, v115, v3
	v_add_f32_e32 v114, v85, v82
	v_add_f32_e32 v82, v84, v86
	v_sub_f32_e32 v85, v83, v82
	v_pk_add_f32 v[102:103], v[82:83], v[84:85] neg_lo:[0,1] neg_hi:[0,1]
	v_mov_b32_e32 v87, v82
	v_pk_add_f32 v[82:83], v[102:103], v[86:87] neg_lo:[0,1] neg_hi:[0,1]
	s_mov_b32 s38, 0x3f317218
	v_add_f32_e32 v83, v114, v83
	v_add_f32_e32 v82, v82, v83
	;; [unrolled: 1-line block ×3, first 2 shown]
	v_mul_f32_e32 v114, v113, v83
	v_mul_f32_e32 v84, v112, v114
	v_fma_f32 v86, v114, v112, -v84
	v_fmac_f32_e32 v86, v114, v3
	v_sub_f32_e32 v3, v85, v83
	v_add_f32_e32 v3, v82, v3
	v_add_f32_e32 v82, v84, v86
	v_sub_f32_e32 v85, v83, v82
	v_pk_add_f32 v[102:103], v[82:83], v[84:85] neg_lo:[0,1] neg_hi:[0,1]
	v_mov_b32_e32 v87, v82
	v_pk_add_f32 v[82:83], v[102:103], v[86:87] neg_lo:[0,1] neg_hi:[0,1]
	v_cvt_f32_i32_e32 v84, v101
	v_add_f32_e32 v3, v3, v83
	v_add_f32_e32 v3, v82, v3
	v_add_f32_e32 v82, v115, v114
	v_add_f32_e32 v3, v85, v3
	v_sub_f32_e32 v83, v82, v115
	v_mul_f32_e32 v3, v113, v3
	v_sub_f32_e32 v83, v114, v83
	v_add_f32_e32 v3, v83, v3
	v_add_f32_e32 v85, v82, v3
	v_mul_f32_e32 v86, v85, v85
	v_mov_b32_e32 v83, 0x3ecc95a3
	v_fmac_f32_e32 v83, 0x3e9b6dac, v86
	v_sub_f32_e32 v82, v85, v82
	v_fmaak_f32 v83, v86, v83, 0x3f2aaada
	v_sub_f32_e32 v3, v3, v82
	v_ldexp_f32 v87, v85, 1
	v_mul_f32_e32 v85, v85, v86
	v_mov_b32_e32 v82, 0x3f317218
	v_pk_mul_f32 v[82:83], v[84:85], v[82:83]
	v_ldexp_f32 v3, v3, 1
	v_fma_f32 v85, v84, s38, -v82
	v_fmamk_f32 v86, v84, 0xb102e308, v85
	v_pk_add_f32 v[84:85], v[82:83], v[86:87]
	v_mov_b32_e32 v102, v82
	v_sub_f32_e32 v87, v85, v87
	v_sub_f32_e32 v87, v83, v87
	v_add_f32_e32 v103, v3, v87
	v_pk_add_f32 v[82:83], v[84:85], v[82:83] neg_lo:[0,1] neg_hi:[0,1]
	v_pk_add_f32 v[112:113], v[84:85], v[102:103]
	v_mov_b32_e32 v87, v84
	v_mov_b32_e32 v83, v113
	v_pk_add_f32 v[114:115], v[86:87], v[82:83] neg_lo:[0,1] neg_hi:[0,1]
	v_pk_add_f32 v[82:83], v[86:87], v[82:83]
	v_mov_b32_e32 v102, v103
	v_mov_b32_e32 v86, v83
	v_pk_add_f32 v[116:117], v[86:87], v[84:85] neg_lo:[0,1] neg_hi:[0,1]
	v_mov_b32_e32 v82, v113
	v_mov_b32_e32 v3, v116
	v_pk_add_f32 v[118:119], v[112:113], v[2:3] neg_lo:[0,1] neg_hi:[0,1]
	v_mov_b32_e32 v112, v85
	v_mov_b32_e32 v113, v116
	;; [unrolled: 1-line block ×3, first 2 shown]
	v_pk_add_f32 v[82:83], v[82:83], v[112:113] neg_lo:[0,1] neg_hi:[0,1]
	v_mov_b32_e32 v103, v84
	v_pk_add_f32 v[82:83], v[102:103], v[82:83] neg_lo:[0,1] neg_hi:[0,1]
	v_mov_b32_e32 v118, v114
	v_pk_add_f32 v[84:85], v[118:119], v[82:83]
	v_cmp_eq_f32_e64 s[38:39], s43, v53
	v_mov_b32_e32 v102, v85
	v_pk_add_f32 v[102:103], v[84:85], v[102:103]
	s_mov_b32 s43, 0x33800000
	v_pk_add_f32 v[86:87], v[86:87], v[102:103]
	v_mov_b32_e32 v83, v102
	v_mov_b32_e32 v85, v86
	v_pk_add_f32 v[112:113], v[84:85], v[114:115] neg_lo:[0,1] neg_hi:[0,1]
	v_cmp_lt_f32_e64 s[44:45], |v53|, s43
	v_sub_f32_e32 v3, v84, v112
	v_pk_add_f32 v[82:83], v[82:83], v[112:113] neg_lo:[0,1] neg_hi:[0,1]
	v_sub_f32_e32 v3, v114, v3
	v_add_f32_e32 v3, v82, v3
	v_add_f32_e32 v3, v3, v83
	;; [unrolled: 1-line block ×3, first 2 shown]
	s_or_b64 s[38:39], s[38:39], s[44:45]
	v_cndmask_b32_e64 v3, v3, v53, s[38:39]
	v_add_f32_e32 v53, v2, v3
.LBB93_304:
	s_or_b64 exec, exec, s[40:41]
	v_max_f32_e32 v82, v26, v26
	v_max_f32_e32 v2, v53, v53
	v_min_f32_e32 v3, v2, v82
	v_cmp_u_f32_e64 s[40:41], v53, v53
	v_max_f32_e32 v2, v2, v82
	v_cmp_u_f32_e64 s[38:39], v26, v26
	v_cndmask_b32_e64 v3, v3, v53, s[40:41]
	v_cndmask_b32_e64 v2, v2, v53, s[40:41]
	;; [unrolled: 1-line block ×4, first 2 shown]
	v_cmp_neq_f32_e64 s[40:41], v3, v2
	v_cmp_class_f32_e64 s[42:43], v3, s42
	s_or_b64 s[40:41], s[40:41], s[42:43]
	s_and_saveexec_b64 s[42:43], s[40:41]
	s_cbranch_execz .LBB93_306
; %bb.305:
	v_sub_f32_e32 v3, v3, v2
	s_mov_b32 s40, 0x3fb8aa3b
	v_mul_f32_e32 v53, 0x3fb8aa3b, v3
	v_fma_f32 v83, v3, s40, -v53
	v_rndne_f32_e32 v84, v53
	v_fmamk_f32 v83, v3, 0x32a5705f, v83
	v_sub_f32_e32 v53, v53, v84
	v_add_f32_e32 v53, v53, v83
	v_exp_f32_e32 v53, v53
	v_cvt_i32_f32_e32 v83, v84
	s_mov_b32 s40, 0xc2ce8ed0
	v_cmp_ngt_f32_e64 s[40:41], s40, v3
	s_mov_b32 s44, 0x7f800000
	v_ldexp_f32 v53, v53, v83
	v_cndmask_b32_e64 v53, 0, v53, s[40:41]
	s_mov_b32 s40, 0x42b17218
	v_mov_b32_e32 v83, 0x7f800000
	v_cmp_nlt_f32_e64 s[40:41], s40, v3
	s_nop 1
	v_cndmask_b32_e64 v53, v83, v53, s[40:41]
	v_add_f32_e32 v3, 1.0, v53
	v_add_f32_e32 v83, -1.0, v3
	v_sub_f32_e32 v84, v83, v3
	v_add_f32_e32 v84, 1.0, v84
	v_sub_f32_e32 v83, v53, v83
	v_add_f32_e32 v83, v83, v84
	v_frexp_mant_f32_e32 v86, v3
	s_mov_b32 s40, 0x3f2aaaab
	v_cvt_f64_f32_e32 v[84:85], v3
	v_frexp_exp_i32_f64_e32 v84, v[84:85]
	v_cmp_gt_f32_e64 s[40:41], s40, v86
	s_nop 1
	v_subbrev_co_u32_e64 v101, s[40:41], 0, v84, s[40:41]
	v_sub_u32_e32 v84, 0, v101
	v_ldexp_f32 v3, v3, v84
	v_ldexp_f32 v83, v83, v84
	v_add_f32_e32 v84, -1.0, v3
	v_add_f32_e32 v85, 1.0, v84
	v_sub_f32_e32 v85, v3, v85
	v_add_f32_e32 v86, v83, v85
	v_add_f32_e32 v85, 1.0, v3
	v_add_f32_e32 v87, -1.0, v85
	v_sub_f32_e32 v3, v3, v87
	v_add_f32_e32 v3, v83, v3
	v_add_f32_e32 v83, v85, v3
	v_rcp_f32_e32 v114, v83
	v_sub_f32_e32 v85, v85, v83
	v_add_f32_e32 v3, v3, v85
	v_add_f32_e32 v85, v84, v86
	v_sub_f32_e32 v84, v84, v85
	v_mul_f32_e32 v116, v85, v114
	v_add_f32_e32 v115, v86, v84
	v_mul_f32_e32 v86, v83, v116
	v_fma_f32 v102, v116, v83, -v86
	v_fmac_f32_e32 v102, v116, v3
	v_add_f32_e32 v84, v86, v102
	v_sub_f32_e32 v87, v85, v84
	v_pk_add_f32 v[112:113], v[84:85], v[86:87] neg_lo:[0,1] neg_hi:[0,1]
	v_mov_b32_e32 v103, v84
	v_pk_add_f32 v[84:85], v[112:113], v[102:103] neg_lo:[0,1] neg_hi:[0,1]
	s_mov_b32 s40, 0x3f317218
	v_add_f32_e32 v85, v115, v85
	v_add_f32_e32 v84, v84, v85
	;; [unrolled: 1-line block ×3, first 2 shown]
	v_mul_f32_e32 v115, v114, v85
	v_mul_f32_e32 v86, v83, v115
	v_fma_f32 v102, v115, v83, -v86
	v_fmac_f32_e32 v102, v115, v3
	v_sub_f32_e32 v3, v87, v85
	v_add_f32_e32 v3, v84, v3
	v_add_f32_e32 v84, v86, v102
	v_sub_f32_e32 v87, v85, v84
	v_pk_add_f32 v[112:113], v[84:85], v[86:87] neg_lo:[0,1] neg_hi:[0,1]
	v_mov_b32_e32 v103, v84
	v_pk_add_f32 v[84:85], v[112:113], v[102:103] neg_lo:[0,1] neg_hi:[0,1]
	v_add_f32_e32 v83, v116, v115
	v_add_f32_e32 v3, v3, v85
	;; [unrolled: 1-line block ×4, first 2 shown]
	v_sub_f32_e32 v84, v83, v116
	v_mul_f32_e32 v3, v114, v3
	v_sub_f32_e32 v84, v115, v84
	v_add_f32_e32 v3, v84, v3
	v_add_f32_e32 v84, v83, v3
	v_cvt_f32_i32_e32 v86, v101
	v_mul_f32_e32 v87, v84, v84
	v_mov_b32_e32 v85, 0x3ecc95a3
	v_fmac_f32_e32 v85, 0x3e9b6dac, v87
	v_fmaak_f32 v85, v87, v85, 0x3f2aaada
	v_sub_f32_e32 v83, v84, v83
	v_ldexp_f32 v103, v84, 1
	v_mul_f32_e32 v87, v84, v87
	v_mov_b32_e32 v84, 0x3f317218
	v_pk_mul_f32 v[84:85], v[86:87], v[84:85]
	v_sub_f32_e32 v3, v3, v83
	v_fma_f32 v83, v86, s40, -v84
	v_fmamk_f32 v102, v86, 0xb102e308, v83
	v_pk_add_f32 v[86:87], v[84:85], v[102:103]
	v_ldexp_f32 v3, v3, 1
	v_sub_f32_e32 v83, v87, v103
	v_sub_f32_e32 v83, v85, v83
	v_add_f32_e32 v113, v3, v83
	v_mov_b32_e32 v112, v84
	v_pk_add_f32 v[84:85], v[86:87], v[84:85] neg_lo:[0,1] neg_hi:[0,1]
	v_pk_add_f32 v[114:115], v[86:87], v[112:113]
	v_mov_b32_e32 v103, v86
	v_mov_b32_e32 v85, v115
	v_pk_add_f32 v[116:117], v[102:103], v[84:85] neg_lo:[0,1] neg_hi:[0,1]
	v_pk_add_f32 v[84:85], v[102:103], v[84:85]
	v_mov_b32_e32 v112, v113
	v_mov_b32_e32 v102, v85
	v_pk_add_f32 v[118:119], v[102:103], v[86:87] neg_lo:[0,1] neg_hi:[0,1]
	v_mov_b32_e32 v84, v115
	v_mov_b32_e32 v3, v118
	v_pk_add_f32 v[128:129], v[114:115], v[2:3] neg_lo:[0,1] neg_hi:[0,1]
	v_mov_b32_e32 v114, v87
	v_mov_b32_e32 v115, v118
	;; [unrolled: 1-line block ×3, first 2 shown]
	v_pk_add_f32 v[84:85], v[84:85], v[114:115] neg_lo:[0,1] neg_hi:[0,1]
	v_mov_b32_e32 v113, v86
	v_pk_add_f32 v[84:85], v[112:113], v[84:85] neg_lo:[0,1] neg_hi:[0,1]
	v_mov_b32_e32 v128, v116
	v_pk_add_f32 v[86:87], v[128:129], v[84:85]
	v_cmp_eq_f32_e64 s[40:41], s44, v53
	v_mov_b32_e32 v112, v87
	v_pk_add_f32 v[112:113], v[86:87], v[112:113]
	s_mov_b32 s44, 0x33800000
	v_pk_add_f32 v[102:103], v[102:103], v[112:113]
	v_mov_b32_e32 v85, v112
	v_mov_b32_e32 v87, v102
	v_pk_add_f32 v[114:115], v[86:87], v[116:117] neg_lo:[0,1] neg_hi:[0,1]
	v_cmp_lt_f32_e64 s[44:45], |v53|, s44
	v_sub_f32_e32 v3, v86, v114
	v_pk_add_f32 v[84:85], v[84:85], v[114:115] neg_lo:[0,1] neg_hi:[0,1]
	v_sub_f32_e32 v3, v116, v3
	v_add_f32_e32 v3, v84, v3
	v_add_f32_e32 v3, v3, v85
	;; [unrolled: 1-line block ×3, first 2 shown]
	s_or_b64 s[40:41], s[40:41], s[44:45]
	v_cndmask_b32_e64 v3, v3, v53, s[40:41]
	v_add_f32_e32 v53, v2, v3
.LBB93_306:
	s_or_b64 exec, exec, s[42:43]
	v_max_f32_e32 v83, v27, v27
	v_max_f32_e32 v2, v53, v53
	v_min_f32_e32 v3, v2, v83
	v_cmp_u_f32_e64 s[42:43], v53, v53
	v_max_f32_e32 v2, v2, v83
	v_cmp_u_f32_e64 s[40:41], v27, v27
	v_cndmask_b32_e64 v3, v3, v53, s[42:43]
	v_cndmask_b32_e64 v2, v2, v53, s[42:43]
	;; [unrolled: 1-line block ×4, first 2 shown]
	s_movk_i32 s46, 0x1f8
	v_cmp_neq_f32_e64 s[42:43], v3, v2
	v_cmp_class_f32_e64 s[44:45], v3, s46
	s_or_b64 s[42:43], s[42:43], s[44:45]
	s_and_saveexec_b64 s[44:45], s[42:43]
	s_cbranch_execz .LBB93_308
; %bb.307:
	v_sub_f32_e32 v3, v3, v2
	s_mov_b32 s42, 0x3fb8aa3b
	v_mul_f32_e32 v53, 0x3fb8aa3b, v3
	v_fma_f32 v84, v3, s42, -v53
	v_rndne_f32_e32 v85, v53
	v_fmamk_f32 v84, v3, 0x32a5705f, v84
	v_sub_f32_e32 v53, v53, v85
	v_add_f32_e32 v53, v53, v84
	v_exp_f32_e32 v53, v53
	v_cvt_i32_f32_e32 v84, v85
	s_mov_b32 s42, 0xc2ce8ed0
	v_cmp_ngt_f32_e64 s[42:43], s42, v3
	s_mov_b32 s47, 0x7f800000
	v_ldexp_f32 v53, v53, v84
	v_cndmask_b32_e64 v53, 0, v53, s[42:43]
	s_mov_b32 s42, 0x42b17218
	v_mov_b32_e32 v84, 0x7f800000
	v_cmp_nlt_f32_e64 s[42:43], s42, v3
	s_nop 1
	v_cndmask_b32_e64 v53, v84, v53, s[42:43]
	v_add_f32_e32 v3, 1.0, v53
	v_add_f32_e32 v84, -1.0, v3
	v_sub_f32_e32 v85, v84, v3
	v_add_f32_e32 v85, 1.0, v85
	v_sub_f32_e32 v84, v53, v84
	v_add_f32_e32 v86, v84, v85
	v_frexp_mant_f32_e32 v87, v3
	s_mov_b32 s42, 0x3f2aaaab
	v_cvt_f64_f32_e32 v[84:85], v3
	v_frexp_exp_i32_f64_e32 v84, v[84:85]
	v_cmp_gt_f32_e64 s[42:43], s42, v87
	s_nop 1
	v_subbrev_co_u32_e64 v101, s[42:43], 0, v84, s[42:43]
	v_sub_u32_e32 v84, 0, v101
	v_ldexp_f32 v3, v3, v84
	v_ldexp_f32 v84, v86, v84
	v_add_f32_e32 v86, -1.0, v3
	v_add_f32_e32 v85, 1.0, v86
	v_sub_f32_e32 v85, v3, v85
	v_add_f32_e32 v87, v84, v85
	v_add_f32_e32 v85, 1.0, v3
	v_add_f32_e32 v102, -1.0, v85
	v_sub_f32_e32 v3, v3, v102
	v_add_f32_e32 v3, v84, v3
	v_add_f32_e32 v114, v85, v3
	v_rcp_f32_e32 v115, v114
	v_sub_f32_e32 v84, v85, v114
	v_add_f32_e32 v85, v86, v87
	v_add_f32_e32 v3, v3, v84
	v_mul_f32_e32 v117, v85, v115
	v_sub_f32_e32 v84, v86, v85
	v_mul_f32_e32 v86, v114, v117
	v_fma_f32 v102, v117, v114, -v86
	v_fmac_f32_e32 v102, v117, v3
	v_add_f32_e32 v116, v87, v84
	v_add_f32_e32 v84, v86, v102
	v_sub_f32_e32 v87, v85, v84
	v_pk_add_f32 v[112:113], v[84:85], v[86:87] neg_lo:[0,1] neg_hi:[0,1]
	v_mov_b32_e32 v103, v84
	v_pk_add_f32 v[84:85], v[112:113], v[102:103] neg_lo:[0,1] neg_hi:[0,1]
	s_mov_b32 s42, 0x3f317218
	v_add_f32_e32 v85, v116, v85
	v_add_f32_e32 v84, v84, v85
	;; [unrolled: 1-line block ×3, first 2 shown]
	v_mul_f32_e32 v116, v115, v85
	v_mul_f32_e32 v86, v114, v116
	v_fma_f32 v102, v116, v114, -v86
	v_fmac_f32_e32 v102, v116, v3
	v_sub_f32_e32 v3, v87, v85
	v_add_f32_e32 v3, v84, v3
	v_add_f32_e32 v84, v86, v102
	v_sub_f32_e32 v87, v85, v84
	v_pk_add_f32 v[112:113], v[84:85], v[86:87] neg_lo:[0,1] neg_hi:[0,1]
	v_mov_b32_e32 v103, v84
	v_pk_add_f32 v[84:85], v[112:113], v[102:103] neg_lo:[0,1] neg_hi:[0,1]
	v_cvt_f32_i32_e32 v86, v101
	v_add_f32_e32 v3, v3, v85
	v_add_f32_e32 v3, v84, v3
	;; [unrolled: 1-line block ×4, first 2 shown]
	v_sub_f32_e32 v85, v84, v117
	v_mul_f32_e32 v3, v115, v3
	v_sub_f32_e32 v85, v116, v85
	v_add_f32_e32 v3, v85, v3
	v_add_f32_e32 v87, v84, v3
	v_mul_f32_e32 v102, v87, v87
	v_mov_b32_e32 v85, 0x3ecc95a3
	v_fmac_f32_e32 v85, 0x3e9b6dac, v102
	v_sub_f32_e32 v84, v87, v84
	v_fmaak_f32 v85, v102, v85, 0x3f2aaada
	v_sub_f32_e32 v3, v3, v84
	v_ldexp_f32 v103, v87, 1
	v_mul_f32_e32 v87, v87, v102
	v_mov_b32_e32 v84, 0x3f317218
	v_pk_mul_f32 v[84:85], v[86:87], v[84:85]
	v_ldexp_f32 v3, v3, 1
	v_fma_f32 v87, v86, s42, -v84
	v_fmamk_f32 v102, v86, 0xb102e308, v87
	v_pk_add_f32 v[86:87], v[84:85], v[102:103]
	v_mov_b32_e32 v112, v84
	v_sub_f32_e32 v101, v87, v103
	v_sub_f32_e32 v101, v85, v101
	v_add_f32_e32 v113, v3, v101
	v_pk_add_f32 v[84:85], v[86:87], v[84:85] neg_lo:[0,1] neg_hi:[0,1]
	v_pk_add_f32 v[114:115], v[86:87], v[112:113]
	v_mov_b32_e32 v103, v86
	v_mov_b32_e32 v85, v115
	v_pk_add_f32 v[116:117], v[102:103], v[84:85] neg_lo:[0,1] neg_hi:[0,1]
	v_pk_add_f32 v[84:85], v[102:103], v[84:85]
	v_mov_b32_e32 v112, v113
	v_mov_b32_e32 v102, v85
	v_pk_add_f32 v[118:119], v[102:103], v[86:87] neg_lo:[0,1] neg_hi:[0,1]
	v_mov_b32_e32 v84, v115
	v_mov_b32_e32 v3, v118
	v_pk_add_f32 v[128:129], v[114:115], v[2:3] neg_lo:[0,1] neg_hi:[0,1]
	v_mov_b32_e32 v114, v87
	v_mov_b32_e32 v115, v118
	;; [unrolled: 1-line block ×3, first 2 shown]
	v_pk_add_f32 v[84:85], v[84:85], v[114:115] neg_lo:[0,1] neg_hi:[0,1]
	v_mov_b32_e32 v113, v86
	v_pk_add_f32 v[84:85], v[112:113], v[84:85] neg_lo:[0,1] neg_hi:[0,1]
	v_mov_b32_e32 v128, v116
	v_pk_add_f32 v[86:87], v[128:129], v[84:85]
	v_cmp_eq_f32_e64 s[42:43], s47, v53
	v_mov_b32_e32 v112, v87
	v_pk_add_f32 v[112:113], v[86:87], v[112:113]
	s_mov_b32 s47, 0x33800000
	v_pk_add_f32 v[102:103], v[102:103], v[112:113]
	v_mov_b32_e32 v85, v112
	v_mov_b32_e32 v87, v102
	v_pk_add_f32 v[114:115], v[86:87], v[116:117] neg_lo:[0,1] neg_hi:[0,1]
	v_cmp_lt_f32_e64 s[48:49], |v53|, s47
	v_sub_f32_e32 v3, v86, v114
	v_pk_add_f32 v[84:85], v[84:85], v[114:115] neg_lo:[0,1] neg_hi:[0,1]
	v_sub_f32_e32 v3, v116, v3
	v_add_f32_e32 v3, v84, v3
	v_add_f32_e32 v3, v3, v85
	;; [unrolled: 1-line block ×3, first 2 shown]
	s_or_b64 s[42:43], s[42:43], s[48:49]
	v_cndmask_b32_e64 v3, v3, v53, s[42:43]
	v_add_f32_e32 v53, v2, v3
.LBB93_308:
	s_or_b64 exec, exec, s[44:45]
	v_max_f32_e32 v84, v20, v20
	v_max_f32_e32 v2, v53, v53
	v_min_f32_e32 v3, v2, v84
	v_cmp_u_f32_e64 s[44:45], v53, v53
	v_max_f32_e32 v2, v2, v84
	v_cmp_u_f32_e64 s[42:43], v20, v20
	v_cndmask_b32_e64 v3, v3, v53, s[44:45]
	v_cndmask_b32_e64 v2, v2, v53, s[44:45]
	;; [unrolled: 1-line block ×4, first 2 shown]
	v_cmp_neq_f32_e64 s[44:45], v3, v2
	v_cmp_class_f32_e64 s[46:47], v3, s46
	s_or_b64 s[44:45], s[44:45], s[46:47]
	s_and_saveexec_b64 s[46:47], s[44:45]
	s_cbranch_execz .LBB93_310
; %bb.309:
	v_sub_f32_e32 v3, v3, v2
	s_mov_b32 s44, 0x3fb8aa3b
	v_mul_f32_e32 v53, 0x3fb8aa3b, v3
	v_fma_f32 v85, v3, s44, -v53
	v_rndne_f32_e32 v86, v53
	v_fmamk_f32 v85, v3, 0x32a5705f, v85
	v_sub_f32_e32 v53, v53, v86
	v_add_f32_e32 v53, v53, v85
	v_exp_f32_e32 v53, v53
	v_cvt_i32_f32_e32 v85, v86
	s_mov_b32 s44, 0xc2ce8ed0
	v_cmp_ngt_f32_e64 s[44:45], s44, v3
	s_mov_b32 s48, 0x7f800000
	v_ldexp_f32 v53, v53, v85
	v_cndmask_b32_e64 v53, 0, v53, s[44:45]
	s_mov_b32 s44, 0x42b17218
	v_mov_b32_e32 v85, 0x7f800000
	v_cmp_nlt_f32_e64 s[44:45], s44, v3
	s_nop 1
	v_cndmask_b32_e64 v53, v85, v53, s[44:45]
	v_add_f32_e32 v3, 1.0, v53
	v_add_f32_e32 v85, -1.0, v3
	v_sub_f32_e32 v86, v85, v3
	v_add_f32_e32 v86, 1.0, v86
	v_sub_f32_e32 v85, v53, v85
	v_add_f32_e32 v85, v85, v86
	v_frexp_mant_f32_e32 v101, v3
	s_mov_b32 s44, 0x3f2aaaab
	v_cvt_f64_f32_e32 v[86:87], v3
	v_frexp_exp_i32_f64_e32 v86, v[86:87]
	v_cmp_gt_f32_e64 s[44:45], s44, v101
	s_nop 1
	v_subbrev_co_u32_e64 v101, s[44:45], 0, v86, s[44:45]
	v_sub_u32_e32 v86, 0, v101
	v_ldexp_f32 v3, v3, v86
	v_ldexp_f32 v85, v85, v86
	v_add_f32_e32 v86, -1.0, v3
	v_add_f32_e32 v87, 1.0, v86
	v_sub_f32_e32 v87, v3, v87
	v_add_f32_e32 v102, v85, v87
	v_add_f32_e32 v87, 1.0, v3
	v_add_f32_e32 v103, -1.0, v87
	v_sub_f32_e32 v3, v3, v103
	v_add_f32_e32 v3, v85, v3
	v_add_f32_e32 v85, v87, v3
	v_rcp_f32_e32 v116, v85
	v_sub_f32_e32 v87, v87, v85
	v_add_f32_e32 v3, v3, v87
	v_add_f32_e32 v87, v86, v102
	v_sub_f32_e32 v86, v86, v87
	v_mul_f32_e32 v118, v87, v116
	v_add_f32_e32 v117, v102, v86
	v_mul_f32_e32 v102, v85, v118
	v_fma_f32 v112, v118, v85, -v102
	v_fmac_f32_e32 v112, v118, v3
	v_add_f32_e32 v86, v102, v112
	v_sub_f32_e32 v103, v87, v86
	v_pk_add_f32 v[114:115], v[86:87], v[102:103] neg_lo:[0,1] neg_hi:[0,1]
	v_mov_b32_e32 v113, v86
	v_pk_add_f32 v[86:87], v[114:115], v[112:113] neg_lo:[0,1] neg_hi:[0,1]
	s_mov_b32 s44, 0x3f317218
	v_add_f32_e32 v87, v117, v87
	v_add_f32_e32 v86, v86, v87
	;; [unrolled: 1-line block ×3, first 2 shown]
	v_mul_f32_e32 v117, v116, v87
	v_mul_f32_e32 v102, v85, v117
	v_fma_f32 v112, v117, v85, -v102
	v_fmac_f32_e32 v112, v117, v3
	v_sub_f32_e32 v3, v103, v87
	v_add_f32_e32 v3, v86, v3
	v_add_f32_e32 v86, v102, v112
	v_sub_f32_e32 v103, v87, v86
	v_pk_add_f32 v[114:115], v[86:87], v[102:103] neg_lo:[0,1] neg_hi:[0,1]
	v_mov_b32_e32 v113, v86
	v_pk_add_f32 v[86:87], v[114:115], v[112:113] neg_lo:[0,1] neg_hi:[0,1]
	v_add_f32_e32 v85, v118, v117
	v_add_f32_e32 v3, v3, v87
	;; [unrolled: 1-line block ×4, first 2 shown]
	v_sub_f32_e32 v86, v85, v118
	v_mul_f32_e32 v3, v116, v3
	v_sub_f32_e32 v86, v117, v86
	v_add_f32_e32 v3, v86, v3
	v_add_f32_e32 v86, v85, v3
	v_cvt_f32_i32_e32 v102, v101
	v_mul_f32_e32 v103, v86, v86
	v_mov_b32_e32 v87, 0x3ecc95a3
	v_fmac_f32_e32 v87, 0x3e9b6dac, v103
	v_fmaak_f32 v87, v103, v87, 0x3f2aaada
	v_sub_f32_e32 v85, v86, v85
	v_ldexp_f32 v113, v86, 1
	v_mul_f32_e32 v103, v86, v103
	v_mov_b32_e32 v86, 0x3f317218
	v_pk_mul_f32 v[86:87], v[102:103], v[86:87]
	v_sub_f32_e32 v3, v3, v85
	v_fma_f32 v85, v102, s44, -v86
	v_fmamk_f32 v112, v102, 0xb102e308, v85
	v_pk_add_f32 v[102:103], v[86:87], v[112:113]
	v_ldexp_f32 v3, v3, 1
	v_sub_f32_e32 v85, v103, v113
	v_sub_f32_e32 v85, v87, v85
	v_add_f32_e32 v115, v3, v85
	v_mov_b32_e32 v114, v86
	v_pk_add_f32 v[86:87], v[102:103], v[86:87] neg_lo:[0,1] neg_hi:[0,1]
	v_pk_add_f32 v[116:117], v[102:103], v[114:115]
	v_mov_b32_e32 v113, v102
	v_mov_b32_e32 v87, v117
	v_pk_add_f32 v[118:119], v[112:113], v[86:87] neg_lo:[0,1] neg_hi:[0,1]
	v_pk_add_f32 v[86:87], v[112:113], v[86:87]
	v_mov_b32_e32 v114, v115
	v_mov_b32_e32 v112, v87
	v_pk_add_f32 v[128:129], v[112:113], v[102:103] neg_lo:[0,1] neg_hi:[0,1]
	v_mov_b32_e32 v86, v117
	v_mov_b32_e32 v3, v128
	v_pk_add_f32 v[130:131], v[116:117], v[2:3] neg_lo:[0,1] neg_hi:[0,1]
	v_mov_b32_e32 v116, v103
	v_mov_b32_e32 v117, v128
	;; [unrolled: 1-line block ×3, first 2 shown]
	v_pk_add_f32 v[86:87], v[86:87], v[116:117] neg_lo:[0,1] neg_hi:[0,1]
	v_mov_b32_e32 v115, v102
	v_pk_add_f32 v[86:87], v[114:115], v[86:87] neg_lo:[0,1] neg_hi:[0,1]
	v_mov_b32_e32 v130, v118
	v_pk_add_f32 v[102:103], v[130:131], v[86:87]
	v_cmp_eq_f32_e64 s[44:45], s48, v53
	v_mov_b32_e32 v114, v103
	v_pk_add_f32 v[114:115], v[102:103], v[114:115]
	s_mov_b32 s48, 0x33800000
	v_pk_add_f32 v[112:113], v[112:113], v[114:115]
	v_mov_b32_e32 v87, v114
	v_mov_b32_e32 v103, v112
	v_pk_add_f32 v[116:117], v[102:103], v[118:119] neg_lo:[0,1] neg_hi:[0,1]
	v_cmp_lt_f32_e64 s[48:49], |v53|, s48
	v_sub_f32_e32 v3, v102, v116
	v_pk_add_f32 v[86:87], v[86:87], v[116:117] neg_lo:[0,1] neg_hi:[0,1]
	v_sub_f32_e32 v3, v118, v3
	v_add_f32_e32 v3, v86, v3
	v_add_f32_e32 v3, v3, v87
	;; [unrolled: 1-line block ×3, first 2 shown]
	s_or_b64 s[44:45], s[44:45], s[48:49]
	v_cndmask_b32_e64 v3, v3, v53, s[44:45]
	v_add_f32_e32 v53, v2, v3
.LBB93_310:
	s_or_b64 exec, exec, s[46:47]
	v_max_f32_e32 v85, v21, v21
	v_max_f32_e32 v2, v53, v53
	v_min_f32_e32 v3, v2, v85
	v_cmp_u_f32_e64 s[46:47], v53, v53
	v_max_f32_e32 v2, v2, v85
	v_cmp_u_f32_e64 s[44:45], v21, v21
	v_cndmask_b32_e64 v3, v3, v53, s[46:47]
	v_cndmask_b32_e64 v2, v2, v53, s[46:47]
	;; [unrolled: 1-line block ×4, first 2 shown]
	s_movk_i32 s54, 0x1f8
	v_cmp_neq_f32_e64 s[46:47], v3, v2
	v_cmp_class_f32_e64 s[48:49], v3, s54
	s_or_b64 s[46:47], s[46:47], s[48:49]
	s_and_saveexec_b64 s[48:49], s[46:47]
	s_cbranch_execz .LBB93_312
; %bb.311:
	v_sub_f32_e32 v3, v3, v2
	s_mov_b32 s46, 0x3fb8aa3b
	v_mul_f32_e32 v53, 0x3fb8aa3b, v3
	v_fma_f32 v86, v3, s46, -v53
	v_rndne_f32_e32 v87, v53
	v_fmamk_f32 v86, v3, 0x32a5705f, v86
	v_sub_f32_e32 v53, v53, v87
	v_add_f32_e32 v53, v53, v86
	v_exp_f32_e32 v53, v53
	v_cvt_i32_f32_e32 v86, v87
	s_mov_b32 s46, 0xc2ce8ed0
	v_cmp_ngt_f32_e64 s[46:47], s46, v3
	s_mov_b32 s55, 0x7f800000
	v_ldexp_f32 v53, v53, v86
	v_cndmask_b32_e64 v53, 0, v53, s[46:47]
	s_mov_b32 s46, 0x42b17218
	v_mov_b32_e32 v86, 0x7f800000
	v_cmp_nlt_f32_e64 s[46:47], s46, v3
	s_nop 1
	v_cndmask_b32_e64 v53, v86, v53, s[46:47]
	v_add_f32_e32 v3, 1.0, v53
	v_add_f32_e32 v86, -1.0, v3
	v_sub_f32_e32 v87, v86, v3
	v_add_f32_e32 v87, 1.0, v87
	v_sub_f32_e32 v86, v53, v86
	v_add_f32_e32 v101, v86, v87
	v_frexp_mant_f32_e32 v102, v3
	s_mov_b32 s46, 0x3f2aaaab
	v_cvt_f64_f32_e32 v[86:87], v3
	v_frexp_exp_i32_f64_e32 v86, v[86:87]
	v_cmp_gt_f32_e64 s[46:47], s46, v102
	s_nop 1
	v_subbrev_co_u32_e64 v116, s[46:47], 0, v86, s[46:47]
	v_sub_u32_e32 v86, 0, v116
	v_ldexp_f32 v3, v3, v86
	v_ldexp_f32 v86, v101, v86
	v_add_f32_e32 v101, -1.0, v3
	v_add_f32_e32 v87, 1.0, v101
	v_sub_f32_e32 v87, v3, v87
	v_add_f32_e32 v102, v86, v87
	v_add_f32_e32 v87, 1.0, v3
	v_add_f32_e32 v103, -1.0, v87
	v_sub_f32_e32 v3, v3, v103
	v_add_f32_e32 v3, v86, v3
	v_add_f32_e32 v117, v87, v3
	v_rcp_f32_e32 v118, v117
	v_sub_f32_e32 v86, v87, v117
	v_add_f32_e32 v87, v101, v102
	v_add_f32_e32 v3, v3, v86
	v_sub_f32_e32 v86, v101, v87
	v_mul_f32_e32 v119, v87, v118
	v_add_f32_e32 v101, v102, v86
	v_mul_f32_e32 v102, v117, v119
	v_fma_f32 v112, v119, v117, -v102
	v_fmac_f32_e32 v112, v119, v3
	v_add_f32_e32 v86, v102, v112
	v_sub_f32_e32 v103, v87, v86
	v_pk_add_f32 v[114:115], v[86:87], v[102:103] neg_lo:[0,1] neg_hi:[0,1]
	v_mov_b32_e32 v113, v86
	v_pk_add_f32 v[86:87], v[114:115], v[112:113] neg_lo:[0,1] neg_hi:[0,1]
	s_mov_b32 s46, 0x3f317218
	v_add_f32_e32 v87, v101, v87
	v_add_f32_e32 v86, v86, v87
	;; [unrolled: 1-line block ×3, first 2 shown]
	v_mul_f32_e32 v101, v118, v87
	v_mul_f32_e32 v102, v117, v101
	v_fma_f32 v112, v101, v117, -v102
	v_fmac_f32_e32 v112, v101, v3
	v_sub_f32_e32 v3, v103, v87
	v_add_f32_e32 v3, v86, v3
	v_add_f32_e32 v86, v102, v112
	v_sub_f32_e32 v103, v87, v86
	v_pk_add_f32 v[114:115], v[86:87], v[102:103] neg_lo:[0,1] neg_hi:[0,1]
	v_mov_b32_e32 v113, v86
	v_pk_add_f32 v[86:87], v[114:115], v[112:113] neg_lo:[0,1] neg_hi:[0,1]
	v_cvt_f32_i32_e32 v102, v116
	v_add_f32_e32 v3, v3, v87
	v_add_f32_e32 v3, v86, v3
	;; [unrolled: 1-line block ×4, first 2 shown]
	v_sub_f32_e32 v87, v86, v119
	v_mul_f32_e32 v3, v118, v3
	v_sub_f32_e32 v87, v101, v87
	v_add_f32_e32 v3, v87, v3
	v_add_f32_e32 v101, v86, v3
	v_mul_f32_e32 v103, v101, v101
	v_mov_b32_e32 v87, 0x3ecc95a3
	v_fmac_f32_e32 v87, 0x3e9b6dac, v103
	v_sub_f32_e32 v86, v101, v86
	v_fmaak_f32 v87, v103, v87, 0x3f2aaada
	v_sub_f32_e32 v3, v3, v86
	v_mul_f32_e32 v103, v101, v103
	v_mov_b32_e32 v86, 0x3f317218
	v_pk_mul_f32 v[86:87], v[102:103], v[86:87]
	v_ldexp_f32 v113, v101, 1
	v_fma_f32 v101, v102, s46, -v86
	v_fmamk_f32 v112, v102, 0xb102e308, v101
	v_pk_add_f32 v[102:103], v[86:87], v[112:113]
	v_ldexp_f32 v3, v3, 1
	v_sub_f32_e32 v101, v103, v113
	v_sub_f32_e32 v101, v87, v101
	v_add_f32_e32 v115, v3, v101
	v_mov_b32_e32 v114, v86
	v_pk_add_f32 v[86:87], v[102:103], v[86:87] neg_lo:[0,1] neg_hi:[0,1]
	v_pk_add_f32 v[116:117], v[102:103], v[114:115]
	v_mov_b32_e32 v113, v102
	v_mov_b32_e32 v87, v117
	v_pk_add_f32 v[118:119], v[112:113], v[86:87] neg_lo:[0,1] neg_hi:[0,1]
	v_pk_add_f32 v[86:87], v[112:113], v[86:87]
	v_mov_b32_e32 v114, v115
	v_mov_b32_e32 v112, v87
	v_pk_add_f32 v[128:129], v[112:113], v[102:103] neg_lo:[0,1] neg_hi:[0,1]
	v_mov_b32_e32 v86, v117
	v_mov_b32_e32 v3, v128
	v_pk_add_f32 v[130:131], v[116:117], v[2:3] neg_lo:[0,1] neg_hi:[0,1]
	v_mov_b32_e32 v116, v103
	v_mov_b32_e32 v117, v128
	;; [unrolled: 1-line block ×3, first 2 shown]
	v_pk_add_f32 v[86:87], v[86:87], v[116:117] neg_lo:[0,1] neg_hi:[0,1]
	v_mov_b32_e32 v115, v102
	v_pk_add_f32 v[86:87], v[114:115], v[86:87] neg_lo:[0,1] neg_hi:[0,1]
	v_mov_b32_e32 v130, v118
	v_pk_add_f32 v[102:103], v[130:131], v[86:87]
	v_cmp_eq_f32_e64 s[46:47], s55, v53
	v_mov_b32_e32 v114, v103
	v_pk_add_f32 v[114:115], v[102:103], v[114:115]
	s_mov_b32 s55, 0x33800000
	v_pk_add_f32 v[112:113], v[112:113], v[114:115]
	v_mov_b32_e32 v87, v114
	v_mov_b32_e32 v103, v112
	v_pk_add_f32 v[116:117], v[102:103], v[118:119] neg_lo:[0,1] neg_hi:[0,1]
	v_cmp_lt_f32_e64 s[56:57], |v53|, s55
	v_sub_f32_e32 v3, v102, v116
	v_pk_add_f32 v[86:87], v[86:87], v[116:117] neg_lo:[0,1] neg_hi:[0,1]
	v_sub_f32_e32 v3, v118, v3
	v_add_f32_e32 v3, v86, v3
	v_add_f32_e32 v3, v3, v87
	;; [unrolled: 1-line block ×3, first 2 shown]
	s_or_b64 s[46:47], s[46:47], s[56:57]
	v_cndmask_b32_e64 v3, v3, v53, s[46:47]
	v_add_f32_e32 v53, v2, v3
.LBB93_312:
	s_or_b64 exec, exec, s[48:49]
	v_max_f32_e32 v86, v22, v22
	v_max_f32_e32 v2, v53, v53
	v_min_f32_e32 v3, v2, v86
	v_cmp_u_f32_e64 s[48:49], v53, v53
	v_max_f32_e32 v2, v2, v86
	v_cmp_u_f32_e64 s[46:47], v22, v22
	v_cndmask_b32_e64 v3, v3, v53, s[48:49]
	v_cndmask_b32_e64 v2, v2, v53, s[48:49]
	;; [unrolled: 1-line block ×4, first 2 shown]
	v_cmp_neq_f32_e64 s[48:49], v3, v2
	v_cmp_class_f32_e64 s[54:55], v3, s54
	s_or_b64 s[48:49], s[48:49], s[54:55]
	s_and_saveexec_b64 s[54:55], s[48:49]
	s_cbranch_execz .LBB93_314
; %bb.313:
	v_sub_f32_e32 v3, v3, v2
	s_mov_b32 s48, 0x3fb8aa3b
	v_mul_f32_e32 v53, 0x3fb8aa3b, v3
	v_fma_f32 v87, v3, s48, -v53
	v_rndne_f32_e32 v101, v53
	v_fmamk_f32 v87, v3, 0x32a5705f, v87
	v_sub_f32_e32 v53, v53, v101
	v_add_f32_e32 v53, v53, v87
	v_exp_f32_e32 v53, v53
	v_cvt_i32_f32_e32 v87, v101
	s_mov_b32 s48, 0xc2ce8ed0
	v_cmp_ngt_f32_e64 s[48:49], s48, v3
	s_mov_b32 s56, 0x7f800000
	v_ldexp_f32 v53, v53, v87
	v_cndmask_b32_e64 v53, 0, v53, s[48:49]
	s_mov_b32 s48, 0x42b17218
	v_mov_b32_e32 v87, 0x7f800000
	v_cmp_nlt_f32_e64 s[48:49], s48, v3
	s_nop 1
	v_cndmask_b32_e64 v53, v87, v53, s[48:49]
	v_add_f32_e32 v3, 1.0, v53
	v_add_f32_e32 v87, -1.0, v3
	v_sub_f32_e32 v101, v87, v3
	v_add_f32_e32 v101, 1.0, v101
	v_sub_f32_e32 v87, v53, v87
	v_add_f32_e32 v87, v87, v101
	v_frexp_mant_f32_e32 v101, v3
	s_mov_b32 s48, 0x3f2aaaab
	v_cvt_f64_f32_e32 v[102:103], v3
	v_frexp_exp_i32_f64_e32 v102, v[102:103]
	v_cmp_gt_f32_e64 s[48:49], s48, v101
	s_nop 1
	v_subbrev_co_u32_e64 v101, s[48:49], 0, v102, s[48:49]
	v_sub_u32_e32 v102, 0, v101
	v_ldexp_f32 v3, v3, v102
	v_ldexp_f32 v87, v87, v102
	v_add_f32_e32 v102, -1.0, v3
	v_add_f32_e32 v103, 1.0, v102
	v_sub_f32_e32 v103, v3, v103
	v_add_f32_e32 v112, v87, v103
	v_add_f32_e32 v103, 1.0, v3
	v_add_f32_e32 v113, -1.0, v103
	v_sub_f32_e32 v3, v3, v113
	v_add_f32_e32 v3, v87, v3
	v_add_f32_e32 v87, v103, v3
	v_rcp_f32_e32 v118, v87
	v_sub_f32_e32 v103, v103, v87
	v_add_f32_e32 v3, v3, v103
	v_add_f32_e32 v103, v102, v112
	v_sub_f32_e32 v102, v102, v103
	v_mul_f32_e32 v128, v103, v118
	v_add_f32_e32 v119, v112, v102
	v_mul_f32_e32 v112, v87, v128
	v_fma_f32 v114, v128, v87, -v112
	v_fmac_f32_e32 v114, v128, v3
	v_add_f32_e32 v102, v112, v114
	v_sub_f32_e32 v113, v103, v102
	v_pk_add_f32 v[116:117], v[102:103], v[112:113] neg_lo:[0,1] neg_hi:[0,1]
	v_mov_b32_e32 v115, v102
	v_pk_add_f32 v[102:103], v[116:117], v[114:115] neg_lo:[0,1] neg_hi:[0,1]
	s_mov_b32 s48, 0x3f317218
	v_add_f32_e32 v103, v119, v103
	v_add_f32_e32 v102, v102, v103
	;; [unrolled: 1-line block ×3, first 2 shown]
	v_mul_f32_e32 v119, v118, v103
	v_mul_f32_e32 v112, v87, v119
	v_fma_f32 v114, v119, v87, -v112
	v_fmac_f32_e32 v114, v119, v3
	v_sub_f32_e32 v3, v113, v103
	v_add_f32_e32 v3, v102, v3
	v_add_f32_e32 v102, v112, v114
	v_sub_f32_e32 v113, v103, v102
	v_pk_add_f32 v[116:117], v[102:103], v[112:113] neg_lo:[0,1] neg_hi:[0,1]
	v_mov_b32_e32 v115, v102
	v_pk_add_f32 v[102:103], v[116:117], v[114:115] neg_lo:[0,1] neg_hi:[0,1]
	v_add_f32_e32 v87, v128, v119
	v_add_f32_e32 v3, v3, v103
	;; [unrolled: 1-line block ×4, first 2 shown]
	v_sub_f32_e32 v102, v87, v128
	v_mul_f32_e32 v3, v118, v3
	v_sub_f32_e32 v102, v119, v102
	v_add_f32_e32 v3, v102, v3
	v_add_f32_e32 v102, v87, v3
	v_cvt_f32_i32_e32 v112, v101
	v_mul_f32_e32 v113, v102, v102
	v_mov_b32_e32 v103, 0x3ecc95a3
	v_fmac_f32_e32 v103, 0x3e9b6dac, v113
	v_fmaak_f32 v103, v113, v103, 0x3f2aaada
	v_sub_f32_e32 v87, v102, v87
	v_ldexp_f32 v115, v102, 1
	v_mul_f32_e32 v113, v102, v113
	v_mov_b32_e32 v102, 0x3f317218
	v_pk_mul_f32 v[102:103], v[112:113], v[102:103]
	v_sub_f32_e32 v3, v3, v87
	v_fma_f32 v87, v112, s48, -v102
	v_fmamk_f32 v114, v112, 0xb102e308, v87
	v_pk_add_f32 v[112:113], v[102:103], v[114:115]
	v_ldexp_f32 v3, v3, 1
	v_sub_f32_e32 v87, v113, v115
	v_sub_f32_e32 v87, v103, v87
	v_add_f32_e32 v117, v3, v87
	v_mov_b32_e32 v116, v102
	v_pk_add_f32 v[102:103], v[112:113], v[102:103] neg_lo:[0,1] neg_hi:[0,1]
	v_pk_add_f32 v[118:119], v[112:113], v[116:117]
	v_mov_b32_e32 v115, v112
	v_mov_b32_e32 v103, v119
	v_pk_add_f32 v[128:129], v[114:115], v[102:103] neg_lo:[0,1] neg_hi:[0,1]
	v_pk_add_f32 v[102:103], v[114:115], v[102:103]
	v_mov_b32_e32 v116, v117
	v_mov_b32_e32 v114, v103
	v_pk_add_f32 v[130:131], v[114:115], v[112:113] neg_lo:[0,1] neg_hi:[0,1]
	v_mov_b32_e32 v102, v119
	v_mov_b32_e32 v3, v130
	v_pk_add_f32 v[132:133], v[118:119], v[2:3] neg_lo:[0,1] neg_hi:[0,1]
	v_mov_b32_e32 v118, v113
	v_mov_b32_e32 v119, v130
	;; [unrolled: 1-line block ×3, first 2 shown]
	v_pk_add_f32 v[102:103], v[102:103], v[118:119] neg_lo:[0,1] neg_hi:[0,1]
	v_mov_b32_e32 v117, v112
	v_pk_add_f32 v[102:103], v[116:117], v[102:103] neg_lo:[0,1] neg_hi:[0,1]
	v_mov_b32_e32 v132, v128
	v_pk_add_f32 v[112:113], v[132:133], v[102:103]
	v_cmp_eq_f32_e64 s[48:49], s56, v53
	v_mov_b32_e32 v116, v113
	v_pk_add_f32 v[116:117], v[112:113], v[116:117]
	s_mov_b32 s56, 0x33800000
	v_pk_add_f32 v[114:115], v[114:115], v[116:117]
	v_mov_b32_e32 v103, v116
	v_mov_b32_e32 v113, v114
	v_pk_add_f32 v[118:119], v[112:113], v[128:129] neg_lo:[0,1] neg_hi:[0,1]
	v_cmp_lt_f32_e64 s[56:57], |v53|, s56
	v_sub_f32_e32 v3, v112, v118
	v_pk_add_f32 v[102:103], v[102:103], v[118:119] neg_lo:[0,1] neg_hi:[0,1]
	v_sub_f32_e32 v3, v128, v3
	v_add_f32_e32 v3, v102, v3
	v_add_f32_e32 v3, v3, v103
	;; [unrolled: 1-line block ×3, first 2 shown]
	s_or_b64 s[48:49], s[48:49], s[56:57]
	v_cndmask_b32_e64 v3, v3, v53, s[48:49]
	v_add_f32_e32 v53, v2, v3
.LBB93_314:
	s_or_b64 exec, exec, s[54:55]
	v_max_f32_e32 v87, v23, v23
	v_max_f32_e32 v2, v53, v53
	v_min_f32_e32 v3, v2, v87
	v_cmp_u_f32_e64 s[54:55], v53, v53
	v_max_f32_e32 v2, v2, v87
	v_cmp_u_f32_e64 s[48:49], v23, v23
	v_cndmask_b32_e64 v3, v3, v53, s[54:55]
	v_cndmask_b32_e64 v2, v2, v53, s[54:55]
	;; [unrolled: 1-line block ×4, first 2 shown]
	s_movk_i32 s56, 0x1f8
	v_cmp_neq_f32_e64 s[54:55], v3, v2
	v_cmp_class_f32_e64 s[56:57], v3, s56
	s_or_b64 s[54:55], s[54:55], s[56:57]
	s_and_saveexec_b64 s[56:57], s[54:55]
	s_cbranch_execz .LBB93_316
; %bb.315:
	v_sub_f32_e32 v3, v3, v2
	s_mov_b32 s54, 0x3fb8aa3b
	v_mul_f32_e32 v53, 0x3fb8aa3b, v3
	v_fma_f32 v101, v3, s54, -v53
	v_rndne_f32_e32 v102, v53
	v_fmamk_f32 v101, v3, 0x32a5705f, v101
	v_sub_f32_e32 v53, v53, v102
	v_add_f32_e32 v53, v53, v101
	v_exp_f32_e32 v53, v53
	v_cvt_i32_f32_e32 v101, v102
	s_mov_b32 s54, 0xc2ce8ed0
	v_cmp_ngt_f32_e64 s[54:55], s54, v3
	s_mov_b32 s58, 0x7f800000
	v_ldexp_f32 v53, v53, v101
	v_cndmask_b32_e64 v53, 0, v53, s[54:55]
	s_mov_b32 s54, 0x42b17218
	v_mov_b32_e32 v101, 0x7f800000
	v_cmp_nlt_f32_e64 s[54:55], s54, v3
	s_nop 1
	v_cndmask_b32_e64 v53, v101, v53, s[54:55]
	v_add_f32_e32 v3, 1.0, v53
	v_add_f32_e32 v101, -1.0, v3
	v_sub_f32_e32 v102, v101, v3
	v_add_f32_e32 v102, 1.0, v102
	v_sub_f32_e32 v101, v53, v101
	v_add_f32_e32 v101, v101, v102
	v_frexp_mant_f32_e32 v112, v3
	s_mov_b32 s54, 0x3f2aaaab
	v_cvt_f64_f32_e32 v[102:103], v3
	v_frexp_exp_i32_f64_e32 v102, v[102:103]
	v_cmp_gt_f32_e64 s[54:55], s54, v112
	s_nop 1
	v_subbrev_co_u32_e64 v118, s[54:55], 0, v102, s[54:55]
	v_sub_u32_e32 v102, 0, v118
	v_ldexp_f32 v3, v3, v102
	v_ldexp_f32 v101, v101, v102
	v_add_f32_e32 v102, -1.0, v3
	v_add_f32_e32 v103, 1.0, v102
	v_sub_f32_e32 v103, v3, v103
	v_add_f32_e32 v112, v101, v103
	v_add_f32_e32 v103, 1.0, v3
	v_add_f32_e32 v113, -1.0, v103
	v_sub_f32_e32 v3, v3, v113
	v_add_f32_e32 v3, v101, v3
	v_add_f32_e32 v101, v103, v3
	v_rcp_f32_e32 v119, v101
	v_sub_f32_e32 v103, v103, v101
	v_add_f32_e32 v3, v3, v103
	v_add_f32_e32 v103, v102, v112
	v_sub_f32_e32 v102, v102, v103
	v_mul_f32_e32 v129, v103, v119
	v_add_f32_e32 v128, v112, v102
	v_mul_f32_e32 v112, v101, v129
	v_fma_f32 v114, v129, v101, -v112
	v_fmac_f32_e32 v114, v129, v3
	v_add_f32_e32 v102, v112, v114
	v_sub_f32_e32 v113, v103, v102
	v_pk_add_f32 v[116:117], v[102:103], v[112:113] neg_lo:[0,1] neg_hi:[0,1]
	v_mov_b32_e32 v115, v102
	v_pk_add_f32 v[102:103], v[116:117], v[114:115] neg_lo:[0,1] neg_hi:[0,1]
	s_mov_b32 s54, 0x3f317218
	v_add_f32_e32 v103, v128, v103
	v_add_f32_e32 v102, v102, v103
	;; [unrolled: 1-line block ×3, first 2 shown]
	v_mul_f32_e32 v128, v119, v103
	v_mul_f32_e32 v112, v101, v128
	v_fma_f32 v114, v128, v101, -v112
	v_fmac_f32_e32 v114, v128, v3
	v_sub_f32_e32 v3, v113, v103
	v_add_f32_e32 v3, v102, v3
	v_add_f32_e32 v102, v112, v114
	v_sub_f32_e32 v113, v103, v102
	v_pk_add_f32 v[116:117], v[102:103], v[112:113] neg_lo:[0,1] neg_hi:[0,1]
	v_mov_b32_e32 v115, v102
	v_pk_add_f32 v[102:103], v[116:117], v[114:115] neg_lo:[0,1] neg_hi:[0,1]
	v_add_f32_e32 v101, v129, v128
	v_add_f32_e32 v3, v3, v103
	;; [unrolled: 1-line block ×4, first 2 shown]
	v_sub_f32_e32 v102, v101, v129
	v_mul_f32_e32 v3, v119, v3
	v_sub_f32_e32 v102, v128, v102
	v_add_f32_e32 v3, v102, v3
	v_add_f32_e32 v102, v101, v3
	v_cvt_f32_i32_e32 v112, v118
	v_mul_f32_e32 v113, v102, v102
	v_mov_b32_e32 v103, 0x3ecc95a3
	v_fmac_f32_e32 v103, 0x3e9b6dac, v113
	v_fmaak_f32 v103, v113, v103, 0x3f2aaada
	v_sub_f32_e32 v101, v102, v101
	v_ldexp_f32 v115, v102, 1
	v_mul_f32_e32 v113, v102, v113
	v_mov_b32_e32 v102, 0x3f317218
	v_pk_mul_f32 v[102:103], v[112:113], v[102:103]
	v_sub_f32_e32 v3, v3, v101
	v_fma_f32 v101, v112, s54, -v102
	v_fmamk_f32 v114, v112, 0xb102e308, v101
	v_pk_add_f32 v[112:113], v[102:103], v[114:115]
	v_ldexp_f32 v3, v3, 1
	v_sub_f32_e32 v101, v113, v115
	v_sub_f32_e32 v101, v103, v101
	v_add_f32_e32 v117, v3, v101
	v_mov_b32_e32 v116, v102
	v_pk_add_f32 v[102:103], v[112:113], v[102:103] neg_lo:[0,1] neg_hi:[0,1]
	v_pk_add_f32 v[118:119], v[112:113], v[116:117]
	v_mov_b32_e32 v115, v112
	v_mov_b32_e32 v103, v119
	v_pk_add_f32 v[128:129], v[114:115], v[102:103] neg_lo:[0,1] neg_hi:[0,1]
	v_pk_add_f32 v[102:103], v[114:115], v[102:103]
	v_mov_b32_e32 v116, v117
	v_mov_b32_e32 v114, v103
	v_pk_add_f32 v[130:131], v[114:115], v[112:113] neg_lo:[0,1] neg_hi:[0,1]
	v_mov_b32_e32 v102, v119
	v_mov_b32_e32 v3, v130
	v_pk_add_f32 v[132:133], v[118:119], v[2:3] neg_lo:[0,1] neg_hi:[0,1]
	v_mov_b32_e32 v118, v113
	v_mov_b32_e32 v119, v130
	v_mov_b32_e32 v129, v103
	v_pk_add_f32 v[102:103], v[102:103], v[118:119] neg_lo:[0,1] neg_hi:[0,1]
	v_mov_b32_e32 v117, v112
	v_pk_add_f32 v[102:103], v[116:117], v[102:103] neg_lo:[0,1] neg_hi:[0,1]
	v_mov_b32_e32 v132, v128
	v_pk_add_f32 v[112:113], v[132:133], v[102:103]
	v_cmp_eq_f32_e64 s[54:55], s58, v53
	v_mov_b32_e32 v116, v113
	v_pk_add_f32 v[116:117], v[112:113], v[116:117]
	s_mov_b32 s58, 0x33800000
	v_pk_add_f32 v[114:115], v[114:115], v[116:117]
	v_mov_b32_e32 v103, v116
	v_mov_b32_e32 v113, v114
	v_pk_add_f32 v[118:119], v[112:113], v[128:129] neg_lo:[0,1] neg_hi:[0,1]
	v_cmp_lt_f32_e64 s[58:59], |v53|, s58
	v_sub_f32_e32 v3, v112, v118
	v_pk_add_f32 v[102:103], v[102:103], v[118:119] neg_lo:[0,1] neg_hi:[0,1]
	v_sub_f32_e32 v3, v128, v3
	v_add_f32_e32 v3, v102, v3
	v_add_f32_e32 v3, v3, v103
	;; [unrolled: 1-line block ×3, first 2 shown]
	s_or_b64 s[54:55], s[54:55], s[58:59]
	v_cndmask_b32_e64 v3, v3, v53, s[54:55]
	v_add_f32_e32 v53, v2, v3
.LBB93_316:
	s_or_b64 exec, exec, s[56:57]
	v_lshrrev_b32_e32 v2, 5, v0
	v_add_lshl_u32 v2, v2, v0, 2
	v_cmp_gt_u32_e64 s[54:55], 64, v0
	ds_write_b32 v2, v53
	s_waitcnt lgkmcnt(0)
	s_barrier
	s_and_saveexec_b64 s[60:61], s[54:55]
	s_cbranch_execz .LBB93_356
; %bb.317:
	v_lshrrev_b32_e32 v2, 3, v0
	v_add_lshl_u32 v101, v2, v10, 2
	ds_read2_b32 v[2:3], v101 offset1:1
	s_movk_i32 s64, 0x1f8
	s_waitcnt lgkmcnt(0)
	v_max_f32_e32 v103, v3, v3
	v_max_f32_e32 v102, v2, v2
	v_min_f32_e32 v112, v102, v103
	v_max_f32_e32 v113, v102, v103
	v_cmp_u_f32_e64 s[54:55], v2, v2
	v_cmp_u_f32_e64 s[56:57], v3, v3
	s_nop 0
	v_cndmask_b32_e64 v103, v112, v2, s[54:55]
	v_cndmask_b32_e64 v112, v113, v2, s[54:55]
	;; [unrolled: 1-line block ×4, first 2 shown]
	v_cmp_neq_f32_e64 s[56:57], v103, v3
	v_cmp_class_f32_e64 s[58:59], v103, s64
	s_or_b64 s[56:57], s[56:57], s[58:59]
	v_mov_b32_e32 v112, v2
	s_and_saveexec_b64 s[58:59], s[56:57]
	s_cbranch_execz .LBB93_319
; %bb.318:
	v_sub_f32_e32 v103, v103, v3
	s_mov_b32 s56, 0x3fb8aa3b
	v_mul_f32_e32 v112, 0x3fb8aa3b, v103
	v_fma_f32 v113, v103, s56, -v112
	v_rndne_f32_e32 v114, v112
	v_fmamk_f32 v113, v103, 0x32a5705f, v113
	v_sub_f32_e32 v112, v112, v114
	v_add_f32_e32 v112, v112, v113
	v_exp_f32_e32 v112, v112
	v_cvt_i32_f32_e32 v113, v114
	s_mov_b32 s56, 0xc2ce8ed0
	v_cmp_ngt_f32_e64 s[56:57], s56, v103
	s_mov_b32 s65, 0x7f800000
	v_ldexp_f32 v112, v112, v113
	v_cndmask_b32_e64 v112, 0, v112, s[56:57]
	s_mov_b32 s56, 0x42b17218
	v_mov_b32_e32 v113, 0x7f800000
	v_cmp_nlt_f32_e64 s[56:57], s56, v103
	s_nop 1
	v_cndmask_b32_e64 v144, v113, v112, s[56:57]
	v_add_f32_e32 v103, 1.0, v144
	v_add_f32_e32 v112, -1.0, v103
	v_sub_f32_e32 v113, v112, v103
	v_add_f32_e32 v113, 1.0, v113
	v_sub_f32_e32 v112, v144, v112
	v_add_f32_e32 v114, v112, v113
	v_frexp_mant_f32_e32 v115, v103
	s_mov_b32 s56, 0x3f2aaaab
	v_cvt_f64_f32_e32 v[112:113], v103
	v_frexp_exp_i32_f64_e32 v112, v[112:113]
	v_cmp_gt_f32_e64 s[56:57], s56, v115
	s_nop 1
	v_subbrev_co_u32_e64 v128, s[56:57], 0, v112, s[56:57]
	v_sub_u32_e32 v112, 0, v128
	v_ldexp_f32 v103, v103, v112
	v_ldexp_f32 v112, v114, v112
	v_add_f32_e32 v114, -1.0, v103
	v_add_f32_e32 v113, 1.0, v114
	v_sub_f32_e32 v113, v103, v113
	v_add_f32_e32 v115, v112, v113
	v_add_f32_e32 v113, 1.0, v103
	v_add_f32_e32 v116, -1.0, v113
	v_sub_f32_e32 v103, v103, v116
	v_add_f32_e32 v103, v112, v103
	v_add_f32_e32 v129, v113, v103
	v_rcp_f32_e32 v130, v129
	v_sub_f32_e32 v112, v113, v129
	v_add_f32_e32 v113, v114, v115
	v_add_f32_e32 v103, v103, v112
	v_mul_f32_e32 v132, v113, v130
	v_sub_f32_e32 v112, v114, v113
	v_mul_f32_e32 v114, v129, v132
	v_fma_f32 v116, v132, v129, -v114
	v_fmac_f32_e32 v116, v132, v103
	v_add_f32_e32 v131, v115, v112
	v_add_f32_e32 v112, v114, v116
	v_sub_f32_e32 v115, v113, v112
	v_pk_add_f32 v[118:119], v[112:113], v[114:115] neg_lo:[0,1] neg_hi:[0,1]
	v_mov_b32_e32 v117, v112
	v_pk_add_f32 v[112:113], v[118:119], v[116:117] neg_lo:[0,1] neg_hi:[0,1]
	s_mov_b32 s56, 0x3f317218
	v_add_f32_e32 v113, v131, v113
	v_add_f32_e32 v112, v112, v113
	;; [unrolled: 1-line block ×3, first 2 shown]
	v_mul_f32_e32 v131, v130, v113
	v_mul_f32_e32 v114, v129, v131
	v_fma_f32 v116, v131, v129, -v114
	v_fmac_f32_e32 v116, v131, v103
	v_sub_f32_e32 v103, v115, v113
	v_add_f32_e32 v103, v112, v103
	v_add_f32_e32 v112, v114, v116
	v_sub_f32_e32 v115, v113, v112
	v_pk_add_f32 v[118:119], v[112:113], v[114:115] neg_lo:[0,1] neg_hi:[0,1]
	v_mov_b32_e32 v117, v112
	v_pk_add_f32 v[112:113], v[118:119], v[116:117] neg_lo:[0,1] neg_hi:[0,1]
	v_cvt_f32_i32_e32 v114, v128
	v_add_f32_e32 v103, v103, v113
	v_add_f32_e32 v103, v112, v103
	;; [unrolled: 1-line block ×4, first 2 shown]
	v_sub_f32_e32 v113, v112, v132
	v_mul_f32_e32 v103, v130, v103
	v_sub_f32_e32 v113, v131, v113
	v_add_f32_e32 v103, v113, v103
	v_add_f32_e32 v115, v112, v103
	v_mul_f32_e32 v116, v115, v115
	v_mov_b32_e32 v113, 0x3ecc95a3
	v_fmac_f32_e32 v113, 0x3e9b6dac, v116
	v_sub_f32_e32 v112, v115, v112
	v_fmaak_f32 v113, v116, v113, 0x3f2aaada
	v_sub_f32_e32 v103, v103, v112
	v_ldexp_f32 v117, v115, 1
	v_mul_f32_e32 v115, v115, v116
	v_mov_b32_e32 v112, 0x3f317218
	v_pk_mul_f32 v[112:113], v[114:115], v[112:113]
	v_ldexp_f32 v103, v103, 1
	v_fma_f32 v115, v114, s56, -v112
	v_fmamk_f32 v116, v114, 0xb102e308, v115
	v_pk_add_f32 v[114:115], v[112:113], v[116:117]
	v_mov_b32_e32 v118, v112
	v_sub_f32_e32 v117, v115, v117
	v_sub_f32_e32 v117, v113, v117
	v_add_f32_e32 v119, v103, v117
	v_pk_add_f32 v[112:113], v[114:115], v[112:113] neg_lo:[0,1] neg_hi:[0,1]
	v_pk_add_f32 v[128:129], v[114:115], v[118:119]
	v_mov_b32_e32 v117, v114
	v_mov_b32_e32 v113, v129
	v_pk_add_f32 v[130:131], v[116:117], v[112:113] neg_lo:[0,1] neg_hi:[0,1]
	v_pk_add_f32 v[112:113], v[116:117], v[112:113]
	v_mov_b32_e32 v118, v119
	v_mov_b32_e32 v116, v113
	v_pk_add_f32 v[132:133], v[116:117], v[114:115] neg_lo:[0,1] neg_hi:[0,1]
	v_mov_b32_e32 v112, v129
	v_mov_b32_e32 v103, v132
	v_pk_add_f32 v[134:135], v[128:129], v[102:103] neg_lo:[0,1] neg_hi:[0,1]
	v_mov_b32_e32 v128, v115
	v_mov_b32_e32 v129, v132
	;; [unrolled: 1-line block ×3, first 2 shown]
	v_pk_add_f32 v[112:113], v[112:113], v[128:129] neg_lo:[0,1] neg_hi:[0,1]
	v_mov_b32_e32 v119, v114
	v_pk_add_f32 v[112:113], v[118:119], v[112:113] neg_lo:[0,1] neg_hi:[0,1]
	v_mov_b32_e32 v134, v130
	v_pk_add_f32 v[114:115], v[134:135], v[112:113]
	v_cmp_eq_f32_e64 s[56:57], s65, v144
	v_mov_b32_e32 v118, v115
	v_pk_add_f32 v[118:119], v[114:115], v[118:119]
	s_mov_b32 s65, 0x33800000
	v_pk_add_f32 v[116:117], v[116:117], v[118:119]
	v_mov_b32_e32 v113, v118
	v_mov_b32_e32 v115, v116
	v_pk_add_f32 v[128:129], v[114:115], v[130:131] neg_lo:[0,1] neg_hi:[0,1]
	v_cmp_lt_f32_e64 s[66:67], |v144|, s65
	v_sub_f32_e32 v103, v114, v128
	v_pk_add_f32 v[112:113], v[112:113], v[128:129] neg_lo:[0,1] neg_hi:[0,1]
	v_sub_f32_e32 v103, v130, v103
	v_add_f32_e32 v103, v112, v103
	v_add_f32_e32 v103, v103, v113
	;; [unrolled: 1-line block ×3, first 2 shown]
	s_or_b64 s[56:57], s[56:57], s[66:67]
	v_cndmask_b32_e64 v103, v103, v144, s[56:57]
	v_add_f32_e32 v112, v3, v103
.LBB93_319:
	s_or_b64 exec, exec, s[58:59]
	ds_read_b32 v3, v101 offset:8
	v_max_f32_e32 v103, v112, v112
	v_cmp_u_f32_e64 s[56:57], v112, v112
	s_waitcnt lgkmcnt(0)
	v_max_f32_e32 v113, v3, v3
	v_min_f32_e32 v114, v103, v113
	v_max_f32_e32 v113, v103, v113
	v_cndmask_b32_e64 v103, v114, v112, s[56:57]
	v_cmp_u_f32_e64 s[58:59], v3, v3
	v_cndmask_b32_e64 v113, v113, v112, s[56:57]
	s_nop 0
	v_cndmask_b32_e64 v103, v103, v3, s[58:59]
	v_cndmask_b32_e64 v3, v113, v3, s[58:59]
	v_cmp_neq_f32_e64 s[56:57], v103, v3
	v_cmp_class_f32_e64 s[58:59], v103, s64
	s_or_b64 s[56:57], s[56:57], s[58:59]
	s_and_saveexec_b64 s[58:59], s[56:57]
	s_cbranch_execz .LBB93_321
; %bb.320:
	v_sub_f32_e32 v103, v103, v3
	s_mov_b32 s56, 0x3fb8aa3b
	v_mul_f32_e32 v112, 0x3fb8aa3b, v103
	v_fma_f32 v113, v103, s56, -v112
	v_rndne_f32_e32 v114, v112
	v_fmamk_f32 v113, v103, 0x32a5705f, v113
	v_sub_f32_e32 v112, v112, v114
	v_add_f32_e32 v112, v112, v113
	v_exp_f32_e32 v112, v112
	v_cvt_i32_f32_e32 v113, v114
	s_mov_b32 s56, 0xc2ce8ed0
	v_cmp_ngt_f32_e64 s[56:57], s56, v103
	s_mov_b32 s64, 0x7f800000
	v_ldexp_f32 v112, v112, v113
	v_cndmask_b32_e64 v112, 0, v112, s[56:57]
	s_mov_b32 s56, 0x42b17218
	v_mov_b32_e32 v113, 0x7f800000
	v_cmp_nlt_f32_e64 s[56:57], s56, v103
	s_nop 1
	v_cndmask_b32_e64 v144, v113, v112, s[56:57]
	v_add_f32_e32 v103, 1.0, v144
	v_add_f32_e32 v112, -1.0, v103
	v_sub_f32_e32 v113, v112, v103
	v_add_f32_e32 v113, 1.0, v113
	v_sub_f32_e32 v112, v144, v112
	v_add_f32_e32 v114, v112, v113
	v_frexp_mant_f32_e32 v115, v103
	s_mov_b32 s56, 0x3f2aaaab
	v_cvt_f64_f32_e32 v[112:113], v103
	v_frexp_exp_i32_f64_e32 v112, v[112:113]
	v_cmp_gt_f32_e64 s[56:57], s56, v115
	s_nop 1
	v_subbrev_co_u32_e64 v128, s[56:57], 0, v112, s[56:57]
	v_sub_u32_e32 v112, 0, v128
	v_ldexp_f32 v103, v103, v112
	v_ldexp_f32 v112, v114, v112
	v_add_f32_e32 v114, -1.0, v103
	v_add_f32_e32 v113, 1.0, v114
	v_sub_f32_e32 v113, v103, v113
	v_add_f32_e32 v115, v112, v113
	v_add_f32_e32 v113, 1.0, v103
	v_add_f32_e32 v116, -1.0, v113
	v_sub_f32_e32 v103, v103, v116
	v_add_f32_e32 v103, v112, v103
	v_add_f32_e32 v129, v113, v103
	v_rcp_f32_e32 v130, v129
	v_sub_f32_e32 v112, v113, v129
	v_add_f32_e32 v113, v114, v115
	v_add_f32_e32 v103, v103, v112
	v_mul_f32_e32 v132, v113, v130
	v_sub_f32_e32 v112, v114, v113
	v_mul_f32_e32 v114, v129, v132
	v_fma_f32 v116, v132, v129, -v114
	v_fmac_f32_e32 v116, v132, v103
	v_add_f32_e32 v131, v115, v112
	v_add_f32_e32 v112, v114, v116
	v_sub_f32_e32 v115, v113, v112
	v_pk_add_f32 v[118:119], v[112:113], v[114:115] neg_lo:[0,1] neg_hi:[0,1]
	v_mov_b32_e32 v117, v112
	v_pk_add_f32 v[112:113], v[118:119], v[116:117] neg_lo:[0,1] neg_hi:[0,1]
	s_mov_b32 s56, 0x3f317218
	v_add_f32_e32 v113, v131, v113
	v_add_f32_e32 v112, v112, v113
	;; [unrolled: 1-line block ×3, first 2 shown]
	v_mul_f32_e32 v131, v130, v113
	v_mul_f32_e32 v114, v129, v131
	v_fma_f32 v116, v131, v129, -v114
	v_fmac_f32_e32 v116, v131, v103
	v_sub_f32_e32 v103, v115, v113
	v_add_f32_e32 v103, v112, v103
	v_add_f32_e32 v112, v114, v116
	v_sub_f32_e32 v115, v113, v112
	v_pk_add_f32 v[118:119], v[112:113], v[114:115] neg_lo:[0,1] neg_hi:[0,1]
	v_mov_b32_e32 v117, v112
	v_pk_add_f32 v[112:113], v[118:119], v[116:117] neg_lo:[0,1] neg_hi:[0,1]
	v_cvt_f32_i32_e32 v114, v128
	v_add_f32_e32 v103, v103, v113
	v_add_f32_e32 v103, v112, v103
	;; [unrolled: 1-line block ×4, first 2 shown]
	v_sub_f32_e32 v113, v112, v132
	v_mul_f32_e32 v103, v130, v103
	v_sub_f32_e32 v113, v131, v113
	v_add_f32_e32 v103, v113, v103
	v_add_f32_e32 v115, v112, v103
	v_mul_f32_e32 v116, v115, v115
	v_mov_b32_e32 v113, 0x3ecc95a3
	v_fmac_f32_e32 v113, 0x3e9b6dac, v116
	v_sub_f32_e32 v112, v115, v112
	v_fmaak_f32 v113, v116, v113, 0x3f2aaada
	v_sub_f32_e32 v103, v103, v112
	v_ldexp_f32 v117, v115, 1
	v_mul_f32_e32 v115, v115, v116
	v_mov_b32_e32 v112, 0x3f317218
	v_pk_mul_f32 v[112:113], v[114:115], v[112:113]
	v_ldexp_f32 v103, v103, 1
	v_fma_f32 v115, v114, s56, -v112
	v_fmamk_f32 v116, v114, 0xb102e308, v115
	v_pk_add_f32 v[114:115], v[112:113], v[116:117]
	v_mov_b32_e32 v118, v112
	v_sub_f32_e32 v117, v115, v117
	v_sub_f32_e32 v117, v113, v117
	v_add_f32_e32 v119, v103, v117
	v_pk_add_f32 v[112:113], v[114:115], v[112:113] neg_lo:[0,1] neg_hi:[0,1]
	v_pk_add_f32 v[128:129], v[114:115], v[118:119]
	v_mov_b32_e32 v117, v114
	v_mov_b32_e32 v113, v129
	v_pk_add_f32 v[130:131], v[116:117], v[112:113] neg_lo:[0,1] neg_hi:[0,1]
	v_pk_add_f32 v[112:113], v[116:117], v[112:113]
	v_mov_b32_e32 v118, v119
	v_mov_b32_e32 v116, v113
	v_pk_add_f32 v[132:133], v[116:117], v[114:115] neg_lo:[0,1] neg_hi:[0,1]
	v_mov_b32_e32 v112, v129
	v_mov_b32_e32 v103, v132
	v_pk_add_f32 v[134:135], v[128:129], v[102:103] neg_lo:[0,1] neg_hi:[0,1]
	v_mov_b32_e32 v128, v115
	v_mov_b32_e32 v129, v132
	;; [unrolled: 1-line block ×3, first 2 shown]
	v_pk_add_f32 v[112:113], v[112:113], v[128:129] neg_lo:[0,1] neg_hi:[0,1]
	v_mov_b32_e32 v119, v114
	v_pk_add_f32 v[112:113], v[118:119], v[112:113] neg_lo:[0,1] neg_hi:[0,1]
	v_mov_b32_e32 v134, v130
	v_pk_add_f32 v[114:115], v[134:135], v[112:113]
	v_cmp_eq_f32_e64 s[56:57], s64, v144
	v_mov_b32_e32 v118, v115
	v_pk_add_f32 v[118:119], v[114:115], v[118:119]
	s_mov_b32 s64, 0x33800000
	v_pk_add_f32 v[116:117], v[116:117], v[118:119]
	v_mov_b32_e32 v113, v118
	v_mov_b32_e32 v115, v116
	v_pk_add_f32 v[128:129], v[114:115], v[130:131] neg_lo:[0,1] neg_hi:[0,1]
	v_cmp_lt_f32_e64 s[64:65], |v144|, s64
	v_sub_f32_e32 v103, v114, v128
	v_pk_add_f32 v[112:113], v[112:113], v[128:129] neg_lo:[0,1] neg_hi:[0,1]
	v_sub_f32_e32 v103, v130, v103
	v_add_f32_e32 v103, v112, v103
	v_add_f32_e32 v103, v103, v113
	;; [unrolled: 1-line block ×3, first 2 shown]
	s_or_b64 s[56:57], s[56:57], s[64:65]
	v_cndmask_b32_e64 v103, v103, v144, s[56:57]
	v_add_f32_e32 v112, v3, v103
.LBB93_321:
	s_or_b64 exec, exec, s[58:59]
	ds_read_b32 v3, v101 offset:12
	v_max_f32_e32 v103, v112, v112
	v_cmp_u_f32_e64 s[56:57], v112, v112
	s_waitcnt lgkmcnt(0)
	v_max_f32_e32 v113, v3, v3
	v_min_f32_e32 v114, v103, v113
	v_max_f32_e32 v113, v103, v113
	v_cndmask_b32_e64 v103, v114, v112, s[56:57]
	v_cmp_u_f32_e64 s[58:59], v3, v3
	v_cndmask_b32_e64 v113, v113, v112, s[56:57]
	s_nop 0
	v_cndmask_b32_e64 v103, v103, v3, s[58:59]
	v_cndmask_b32_e64 v3, v113, v3, s[58:59]
	s_movk_i32 s58, 0x1f8
	v_cmp_neq_f32_e64 s[56:57], v103, v3
	v_cmp_class_f32_e64 s[58:59], v103, s58
	s_or_b64 s[56:57], s[56:57], s[58:59]
	s_and_saveexec_b64 s[58:59], s[56:57]
	s_cbranch_execz .LBB93_323
; %bb.322:
	v_sub_f32_e32 v103, v103, v3
	s_mov_b32 s56, 0x3fb8aa3b
	v_mul_f32_e32 v112, 0x3fb8aa3b, v103
	v_fma_f32 v113, v103, s56, -v112
	v_rndne_f32_e32 v114, v112
	v_fmamk_f32 v113, v103, 0x32a5705f, v113
	v_sub_f32_e32 v112, v112, v114
	v_add_f32_e32 v112, v112, v113
	v_exp_f32_e32 v112, v112
	v_cvt_i32_f32_e32 v113, v114
	s_mov_b32 s56, 0xc2ce8ed0
	v_cmp_ngt_f32_e64 s[56:57], s56, v103
	s_mov_b32 s64, 0x7f800000
	v_ldexp_f32 v112, v112, v113
	v_cndmask_b32_e64 v112, 0, v112, s[56:57]
	s_mov_b32 s56, 0x42b17218
	v_mov_b32_e32 v113, 0x7f800000
	v_cmp_nlt_f32_e64 s[56:57], s56, v103
	s_nop 1
	v_cndmask_b32_e64 v144, v113, v112, s[56:57]
	v_add_f32_e32 v103, 1.0, v144
	v_add_f32_e32 v112, -1.0, v103
	v_sub_f32_e32 v113, v112, v103
	v_add_f32_e32 v113, 1.0, v113
	v_sub_f32_e32 v112, v144, v112
	v_add_f32_e32 v114, v112, v113
	v_frexp_mant_f32_e32 v115, v103
	s_mov_b32 s56, 0x3f2aaaab
	v_cvt_f64_f32_e32 v[112:113], v103
	v_frexp_exp_i32_f64_e32 v112, v[112:113]
	v_cmp_gt_f32_e64 s[56:57], s56, v115
	s_nop 1
	v_subbrev_co_u32_e64 v128, s[56:57], 0, v112, s[56:57]
	v_sub_u32_e32 v112, 0, v128
	v_ldexp_f32 v103, v103, v112
	v_ldexp_f32 v112, v114, v112
	v_add_f32_e32 v114, -1.0, v103
	v_add_f32_e32 v113, 1.0, v114
	v_sub_f32_e32 v113, v103, v113
	v_add_f32_e32 v115, v112, v113
	v_add_f32_e32 v113, 1.0, v103
	v_add_f32_e32 v116, -1.0, v113
	v_sub_f32_e32 v103, v103, v116
	v_add_f32_e32 v103, v112, v103
	v_add_f32_e32 v129, v113, v103
	v_rcp_f32_e32 v130, v129
	v_sub_f32_e32 v112, v113, v129
	v_add_f32_e32 v113, v114, v115
	v_add_f32_e32 v103, v103, v112
	v_mul_f32_e32 v132, v113, v130
	v_sub_f32_e32 v112, v114, v113
	v_mul_f32_e32 v114, v129, v132
	v_fma_f32 v116, v132, v129, -v114
	v_fmac_f32_e32 v116, v132, v103
	v_add_f32_e32 v131, v115, v112
	v_add_f32_e32 v112, v114, v116
	v_sub_f32_e32 v115, v113, v112
	v_pk_add_f32 v[118:119], v[112:113], v[114:115] neg_lo:[0,1] neg_hi:[0,1]
	v_mov_b32_e32 v117, v112
	v_pk_add_f32 v[112:113], v[118:119], v[116:117] neg_lo:[0,1] neg_hi:[0,1]
	s_mov_b32 s56, 0x3f317218
	v_add_f32_e32 v113, v131, v113
	v_add_f32_e32 v112, v112, v113
	;; [unrolled: 1-line block ×3, first 2 shown]
	v_mul_f32_e32 v131, v130, v113
	v_mul_f32_e32 v114, v129, v131
	v_fma_f32 v116, v131, v129, -v114
	v_fmac_f32_e32 v116, v131, v103
	v_sub_f32_e32 v103, v115, v113
	v_add_f32_e32 v103, v112, v103
	v_add_f32_e32 v112, v114, v116
	v_sub_f32_e32 v115, v113, v112
	v_pk_add_f32 v[118:119], v[112:113], v[114:115] neg_lo:[0,1] neg_hi:[0,1]
	v_mov_b32_e32 v117, v112
	v_pk_add_f32 v[112:113], v[118:119], v[116:117] neg_lo:[0,1] neg_hi:[0,1]
	v_cvt_f32_i32_e32 v114, v128
	v_add_f32_e32 v103, v103, v113
	v_add_f32_e32 v103, v112, v103
	;; [unrolled: 1-line block ×4, first 2 shown]
	v_sub_f32_e32 v113, v112, v132
	v_mul_f32_e32 v103, v130, v103
	v_sub_f32_e32 v113, v131, v113
	v_add_f32_e32 v103, v113, v103
	v_add_f32_e32 v115, v112, v103
	v_mul_f32_e32 v116, v115, v115
	v_mov_b32_e32 v113, 0x3ecc95a3
	v_fmac_f32_e32 v113, 0x3e9b6dac, v116
	v_sub_f32_e32 v112, v115, v112
	v_fmaak_f32 v113, v116, v113, 0x3f2aaada
	v_sub_f32_e32 v103, v103, v112
	v_ldexp_f32 v117, v115, 1
	v_mul_f32_e32 v115, v115, v116
	v_mov_b32_e32 v112, 0x3f317218
	v_pk_mul_f32 v[112:113], v[114:115], v[112:113]
	v_ldexp_f32 v103, v103, 1
	v_fma_f32 v115, v114, s56, -v112
	v_fmamk_f32 v116, v114, 0xb102e308, v115
	v_pk_add_f32 v[114:115], v[112:113], v[116:117]
	v_mov_b32_e32 v118, v112
	v_sub_f32_e32 v117, v115, v117
	v_sub_f32_e32 v117, v113, v117
	v_add_f32_e32 v119, v103, v117
	v_pk_add_f32 v[112:113], v[114:115], v[112:113] neg_lo:[0,1] neg_hi:[0,1]
	v_pk_add_f32 v[128:129], v[114:115], v[118:119]
	v_mov_b32_e32 v117, v114
	v_mov_b32_e32 v113, v129
	v_pk_add_f32 v[130:131], v[116:117], v[112:113] neg_lo:[0,1] neg_hi:[0,1]
	v_pk_add_f32 v[112:113], v[116:117], v[112:113]
	v_mov_b32_e32 v118, v119
	v_mov_b32_e32 v116, v113
	v_pk_add_f32 v[132:133], v[116:117], v[114:115] neg_lo:[0,1] neg_hi:[0,1]
	v_mov_b32_e32 v112, v129
	v_mov_b32_e32 v103, v132
	v_pk_add_f32 v[134:135], v[128:129], v[102:103] neg_lo:[0,1] neg_hi:[0,1]
	v_mov_b32_e32 v128, v115
	v_mov_b32_e32 v129, v132
	;; [unrolled: 1-line block ×3, first 2 shown]
	v_pk_add_f32 v[112:113], v[112:113], v[128:129] neg_lo:[0,1] neg_hi:[0,1]
	v_mov_b32_e32 v119, v114
	v_pk_add_f32 v[112:113], v[118:119], v[112:113] neg_lo:[0,1] neg_hi:[0,1]
	v_mov_b32_e32 v134, v130
	v_pk_add_f32 v[114:115], v[134:135], v[112:113]
	v_cmp_eq_f32_e64 s[56:57], s64, v144
	v_mov_b32_e32 v118, v115
	v_pk_add_f32 v[118:119], v[114:115], v[118:119]
	s_mov_b32 s64, 0x33800000
	v_pk_add_f32 v[116:117], v[116:117], v[118:119]
	v_mov_b32_e32 v113, v118
	v_mov_b32_e32 v115, v116
	v_pk_add_f32 v[128:129], v[114:115], v[130:131] neg_lo:[0,1] neg_hi:[0,1]
	v_cmp_lt_f32_e64 s[64:65], |v144|, s64
	v_sub_f32_e32 v103, v114, v128
	v_pk_add_f32 v[112:113], v[112:113], v[128:129] neg_lo:[0,1] neg_hi:[0,1]
	v_sub_f32_e32 v103, v130, v103
	v_add_f32_e32 v103, v112, v103
	v_add_f32_e32 v103, v103, v113
	;; [unrolled: 1-line block ×3, first 2 shown]
	s_or_b64 s[56:57], s[56:57], s[64:65]
	v_cndmask_b32_e64 v103, v103, v144, s[56:57]
	v_add_f32_e32 v112, v3, v103
.LBB93_323:
	s_or_b64 exec, exec, s[58:59]
	v_mbcnt_lo_u32_b32 v3, -1, 0
	v_mbcnt_hi_u32_b32 v3, -1, v3
	v_and_b32_e32 v103, 15, v3
	v_mov_b32_dpp v113, v112 row_shr:1 row_mask:0xf bank_mask:0xf
	v_cmp_ne_u32_e64 s[56:57], 0, v103
	s_and_saveexec_b64 s[58:59], s[56:57]
	s_xor_b64 s[64:65], exec, s[58:59]
	s_cbranch_execz .LBB93_327
; %bb.324:
	v_max_f32_e32 v115, v112, v112
	v_max_f32_e32 v116, v113, v113
	v_min_f32_e32 v114, v116, v115
	v_cmp_u_f32_e64 s[56:57], v113, v113
	v_max_f32_e32 v115, v116, v115
	v_cmp_u_f32_e64 s[58:59], v112, v112
	v_cndmask_b32_e64 v114, v114, v113, s[56:57]
	v_cndmask_b32_e64 v115, v115, v113, s[56:57]
	;; [unrolled: 1-line block ×4, first 2 shown]
	s_movk_i32 s58, 0x1f8
	v_cmp_neq_f32_e64 s[56:57], v114, v112
	v_cmp_class_f32_e64 s[58:59], v114, s58
	s_or_b64 s[56:57], s[56:57], s[58:59]
	s_and_saveexec_b64 s[58:59], s[56:57]
	s_cbranch_execz .LBB93_326
; %bb.325:
	v_sub_f32_e32 v113, v114, v112
	s_mov_b32 s56, 0x3fb8aa3b
	v_mul_f32_e32 v114, 0x3fb8aa3b, v113
	v_fma_f32 v115, v113, s56, -v114
	v_rndne_f32_e32 v116, v114
	v_fmamk_f32 v115, v113, 0x32a5705f, v115
	v_sub_f32_e32 v114, v114, v116
	v_add_f32_e32 v114, v114, v115
	v_exp_f32_e32 v114, v114
	v_cvt_i32_f32_e32 v115, v116
	s_mov_b32 s56, 0xc2ce8ed0
	v_cmp_ngt_f32_e64 s[56:57], s56, v113
	s_mov_b32 s66, 0x7f800000
	v_ldexp_f32 v114, v114, v115
	v_cndmask_b32_e64 v114, 0, v114, s[56:57]
	s_mov_b32 s56, 0x42b17218
	v_mov_b32_e32 v115, 0x7f800000
	v_cmp_nlt_f32_e64 s[56:57], s56, v113
	s_nop 1
	v_cndmask_b32_e64 v146, v115, v114, s[56:57]
	v_add_f32_e32 v113, 1.0, v146
	v_add_f32_e32 v114, -1.0, v113
	v_sub_f32_e32 v115, v114, v113
	v_add_f32_e32 v115, 1.0, v115
	v_sub_f32_e32 v114, v146, v114
	v_add_f32_e32 v116, v114, v115
	v_frexp_mant_f32_e32 v117, v113
	s_mov_b32 s56, 0x3f2aaaab
	v_cvt_f64_f32_e32 v[114:115], v113
	v_frexp_exp_i32_f64_e32 v114, v[114:115]
	v_cmp_gt_f32_e64 s[56:57], s56, v117
	s_nop 1
	v_subbrev_co_u32_e64 v130, s[56:57], 0, v114, s[56:57]
	v_sub_u32_e32 v114, 0, v130
	v_ldexp_f32 v113, v113, v114
	v_ldexp_f32 v114, v116, v114
	v_add_f32_e32 v116, -1.0, v113
	v_add_f32_e32 v115, 1.0, v116
	v_sub_f32_e32 v115, v113, v115
	v_add_f32_e32 v117, v114, v115
	v_add_f32_e32 v115, 1.0, v113
	v_add_f32_e32 v118, -1.0, v115
	v_sub_f32_e32 v113, v113, v118
	v_add_f32_e32 v113, v114, v113
	v_add_f32_e32 v131, v115, v113
	v_rcp_f32_e32 v132, v131
	v_sub_f32_e32 v114, v115, v131
	v_add_f32_e32 v115, v116, v117
	v_add_f32_e32 v113, v113, v114
	v_mul_f32_e32 v134, v115, v132
	v_sub_f32_e32 v114, v116, v115
	v_mul_f32_e32 v116, v131, v134
	v_fma_f32 v118, v134, v131, -v116
	v_fmac_f32_e32 v118, v134, v113
	v_add_f32_e32 v133, v117, v114
	v_add_f32_e32 v114, v116, v118
	v_sub_f32_e32 v117, v115, v114
	v_pk_add_f32 v[128:129], v[114:115], v[116:117] neg_lo:[0,1] neg_hi:[0,1]
	v_mov_b32_e32 v119, v114
	v_pk_add_f32 v[114:115], v[128:129], v[118:119] neg_lo:[0,1] neg_hi:[0,1]
	s_mov_b32 s56, 0x3f317218
	v_add_f32_e32 v115, v133, v115
	v_add_f32_e32 v114, v114, v115
	;; [unrolled: 1-line block ×3, first 2 shown]
	v_mul_f32_e32 v133, v132, v115
	v_mul_f32_e32 v116, v131, v133
	v_fma_f32 v118, v133, v131, -v116
	v_fmac_f32_e32 v118, v133, v113
	v_sub_f32_e32 v113, v117, v115
	v_add_f32_e32 v113, v114, v113
	v_add_f32_e32 v114, v116, v118
	v_sub_f32_e32 v117, v115, v114
	v_pk_add_f32 v[128:129], v[114:115], v[116:117] neg_lo:[0,1] neg_hi:[0,1]
	v_mov_b32_e32 v119, v114
	v_pk_add_f32 v[114:115], v[128:129], v[118:119] neg_lo:[0,1] neg_hi:[0,1]
	v_cvt_f32_i32_e32 v116, v130
	v_add_f32_e32 v113, v113, v115
	v_add_f32_e32 v113, v114, v113
	;; [unrolled: 1-line block ×4, first 2 shown]
	v_sub_f32_e32 v115, v114, v134
	v_mul_f32_e32 v113, v132, v113
	v_sub_f32_e32 v115, v133, v115
	v_add_f32_e32 v113, v115, v113
	v_add_f32_e32 v117, v114, v113
	v_mul_f32_e32 v118, v117, v117
	v_mov_b32_e32 v115, 0x3ecc95a3
	v_fmac_f32_e32 v115, 0x3e9b6dac, v118
	v_sub_f32_e32 v114, v117, v114
	v_fmaak_f32 v115, v118, v115, 0x3f2aaada
	v_sub_f32_e32 v113, v113, v114
	v_ldexp_f32 v119, v117, 1
	v_mul_f32_e32 v117, v117, v118
	v_mov_b32_e32 v114, 0x3f317218
	v_pk_mul_f32 v[114:115], v[116:117], v[114:115]
	v_ldexp_f32 v113, v113, 1
	v_fma_f32 v117, v116, s56, -v114
	v_fmamk_f32 v118, v116, 0xb102e308, v117
	v_pk_add_f32 v[116:117], v[114:115], v[118:119]
	v_mov_b32_e32 v128, v114
	v_sub_f32_e32 v119, v117, v119
	v_sub_f32_e32 v119, v115, v119
	v_add_f32_e32 v129, v113, v119
	v_pk_add_f32 v[114:115], v[116:117], v[114:115] neg_lo:[0,1] neg_hi:[0,1]
	v_pk_add_f32 v[130:131], v[116:117], v[128:129]
	v_mov_b32_e32 v119, v116
	v_mov_b32_e32 v115, v131
	v_pk_add_f32 v[132:133], v[118:119], v[114:115] neg_lo:[0,1] neg_hi:[0,1]
	v_pk_add_f32 v[114:115], v[118:119], v[114:115]
	v_mov_b32_e32 v128, v129
	v_mov_b32_e32 v118, v115
	v_pk_add_f32 v[134:135], v[118:119], v[116:117] neg_lo:[0,1] neg_hi:[0,1]
	v_mov_b32_e32 v114, v131
	v_mov_b32_e32 v113, v134
	v_pk_add_f32 v[144:145], v[130:131], v[112:113] neg_lo:[0,1] neg_hi:[0,1]
	v_mov_b32_e32 v130, v117
	v_mov_b32_e32 v131, v134
	;; [unrolled: 1-line block ×3, first 2 shown]
	v_pk_add_f32 v[114:115], v[114:115], v[130:131] neg_lo:[0,1] neg_hi:[0,1]
	v_mov_b32_e32 v129, v116
	v_pk_add_f32 v[114:115], v[128:129], v[114:115] neg_lo:[0,1] neg_hi:[0,1]
	v_mov_b32_e32 v144, v132
	v_pk_add_f32 v[116:117], v[144:145], v[114:115]
	v_cmp_eq_f32_e64 s[56:57], s66, v146
	v_mov_b32_e32 v128, v117
	v_pk_add_f32 v[128:129], v[116:117], v[128:129]
	s_mov_b32 s66, 0x33800000
	v_pk_add_f32 v[118:119], v[118:119], v[128:129]
	v_mov_b32_e32 v115, v128
	v_mov_b32_e32 v117, v118
	v_pk_add_f32 v[130:131], v[116:117], v[132:133] neg_lo:[0,1] neg_hi:[0,1]
	v_cmp_lt_f32_e64 s[66:67], |v146|, s66
	v_sub_f32_e32 v113, v116, v130
	v_pk_add_f32 v[114:115], v[114:115], v[130:131] neg_lo:[0,1] neg_hi:[0,1]
	v_sub_f32_e32 v113, v132, v113
	v_add_f32_e32 v113, v114, v113
	v_add_f32_e32 v113, v113, v115
	;; [unrolled: 1-line block ×3, first 2 shown]
	s_or_b64 s[56:57], s[56:57], s[66:67]
	v_cndmask_b32_e64 v113, v113, v146, s[56:57]
	v_add_f32_e32 v113, v112, v113
.LBB93_326:
	s_or_b64 exec, exec, s[58:59]
	v_mov_b32_e32 v112, v113
.LBB93_327:
	s_or_b64 exec, exec, s[64:65]
	s_nop 0
	v_mov_b32_dpp v113, v112 row_shr:2 row_mask:0xf bank_mask:0xf
	v_cmp_lt_u32_e64 s[56:57], 1, v103
	s_and_saveexec_b64 s[64:65], s[56:57]
	s_cbranch_execz .LBB93_331
; %bb.328:
	v_max_f32_e32 v115, v112, v112
	v_max_f32_e32 v116, v113, v113
	v_min_f32_e32 v114, v116, v115
	v_cmp_u_f32_e64 s[56:57], v113, v113
	v_max_f32_e32 v115, v116, v115
	v_cmp_u_f32_e64 s[58:59], v112, v112
	v_cndmask_b32_e64 v114, v114, v113, s[56:57]
	v_cndmask_b32_e64 v115, v115, v113, s[56:57]
	v_cndmask_b32_e64 v114, v114, v112, s[58:59]
	v_cndmask_b32_e64 v112, v115, v112, s[58:59]
	s_movk_i32 s58, 0x1f8
	v_cmp_neq_f32_e64 s[56:57], v114, v112
	v_cmp_class_f32_e64 s[58:59], v114, s58
	s_or_b64 s[56:57], s[56:57], s[58:59]
	s_and_saveexec_b64 s[58:59], s[56:57]
	s_cbranch_execz .LBB93_330
; %bb.329:
	v_sub_f32_e32 v113, v114, v112
	s_mov_b32 s56, 0x3fb8aa3b
	v_mul_f32_e32 v114, 0x3fb8aa3b, v113
	v_fma_f32 v115, v113, s56, -v114
	v_rndne_f32_e32 v116, v114
	v_fmamk_f32 v115, v113, 0x32a5705f, v115
	v_sub_f32_e32 v114, v114, v116
	v_add_f32_e32 v114, v114, v115
	v_exp_f32_e32 v114, v114
	v_cvt_i32_f32_e32 v115, v116
	s_mov_b32 s56, 0xc2ce8ed0
	v_cmp_ngt_f32_e64 s[56:57], s56, v113
	s_mov_b32 s66, 0x7f800000
	v_ldexp_f32 v114, v114, v115
	v_cndmask_b32_e64 v114, 0, v114, s[56:57]
	s_mov_b32 s56, 0x42b17218
	v_mov_b32_e32 v115, 0x7f800000
	v_cmp_nlt_f32_e64 s[56:57], s56, v113
	s_nop 1
	v_cndmask_b32_e64 v146, v115, v114, s[56:57]
	v_add_f32_e32 v113, 1.0, v146
	v_add_f32_e32 v114, -1.0, v113
	v_sub_f32_e32 v115, v114, v113
	v_add_f32_e32 v115, 1.0, v115
	v_sub_f32_e32 v114, v146, v114
	v_add_f32_e32 v116, v114, v115
	v_frexp_mant_f32_e32 v117, v113
	s_mov_b32 s56, 0x3f2aaaab
	v_cvt_f64_f32_e32 v[114:115], v113
	v_frexp_exp_i32_f64_e32 v114, v[114:115]
	v_cmp_gt_f32_e64 s[56:57], s56, v117
	s_nop 1
	v_subbrev_co_u32_e64 v130, s[56:57], 0, v114, s[56:57]
	v_sub_u32_e32 v114, 0, v130
	v_ldexp_f32 v113, v113, v114
	v_ldexp_f32 v114, v116, v114
	v_add_f32_e32 v116, -1.0, v113
	v_add_f32_e32 v115, 1.0, v116
	v_sub_f32_e32 v115, v113, v115
	v_add_f32_e32 v117, v114, v115
	v_add_f32_e32 v115, 1.0, v113
	v_add_f32_e32 v118, -1.0, v115
	v_sub_f32_e32 v113, v113, v118
	v_add_f32_e32 v113, v114, v113
	v_add_f32_e32 v131, v115, v113
	v_rcp_f32_e32 v132, v131
	v_sub_f32_e32 v114, v115, v131
	v_add_f32_e32 v115, v116, v117
	v_add_f32_e32 v113, v113, v114
	v_mul_f32_e32 v134, v115, v132
	v_sub_f32_e32 v114, v116, v115
	v_mul_f32_e32 v116, v131, v134
	v_fma_f32 v118, v134, v131, -v116
	v_fmac_f32_e32 v118, v134, v113
	v_add_f32_e32 v133, v117, v114
	v_add_f32_e32 v114, v116, v118
	v_sub_f32_e32 v117, v115, v114
	v_pk_add_f32 v[128:129], v[114:115], v[116:117] neg_lo:[0,1] neg_hi:[0,1]
	v_mov_b32_e32 v119, v114
	v_pk_add_f32 v[114:115], v[128:129], v[118:119] neg_lo:[0,1] neg_hi:[0,1]
	s_mov_b32 s56, 0x3f317218
	v_add_f32_e32 v115, v133, v115
	v_add_f32_e32 v114, v114, v115
	;; [unrolled: 1-line block ×3, first 2 shown]
	v_mul_f32_e32 v133, v132, v115
	v_mul_f32_e32 v116, v131, v133
	v_fma_f32 v118, v133, v131, -v116
	v_fmac_f32_e32 v118, v133, v113
	v_sub_f32_e32 v113, v117, v115
	v_add_f32_e32 v113, v114, v113
	v_add_f32_e32 v114, v116, v118
	v_sub_f32_e32 v117, v115, v114
	v_pk_add_f32 v[128:129], v[114:115], v[116:117] neg_lo:[0,1] neg_hi:[0,1]
	v_mov_b32_e32 v119, v114
	v_pk_add_f32 v[114:115], v[128:129], v[118:119] neg_lo:[0,1] neg_hi:[0,1]
	v_cvt_f32_i32_e32 v116, v130
	v_add_f32_e32 v113, v113, v115
	v_add_f32_e32 v113, v114, v113
	;; [unrolled: 1-line block ×4, first 2 shown]
	v_sub_f32_e32 v115, v114, v134
	v_mul_f32_e32 v113, v132, v113
	v_sub_f32_e32 v115, v133, v115
	v_add_f32_e32 v113, v115, v113
	v_add_f32_e32 v117, v114, v113
	v_mul_f32_e32 v118, v117, v117
	v_mov_b32_e32 v115, 0x3ecc95a3
	v_fmac_f32_e32 v115, 0x3e9b6dac, v118
	v_sub_f32_e32 v114, v117, v114
	v_fmaak_f32 v115, v118, v115, 0x3f2aaada
	v_sub_f32_e32 v113, v113, v114
	v_ldexp_f32 v119, v117, 1
	v_mul_f32_e32 v117, v117, v118
	v_mov_b32_e32 v114, 0x3f317218
	v_pk_mul_f32 v[114:115], v[116:117], v[114:115]
	v_ldexp_f32 v113, v113, 1
	v_fma_f32 v117, v116, s56, -v114
	v_fmamk_f32 v118, v116, 0xb102e308, v117
	v_pk_add_f32 v[116:117], v[114:115], v[118:119]
	v_mov_b32_e32 v128, v114
	v_sub_f32_e32 v119, v117, v119
	v_sub_f32_e32 v119, v115, v119
	v_add_f32_e32 v129, v113, v119
	v_pk_add_f32 v[114:115], v[116:117], v[114:115] neg_lo:[0,1] neg_hi:[0,1]
	v_pk_add_f32 v[130:131], v[116:117], v[128:129]
	v_mov_b32_e32 v119, v116
	v_mov_b32_e32 v115, v131
	v_pk_add_f32 v[132:133], v[118:119], v[114:115] neg_lo:[0,1] neg_hi:[0,1]
	v_pk_add_f32 v[114:115], v[118:119], v[114:115]
	v_mov_b32_e32 v128, v129
	v_mov_b32_e32 v118, v115
	v_pk_add_f32 v[134:135], v[118:119], v[116:117] neg_lo:[0,1] neg_hi:[0,1]
	v_mov_b32_e32 v114, v131
	v_mov_b32_e32 v113, v134
	v_pk_add_f32 v[144:145], v[130:131], v[112:113] neg_lo:[0,1] neg_hi:[0,1]
	v_mov_b32_e32 v130, v117
	v_mov_b32_e32 v131, v134
	;; [unrolled: 1-line block ×3, first 2 shown]
	v_pk_add_f32 v[114:115], v[114:115], v[130:131] neg_lo:[0,1] neg_hi:[0,1]
	v_mov_b32_e32 v129, v116
	v_pk_add_f32 v[114:115], v[128:129], v[114:115] neg_lo:[0,1] neg_hi:[0,1]
	v_mov_b32_e32 v144, v132
	v_pk_add_f32 v[116:117], v[144:145], v[114:115]
	v_cmp_eq_f32_e64 s[56:57], s66, v146
	v_mov_b32_e32 v128, v117
	v_pk_add_f32 v[128:129], v[116:117], v[128:129]
	s_mov_b32 s66, 0x33800000
	v_pk_add_f32 v[118:119], v[118:119], v[128:129]
	v_mov_b32_e32 v115, v128
	v_mov_b32_e32 v117, v118
	v_pk_add_f32 v[130:131], v[116:117], v[132:133] neg_lo:[0,1] neg_hi:[0,1]
	v_cmp_lt_f32_e64 s[66:67], |v146|, s66
	v_sub_f32_e32 v113, v116, v130
	v_pk_add_f32 v[114:115], v[114:115], v[130:131] neg_lo:[0,1] neg_hi:[0,1]
	v_sub_f32_e32 v113, v132, v113
	v_add_f32_e32 v113, v114, v113
	v_add_f32_e32 v113, v113, v115
	;; [unrolled: 1-line block ×3, first 2 shown]
	s_or_b64 s[56:57], s[56:57], s[66:67]
	v_cndmask_b32_e64 v113, v113, v146, s[56:57]
	v_add_f32_e32 v113, v112, v113
.LBB93_330:
	s_or_b64 exec, exec, s[58:59]
	v_mov_b32_e32 v112, v113
.LBB93_331:
	s_or_b64 exec, exec, s[64:65]
	s_nop 0
	v_mov_b32_dpp v113, v112 row_shr:4 row_mask:0xf bank_mask:0xf
	v_cmp_lt_u32_e64 s[56:57], 3, v103
	s_and_saveexec_b64 s[64:65], s[56:57]
	s_cbranch_execz .LBB93_335
; %bb.332:
	v_max_f32_e32 v115, v112, v112
	v_max_f32_e32 v116, v113, v113
	v_min_f32_e32 v114, v116, v115
	v_cmp_u_f32_e64 s[56:57], v113, v113
	v_max_f32_e32 v115, v116, v115
	v_cmp_u_f32_e64 s[58:59], v112, v112
	v_cndmask_b32_e64 v114, v114, v113, s[56:57]
	v_cndmask_b32_e64 v115, v115, v113, s[56:57]
	;; [unrolled: 1-line block ×4, first 2 shown]
	s_movk_i32 s58, 0x1f8
	v_cmp_neq_f32_e64 s[56:57], v114, v112
	v_cmp_class_f32_e64 s[58:59], v114, s58
	s_or_b64 s[56:57], s[56:57], s[58:59]
	s_and_saveexec_b64 s[58:59], s[56:57]
	s_cbranch_execz .LBB93_334
; %bb.333:
	v_sub_f32_e32 v113, v114, v112
	s_mov_b32 s56, 0x3fb8aa3b
	v_mul_f32_e32 v114, 0x3fb8aa3b, v113
	v_fma_f32 v115, v113, s56, -v114
	v_rndne_f32_e32 v116, v114
	v_fmamk_f32 v115, v113, 0x32a5705f, v115
	v_sub_f32_e32 v114, v114, v116
	v_add_f32_e32 v114, v114, v115
	v_exp_f32_e32 v114, v114
	v_cvt_i32_f32_e32 v115, v116
	s_mov_b32 s56, 0xc2ce8ed0
	v_cmp_ngt_f32_e64 s[56:57], s56, v113
	s_mov_b32 s66, 0x7f800000
	v_ldexp_f32 v114, v114, v115
	v_cndmask_b32_e64 v114, 0, v114, s[56:57]
	s_mov_b32 s56, 0x42b17218
	v_mov_b32_e32 v115, 0x7f800000
	v_cmp_nlt_f32_e64 s[56:57], s56, v113
	s_nop 1
	v_cndmask_b32_e64 v146, v115, v114, s[56:57]
	v_add_f32_e32 v113, 1.0, v146
	v_add_f32_e32 v114, -1.0, v113
	v_sub_f32_e32 v115, v114, v113
	v_add_f32_e32 v115, 1.0, v115
	v_sub_f32_e32 v114, v146, v114
	v_add_f32_e32 v116, v114, v115
	v_frexp_mant_f32_e32 v117, v113
	s_mov_b32 s56, 0x3f2aaaab
	v_cvt_f64_f32_e32 v[114:115], v113
	v_frexp_exp_i32_f64_e32 v114, v[114:115]
	v_cmp_gt_f32_e64 s[56:57], s56, v117
	s_nop 1
	v_subbrev_co_u32_e64 v130, s[56:57], 0, v114, s[56:57]
	v_sub_u32_e32 v114, 0, v130
	v_ldexp_f32 v113, v113, v114
	v_ldexp_f32 v114, v116, v114
	v_add_f32_e32 v116, -1.0, v113
	v_add_f32_e32 v115, 1.0, v116
	v_sub_f32_e32 v115, v113, v115
	v_add_f32_e32 v117, v114, v115
	v_add_f32_e32 v115, 1.0, v113
	v_add_f32_e32 v118, -1.0, v115
	v_sub_f32_e32 v113, v113, v118
	v_add_f32_e32 v113, v114, v113
	v_add_f32_e32 v131, v115, v113
	v_rcp_f32_e32 v132, v131
	v_sub_f32_e32 v114, v115, v131
	v_add_f32_e32 v115, v116, v117
	v_add_f32_e32 v113, v113, v114
	v_mul_f32_e32 v134, v115, v132
	v_sub_f32_e32 v114, v116, v115
	v_mul_f32_e32 v116, v131, v134
	v_fma_f32 v118, v134, v131, -v116
	v_fmac_f32_e32 v118, v134, v113
	v_add_f32_e32 v133, v117, v114
	v_add_f32_e32 v114, v116, v118
	v_sub_f32_e32 v117, v115, v114
	v_pk_add_f32 v[128:129], v[114:115], v[116:117] neg_lo:[0,1] neg_hi:[0,1]
	v_mov_b32_e32 v119, v114
	v_pk_add_f32 v[114:115], v[128:129], v[118:119] neg_lo:[0,1] neg_hi:[0,1]
	s_mov_b32 s56, 0x3f317218
	v_add_f32_e32 v115, v133, v115
	v_add_f32_e32 v114, v114, v115
	;; [unrolled: 1-line block ×3, first 2 shown]
	v_mul_f32_e32 v133, v132, v115
	v_mul_f32_e32 v116, v131, v133
	v_fma_f32 v118, v133, v131, -v116
	v_fmac_f32_e32 v118, v133, v113
	v_sub_f32_e32 v113, v117, v115
	v_add_f32_e32 v113, v114, v113
	v_add_f32_e32 v114, v116, v118
	v_sub_f32_e32 v117, v115, v114
	v_pk_add_f32 v[128:129], v[114:115], v[116:117] neg_lo:[0,1] neg_hi:[0,1]
	v_mov_b32_e32 v119, v114
	v_pk_add_f32 v[114:115], v[128:129], v[118:119] neg_lo:[0,1] neg_hi:[0,1]
	v_cvt_f32_i32_e32 v116, v130
	v_add_f32_e32 v113, v113, v115
	v_add_f32_e32 v113, v114, v113
	;; [unrolled: 1-line block ×4, first 2 shown]
	v_sub_f32_e32 v115, v114, v134
	v_mul_f32_e32 v113, v132, v113
	v_sub_f32_e32 v115, v133, v115
	v_add_f32_e32 v113, v115, v113
	v_add_f32_e32 v117, v114, v113
	v_mul_f32_e32 v118, v117, v117
	v_mov_b32_e32 v115, 0x3ecc95a3
	v_fmac_f32_e32 v115, 0x3e9b6dac, v118
	v_sub_f32_e32 v114, v117, v114
	v_fmaak_f32 v115, v118, v115, 0x3f2aaada
	v_sub_f32_e32 v113, v113, v114
	v_ldexp_f32 v119, v117, 1
	v_mul_f32_e32 v117, v117, v118
	v_mov_b32_e32 v114, 0x3f317218
	v_pk_mul_f32 v[114:115], v[116:117], v[114:115]
	v_ldexp_f32 v113, v113, 1
	v_fma_f32 v117, v116, s56, -v114
	v_fmamk_f32 v118, v116, 0xb102e308, v117
	v_pk_add_f32 v[116:117], v[114:115], v[118:119]
	v_mov_b32_e32 v128, v114
	v_sub_f32_e32 v119, v117, v119
	v_sub_f32_e32 v119, v115, v119
	v_add_f32_e32 v129, v113, v119
	v_pk_add_f32 v[114:115], v[116:117], v[114:115] neg_lo:[0,1] neg_hi:[0,1]
	v_pk_add_f32 v[130:131], v[116:117], v[128:129]
	v_mov_b32_e32 v119, v116
	v_mov_b32_e32 v115, v131
	v_pk_add_f32 v[132:133], v[118:119], v[114:115] neg_lo:[0,1] neg_hi:[0,1]
	v_pk_add_f32 v[114:115], v[118:119], v[114:115]
	v_mov_b32_e32 v128, v129
	v_mov_b32_e32 v118, v115
	v_pk_add_f32 v[134:135], v[118:119], v[116:117] neg_lo:[0,1] neg_hi:[0,1]
	v_mov_b32_e32 v114, v131
	v_mov_b32_e32 v113, v134
	v_pk_add_f32 v[144:145], v[130:131], v[112:113] neg_lo:[0,1] neg_hi:[0,1]
	v_mov_b32_e32 v130, v117
	v_mov_b32_e32 v131, v134
	;; [unrolled: 1-line block ×3, first 2 shown]
	v_pk_add_f32 v[114:115], v[114:115], v[130:131] neg_lo:[0,1] neg_hi:[0,1]
	v_mov_b32_e32 v129, v116
	v_pk_add_f32 v[114:115], v[128:129], v[114:115] neg_lo:[0,1] neg_hi:[0,1]
	v_mov_b32_e32 v144, v132
	v_pk_add_f32 v[116:117], v[144:145], v[114:115]
	v_cmp_eq_f32_e64 s[56:57], s66, v146
	v_mov_b32_e32 v128, v117
	v_pk_add_f32 v[128:129], v[116:117], v[128:129]
	s_mov_b32 s66, 0x33800000
	v_pk_add_f32 v[118:119], v[118:119], v[128:129]
	v_mov_b32_e32 v115, v128
	v_mov_b32_e32 v117, v118
	v_pk_add_f32 v[130:131], v[116:117], v[132:133] neg_lo:[0,1] neg_hi:[0,1]
	v_cmp_lt_f32_e64 s[66:67], |v146|, s66
	v_sub_f32_e32 v113, v116, v130
	v_pk_add_f32 v[114:115], v[114:115], v[130:131] neg_lo:[0,1] neg_hi:[0,1]
	v_sub_f32_e32 v113, v132, v113
	v_add_f32_e32 v113, v114, v113
	v_add_f32_e32 v113, v113, v115
	;; [unrolled: 1-line block ×3, first 2 shown]
	s_or_b64 s[56:57], s[56:57], s[66:67]
	v_cndmask_b32_e64 v113, v113, v146, s[56:57]
	v_add_f32_e32 v113, v112, v113
.LBB93_334:
	s_or_b64 exec, exec, s[58:59]
	v_mov_b32_e32 v112, v113
.LBB93_335:
	s_or_b64 exec, exec, s[64:65]
	s_nop 0
	v_mov_b32_dpp v113, v112 row_shr:8 row_mask:0xf bank_mask:0xf
	v_cmp_lt_u32_e64 s[56:57], 7, v103
	s_and_saveexec_b64 s[64:65], s[56:57]
	s_cbranch_execz .LBB93_339
; %bb.336:
	v_max_f32_e32 v103, v112, v112
	v_max_f32_e32 v115, v113, v113
	v_min_f32_e32 v114, v115, v103
	v_cmp_u_f32_e64 s[56:57], v113, v113
	v_max_f32_e32 v103, v115, v103
	v_cmp_u_f32_e64 s[58:59], v112, v112
	v_cndmask_b32_e64 v114, v114, v113, s[56:57]
	v_cndmask_b32_e64 v103, v103, v113, s[56:57]
	;; [unrolled: 1-line block ×4, first 2 shown]
	s_movk_i32 s58, 0x1f8
	v_cmp_neq_f32_e64 s[56:57], v114, v103
	v_cmp_class_f32_e64 s[58:59], v114, s58
	s_or_b64 s[56:57], s[56:57], s[58:59]
	s_and_saveexec_b64 s[58:59], s[56:57]
	s_cbranch_execz .LBB93_338
; %bb.337:
	v_sub_f32_e32 v112, v114, v103
	s_mov_b32 s56, 0x3fb8aa3b
	v_mul_f32_e32 v113, 0x3fb8aa3b, v112
	v_fma_f32 v114, v112, s56, -v113
	v_rndne_f32_e32 v115, v113
	v_fmamk_f32 v114, v112, 0x32a5705f, v114
	v_sub_f32_e32 v113, v113, v115
	v_add_f32_e32 v113, v113, v114
	v_exp_f32_e32 v113, v113
	v_cvt_i32_f32_e32 v114, v115
	s_mov_b32 s56, 0xc2ce8ed0
	v_cmp_ngt_f32_e64 s[56:57], s56, v112
	s_mov_b32 s66, 0x7f800000
	v_ldexp_f32 v113, v113, v114
	v_cndmask_b32_e64 v113, 0, v113, s[56:57]
	s_mov_b32 s56, 0x42b17218
	v_mov_b32_e32 v114, 0x7f800000
	v_cmp_nlt_f32_e64 s[56:57], s56, v112
	s_nop 1
	v_cndmask_b32_e64 v144, v114, v113, s[56:57]
	v_add_f32_e32 v114, 1.0, v144
	v_add_f32_e32 v112, -1.0, v114
	v_sub_f32_e32 v113, v112, v114
	v_add_f32_e32 v113, 1.0, v113
	v_sub_f32_e32 v112, v144, v112
	v_add_f32_e32 v115, v112, v113
	v_frexp_mant_f32_e32 v116, v114
	s_mov_b32 s56, 0x3f2aaaab
	v_cvt_f64_f32_e32 v[112:113], v114
	v_frexp_exp_i32_f64_e32 v112, v[112:113]
	v_cmp_gt_f32_e64 s[56:57], s56, v116
	s_nop 1
	v_subbrev_co_u32_e64 v128, s[56:57], 0, v112, s[56:57]
	v_sub_u32_e32 v112, 0, v128
	v_ldexp_f32 v113, v114, v112
	v_add_f32_e32 v114, -1.0, v113
	v_add_f32_e32 v116, 1.0, v113
	v_ldexp_f32 v112, v115, v112
	v_add_f32_e32 v115, 1.0, v114
	v_add_f32_e32 v117, -1.0, v116
	v_sub_f32_e32 v115, v113, v115
	v_sub_f32_e32 v113, v113, v117
	v_add_f32_e32 v115, v112, v115
	v_add_f32_e32 v112, v112, v113
	;; [unrolled: 1-line block ×3, first 2 shown]
	v_rcp_f32_e32 v131, v129
	v_sub_f32_e32 v113, v116, v129
	v_add_f32_e32 v130, v112, v113
	v_add_f32_e32 v113, v114, v115
	v_mul_f32_e32 v133, v113, v131
	v_sub_f32_e32 v112, v114, v113
	v_mul_f32_e32 v114, v129, v133
	v_fma_f32 v116, v133, v129, -v114
	v_fmac_f32_e32 v116, v133, v130
	v_add_f32_e32 v132, v115, v112
	v_add_f32_e32 v112, v114, v116
	v_sub_f32_e32 v115, v113, v112
	v_pk_add_f32 v[118:119], v[112:113], v[114:115] neg_lo:[0,1] neg_hi:[0,1]
	v_mov_b32_e32 v117, v112
	v_pk_add_f32 v[112:113], v[118:119], v[116:117] neg_lo:[0,1] neg_hi:[0,1]
	s_mov_b32 s56, 0x3f317218
	v_add_f32_e32 v113, v132, v113
	v_add_f32_e32 v112, v112, v113
	;; [unrolled: 1-line block ×3, first 2 shown]
	v_mul_f32_e32 v132, v131, v113
	v_mul_f32_e32 v114, v129, v132
	v_fma_f32 v116, v132, v129, -v114
	v_fmac_f32_e32 v116, v132, v130
	v_sub_f32_e32 v115, v115, v113
	v_add_f32_e32 v129, v112, v115
	v_add_f32_e32 v112, v114, v116
	v_sub_f32_e32 v115, v113, v112
	v_pk_add_f32 v[118:119], v[112:113], v[114:115] neg_lo:[0,1] neg_hi:[0,1]
	v_mov_b32_e32 v117, v112
	v_pk_add_f32 v[112:113], v[118:119], v[116:117] neg_lo:[0,1] neg_hi:[0,1]
	v_cvt_f32_i32_e32 v114, v128
	v_add_f32_e32 v113, v129, v113
	v_add_f32_e32 v112, v112, v113
	;; [unrolled: 1-line block ×4, first 2 shown]
	v_sub_f32_e32 v113, v115, v133
	v_mul_f32_e32 v112, v131, v112
	v_sub_f32_e32 v113, v132, v113
	v_add_f32_e32 v112, v113, v112
	v_add_f32_e32 v116, v115, v112
	v_mul_f32_e32 v118, v116, v116
	v_mov_b32_e32 v113, 0x3ecc95a3
	v_sub_f32_e32 v115, v116, v115
	v_fmac_f32_e32 v113, 0x3e9b6dac, v118
	v_sub_f32_e32 v112, v112, v115
	v_fmaak_f32 v113, v118, v113, 0x3f2aaada
	v_ldexp_f32 v119, v112, 1
	v_mul_f32_e32 v115, v116, v118
	v_mov_b32_e32 v112, 0x3f317218
	v_pk_mul_f32 v[112:113], v[114:115], v[112:113]
	v_ldexp_f32 v117, v116, 1
	v_fma_f32 v115, v114, s56, -v112
	v_fmamk_f32 v116, v114, 0xb102e308, v115
	v_pk_add_f32 v[114:115], v[112:113], v[116:117]
	v_mov_b32_e32 v118, v112
	v_sub_f32_e32 v117, v115, v117
	v_sub_f32_e32 v117, v113, v117
	v_add_f32_e32 v119, v119, v117
	v_pk_add_f32 v[112:113], v[114:115], v[112:113] neg_lo:[0,1] neg_hi:[0,1]
	v_pk_add_f32 v[128:129], v[114:115], v[118:119]
	v_mov_b32_e32 v117, v114
	v_mov_b32_e32 v113, v129
	v_pk_add_f32 v[130:131], v[116:117], v[112:113] neg_lo:[0,1] neg_hi:[0,1]
	v_pk_add_f32 v[112:113], v[116:117], v[112:113]
	v_mov_b32_e32 v118, v119
	v_mov_b32_e32 v116, v113
	v_pk_add_f32 v[132:133], v[116:117], v[114:115] neg_lo:[0,1] neg_hi:[0,1]
	v_mov_b32_e32 v112, v129
	v_mov_b32_e32 v117, v132
	v_pk_add_f32 v[134:135], v[128:129], v[116:117] neg_lo:[0,1] neg_hi:[0,1]
	v_mov_b32_e32 v128, v115
	v_mov_b32_e32 v129, v132
	;; [unrolled: 1-line block ×3, first 2 shown]
	v_pk_add_f32 v[112:113], v[112:113], v[128:129] neg_lo:[0,1] neg_hi:[0,1]
	v_mov_b32_e32 v119, v114
	v_pk_add_f32 v[112:113], v[118:119], v[112:113] neg_lo:[0,1] neg_hi:[0,1]
	v_mov_b32_e32 v134, v130
	v_pk_add_f32 v[114:115], v[134:135], v[112:113]
	v_cmp_eq_f32_e64 s[56:57], s66, v144
	v_mov_b32_e32 v118, v115
	v_pk_add_f32 v[118:119], v[114:115], v[118:119]
	s_mov_b32 s66, 0x33800000
	v_pk_add_f32 v[116:117], v[116:117], v[118:119]
	v_mov_b32_e32 v113, v118
	v_mov_b32_e32 v115, v116
	v_pk_add_f32 v[128:129], v[114:115], v[130:131] neg_lo:[0,1] neg_hi:[0,1]
	v_cmp_lt_f32_e64 s[66:67], |v144|, s66
	v_sub_f32_e32 v114, v114, v128
	v_pk_add_f32 v[112:113], v[112:113], v[128:129] neg_lo:[0,1] neg_hi:[0,1]
	v_sub_f32_e32 v114, v130, v114
	v_add_f32_e32 v112, v112, v114
	v_add_f32_e32 v112, v112, v113
	v_add_f32_e32 v112, v116, v112
	s_or_b64 s[56:57], s[56:57], s[66:67]
	v_cndmask_b32_e64 v112, v112, v144, s[56:57]
	v_add_f32_e32 v113, v103, v112
.LBB93_338:
	s_or_b64 exec, exec, s[58:59]
	v_mov_b32_e32 v112, v113
.LBB93_339:
	s_or_b64 exec, exec, s[64:65]
	v_and_b32_e32 v103, 16, v3
	v_mov_b32_dpp v113, v112 row_bcast:15 row_mask:0xf bank_mask:0xf
	v_cmp_ne_u32_e64 s[56:57], 0, v103
	s_and_saveexec_b64 s[64:65], s[56:57]
	s_cbranch_execz .LBB93_343
; %bb.340:
	v_max_f32_e32 v103, v112, v112
	v_max_f32_e32 v115, v113, v113
	v_min_f32_e32 v114, v115, v103
	v_cmp_u_f32_e64 s[56:57], v113, v113
	v_max_f32_e32 v103, v115, v103
	v_cmp_u_f32_e64 s[58:59], v112, v112
	v_cndmask_b32_e64 v114, v114, v113, s[56:57]
	v_cndmask_b32_e64 v103, v103, v113, s[56:57]
	;; [unrolled: 1-line block ×4, first 2 shown]
	s_movk_i32 s58, 0x1f8
	v_cmp_neq_f32_e64 s[56:57], v114, v103
	v_cmp_class_f32_e64 s[58:59], v114, s58
	s_or_b64 s[56:57], s[56:57], s[58:59]
	s_and_saveexec_b64 s[58:59], s[56:57]
	s_cbranch_execz .LBB93_342
; %bb.341:
	v_sub_f32_e32 v112, v114, v103
	s_mov_b32 s56, 0x3fb8aa3b
	v_mul_f32_e32 v113, 0x3fb8aa3b, v112
	v_fma_f32 v114, v112, s56, -v113
	v_rndne_f32_e32 v115, v113
	v_fmamk_f32 v114, v112, 0x32a5705f, v114
	v_sub_f32_e32 v113, v113, v115
	v_add_f32_e32 v113, v113, v114
	v_exp_f32_e32 v113, v113
	v_cvt_i32_f32_e32 v114, v115
	s_mov_b32 s56, 0xc2ce8ed0
	v_cmp_ngt_f32_e64 s[56:57], s56, v112
	s_mov_b32 s66, 0x7f800000
	v_ldexp_f32 v113, v113, v114
	v_cndmask_b32_e64 v113, 0, v113, s[56:57]
	s_mov_b32 s56, 0x42b17218
	v_mov_b32_e32 v114, 0x7f800000
	v_cmp_nlt_f32_e64 s[56:57], s56, v112
	s_nop 1
	v_cndmask_b32_e64 v144, v114, v113, s[56:57]
	v_add_f32_e32 v114, 1.0, v144
	v_add_f32_e32 v112, -1.0, v114
	v_sub_f32_e32 v113, v112, v114
	v_add_f32_e32 v113, 1.0, v113
	v_sub_f32_e32 v112, v144, v112
	v_add_f32_e32 v115, v112, v113
	v_frexp_mant_f32_e32 v116, v114
	s_mov_b32 s56, 0x3f2aaaab
	v_cvt_f64_f32_e32 v[112:113], v114
	v_frexp_exp_i32_f64_e32 v112, v[112:113]
	v_cmp_gt_f32_e64 s[56:57], s56, v116
	s_nop 1
	v_subbrev_co_u32_e64 v128, s[56:57], 0, v112, s[56:57]
	v_sub_u32_e32 v112, 0, v128
	v_ldexp_f32 v113, v114, v112
	v_add_f32_e32 v114, -1.0, v113
	v_add_f32_e32 v116, 1.0, v113
	v_ldexp_f32 v112, v115, v112
	v_add_f32_e32 v115, 1.0, v114
	v_add_f32_e32 v117, -1.0, v116
	v_sub_f32_e32 v115, v113, v115
	v_sub_f32_e32 v113, v113, v117
	v_add_f32_e32 v115, v112, v115
	v_add_f32_e32 v112, v112, v113
	;; [unrolled: 1-line block ×3, first 2 shown]
	v_rcp_f32_e32 v131, v129
	v_sub_f32_e32 v113, v116, v129
	v_add_f32_e32 v130, v112, v113
	v_add_f32_e32 v113, v114, v115
	v_mul_f32_e32 v133, v113, v131
	v_sub_f32_e32 v112, v114, v113
	v_mul_f32_e32 v114, v129, v133
	v_fma_f32 v116, v133, v129, -v114
	v_fmac_f32_e32 v116, v133, v130
	v_add_f32_e32 v132, v115, v112
	v_add_f32_e32 v112, v114, v116
	v_sub_f32_e32 v115, v113, v112
	v_pk_add_f32 v[118:119], v[112:113], v[114:115] neg_lo:[0,1] neg_hi:[0,1]
	v_mov_b32_e32 v117, v112
	v_pk_add_f32 v[112:113], v[118:119], v[116:117] neg_lo:[0,1] neg_hi:[0,1]
	s_mov_b32 s56, 0x3f317218
	v_add_f32_e32 v113, v132, v113
	v_add_f32_e32 v112, v112, v113
	;; [unrolled: 1-line block ×3, first 2 shown]
	v_mul_f32_e32 v132, v131, v113
	v_mul_f32_e32 v114, v129, v132
	v_fma_f32 v116, v132, v129, -v114
	v_fmac_f32_e32 v116, v132, v130
	v_sub_f32_e32 v115, v115, v113
	v_add_f32_e32 v129, v112, v115
	v_add_f32_e32 v112, v114, v116
	v_sub_f32_e32 v115, v113, v112
	v_pk_add_f32 v[118:119], v[112:113], v[114:115] neg_lo:[0,1] neg_hi:[0,1]
	v_mov_b32_e32 v117, v112
	v_pk_add_f32 v[112:113], v[118:119], v[116:117] neg_lo:[0,1] neg_hi:[0,1]
	v_cvt_f32_i32_e32 v114, v128
	v_add_f32_e32 v113, v129, v113
	v_add_f32_e32 v112, v112, v113
	;; [unrolled: 1-line block ×4, first 2 shown]
	v_sub_f32_e32 v113, v115, v133
	v_mul_f32_e32 v112, v131, v112
	v_sub_f32_e32 v113, v132, v113
	v_add_f32_e32 v112, v113, v112
	v_add_f32_e32 v116, v115, v112
	v_mul_f32_e32 v118, v116, v116
	v_mov_b32_e32 v113, 0x3ecc95a3
	v_sub_f32_e32 v115, v116, v115
	v_fmac_f32_e32 v113, 0x3e9b6dac, v118
	v_sub_f32_e32 v112, v112, v115
	v_fmaak_f32 v113, v118, v113, 0x3f2aaada
	v_ldexp_f32 v119, v112, 1
	v_mul_f32_e32 v115, v116, v118
	v_mov_b32_e32 v112, 0x3f317218
	v_pk_mul_f32 v[112:113], v[114:115], v[112:113]
	v_ldexp_f32 v117, v116, 1
	v_fma_f32 v115, v114, s56, -v112
	v_fmamk_f32 v116, v114, 0xb102e308, v115
	v_pk_add_f32 v[114:115], v[112:113], v[116:117]
	v_mov_b32_e32 v118, v112
	v_sub_f32_e32 v117, v115, v117
	v_sub_f32_e32 v117, v113, v117
	v_add_f32_e32 v119, v119, v117
	v_pk_add_f32 v[112:113], v[114:115], v[112:113] neg_lo:[0,1] neg_hi:[0,1]
	v_pk_add_f32 v[128:129], v[114:115], v[118:119]
	v_mov_b32_e32 v117, v114
	v_mov_b32_e32 v113, v129
	v_pk_add_f32 v[130:131], v[116:117], v[112:113] neg_lo:[0,1] neg_hi:[0,1]
	v_pk_add_f32 v[112:113], v[116:117], v[112:113]
	v_mov_b32_e32 v118, v119
	v_mov_b32_e32 v116, v113
	v_pk_add_f32 v[132:133], v[116:117], v[114:115] neg_lo:[0,1] neg_hi:[0,1]
	v_mov_b32_e32 v112, v129
	v_mov_b32_e32 v117, v132
	v_pk_add_f32 v[134:135], v[128:129], v[116:117] neg_lo:[0,1] neg_hi:[0,1]
	v_mov_b32_e32 v128, v115
	v_mov_b32_e32 v129, v132
	;; [unrolled: 1-line block ×3, first 2 shown]
	v_pk_add_f32 v[112:113], v[112:113], v[128:129] neg_lo:[0,1] neg_hi:[0,1]
	v_mov_b32_e32 v119, v114
	v_pk_add_f32 v[112:113], v[118:119], v[112:113] neg_lo:[0,1] neg_hi:[0,1]
	v_mov_b32_e32 v134, v130
	v_pk_add_f32 v[114:115], v[134:135], v[112:113]
	v_cmp_eq_f32_e64 s[56:57], s66, v144
	v_mov_b32_e32 v118, v115
	v_pk_add_f32 v[118:119], v[114:115], v[118:119]
	s_mov_b32 s66, 0x33800000
	v_pk_add_f32 v[116:117], v[116:117], v[118:119]
	v_mov_b32_e32 v113, v118
	v_mov_b32_e32 v115, v116
	v_pk_add_f32 v[128:129], v[114:115], v[130:131] neg_lo:[0,1] neg_hi:[0,1]
	v_cmp_lt_f32_e64 s[66:67], |v144|, s66
	v_sub_f32_e32 v114, v114, v128
	v_pk_add_f32 v[112:113], v[112:113], v[128:129] neg_lo:[0,1] neg_hi:[0,1]
	v_sub_f32_e32 v114, v130, v114
	v_add_f32_e32 v112, v112, v114
	v_add_f32_e32 v112, v112, v113
	v_add_f32_e32 v112, v116, v112
	s_or_b64 s[56:57], s[56:57], s[66:67]
	v_cndmask_b32_e64 v112, v112, v144, s[56:57]
	v_add_f32_e32 v113, v103, v112
.LBB93_342:
	s_or_b64 exec, exec, s[58:59]
	v_mov_b32_e32 v112, v113
.LBB93_343:
	s_or_b64 exec, exec, s[64:65]
	s_nop 0
	v_mov_b32_dpp v113, v112 row_bcast:31 row_mask:0xf bank_mask:0xf
	v_cmp_lt_u32_e64 s[56:57], 31, v3
	s_and_saveexec_b64 s[64:65], s[56:57]
	s_cbranch_execz .LBB93_347
; %bb.344:
	v_max_f32_e32 v103, v112, v112
	v_max_f32_e32 v115, v113, v113
	v_min_f32_e32 v114, v115, v103
	v_cmp_u_f32_e64 s[56:57], v113, v113
	v_max_f32_e32 v103, v115, v103
	v_cmp_u_f32_e64 s[58:59], v112, v112
	v_cndmask_b32_e64 v114, v114, v113, s[56:57]
	v_cndmask_b32_e64 v103, v103, v113, s[56:57]
	;; [unrolled: 1-line block ×4, first 2 shown]
	s_movk_i32 s58, 0x1f8
	v_cmp_neq_f32_e64 s[56:57], v114, v103
	v_cmp_class_f32_e64 s[58:59], v114, s58
	s_or_b64 s[56:57], s[56:57], s[58:59]
	s_and_saveexec_b64 s[58:59], s[56:57]
	s_cbranch_execz .LBB93_346
; %bb.345:
	v_sub_f32_e32 v112, v114, v103
	s_mov_b32 s56, 0x3fb8aa3b
	v_mul_f32_e32 v113, 0x3fb8aa3b, v112
	v_fma_f32 v114, v112, s56, -v113
	v_rndne_f32_e32 v115, v113
	v_fmamk_f32 v114, v112, 0x32a5705f, v114
	v_sub_f32_e32 v113, v113, v115
	v_add_f32_e32 v113, v113, v114
	v_exp_f32_e32 v113, v113
	v_cvt_i32_f32_e32 v114, v115
	s_mov_b32 s56, 0xc2ce8ed0
	v_cmp_ngt_f32_e64 s[56:57], s56, v112
	s_mov_b32 s66, 0x7f800000
	v_ldexp_f32 v113, v113, v114
	v_cndmask_b32_e64 v113, 0, v113, s[56:57]
	s_mov_b32 s56, 0x42b17218
	v_mov_b32_e32 v114, 0x7f800000
	v_cmp_nlt_f32_e64 s[56:57], s56, v112
	s_nop 1
	v_cndmask_b32_e64 v144, v114, v113, s[56:57]
	v_add_f32_e32 v114, 1.0, v144
	v_add_f32_e32 v112, -1.0, v114
	v_sub_f32_e32 v113, v112, v114
	v_add_f32_e32 v113, 1.0, v113
	v_sub_f32_e32 v112, v144, v112
	v_add_f32_e32 v115, v112, v113
	v_frexp_mant_f32_e32 v116, v114
	s_mov_b32 s56, 0x3f2aaaab
	v_cvt_f64_f32_e32 v[112:113], v114
	v_frexp_exp_i32_f64_e32 v112, v[112:113]
	v_cmp_gt_f32_e64 s[56:57], s56, v116
	s_nop 1
	v_subbrev_co_u32_e64 v128, s[56:57], 0, v112, s[56:57]
	v_sub_u32_e32 v112, 0, v128
	v_ldexp_f32 v113, v114, v112
	v_add_f32_e32 v114, -1.0, v113
	v_add_f32_e32 v116, 1.0, v113
	v_ldexp_f32 v112, v115, v112
	v_add_f32_e32 v115, 1.0, v114
	v_add_f32_e32 v117, -1.0, v116
	v_sub_f32_e32 v115, v113, v115
	v_sub_f32_e32 v113, v113, v117
	v_add_f32_e32 v115, v112, v115
	v_add_f32_e32 v112, v112, v113
	;; [unrolled: 1-line block ×3, first 2 shown]
	v_rcp_f32_e32 v131, v129
	v_sub_f32_e32 v113, v116, v129
	v_add_f32_e32 v130, v112, v113
	v_add_f32_e32 v113, v114, v115
	v_mul_f32_e32 v133, v113, v131
	v_sub_f32_e32 v112, v114, v113
	v_mul_f32_e32 v114, v129, v133
	v_fma_f32 v116, v133, v129, -v114
	v_fmac_f32_e32 v116, v133, v130
	v_add_f32_e32 v132, v115, v112
	v_add_f32_e32 v112, v114, v116
	v_sub_f32_e32 v115, v113, v112
	v_pk_add_f32 v[118:119], v[112:113], v[114:115] neg_lo:[0,1] neg_hi:[0,1]
	v_mov_b32_e32 v117, v112
	v_pk_add_f32 v[112:113], v[118:119], v[116:117] neg_lo:[0,1] neg_hi:[0,1]
	s_mov_b32 s56, 0x3f317218
	v_add_f32_e32 v113, v132, v113
	v_add_f32_e32 v112, v112, v113
	v_add_f32_e32 v113, v115, v112
	v_mul_f32_e32 v132, v131, v113
	v_mul_f32_e32 v114, v129, v132
	v_fma_f32 v116, v132, v129, -v114
	v_fmac_f32_e32 v116, v132, v130
	v_sub_f32_e32 v115, v115, v113
	v_add_f32_e32 v129, v112, v115
	v_add_f32_e32 v112, v114, v116
	v_sub_f32_e32 v115, v113, v112
	v_pk_add_f32 v[118:119], v[112:113], v[114:115] neg_lo:[0,1] neg_hi:[0,1]
	v_mov_b32_e32 v117, v112
	v_pk_add_f32 v[112:113], v[118:119], v[116:117] neg_lo:[0,1] neg_hi:[0,1]
	v_cvt_f32_i32_e32 v114, v128
	v_add_f32_e32 v113, v129, v113
	v_add_f32_e32 v112, v112, v113
	;; [unrolled: 1-line block ×4, first 2 shown]
	v_sub_f32_e32 v113, v115, v133
	v_mul_f32_e32 v112, v131, v112
	v_sub_f32_e32 v113, v132, v113
	v_add_f32_e32 v112, v113, v112
	v_add_f32_e32 v116, v115, v112
	v_mul_f32_e32 v118, v116, v116
	v_mov_b32_e32 v113, 0x3ecc95a3
	v_sub_f32_e32 v115, v116, v115
	v_fmac_f32_e32 v113, 0x3e9b6dac, v118
	v_sub_f32_e32 v112, v112, v115
	v_fmaak_f32 v113, v118, v113, 0x3f2aaada
	v_ldexp_f32 v119, v112, 1
	v_mul_f32_e32 v115, v116, v118
	v_mov_b32_e32 v112, 0x3f317218
	v_pk_mul_f32 v[112:113], v[114:115], v[112:113]
	v_ldexp_f32 v117, v116, 1
	v_fma_f32 v115, v114, s56, -v112
	v_fmamk_f32 v116, v114, 0xb102e308, v115
	v_pk_add_f32 v[114:115], v[112:113], v[116:117]
	v_mov_b32_e32 v118, v112
	v_sub_f32_e32 v117, v115, v117
	v_sub_f32_e32 v117, v113, v117
	v_add_f32_e32 v119, v119, v117
	v_pk_add_f32 v[112:113], v[114:115], v[112:113] neg_lo:[0,1] neg_hi:[0,1]
	v_pk_add_f32 v[128:129], v[114:115], v[118:119]
	v_mov_b32_e32 v117, v114
	v_mov_b32_e32 v113, v129
	v_pk_add_f32 v[130:131], v[116:117], v[112:113] neg_lo:[0,1] neg_hi:[0,1]
	v_pk_add_f32 v[112:113], v[116:117], v[112:113]
	v_mov_b32_e32 v118, v119
	v_mov_b32_e32 v116, v113
	v_pk_add_f32 v[132:133], v[116:117], v[114:115] neg_lo:[0,1] neg_hi:[0,1]
	v_mov_b32_e32 v112, v129
	v_mov_b32_e32 v117, v132
	v_pk_add_f32 v[134:135], v[128:129], v[116:117] neg_lo:[0,1] neg_hi:[0,1]
	v_mov_b32_e32 v128, v115
	v_mov_b32_e32 v129, v132
	;; [unrolled: 1-line block ×3, first 2 shown]
	v_pk_add_f32 v[112:113], v[112:113], v[128:129] neg_lo:[0,1] neg_hi:[0,1]
	v_mov_b32_e32 v119, v114
	v_pk_add_f32 v[112:113], v[118:119], v[112:113] neg_lo:[0,1] neg_hi:[0,1]
	v_mov_b32_e32 v134, v130
	v_pk_add_f32 v[114:115], v[134:135], v[112:113]
	v_cmp_eq_f32_e64 s[56:57], s66, v144
	v_mov_b32_e32 v118, v115
	v_pk_add_f32 v[118:119], v[114:115], v[118:119]
	s_mov_b32 s66, 0x33800000
	v_pk_add_f32 v[116:117], v[116:117], v[118:119]
	v_mov_b32_e32 v113, v118
	v_mov_b32_e32 v115, v116
	v_pk_add_f32 v[128:129], v[114:115], v[130:131] neg_lo:[0,1] neg_hi:[0,1]
	v_cmp_lt_f32_e64 s[66:67], |v144|, s66
	v_sub_f32_e32 v114, v114, v128
	v_pk_add_f32 v[112:113], v[112:113], v[128:129] neg_lo:[0,1] neg_hi:[0,1]
	v_sub_f32_e32 v114, v130, v114
	v_add_f32_e32 v112, v112, v114
	v_add_f32_e32 v112, v112, v113
	;; [unrolled: 1-line block ×3, first 2 shown]
	s_or_b64 s[56:57], s[56:57], s[66:67]
	v_cndmask_b32_e64 v112, v112, v144, s[56:57]
	v_add_f32_e32 v113, v103, v112
.LBB93_346:
	s_or_b64 exec, exec, s[58:59]
	v_mov_b32_e32 v112, v113
.LBB93_347:
	s_or_b64 exec, exec, s[64:65]
	v_add_u32_e32 v103, -1, v3
	v_and_b32_e32 v113, 64, v3
	v_cmp_lt_i32_e64 s[56:57], v103, v113
	s_movk_i32 s58, 0x1f8
	s_nop 0
	v_cndmask_b32_e64 v3, v103, v3, s[56:57]
	v_lshlrev_b32_e32 v3, 2, v3
	ds_bpermute_b32 v3, v3, v112
	s_waitcnt lgkmcnt(0)
	v_max_f32_e32 v103, v3, v3
	v_min_f32_e32 v112, v103, v102
	v_max_f32_e32 v103, v103, v102
	v_cmp_u_f32_e64 s[56:57], v3, v3
	s_nop 1
	v_cndmask_b32_e64 v102, v112, v3, s[56:57]
	v_cndmask_b32_e64 v103, v103, v3, s[56:57]
	;; [unrolled: 1-line block ×4, first 2 shown]
	v_cmp_neq_f32_e64 s[54:55], v102, v2
	v_cmp_class_f32_e64 s[56:57], v102, s58
	s_or_b64 s[54:55], s[54:55], s[56:57]
	s_and_saveexec_b64 s[56:57], s[54:55]
	s_cbranch_execz .LBB93_349
; %bb.348:
	v_sub_f32_e32 v3, v102, v2
	s_mov_b32 s54, 0x3fb8aa3b
	v_mul_f32_e32 v102, 0x3fb8aa3b, v3
	v_fma_f32 v103, v3, s54, -v102
	v_rndne_f32_e32 v112, v102
	v_fmamk_f32 v103, v3, 0x32a5705f, v103
	v_sub_f32_e32 v102, v102, v112
	v_add_f32_e32 v102, v102, v103
	v_exp_f32_e32 v102, v102
	v_cvt_i32_f32_e32 v103, v112
	s_mov_b32 s54, 0xc2ce8ed0
	v_cmp_ngt_f32_e64 s[54:55], s54, v3
	s_mov_b32 s59, 0x7f800000
	v_ldexp_f32 v102, v102, v103
	v_cndmask_b32_e64 v102, 0, v102, s[54:55]
	s_mov_b32 s54, 0x42b17218
	v_mov_b32_e32 v103, 0x7f800000
	v_cmp_nlt_f32_e64 s[54:55], s54, v3
	s_nop 1
	v_cndmask_b32_e64 v134, v103, v102, s[54:55]
	v_add_f32_e32 v3, 1.0, v134
	v_add_f32_e32 v102, -1.0, v3
	v_sub_f32_e32 v103, v102, v3
	v_add_f32_e32 v103, 1.0, v103
	v_sub_f32_e32 v102, v134, v102
	v_add_f32_e32 v112, v102, v103
	v_frexp_mant_f32_e32 v113, v3
	s_mov_b32 s54, 0x3f2aaaab
	v_cvt_f64_f32_e32 v[102:103], v3
	v_frexp_exp_i32_f64_e32 v102, v[102:103]
	v_cmp_gt_f32_e64 s[54:55], s54, v113
	s_nop 1
	v_subbrev_co_u32_e64 v118, s[54:55], 0, v102, s[54:55]
	v_sub_u32_e32 v102, 0, v118
	v_ldexp_f32 v3, v3, v102
	v_ldexp_f32 v102, v112, v102
	v_add_f32_e32 v112, -1.0, v3
	v_add_f32_e32 v103, 1.0, v112
	v_sub_f32_e32 v103, v3, v103
	v_add_f32_e32 v113, v102, v103
	v_add_f32_e32 v103, 1.0, v3
	v_add_f32_e32 v114, -1.0, v103
	v_sub_f32_e32 v3, v3, v114
	v_add_f32_e32 v3, v102, v3
	v_add_f32_e32 v119, v103, v3
	v_rcp_f32_e32 v128, v119
	v_sub_f32_e32 v102, v103, v119
	v_add_f32_e32 v103, v112, v113
	v_add_f32_e32 v3, v3, v102
	v_mul_f32_e32 v130, v103, v128
	v_sub_f32_e32 v102, v112, v103
	v_mul_f32_e32 v112, v119, v130
	v_fma_f32 v114, v130, v119, -v112
	v_fmac_f32_e32 v114, v130, v3
	v_add_f32_e32 v129, v113, v102
	v_add_f32_e32 v102, v112, v114
	v_sub_f32_e32 v113, v103, v102
	v_pk_add_f32 v[116:117], v[102:103], v[112:113] neg_lo:[0,1] neg_hi:[0,1]
	v_mov_b32_e32 v115, v102
	v_pk_add_f32 v[102:103], v[116:117], v[114:115] neg_lo:[0,1] neg_hi:[0,1]
	s_mov_b32 s54, 0x3f317218
	v_add_f32_e32 v103, v129, v103
	v_add_f32_e32 v102, v102, v103
	;; [unrolled: 1-line block ×3, first 2 shown]
	v_mul_f32_e32 v129, v128, v103
	v_mul_f32_e32 v112, v119, v129
	v_fma_f32 v114, v129, v119, -v112
	v_fmac_f32_e32 v114, v129, v3
	v_sub_f32_e32 v3, v113, v103
	v_add_f32_e32 v3, v102, v3
	v_add_f32_e32 v102, v112, v114
	v_sub_f32_e32 v113, v103, v102
	v_pk_add_f32 v[116:117], v[102:103], v[112:113] neg_lo:[0,1] neg_hi:[0,1]
	v_mov_b32_e32 v115, v102
	v_pk_add_f32 v[102:103], v[116:117], v[114:115] neg_lo:[0,1] neg_hi:[0,1]
	v_cvt_f32_i32_e32 v112, v118
	v_add_f32_e32 v3, v3, v103
	v_add_f32_e32 v3, v102, v3
	;; [unrolled: 1-line block ×4, first 2 shown]
	v_sub_f32_e32 v103, v102, v130
	v_mul_f32_e32 v3, v128, v3
	v_sub_f32_e32 v103, v129, v103
	v_add_f32_e32 v3, v103, v3
	v_add_f32_e32 v113, v102, v3
	v_mul_f32_e32 v114, v113, v113
	v_mov_b32_e32 v103, 0x3ecc95a3
	v_fmac_f32_e32 v103, 0x3e9b6dac, v114
	v_sub_f32_e32 v102, v113, v102
	v_fmaak_f32 v103, v114, v103, 0x3f2aaada
	v_sub_f32_e32 v3, v3, v102
	v_ldexp_f32 v115, v113, 1
	v_mul_f32_e32 v113, v113, v114
	v_mov_b32_e32 v102, 0x3f317218
	v_pk_mul_f32 v[102:103], v[112:113], v[102:103]
	v_ldexp_f32 v3, v3, 1
	v_fma_f32 v113, v112, s54, -v102
	v_fmamk_f32 v114, v112, 0xb102e308, v113
	v_pk_add_f32 v[112:113], v[102:103], v[114:115]
	v_mov_b32_e32 v116, v102
	v_sub_f32_e32 v115, v113, v115
	v_sub_f32_e32 v115, v103, v115
	v_add_f32_e32 v117, v3, v115
	v_pk_add_f32 v[102:103], v[112:113], v[102:103] neg_lo:[0,1] neg_hi:[0,1]
	v_pk_add_f32 v[118:119], v[112:113], v[116:117]
	v_mov_b32_e32 v115, v112
	v_mov_b32_e32 v103, v119
	v_pk_add_f32 v[128:129], v[114:115], v[102:103] neg_lo:[0,1] neg_hi:[0,1]
	v_pk_add_f32 v[102:103], v[114:115], v[102:103]
	v_mov_b32_e32 v116, v117
	v_mov_b32_e32 v114, v103
	v_pk_add_f32 v[130:131], v[114:115], v[112:113] neg_lo:[0,1] neg_hi:[0,1]
	v_mov_b32_e32 v102, v119
	v_mov_b32_e32 v3, v130
	v_pk_add_f32 v[132:133], v[118:119], v[2:3] neg_lo:[0,1] neg_hi:[0,1]
	v_mov_b32_e32 v118, v113
	v_mov_b32_e32 v119, v130
	;; [unrolled: 1-line block ×3, first 2 shown]
	v_pk_add_f32 v[102:103], v[102:103], v[118:119] neg_lo:[0,1] neg_hi:[0,1]
	v_mov_b32_e32 v117, v112
	v_pk_add_f32 v[102:103], v[116:117], v[102:103] neg_lo:[0,1] neg_hi:[0,1]
	v_mov_b32_e32 v132, v128
	v_pk_add_f32 v[112:113], v[132:133], v[102:103]
	v_cmp_eq_f32_e64 s[54:55], s59, v134
	v_mov_b32_e32 v116, v113
	v_pk_add_f32 v[116:117], v[112:113], v[116:117]
	s_mov_b32 s59, 0x33800000
	v_pk_add_f32 v[114:115], v[114:115], v[116:117]
	v_mov_b32_e32 v103, v116
	v_mov_b32_e32 v113, v114
	v_pk_add_f32 v[118:119], v[112:113], v[128:129] neg_lo:[0,1] neg_hi:[0,1]
	v_cmp_lt_f32_e64 s[64:65], |v134|, s59
	v_sub_f32_e32 v3, v112, v118
	v_pk_add_f32 v[102:103], v[102:103], v[118:119] neg_lo:[0,1] neg_hi:[0,1]
	v_sub_f32_e32 v3, v128, v3
	v_add_f32_e32 v3, v102, v3
	v_add_f32_e32 v3, v3, v103
	;; [unrolled: 1-line block ×3, first 2 shown]
	s_or_b64 s[54:55], s[54:55], s[64:65]
	v_cndmask_b32_e64 v3, v3, v134, s[54:55]
	v_add_f32_e32 v3, v2, v3
.LBB93_349:
	s_or_b64 exec, exec, s[56:57]
	v_cndmask_b32_e64 v3, v3, v53, s[52:53]
	; wave barrier
	ds_write_b32 v101, v3
	; wave barrier
	ds_read_b32 v2, v101 offset:4
	v_max_f32_e32 v103, v3, v3
	v_cmp_u_f32_e64 s[52:53], v3, v3
	s_waitcnt lgkmcnt(0)
	v_max_f32_e32 v112, v2, v2
	v_min_f32_e32 v102, v103, v112
	v_max_f32_e32 v103, v103, v112
	v_cndmask_b32_e64 v102, v102, v3, s[52:53]
	v_cmp_u_f32_e64 s[54:55], v2, v2
	v_cndmask_b32_e64 v103, v103, v3, s[52:53]
	s_nop 0
	v_cndmask_b32_e64 v102, v102, v2, s[54:55]
	v_cndmask_b32_e64 v2, v103, v2, s[54:55]
	v_cmp_neq_f32_e64 s[52:53], v102, v2
	v_cmp_class_f32_e64 s[54:55], v102, s58
	s_or_b64 s[52:53], s[52:53], s[54:55]
	s_and_saveexec_b64 s[54:55], s[52:53]
	s_cbranch_execz .LBB93_351
; %bb.350:
	v_sub_f32_e32 v3, v102, v2
	s_mov_b32 s52, 0x3fb8aa3b
	v_mul_f32_e32 v102, 0x3fb8aa3b, v3
	v_fma_f32 v103, v3, s52, -v102
	v_rndne_f32_e32 v112, v102
	v_fmamk_f32 v103, v3, 0x32a5705f, v103
	v_sub_f32_e32 v102, v102, v112
	v_add_f32_e32 v102, v102, v103
	v_exp_f32_e32 v102, v102
	v_cvt_i32_f32_e32 v103, v112
	s_mov_b32 s52, 0xc2ce8ed0
	v_cmp_ngt_f32_e64 s[52:53], s52, v3
	s_mov_b32 s56, 0x7f800000
	v_ldexp_f32 v102, v102, v103
	v_cndmask_b32_e64 v102, 0, v102, s[52:53]
	s_mov_b32 s52, 0x42b17218
	v_mov_b32_e32 v103, 0x7f800000
	v_cmp_nlt_f32_e64 s[52:53], s52, v3
	s_nop 1
	v_cndmask_b32_e64 v134, v103, v102, s[52:53]
	v_add_f32_e32 v3, 1.0, v134
	v_add_f32_e32 v102, -1.0, v3
	v_sub_f32_e32 v103, v102, v3
	v_add_f32_e32 v103, 1.0, v103
	v_sub_f32_e32 v102, v134, v102
	v_add_f32_e32 v112, v102, v103
	v_frexp_mant_f32_e32 v113, v3
	s_mov_b32 s52, 0x3f2aaaab
	v_cvt_f64_f32_e32 v[102:103], v3
	v_frexp_exp_i32_f64_e32 v102, v[102:103]
	v_cmp_gt_f32_e64 s[52:53], s52, v113
	s_nop 1
	v_subbrev_co_u32_e64 v118, s[52:53], 0, v102, s[52:53]
	v_sub_u32_e32 v102, 0, v118
	v_ldexp_f32 v3, v3, v102
	v_ldexp_f32 v102, v112, v102
	v_add_f32_e32 v112, -1.0, v3
	v_add_f32_e32 v103, 1.0, v112
	v_sub_f32_e32 v103, v3, v103
	v_add_f32_e32 v113, v102, v103
	v_add_f32_e32 v103, 1.0, v3
	v_add_f32_e32 v114, -1.0, v103
	v_sub_f32_e32 v3, v3, v114
	v_add_f32_e32 v3, v102, v3
	v_add_f32_e32 v119, v103, v3
	v_rcp_f32_e32 v128, v119
	v_sub_f32_e32 v102, v103, v119
	v_add_f32_e32 v103, v112, v113
	v_add_f32_e32 v3, v3, v102
	v_mul_f32_e32 v130, v103, v128
	v_sub_f32_e32 v102, v112, v103
	v_mul_f32_e32 v112, v119, v130
	v_fma_f32 v114, v130, v119, -v112
	v_fmac_f32_e32 v114, v130, v3
	v_add_f32_e32 v129, v113, v102
	v_add_f32_e32 v102, v112, v114
	v_sub_f32_e32 v113, v103, v102
	v_pk_add_f32 v[116:117], v[102:103], v[112:113] neg_lo:[0,1] neg_hi:[0,1]
	v_mov_b32_e32 v115, v102
	v_pk_add_f32 v[102:103], v[116:117], v[114:115] neg_lo:[0,1] neg_hi:[0,1]
	s_mov_b32 s52, 0x3f317218
	v_add_f32_e32 v103, v129, v103
	v_add_f32_e32 v102, v102, v103
	;; [unrolled: 1-line block ×3, first 2 shown]
	v_mul_f32_e32 v129, v128, v103
	v_mul_f32_e32 v112, v119, v129
	v_fma_f32 v114, v129, v119, -v112
	v_fmac_f32_e32 v114, v129, v3
	v_sub_f32_e32 v3, v113, v103
	v_add_f32_e32 v3, v102, v3
	v_add_f32_e32 v102, v112, v114
	v_sub_f32_e32 v113, v103, v102
	v_pk_add_f32 v[116:117], v[102:103], v[112:113] neg_lo:[0,1] neg_hi:[0,1]
	v_mov_b32_e32 v115, v102
	v_pk_add_f32 v[102:103], v[116:117], v[114:115] neg_lo:[0,1] neg_hi:[0,1]
	v_cvt_f32_i32_e32 v112, v118
	v_add_f32_e32 v3, v3, v103
	v_add_f32_e32 v3, v102, v3
	;; [unrolled: 1-line block ×4, first 2 shown]
	v_sub_f32_e32 v103, v102, v130
	v_mul_f32_e32 v3, v128, v3
	v_sub_f32_e32 v103, v129, v103
	v_add_f32_e32 v3, v103, v3
	v_add_f32_e32 v113, v102, v3
	v_mul_f32_e32 v114, v113, v113
	v_mov_b32_e32 v103, 0x3ecc95a3
	v_fmac_f32_e32 v103, 0x3e9b6dac, v114
	v_sub_f32_e32 v102, v113, v102
	v_fmaak_f32 v103, v114, v103, 0x3f2aaada
	v_sub_f32_e32 v3, v3, v102
	v_ldexp_f32 v115, v113, 1
	v_mul_f32_e32 v113, v113, v114
	v_mov_b32_e32 v102, 0x3f317218
	v_pk_mul_f32 v[102:103], v[112:113], v[102:103]
	v_ldexp_f32 v3, v3, 1
	v_fma_f32 v113, v112, s52, -v102
	v_fmamk_f32 v114, v112, 0xb102e308, v113
	v_pk_add_f32 v[112:113], v[102:103], v[114:115]
	v_mov_b32_e32 v116, v102
	v_sub_f32_e32 v115, v113, v115
	v_sub_f32_e32 v115, v103, v115
	v_add_f32_e32 v117, v3, v115
	v_pk_add_f32 v[102:103], v[112:113], v[102:103] neg_lo:[0,1] neg_hi:[0,1]
	v_pk_add_f32 v[118:119], v[112:113], v[116:117]
	v_mov_b32_e32 v115, v112
	v_mov_b32_e32 v103, v119
	v_pk_add_f32 v[128:129], v[114:115], v[102:103] neg_lo:[0,1] neg_hi:[0,1]
	v_pk_add_f32 v[102:103], v[114:115], v[102:103]
	v_mov_b32_e32 v116, v117
	v_mov_b32_e32 v114, v103
	v_pk_add_f32 v[130:131], v[114:115], v[112:113] neg_lo:[0,1] neg_hi:[0,1]
	v_mov_b32_e32 v102, v119
	v_mov_b32_e32 v3, v130
	v_pk_add_f32 v[132:133], v[118:119], v[2:3] neg_lo:[0,1] neg_hi:[0,1]
	v_mov_b32_e32 v118, v113
	v_mov_b32_e32 v119, v130
	;; [unrolled: 1-line block ×3, first 2 shown]
	v_pk_add_f32 v[102:103], v[102:103], v[118:119] neg_lo:[0,1] neg_hi:[0,1]
	v_mov_b32_e32 v117, v112
	v_pk_add_f32 v[102:103], v[116:117], v[102:103] neg_lo:[0,1] neg_hi:[0,1]
	v_mov_b32_e32 v132, v128
	v_pk_add_f32 v[112:113], v[132:133], v[102:103]
	v_cmp_eq_f32_e64 s[52:53], s56, v134
	v_mov_b32_e32 v116, v113
	v_pk_add_f32 v[116:117], v[112:113], v[116:117]
	s_mov_b32 s56, 0x33800000
	v_pk_add_f32 v[114:115], v[114:115], v[116:117]
	v_mov_b32_e32 v103, v116
	v_mov_b32_e32 v113, v114
	v_pk_add_f32 v[118:119], v[112:113], v[128:129] neg_lo:[0,1] neg_hi:[0,1]
	v_cmp_lt_f32_e64 s[56:57], |v134|, s56
	v_sub_f32_e32 v3, v112, v118
	v_pk_add_f32 v[102:103], v[102:103], v[118:119] neg_lo:[0,1] neg_hi:[0,1]
	v_sub_f32_e32 v3, v128, v3
	v_add_f32_e32 v3, v102, v3
	v_add_f32_e32 v3, v3, v103
	;; [unrolled: 1-line block ×3, first 2 shown]
	s_or_b64 s[52:53], s[52:53], s[56:57]
	v_cndmask_b32_e64 v3, v3, v134, s[52:53]
	v_add_f32_e32 v3, v2, v3
.LBB93_351:
	s_or_b64 exec, exec, s[54:55]
	ds_read_b32 v2, v101 offset:8
	v_max_f32_e32 v103, v3, v3
	v_cmp_u_f32_e64 s[52:53], v3, v3
	s_movk_i32 s56, 0x1f8
	ds_write_b32 v101, v3 offset:4
	s_waitcnt lgkmcnt(0)
	v_max_f32_e32 v112, v2, v2
	v_min_f32_e32 v102, v103, v112
	v_max_f32_e32 v103, v103, v112
	v_cndmask_b32_e64 v102, v102, v3, s[52:53]
	v_cmp_u_f32_e64 s[54:55], v2, v2
	v_cndmask_b32_e64 v103, v103, v3, s[52:53]
	s_nop 0
	v_cndmask_b32_e64 v102, v102, v2, s[54:55]
	v_cndmask_b32_e64 v2, v103, v2, s[54:55]
	v_cmp_neq_f32_e64 s[52:53], v102, v2
	v_cmp_class_f32_e64 s[54:55], v102, s56
	s_or_b64 s[52:53], s[52:53], s[54:55]
	s_and_saveexec_b64 s[54:55], s[52:53]
	s_cbranch_execz .LBB93_353
; %bb.352:
	v_sub_f32_e32 v3, v102, v2
	s_mov_b32 s52, 0x3fb8aa3b
	v_mul_f32_e32 v102, 0x3fb8aa3b, v3
	v_fma_f32 v103, v3, s52, -v102
	v_rndne_f32_e32 v112, v102
	v_fmamk_f32 v103, v3, 0x32a5705f, v103
	v_sub_f32_e32 v102, v102, v112
	v_add_f32_e32 v102, v102, v103
	v_exp_f32_e32 v102, v102
	v_cvt_i32_f32_e32 v103, v112
	s_mov_b32 s52, 0xc2ce8ed0
	v_cmp_ngt_f32_e64 s[52:53], s52, v3
	s_mov_b32 s57, 0x7f800000
	v_ldexp_f32 v102, v102, v103
	v_cndmask_b32_e64 v102, 0, v102, s[52:53]
	s_mov_b32 s52, 0x42b17218
	v_mov_b32_e32 v103, 0x7f800000
	v_cmp_nlt_f32_e64 s[52:53], s52, v3
	s_nop 1
	v_cndmask_b32_e64 v134, v103, v102, s[52:53]
	v_add_f32_e32 v3, 1.0, v134
	v_add_f32_e32 v102, -1.0, v3
	v_sub_f32_e32 v103, v102, v3
	v_add_f32_e32 v103, 1.0, v103
	v_sub_f32_e32 v102, v134, v102
	v_add_f32_e32 v112, v102, v103
	v_frexp_mant_f32_e32 v113, v3
	s_mov_b32 s52, 0x3f2aaaab
	v_cvt_f64_f32_e32 v[102:103], v3
	v_frexp_exp_i32_f64_e32 v102, v[102:103]
	v_cmp_gt_f32_e64 s[52:53], s52, v113
	s_nop 1
	v_subbrev_co_u32_e64 v118, s[52:53], 0, v102, s[52:53]
	v_sub_u32_e32 v102, 0, v118
	v_ldexp_f32 v3, v3, v102
	v_ldexp_f32 v102, v112, v102
	v_add_f32_e32 v112, -1.0, v3
	v_add_f32_e32 v103, 1.0, v112
	v_sub_f32_e32 v103, v3, v103
	v_add_f32_e32 v113, v102, v103
	v_add_f32_e32 v103, 1.0, v3
	v_add_f32_e32 v114, -1.0, v103
	v_sub_f32_e32 v3, v3, v114
	v_add_f32_e32 v3, v102, v3
	v_add_f32_e32 v119, v103, v3
	v_rcp_f32_e32 v128, v119
	v_sub_f32_e32 v102, v103, v119
	v_add_f32_e32 v103, v112, v113
	v_add_f32_e32 v3, v3, v102
	v_mul_f32_e32 v130, v103, v128
	v_sub_f32_e32 v102, v112, v103
	v_mul_f32_e32 v112, v119, v130
	v_fma_f32 v114, v130, v119, -v112
	v_fmac_f32_e32 v114, v130, v3
	v_add_f32_e32 v129, v113, v102
	v_add_f32_e32 v102, v112, v114
	v_sub_f32_e32 v113, v103, v102
	v_pk_add_f32 v[116:117], v[102:103], v[112:113] neg_lo:[0,1] neg_hi:[0,1]
	v_mov_b32_e32 v115, v102
	v_pk_add_f32 v[102:103], v[116:117], v[114:115] neg_lo:[0,1] neg_hi:[0,1]
	s_mov_b32 s52, 0x3f317218
	v_add_f32_e32 v103, v129, v103
	v_add_f32_e32 v102, v102, v103
	;; [unrolled: 1-line block ×3, first 2 shown]
	v_mul_f32_e32 v129, v128, v103
	v_mul_f32_e32 v112, v119, v129
	v_fma_f32 v114, v129, v119, -v112
	v_fmac_f32_e32 v114, v129, v3
	v_sub_f32_e32 v3, v113, v103
	v_add_f32_e32 v3, v102, v3
	v_add_f32_e32 v102, v112, v114
	v_sub_f32_e32 v113, v103, v102
	v_pk_add_f32 v[116:117], v[102:103], v[112:113] neg_lo:[0,1] neg_hi:[0,1]
	v_mov_b32_e32 v115, v102
	v_pk_add_f32 v[102:103], v[116:117], v[114:115] neg_lo:[0,1] neg_hi:[0,1]
	v_cvt_f32_i32_e32 v112, v118
	v_add_f32_e32 v3, v3, v103
	v_add_f32_e32 v3, v102, v3
	;; [unrolled: 1-line block ×4, first 2 shown]
	v_sub_f32_e32 v103, v102, v130
	v_mul_f32_e32 v3, v128, v3
	v_sub_f32_e32 v103, v129, v103
	v_add_f32_e32 v3, v103, v3
	v_add_f32_e32 v113, v102, v3
	v_mul_f32_e32 v114, v113, v113
	v_mov_b32_e32 v103, 0x3ecc95a3
	v_fmac_f32_e32 v103, 0x3e9b6dac, v114
	v_sub_f32_e32 v102, v113, v102
	v_fmaak_f32 v103, v114, v103, 0x3f2aaada
	v_sub_f32_e32 v3, v3, v102
	v_ldexp_f32 v115, v113, 1
	v_mul_f32_e32 v113, v113, v114
	v_mov_b32_e32 v102, 0x3f317218
	v_pk_mul_f32 v[102:103], v[112:113], v[102:103]
	v_ldexp_f32 v3, v3, 1
	v_fma_f32 v113, v112, s52, -v102
	v_fmamk_f32 v114, v112, 0xb102e308, v113
	v_pk_add_f32 v[112:113], v[102:103], v[114:115]
	v_mov_b32_e32 v116, v102
	v_sub_f32_e32 v115, v113, v115
	v_sub_f32_e32 v115, v103, v115
	v_add_f32_e32 v117, v3, v115
	v_pk_add_f32 v[102:103], v[112:113], v[102:103] neg_lo:[0,1] neg_hi:[0,1]
	v_pk_add_f32 v[118:119], v[112:113], v[116:117]
	v_mov_b32_e32 v115, v112
	v_mov_b32_e32 v103, v119
	v_pk_add_f32 v[128:129], v[114:115], v[102:103] neg_lo:[0,1] neg_hi:[0,1]
	v_pk_add_f32 v[102:103], v[114:115], v[102:103]
	v_mov_b32_e32 v116, v117
	v_mov_b32_e32 v114, v103
	v_pk_add_f32 v[130:131], v[114:115], v[112:113] neg_lo:[0,1] neg_hi:[0,1]
	v_mov_b32_e32 v102, v119
	v_mov_b32_e32 v3, v130
	v_pk_add_f32 v[132:133], v[118:119], v[2:3] neg_lo:[0,1] neg_hi:[0,1]
	v_mov_b32_e32 v118, v113
	v_mov_b32_e32 v119, v130
	;; [unrolled: 1-line block ×3, first 2 shown]
	v_pk_add_f32 v[102:103], v[102:103], v[118:119] neg_lo:[0,1] neg_hi:[0,1]
	v_mov_b32_e32 v117, v112
	v_pk_add_f32 v[102:103], v[116:117], v[102:103] neg_lo:[0,1] neg_hi:[0,1]
	v_mov_b32_e32 v132, v128
	v_pk_add_f32 v[112:113], v[132:133], v[102:103]
	v_cmp_eq_f32_e64 s[52:53], s57, v134
	v_mov_b32_e32 v116, v113
	v_pk_add_f32 v[116:117], v[112:113], v[116:117]
	s_mov_b32 s57, 0x33800000
	v_pk_add_f32 v[114:115], v[114:115], v[116:117]
	v_mov_b32_e32 v103, v116
	v_mov_b32_e32 v113, v114
	v_pk_add_f32 v[118:119], v[112:113], v[128:129] neg_lo:[0,1] neg_hi:[0,1]
	v_cmp_lt_f32_e64 s[58:59], |v134|, s57
	v_sub_f32_e32 v3, v112, v118
	v_pk_add_f32 v[102:103], v[102:103], v[118:119] neg_lo:[0,1] neg_hi:[0,1]
	v_sub_f32_e32 v3, v128, v3
	v_add_f32_e32 v3, v102, v3
	v_add_f32_e32 v3, v3, v103
	;; [unrolled: 1-line block ×3, first 2 shown]
	s_or_b64 s[52:53], s[52:53], s[58:59]
	v_cndmask_b32_e64 v3, v3, v134, s[52:53]
	v_add_f32_e32 v3, v2, v3
.LBB93_353:
	s_or_b64 exec, exec, s[54:55]
	ds_read_b32 v2, v101 offset:12
	v_max_f32_e32 v103, v3, v3
	v_cmp_u_f32_e64 s[52:53], v3, v3
	ds_write_b32 v101, v3 offset:8
	s_waitcnt lgkmcnt(0)
	v_max_f32_e32 v112, v2, v2
	v_min_f32_e32 v102, v103, v112
	v_max_f32_e32 v103, v103, v112
	v_cndmask_b32_e64 v102, v102, v3, s[52:53]
	v_cmp_u_f32_e64 s[54:55], v2, v2
	v_cndmask_b32_e64 v103, v103, v3, s[52:53]
	s_nop 0
	v_cndmask_b32_e64 v102, v102, v2, s[54:55]
	v_cndmask_b32_e64 v2, v103, v2, s[54:55]
	v_cmp_neq_f32_e64 s[52:53], v102, v2
	v_cmp_class_f32_e64 s[54:55], v102, s56
	s_or_b64 s[52:53], s[52:53], s[54:55]
	s_and_saveexec_b64 s[54:55], s[52:53]
	s_cbranch_execz .LBB93_355
; %bb.354:
	v_sub_f32_e32 v3, v102, v2
	s_mov_b32 s52, 0x3fb8aa3b
	v_mul_f32_e32 v102, 0x3fb8aa3b, v3
	v_fma_f32 v103, v3, s52, -v102
	v_rndne_f32_e32 v112, v102
	v_fmamk_f32 v103, v3, 0x32a5705f, v103
	v_sub_f32_e32 v102, v102, v112
	v_add_f32_e32 v102, v102, v103
	v_exp_f32_e32 v102, v102
	v_cvt_i32_f32_e32 v103, v112
	s_mov_b32 s52, 0xc2ce8ed0
	v_cmp_ngt_f32_e64 s[52:53], s52, v3
	s_mov_b32 s56, 0x7f800000
	v_ldexp_f32 v102, v102, v103
	v_cndmask_b32_e64 v102, 0, v102, s[52:53]
	s_mov_b32 s52, 0x42b17218
	v_mov_b32_e32 v103, 0x7f800000
	v_cmp_nlt_f32_e64 s[52:53], s52, v3
	s_nop 1
	v_cndmask_b32_e64 v134, v103, v102, s[52:53]
	v_add_f32_e32 v3, 1.0, v134
	v_add_f32_e32 v102, -1.0, v3
	v_sub_f32_e32 v103, v102, v3
	v_add_f32_e32 v103, 1.0, v103
	v_sub_f32_e32 v102, v134, v102
	v_add_f32_e32 v112, v102, v103
	v_frexp_mant_f32_e32 v113, v3
	s_mov_b32 s52, 0x3f2aaaab
	v_cvt_f64_f32_e32 v[102:103], v3
	v_frexp_exp_i32_f64_e32 v102, v[102:103]
	v_cmp_gt_f32_e64 s[52:53], s52, v113
	s_nop 1
	v_subbrev_co_u32_e64 v118, s[52:53], 0, v102, s[52:53]
	v_sub_u32_e32 v102, 0, v118
	v_ldexp_f32 v3, v3, v102
	v_ldexp_f32 v102, v112, v102
	v_add_f32_e32 v112, -1.0, v3
	v_add_f32_e32 v103, 1.0, v112
	v_sub_f32_e32 v103, v3, v103
	v_add_f32_e32 v113, v102, v103
	v_add_f32_e32 v103, 1.0, v3
	v_add_f32_e32 v114, -1.0, v103
	v_sub_f32_e32 v3, v3, v114
	v_add_f32_e32 v3, v102, v3
	v_add_f32_e32 v119, v103, v3
	v_rcp_f32_e32 v128, v119
	v_sub_f32_e32 v102, v103, v119
	v_add_f32_e32 v103, v112, v113
	v_add_f32_e32 v3, v3, v102
	v_mul_f32_e32 v130, v103, v128
	v_sub_f32_e32 v102, v112, v103
	v_mul_f32_e32 v112, v119, v130
	v_fma_f32 v114, v130, v119, -v112
	v_fmac_f32_e32 v114, v130, v3
	v_add_f32_e32 v129, v113, v102
	v_add_f32_e32 v102, v112, v114
	v_sub_f32_e32 v113, v103, v102
	v_pk_add_f32 v[116:117], v[102:103], v[112:113] neg_lo:[0,1] neg_hi:[0,1]
	v_mov_b32_e32 v115, v102
	v_pk_add_f32 v[102:103], v[116:117], v[114:115] neg_lo:[0,1] neg_hi:[0,1]
	s_mov_b32 s52, 0x3f317218
	v_add_f32_e32 v103, v129, v103
	v_add_f32_e32 v102, v102, v103
	;; [unrolled: 1-line block ×3, first 2 shown]
	v_mul_f32_e32 v129, v128, v103
	v_mul_f32_e32 v112, v119, v129
	v_fma_f32 v114, v129, v119, -v112
	v_fmac_f32_e32 v114, v129, v3
	v_sub_f32_e32 v3, v113, v103
	v_add_f32_e32 v3, v102, v3
	v_add_f32_e32 v102, v112, v114
	v_sub_f32_e32 v113, v103, v102
	v_pk_add_f32 v[116:117], v[102:103], v[112:113] neg_lo:[0,1] neg_hi:[0,1]
	v_mov_b32_e32 v115, v102
	v_pk_add_f32 v[102:103], v[116:117], v[114:115] neg_lo:[0,1] neg_hi:[0,1]
	v_cvt_f32_i32_e32 v112, v118
	v_add_f32_e32 v3, v3, v103
	v_add_f32_e32 v3, v102, v3
	;; [unrolled: 1-line block ×4, first 2 shown]
	v_sub_f32_e32 v103, v102, v130
	v_mul_f32_e32 v3, v128, v3
	v_sub_f32_e32 v103, v129, v103
	v_add_f32_e32 v3, v103, v3
	v_add_f32_e32 v113, v102, v3
	v_mul_f32_e32 v114, v113, v113
	v_mov_b32_e32 v103, 0x3ecc95a3
	v_fmac_f32_e32 v103, 0x3e9b6dac, v114
	v_sub_f32_e32 v102, v113, v102
	v_fmaak_f32 v103, v114, v103, 0x3f2aaada
	v_sub_f32_e32 v3, v3, v102
	v_ldexp_f32 v115, v113, 1
	v_mul_f32_e32 v113, v113, v114
	v_mov_b32_e32 v102, 0x3f317218
	v_pk_mul_f32 v[102:103], v[112:113], v[102:103]
	v_ldexp_f32 v3, v3, 1
	v_fma_f32 v113, v112, s52, -v102
	v_fmamk_f32 v114, v112, 0xb102e308, v113
	v_pk_add_f32 v[112:113], v[102:103], v[114:115]
	v_mov_b32_e32 v116, v102
	v_sub_f32_e32 v115, v113, v115
	v_sub_f32_e32 v115, v103, v115
	v_add_f32_e32 v117, v3, v115
	v_pk_add_f32 v[102:103], v[112:113], v[102:103] neg_lo:[0,1] neg_hi:[0,1]
	v_pk_add_f32 v[118:119], v[112:113], v[116:117]
	v_mov_b32_e32 v115, v112
	v_mov_b32_e32 v103, v119
	v_pk_add_f32 v[128:129], v[114:115], v[102:103] neg_lo:[0,1] neg_hi:[0,1]
	v_pk_add_f32 v[102:103], v[114:115], v[102:103]
	v_mov_b32_e32 v116, v117
	v_mov_b32_e32 v114, v103
	v_pk_add_f32 v[130:131], v[114:115], v[112:113] neg_lo:[0,1] neg_hi:[0,1]
	v_mov_b32_e32 v102, v119
	v_mov_b32_e32 v3, v130
	v_pk_add_f32 v[132:133], v[118:119], v[2:3] neg_lo:[0,1] neg_hi:[0,1]
	v_mov_b32_e32 v118, v113
	v_mov_b32_e32 v119, v130
	;; [unrolled: 1-line block ×3, first 2 shown]
	v_pk_add_f32 v[102:103], v[102:103], v[118:119] neg_lo:[0,1] neg_hi:[0,1]
	v_mov_b32_e32 v117, v112
	v_pk_add_f32 v[102:103], v[116:117], v[102:103] neg_lo:[0,1] neg_hi:[0,1]
	v_mov_b32_e32 v132, v128
	v_pk_add_f32 v[112:113], v[132:133], v[102:103]
	v_cmp_eq_f32_e64 s[52:53], s56, v134
	v_mov_b32_e32 v116, v113
	v_pk_add_f32 v[116:117], v[112:113], v[116:117]
	s_mov_b32 s56, 0x33800000
	v_pk_add_f32 v[114:115], v[114:115], v[116:117]
	v_mov_b32_e32 v103, v116
	v_mov_b32_e32 v113, v114
	v_pk_add_f32 v[118:119], v[112:113], v[128:129] neg_lo:[0,1] neg_hi:[0,1]
	v_cmp_lt_f32_e64 s[56:57], |v134|, s56
	v_sub_f32_e32 v3, v112, v118
	v_pk_add_f32 v[102:103], v[102:103], v[118:119] neg_lo:[0,1] neg_hi:[0,1]
	v_sub_f32_e32 v3, v128, v3
	v_add_f32_e32 v3, v102, v3
	v_add_f32_e32 v3, v3, v103
	;; [unrolled: 1-line block ×3, first 2 shown]
	s_or_b64 s[52:53], s[52:53], s[56:57]
	v_cndmask_b32_e64 v3, v3, v134, s[52:53]
	v_add_f32_e32 v3, v2, v3
.LBB93_355:
	s_or_b64 exec, exec, s[54:55]
	ds_write_b32 v101, v3 offset:12
.LBB93_356:
	s_or_b64 exec, exec, s[60:61]
	s_waitcnt lgkmcnt(0)
	s_barrier
	s_and_saveexec_b64 s[52:53], vcc
	s_cbranch_execz .LBB93_358
; %bb.357:
	v_add_u32_e32 v2, -1, v0
	v_lshrrev_b32_e32 v3, 5, v2
	v_add_lshl_u32 v2, v3, v2, 2
	ds_read_b32 v53, v2
.LBB93_358:
	s_or_b64 exec, exec, s[52:53]
	s_and_saveexec_b64 s[52:53], vcc
	s_cbranch_execz .LBB93_362
; %bb.359:
	s_waitcnt lgkmcnt(0)
	v_max_f32_e32 v2, v53, v53
	v_min_f32_e32 v3, v2, v51
	v_cmp_u_f32_e32 vcc, v53, v53
	v_max_f32_e32 v2, v2, v51
	s_nop 0
	v_cndmask_b32_e32 v3, v3, v53, vcc
	v_cndmask_b32_e32 v2, v2, v53, vcc
	v_cndmask_b32_e64 v3, v3, v16, s[50:51]
	v_cndmask_b32_e64 v2, v2, v16, s[50:51]
	s_movk_i32 s50, 0x1f8
	v_cmp_neq_f32_e32 vcc, v3, v2
	v_cmp_class_f32_e64 s[50:51], v3, s50
	s_or_b64 vcc, vcc, s[50:51]
	s_and_saveexec_b64 s[50:51], vcc
	s_cbranch_execz .LBB93_361
; %bb.360:
	v_sub_f32_e32 v3, v3, v2
	s_mov_b32 s54, 0x3fb8aa3b
	v_mul_f32_e32 v16, 0x3fb8aa3b, v3
	v_fma_f32 v50, v3, s54, -v16
	v_rndne_f32_e32 v51, v16
	v_fmamk_f32 v50, v3, 0x32a5705f, v50
	v_sub_f32_e32 v16, v16, v51
	v_add_f32_e32 v16, v16, v50
	v_exp_f32_e32 v16, v16
	v_cvt_i32_f32_e32 v50, v51
	s_mov_b32 s54, 0xc2ce8ed0
	v_cmp_ngt_f32_e32 vcc, s54, v3
	s_mov_b32 s54, 0x42b17218
	v_ldexp_f32 v16, v16, v50
	v_cndmask_b32_e32 v16, 0, v16, vcc
	v_mov_b32_e32 v50, 0x7f800000
	v_cmp_nlt_f32_e32 vcc, s54, v3
	s_mov_b32 s54, 0x3f2aaaab
	s_mov_b32 s55, 0x7f800000
	v_cndmask_b32_e32 v101, v50, v16, vcc
	v_add_f32_e32 v3, 1.0, v101
	v_add_f32_e32 v16, -1.0, v3
	v_sub_f32_e32 v50, v16, v3
	v_add_f32_e32 v50, 1.0, v50
	v_sub_f32_e32 v16, v101, v16
	v_add_f32_e32 v16, v16, v50
	v_frexp_mant_f32_e32 v52, v3
	v_cvt_f64_f32_e32 v[50:51], v3
	v_frexp_exp_i32_f64_e32 v50, v[50:51]
	v_cmp_gt_f32_e32 vcc, s54, v52
	s_mov_b32 s54, 0x3f317218
	s_nop 0
	v_subbrev_co_u32_e32 v114, vcc, 0, v50, vcc
	v_sub_u32_e32 v50, 0, v114
	v_ldexp_f32 v3, v3, v50
	v_ldexp_f32 v16, v16, v50
	v_add_f32_e32 v50, -1.0, v3
	v_add_f32_e32 v51, 1.0, v50
	v_sub_f32_e32 v51, v3, v51
	v_add_f32_e32 v52, v16, v51
	v_add_f32_e32 v51, 1.0, v3
	v_add_f32_e32 v53, -1.0, v51
	v_sub_f32_e32 v3, v3, v53
	v_add_f32_e32 v3, v16, v3
	v_add_f32_e32 v16, v51, v3
	v_rcp_f32_e32 v115, v16
	v_sub_f32_e32 v51, v51, v16
	v_add_f32_e32 v3, v3, v51
	v_add_f32_e32 v51, v50, v52
	v_sub_f32_e32 v50, v50, v51
	v_mul_f32_e32 v117, v51, v115
	v_add_f32_e32 v116, v52, v50
	v_mul_f32_e32 v52, v16, v117
	v_fma_f32 v102, v117, v16, -v52
	v_fmac_f32_e32 v102, v117, v3
	v_add_f32_e32 v50, v52, v102
	v_sub_f32_e32 v53, v51, v50
	v_pk_add_f32 v[112:113], v[50:51], v[52:53] neg_lo:[0,1] neg_hi:[0,1]
	v_mov_b32_e32 v103, v50
	v_pk_add_f32 v[50:51], v[112:113], v[102:103] neg_lo:[0,1] neg_hi:[0,1]
	v_cmp_eq_f32_e32 vcc, s55, v101
	v_add_f32_e32 v51, v116, v51
	v_add_f32_e32 v50, v50, v51
	;; [unrolled: 1-line block ×3, first 2 shown]
	v_mul_f32_e32 v116, v115, v51
	v_mul_f32_e32 v52, v16, v116
	v_fma_f32 v102, v116, v16, -v52
	v_fmac_f32_e32 v102, v116, v3
	v_sub_f32_e32 v3, v53, v51
	v_add_f32_e32 v3, v50, v3
	v_add_f32_e32 v50, v52, v102
	v_sub_f32_e32 v53, v51, v50
	v_pk_add_f32 v[112:113], v[50:51], v[52:53] neg_lo:[0,1] neg_hi:[0,1]
	v_mov_b32_e32 v103, v50
	v_pk_add_f32 v[50:51], v[112:113], v[102:103] neg_lo:[0,1] neg_hi:[0,1]
	v_add_f32_e32 v16, v117, v116
	v_add_f32_e32 v3, v3, v51
	;; [unrolled: 1-line block ×4, first 2 shown]
	v_sub_f32_e32 v50, v16, v117
	v_mul_f32_e32 v3, v115, v3
	v_sub_f32_e32 v50, v116, v50
	v_add_f32_e32 v3, v50, v3
	v_add_f32_e32 v50, v16, v3
	v_cvt_f32_i32_e32 v52, v114
	v_mul_f32_e32 v53, v50, v50
	v_mov_b32_e32 v51, 0x3ecc95a3
	v_fmac_f32_e32 v51, 0x3e9b6dac, v53
	v_fmaak_f32 v51, v53, v51, 0x3f2aaada
	v_sub_f32_e32 v16, v50, v16
	v_ldexp_f32 v103, v50, 1
	v_mul_f32_e32 v53, v50, v53
	v_mov_b32_e32 v50, 0x3f317218
	v_pk_mul_f32 v[50:51], v[52:53], v[50:51]
	v_sub_f32_e32 v3, v3, v16
	v_fma_f32 v16, v52, s54, -v50
	v_fmamk_f32 v102, v52, 0xb102e308, v16
	v_pk_add_f32 v[52:53], v[50:51], v[102:103]
	v_ldexp_f32 v3, v3, 1
	v_sub_f32_e32 v16, v53, v103
	v_sub_f32_e32 v16, v51, v16
	v_add_f32_e32 v113, v3, v16
	v_mov_b32_e32 v112, v50
	v_pk_add_f32 v[50:51], v[52:53], v[50:51] neg_lo:[0,1] neg_hi:[0,1]
	v_pk_add_f32 v[114:115], v[52:53], v[112:113]
	v_mov_b32_e32 v103, v52
	v_mov_b32_e32 v51, v115
	v_pk_add_f32 v[116:117], v[102:103], v[50:51] neg_lo:[0,1] neg_hi:[0,1]
	v_pk_add_f32 v[50:51], v[102:103], v[50:51]
	s_mov_b32 s54, 0x33800000
	v_mov_b32_e32 v16, v51
	v_pk_add_f32 v[102:103], v[16:17], v[52:53] neg_lo:[0,1] neg_hi:[0,1]
	v_mov_b32_e32 v50, v115
	v_mov_b32_e32 v3, v102
	v_pk_add_f32 v[118:119], v[114:115], v[2:3] neg_lo:[0,1] neg_hi:[0,1]
	v_mov_b32_e32 v114, v53
	v_mov_b32_e32 v115, v102
	;; [unrolled: 1-line block ×3, first 2 shown]
	v_pk_add_f32 v[50:51], v[50:51], v[114:115] neg_lo:[0,1] neg_hi:[0,1]
	v_mov_b32_e32 v102, v113
	v_mov_b32_e32 v103, v52
	v_pk_add_f32 v[50:51], v[102:103], v[50:51] neg_lo:[0,1] neg_hi:[0,1]
	v_mov_b32_e32 v118, v116
	v_pk_add_f32 v[52:53], v[118:119], v[50:51]
	v_cmp_lt_f32_e64 s[54:55], |v101|, s54
	v_mov_b32_e32 v102, v53
	v_pk_add_f32 v[102:103], v[52:53], v[102:103]
	s_or_b64 vcc, vcc, s[54:55]
	v_pk_add_f32 v[112:113], v[16:17], v[102:103]
	v_mov_b32_e32 v51, v102
	v_mov_b32_e32 v53, v112
	v_pk_add_f32 v[114:115], v[52:53], v[116:117] neg_lo:[0,1] neg_hi:[0,1]
	s_nop 0
	v_sub_f32_e32 v3, v52, v114
	v_pk_add_f32 v[50:51], v[50:51], v[114:115] neg_lo:[0,1] neg_hi:[0,1]
	v_sub_f32_e32 v3, v116, v3
	v_add_f32_e32 v3, v50, v3
	v_add_f32_e32 v3, v3, v51
	;; [unrolled: 1-line block ×3, first 2 shown]
	v_cndmask_b32_e32 v3, v3, v101, vcc
	v_add_f32_e32 v53, v2, v3
.LBB93_361:
	s_or_b64 exec, exec, s[50:51]
	v_max_f32_e32 v2, v53, v53
	v_min_f32_e32 v50, v2, v11
	v_max_f32_e32 v52, v2, v11
	v_mov_b32_e32 v16, v53
	;;#ASMSTART
	;;#ASMEND
.LBB93_362:
	s_or_b64 exec, exec, s[52:53]
	v_cmp_u_f32_e32 vcc, v16, v16
	s_movk_i32 s50, 0x1f8
	s_nop 0
	v_cndmask_b32_e32 v2, v50, v16, vcc
	v_cndmask_b32_e64 v3, v2, v17, s[2:3]
	v_cndmask_b32_e32 v2, v52, v16, vcc
	v_cndmask_b32_e64 v2, v2, v17, s[2:3]
	v_cmp_neq_f32_e32 vcc, v3, v2
	v_cmp_class_f32_e64 s[2:3], v3, s50
	s_or_b64 vcc, vcc, s[2:3]
	v_mov_b32_e32 v17, v16
	s_and_saveexec_b64 s[2:3], vcc
	s_cbranch_execz .LBB93_364
; %bb.363:
	v_sub_f32_e32 v3, v3, v2
	s_mov_b32 s51, 0x3fb8aa3b
	v_mul_f32_e32 v11, 0x3fb8aa3b, v3
	v_fma_f32 v17, v3, s51, -v11
	v_rndne_f32_e32 v50, v11
	v_fmamk_f32 v17, v3, 0x32a5705f, v17
	v_sub_f32_e32 v11, v11, v50
	v_add_f32_e32 v11, v11, v17
	v_exp_f32_e32 v11, v11
	v_cvt_i32_f32_e32 v17, v50
	s_mov_b32 s51, 0xc2ce8ed0
	v_cmp_ngt_f32_e32 vcc, s51, v3
	s_mov_b32 s51, 0x42b17218
	v_ldexp_f32 v11, v11, v17
	v_cndmask_b32_e32 v11, 0, v11, vcc
	v_mov_b32_e32 v17, 0x7f800000
	v_cmp_nlt_f32_e32 vcc, s51, v3
	s_mov_b32 s51, 0x3f2aaaab
	s_mov_b32 s52, 0x7f800000
	v_cndmask_b32_e32 v11, v17, v11, vcc
	v_add_f32_e32 v3, 1.0, v11
	v_add_f32_e32 v17, -1.0, v3
	v_sub_f32_e32 v50, v17, v3
	v_add_f32_e32 v50, 1.0, v50
	v_sub_f32_e32 v17, v11, v17
	v_add_f32_e32 v17, v17, v50
	v_frexp_mant_f32_e32 v52, v3
	v_cvt_f64_f32_e32 v[50:51], v3
	v_frexp_exp_i32_f64_e32 v50, v[50:51]
	v_cmp_gt_f32_e32 vcc, s51, v52
	s_mov_b32 s51, 0x3f317218
	s_nop 0
	v_subbrev_co_u32_e32 v101, vcc, 0, v50, vcc
	v_sub_u32_e32 v50, 0, v101
	v_ldexp_f32 v3, v3, v50
	v_ldexp_f32 v17, v17, v50
	v_add_f32_e32 v50, -1.0, v3
	v_add_f32_e32 v51, 1.0, v50
	v_sub_f32_e32 v51, v3, v51
	v_add_f32_e32 v52, v17, v51
	v_add_f32_e32 v51, 1.0, v3
	s_waitcnt lgkmcnt(0)
	v_add_f32_e32 v53, -1.0, v51
	v_sub_f32_e32 v3, v3, v53
	v_add_f32_e32 v3, v17, v3
	v_add_f32_e32 v17, v51, v3
	v_rcp_f32_e32 v114, v17
	v_sub_f32_e32 v51, v51, v17
	v_add_f32_e32 v3, v3, v51
	v_add_f32_e32 v51, v50, v52
	v_sub_f32_e32 v50, v50, v51
	v_mul_f32_e32 v116, v51, v114
	v_add_f32_e32 v115, v52, v50
	v_mul_f32_e32 v52, v17, v116
	v_fma_f32 v102, v116, v17, -v52
	v_fmac_f32_e32 v102, v116, v3
	v_add_f32_e32 v50, v52, v102
	v_sub_f32_e32 v53, v51, v50
	v_pk_add_f32 v[112:113], v[50:51], v[52:53] neg_lo:[0,1] neg_hi:[0,1]
	v_mov_b32_e32 v103, v50
	v_pk_add_f32 v[50:51], v[112:113], v[102:103] neg_lo:[0,1] neg_hi:[0,1]
	v_cmp_eq_f32_e32 vcc, s52, v11
	v_add_f32_e32 v51, v115, v51
	v_add_f32_e32 v50, v50, v51
	;; [unrolled: 1-line block ×3, first 2 shown]
	v_mul_f32_e32 v115, v114, v51
	v_mul_f32_e32 v52, v17, v115
	v_fma_f32 v102, v115, v17, -v52
	v_fmac_f32_e32 v102, v115, v3
	v_sub_f32_e32 v3, v53, v51
	v_add_f32_e32 v3, v50, v3
	v_add_f32_e32 v50, v52, v102
	v_sub_f32_e32 v53, v51, v50
	v_pk_add_f32 v[112:113], v[50:51], v[52:53] neg_lo:[0,1] neg_hi:[0,1]
	v_mov_b32_e32 v103, v50
	v_pk_add_f32 v[50:51], v[112:113], v[102:103] neg_lo:[0,1] neg_hi:[0,1]
	v_add_f32_e32 v17, v116, v115
	v_add_f32_e32 v3, v3, v51
	;; [unrolled: 1-line block ×4, first 2 shown]
	v_sub_f32_e32 v50, v17, v116
	v_mul_f32_e32 v3, v114, v3
	v_sub_f32_e32 v50, v115, v50
	v_add_f32_e32 v3, v50, v3
	v_add_f32_e32 v50, v17, v3
	v_cvt_f32_i32_e32 v52, v101
	v_mul_f32_e32 v53, v50, v50
	v_mov_b32_e32 v51, 0x3ecc95a3
	v_fmac_f32_e32 v51, 0x3e9b6dac, v53
	v_fmaak_f32 v51, v53, v51, 0x3f2aaada
	v_sub_f32_e32 v17, v50, v17
	v_ldexp_f32 v103, v50, 1
	v_mul_f32_e32 v53, v50, v53
	v_mov_b32_e32 v50, 0x3f317218
	v_pk_mul_f32 v[50:51], v[52:53], v[50:51]
	v_sub_f32_e32 v3, v3, v17
	v_fma_f32 v17, v52, s51, -v50
	v_fmamk_f32 v102, v52, 0xb102e308, v17
	v_pk_add_f32 v[52:53], v[50:51], v[102:103]
	v_ldexp_f32 v3, v3, 1
	v_sub_f32_e32 v17, v53, v103
	v_sub_f32_e32 v17, v51, v17
	v_add_f32_e32 v113, v3, v17
	v_mov_b32_e32 v112, v50
	v_pk_add_f32 v[50:51], v[52:53], v[50:51] neg_lo:[0,1] neg_hi:[0,1]
	v_pk_add_f32 v[114:115], v[52:53], v[112:113]
	v_mov_b32_e32 v103, v52
	v_mov_b32_e32 v51, v115
	v_pk_add_f32 v[116:117], v[102:103], v[50:51] neg_lo:[0,1] neg_hi:[0,1]
	v_pk_add_f32 v[50:51], v[102:103], v[50:51]
	v_mov_b32_e32 v112, v113
	v_mov_b32_e32 v102, v51
	v_pk_add_f32 v[118:119], v[102:103], v[52:53] neg_lo:[0,1] neg_hi:[0,1]
	v_mov_b32_e32 v50, v115
	v_mov_b32_e32 v3, v118
	v_pk_add_f32 v[128:129], v[114:115], v[2:3] neg_lo:[0,1] neg_hi:[0,1]
	v_mov_b32_e32 v114, v53
	v_mov_b32_e32 v115, v118
	v_mov_b32_e32 v117, v51
	v_pk_add_f32 v[50:51], v[50:51], v[114:115] neg_lo:[0,1] neg_hi:[0,1]
	v_mov_b32_e32 v113, v52
	v_pk_add_f32 v[50:51], v[112:113], v[50:51] neg_lo:[0,1] neg_hi:[0,1]
	v_mov_b32_e32 v128, v116
	v_pk_add_f32 v[52:53], v[128:129], v[50:51]
	s_mov_b32 s51, 0x33800000
	v_mov_b32_e32 v112, v53
	v_pk_add_f32 v[112:113], v[52:53], v[112:113]
	v_cmp_lt_f32_e64 s[52:53], |v11|, s51
	v_pk_add_f32 v[102:103], v[102:103], v[112:113]
	v_mov_b32_e32 v51, v112
	v_mov_b32_e32 v53, v102
	v_pk_add_f32 v[114:115], v[52:53], v[116:117] neg_lo:[0,1] neg_hi:[0,1]
	s_or_b64 vcc, vcc, s[52:53]
	v_sub_f32_e32 v3, v52, v114
	v_pk_add_f32 v[50:51], v[50:51], v[114:115] neg_lo:[0,1] neg_hi:[0,1]
	v_sub_f32_e32 v3, v116, v3
	v_add_f32_e32 v3, v50, v3
	v_add_f32_e32 v3, v3, v51
	;; [unrolled: 1-line block ×3, first 2 shown]
	v_cndmask_b32_e32 v3, v3, v11, vcc
	v_add_f32_e32 v17, v2, v3
.LBB93_364:
	s_or_b64 exec, exec, s[2:3]
	v_max_f32_e32 v2, v17, v17
	v_min_f32_e32 v3, v2, v6
	v_cmp_u_f32_e32 vcc, v17, v17
	v_max_f32_e32 v2, v2, v6
	v_mov_b32_e32 v50, v17
	v_cndmask_b32_e32 v3, v3, v17, vcc
	v_cndmask_b32_e32 v2, v2, v17, vcc
	v_cndmask_b32_e64 v3, v3, v18, s[4:5]
	v_cndmask_b32_e64 v2, v2, v18, s[4:5]
	v_cmp_neq_f32_e32 vcc, v3, v2
	v_cmp_class_f32_e64 s[2:3], v3, s50
	s_or_b64 s[4:5], vcc, s[2:3]
	s_and_saveexec_b64 s[2:3], s[4:5]
	s_cbranch_execz .LBB93_366
; %bb.365:
	v_sub_f32_e32 v3, v3, v2
	s_mov_b32 s4, 0x3fb8aa3b
	v_mul_f32_e32 v6, 0x3fb8aa3b, v3
	v_fma_f32 v11, v3, s4, -v6
	v_rndne_f32_e32 v18, v6
	v_fmamk_f32 v11, v3, 0x32a5705f, v11
	v_sub_f32_e32 v6, v6, v18
	v_add_f32_e32 v6, v6, v11
	v_exp_f32_e32 v6, v6
	v_cvt_i32_f32_e32 v11, v18
	s_mov_b32 s4, 0xc2ce8ed0
	v_cmp_ngt_f32_e32 vcc, s4, v3
	s_mov_b32 s4, 0x42b17218
	v_ldexp_f32 v6, v6, v11
	v_cndmask_b32_e32 v6, 0, v6, vcc
	v_mov_b32_e32 v11, 0x7f800000
	v_cmp_nlt_f32_e32 vcc, s4, v3
	s_mov_b32 s4, 0x3f2aaaab
	s_mov_b32 s5, 0x7f800000
	v_cndmask_b32_e32 v11, v11, v6, vcc
	v_add_f32_e32 v3, 1.0, v11
	v_add_f32_e32 v6, -1.0, v3
	v_sub_f32_e32 v18, v6, v3
	v_add_f32_e32 v18, 1.0, v18
	v_sub_f32_e32 v6, v11, v6
	v_add_f32_e32 v6, v6, v18
	v_frexp_mant_f32_e32 v18, v3
	v_cvt_f64_f32_e32 v[50:51], v3
	v_frexp_exp_i32_f64_e32 v50, v[50:51]
	v_cmp_gt_f32_e32 vcc, s4, v18
	s_mov_b32 s4, 0x3f317218
	s_nop 0
	v_subbrev_co_u32_e32 v18, vcc, 0, v50, vcc
	v_sub_u32_e32 v50, 0, v18
	v_ldexp_f32 v3, v3, v50
	v_ldexp_f32 v6, v6, v50
	v_add_f32_e32 v50, -1.0, v3
	v_add_f32_e32 v51, 1.0, v50
	v_sub_f32_e32 v51, v3, v51
	v_add_f32_e32 v52, v6, v51
	v_add_f32_e32 v51, 1.0, v3
	s_waitcnt lgkmcnt(0)
	v_add_f32_e32 v53, -1.0, v51
	v_sub_f32_e32 v3, v3, v53
	v_add_f32_e32 v3, v6, v3
	v_add_f32_e32 v6, v51, v3
	v_rcp_f32_e32 v101, v6
	v_sub_f32_e32 v51, v51, v6
	v_add_f32_e32 v3, v3, v51
	v_add_f32_e32 v51, v50, v52
	v_sub_f32_e32 v50, v50, v51
	v_mul_f32_e32 v115, v51, v101
	v_add_f32_e32 v114, v52, v50
	v_mul_f32_e32 v52, v6, v115
	v_fma_f32 v102, v115, v6, -v52
	v_fmac_f32_e32 v102, v115, v3
	v_add_f32_e32 v50, v52, v102
	v_sub_f32_e32 v53, v51, v50
	v_pk_add_f32 v[112:113], v[50:51], v[52:53] neg_lo:[0,1] neg_hi:[0,1]
	v_mov_b32_e32 v103, v50
	v_pk_add_f32 v[50:51], v[112:113], v[102:103] neg_lo:[0,1] neg_hi:[0,1]
	v_cmp_eq_f32_e32 vcc, s5, v11
	v_add_f32_e32 v51, v114, v51
	v_add_f32_e32 v50, v50, v51
	;; [unrolled: 1-line block ×3, first 2 shown]
	v_mul_f32_e32 v114, v101, v51
	v_mul_f32_e32 v52, v6, v114
	v_fma_f32 v102, v114, v6, -v52
	v_fmac_f32_e32 v102, v114, v3
	v_sub_f32_e32 v3, v53, v51
	v_add_f32_e32 v3, v50, v3
	v_add_f32_e32 v50, v52, v102
	v_sub_f32_e32 v53, v51, v50
	v_pk_add_f32 v[112:113], v[50:51], v[52:53] neg_lo:[0,1] neg_hi:[0,1]
	v_mov_b32_e32 v103, v50
	v_pk_add_f32 v[50:51], v[112:113], v[102:103] neg_lo:[0,1] neg_hi:[0,1]
	v_add_f32_e32 v6, v115, v114
	v_add_f32_e32 v3, v3, v51
	;; [unrolled: 1-line block ×4, first 2 shown]
	v_sub_f32_e32 v50, v6, v115
	v_mul_f32_e32 v3, v101, v3
	v_sub_f32_e32 v50, v114, v50
	v_add_f32_e32 v3, v50, v3
	v_add_f32_e32 v50, v6, v3
	v_cvt_f32_i32_e32 v52, v18
	v_mul_f32_e32 v53, v50, v50
	v_mov_b32_e32 v51, 0x3ecc95a3
	v_fmac_f32_e32 v51, 0x3e9b6dac, v53
	v_fmaak_f32 v51, v53, v51, 0x3f2aaada
	v_sub_f32_e32 v6, v50, v6
	v_ldexp_f32 v103, v50, 1
	v_mul_f32_e32 v53, v50, v53
	v_mov_b32_e32 v50, 0x3f317218
	v_pk_mul_f32 v[50:51], v[52:53], v[50:51]
	v_sub_f32_e32 v3, v3, v6
	v_fma_f32 v6, v52, s4, -v50
	v_fmamk_f32 v102, v52, 0xb102e308, v6
	v_pk_add_f32 v[52:53], v[50:51], v[102:103]
	v_ldexp_f32 v3, v3, 1
	v_sub_f32_e32 v6, v53, v103
	v_sub_f32_e32 v6, v51, v6
	v_add_f32_e32 v113, v3, v6
	v_mov_b32_e32 v112, v50
	v_pk_add_f32 v[50:51], v[52:53], v[50:51] neg_lo:[0,1] neg_hi:[0,1]
	v_pk_add_f32 v[114:115], v[52:53], v[112:113]
	v_mov_b32_e32 v103, v52
	v_mov_b32_e32 v51, v115
	v_pk_add_f32 v[116:117], v[102:103], v[50:51] neg_lo:[0,1] neg_hi:[0,1]
	v_pk_add_f32 v[50:51], v[102:103], v[50:51]
	s_mov_b32 s4, 0x33800000
	v_mov_b32_e32 v6, v51
	v_pk_add_f32 v[102:103], v[6:7], v[52:53] neg_lo:[0,1] neg_hi:[0,1]
	v_mov_b32_e32 v50, v115
	v_mov_b32_e32 v3, v102
	v_pk_add_f32 v[118:119], v[114:115], v[2:3] neg_lo:[0,1] neg_hi:[0,1]
	v_mov_b32_e32 v114, v53
	v_mov_b32_e32 v115, v102
	;; [unrolled: 1-line block ×3, first 2 shown]
	v_pk_add_f32 v[50:51], v[50:51], v[114:115] neg_lo:[0,1] neg_hi:[0,1]
	v_mov_b32_e32 v102, v113
	v_mov_b32_e32 v103, v52
	v_pk_add_f32 v[50:51], v[102:103], v[50:51] neg_lo:[0,1] neg_hi:[0,1]
	v_mov_b32_e32 v118, v116
	v_pk_add_f32 v[52:53], v[118:119], v[50:51]
	v_cmp_lt_f32_e64 s[4:5], |v11|, s4
	v_mov_b32_e32 v18, v53
	v_pk_add_f32 v[102:103], v[52:53], v[18:19]
	s_or_b64 vcc, vcc, s[4:5]
	v_pk_add_f32 v[112:113], v[6:7], v[102:103]
	v_mov_b32_e32 v51, v102
	v_mov_b32_e32 v53, v112
	v_pk_add_f32 v[114:115], v[52:53], v[116:117] neg_lo:[0,1] neg_hi:[0,1]
	s_nop 0
	v_sub_f32_e32 v3, v52, v114
	v_pk_add_f32 v[50:51], v[50:51], v[114:115] neg_lo:[0,1] neg_hi:[0,1]
	v_sub_f32_e32 v3, v116, v3
	v_add_f32_e32 v3, v50, v3
	v_add_f32_e32 v3, v3, v51
	;; [unrolled: 1-line block ×3, first 2 shown]
	v_cndmask_b32_e32 v3, v3, v11, vcc
	v_add_f32_e32 v50, v2, v3
.LBB93_366:
	s_or_b64 exec, exec, s[2:3]
	v_max_f32_e32 v2, v50, v50
	v_min_f32_e32 v3, v2, v7
	v_cmp_u_f32_e32 vcc, v50, v50
	v_max_f32_e32 v2, v2, v7
	s_movk_i32 s4, 0x1f8
	v_cndmask_b32_e32 v3, v3, v50, vcc
	v_cndmask_b32_e32 v2, v2, v50, vcc
	v_cndmask_b32_e64 v3, v3, v19, s[6:7]
	v_cndmask_b32_e64 v2, v2, v19, s[6:7]
	v_cmp_neq_f32_e32 vcc, v3, v2
	v_cmp_class_f32_e64 s[2:3], v3, s4
	s_or_b64 s[6:7], vcc, s[2:3]
	v_mov_b32_e32 v51, v50
	s_and_saveexec_b64 s[2:3], s[6:7]
	s_cbranch_execz .LBB93_368
; %bb.367:
	v_sub_f32_e32 v3, v3, v2
	s_mov_b32 s5, 0x3fb8aa3b
	v_mul_f32_e32 v6, 0x3fb8aa3b, v3
	v_fma_f32 v7, v3, s5, -v6
	v_rndne_f32_e32 v11, v6
	v_fmamk_f32 v7, v3, 0x32a5705f, v7
	v_sub_f32_e32 v6, v6, v11
	v_add_f32_e32 v6, v6, v7
	v_exp_f32_e32 v6, v6
	v_cvt_i32_f32_e32 v7, v11
	s_mov_b32 s5, 0xc2ce8ed0
	v_cmp_ngt_f32_e32 vcc, s5, v3
	s_mov_b32 s5, 0x42b17218
	v_ldexp_f32 v6, v6, v7
	v_cndmask_b32_e32 v6, 0, v6, vcc
	v_mov_b32_e32 v7, 0x7f800000
	v_cmp_nlt_f32_e32 vcc, s5, v3
	s_mov_b32 s5, 0x3f2aaaab
	s_mov_b32 s6, 0x7f800000
	v_cndmask_b32_e32 v11, v7, v6, vcc
	v_add_f32_e32 v3, 1.0, v11
	v_add_f32_e32 v6, -1.0, v3
	v_sub_f32_e32 v7, v6, v3
	v_add_f32_e32 v7, 1.0, v7
	v_sub_f32_e32 v6, v11, v6
	v_add_f32_e32 v18, v6, v7
	v_frexp_mant_f32_e32 v19, v3
	v_cvt_f64_f32_e32 v[6:7], v3
	v_frexp_exp_i32_f64_e32 v6, v[6:7]
	v_cmp_gt_f32_e32 vcc, s5, v19
	s_mov_b32 s5, 0x3f317218
	s_nop 0
	v_subbrev_co_u32_e32 v51, vcc, 0, v6, vcc
	v_sub_u32_e32 v6, 0, v51
	v_ldexp_f32 v3, v3, v6
	v_ldexp_f32 v6, v18, v6
	v_add_f32_e32 v18, -1.0, v3
	v_add_f32_e32 v7, 1.0, v18
	v_sub_f32_e32 v7, v3, v7
	v_add_f32_e32 v19, v6, v7
	v_add_f32_e32 v7, 1.0, v3
	v_add_f32_e32 v52, -1.0, v7
	v_sub_f32_e32 v3, v3, v52
	v_add_f32_e32 v3, v6, v3
	v_add_f32_e32 v101, v7, v3
	v_rcp_f32_e32 v112, v101
	v_sub_f32_e32 v6, v7, v101
	v_add_f32_e32 v7, v18, v19
	v_add_f32_e32 v3, v3, v6
	v_mul_f32_e32 v114, v7, v112
	v_sub_f32_e32 v6, v18, v7
	v_mul_f32_e32 v18, v101, v114
	v_fma_f32 v52, v114, v101, -v18
	v_fmac_f32_e32 v52, v114, v3
	v_add_f32_e32 v113, v19, v6
	v_add_f32_e32 v6, v18, v52
	v_sub_f32_e32 v19, v7, v6
	v_pk_add_f32 v[102:103], v[6:7], v[18:19] neg_lo:[0,1] neg_hi:[0,1]
	s_waitcnt lgkmcnt(0)
	v_mov_b32_e32 v53, v6
	v_pk_add_f32 v[6:7], v[102:103], v[52:53] neg_lo:[0,1] neg_hi:[0,1]
	v_cmp_eq_f32_e32 vcc, s6, v11
	v_add_f32_e32 v7, v113, v7
	v_add_f32_e32 v6, v6, v7
	;; [unrolled: 1-line block ×3, first 2 shown]
	v_mul_f32_e32 v113, v112, v7
	v_mul_f32_e32 v18, v101, v113
	v_fma_f32 v52, v113, v101, -v18
	v_fmac_f32_e32 v52, v113, v3
	v_sub_f32_e32 v3, v19, v7
	v_add_f32_e32 v3, v6, v3
	v_add_f32_e32 v6, v18, v52
	v_sub_f32_e32 v19, v7, v6
	v_pk_add_f32 v[102:103], v[6:7], v[18:19] neg_lo:[0,1] neg_hi:[0,1]
	v_mov_b32_e32 v53, v6
	v_pk_add_f32 v[6:7], v[102:103], v[52:53] neg_lo:[0,1] neg_hi:[0,1]
	v_cvt_f32_i32_e32 v18, v51
	v_add_f32_e32 v3, v3, v7
	v_add_f32_e32 v3, v6, v3
	;; [unrolled: 1-line block ×4, first 2 shown]
	v_sub_f32_e32 v7, v6, v114
	v_mul_f32_e32 v3, v112, v3
	v_sub_f32_e32 v7, v113, v7
	v_add_f32_e32 v3, v7, v3
	v_add_f32_e32 v19, v6, v3
	v_mul_f32_e32 v52, v19, v19
	v_mov_b32_e32 v7, 0x3ecc95a3
	v_fmac_f32_e32 v7, 0x3e9b6dac, v52
	v_sub_f32_e32 v6, v19, v6
	v_fmaak_f32 v7, v52, v7, 0x3f2aaada
	v_sub_f32_e32 v3, v3, v6
	v_ldexp_f32 v53, v19, 1
	v_mul_f32_e32 v19, v19, v52
	v_mov_b32_e32 v6, 0x3f317218
	v_pk_mul_f32 v[6:7], v[18:19], v[6:7]
	v_ldexp_f32 v3, v3, 1
	v_fma_f32 v19, v18, s5, -v6
	v_fmamk_f32 v52, v18, 0xb102e308, v19
	v_pk_add_f32 v[18:19], v[6:7], v[52:53]
	v_mov_b32_e32 v102, v6
	v_sub_f32_e32 v51, v19, v53
	v_sub_f32_e32 v51, v7, v51
	v_add_f32_e32 v103, v3, v51
	v_pk_add_f32 v[6:7], v[18:19], v[6:7] neg_lo:[0,1] neg_hi:[0,1]
	v_pk_add_f32 v[112:113], v[18:19], v[102:103]
	v_mov_b32_e32 v53, v18
	v_mov_b32_e32 v7, v113
	v_pk_add_f32 v[114:115], v[52:53], v[6:7] neg_lo:[0,1] neg_hi:[0,1]
	v_pk_add_f32 v[6:7], v[52:53], v[6:7]
	v_mov_b32_e32 v102, v103
	v_mov_b32_e32 v52, v7
	v_pk_add_f32 v[116:117], v[52:53], v[18:19] neg_lo:[0,1] neg_hi:[0,1]
	v_mov_b32_e32 v6, v113
	v_mov_b32_e32 v3, v116
	v_pk_add_f32 v[118:119], v[112:113], v[2:3] neg_lo:[0,1] neg_hi:[0,1]
	v_mov_b32_e32 v112, v19
	v_mov_b32_e32 v113, v116
	v_mov_b32_e32 v115, v7
	v_pk_add_f32 v[6:7], v[6:7], v[112:113] neg_lo:[0,1] neg_hi:[0,1]
	v_mov_b32_e32 v103, v18
	v_pk_add_f32 v[6:7], v[102:103], v[6:7] neg_lo:[0,1] neg_hi:[0,1]
	v_mov_b32_e32 v118, v114
	v_pk_add_f32 v[18:19], v[118:119], v[6:7]
	s_mov_b32 s5, 0x33800000
	v_mov_b32_e32 v102, v19
	v_pk_add_f32 v[102:103], v[18:19], v[102:103]
	v_cmp_lt_f32_e64 s[6:7], |v11|, s5
	v_pk_add_f32 v[52:53], v[52:53], v[102:103]
	v_mov_b32_e32 v7, v102
	v_mov_b32_e32 v19, v52
	v_pk_add_f32 v[112:113], v[18:19], v[114:115] neg_lo:[0,1] neg_hi:[0,1]
	s_or_b64 vcc, vcc, s[6:7]
	v_sub_f32_e32 v3, v18, v112
	v_pk_add_f32 v[6:7], v[6:7], v[112:113] neg_lo:[0,1] neg_hi:[0,1]
	v_sub_f32_e32 v3, v114, v3
	v_add_f32_e32 v3, v6, v3
	v_add_f32_e32 v3, v3, v7
	;; [unrolled: 1-line block ×3, first 2 shown]
	v_cndmask_b32_e32 v3, v3, v11, vcc
	v_add_f32_e32 v51, v2, v3
.LBB93_368:
	s_or_b64 exec, exec, s[2:3]
	v_max_f32_e32 v2, v51, v51
	v_min_f32_e32 v3, v2, v48
	v_cmp_u_f32_e32 vcc, v51, v51
	v_max_f32_e32 v2, v2, v48
	v_mov_b32_e32 v52, v51
	v_cndmask_b32_e32 v3, v3, v51, vcc
	v_cndmask_b32_e32 v2, v2, v51, vcc
	v_cndmask_b32_e64 v3, v3, v36, s[8:9]
	v_cndmask_b32_e64 v2, v2, v36, s[8:9]
	v_cmp_neq_f32_e32 vcc, v3, v2
	v_cmp_class_f32_e64 s[2:3], v3, s4
	s_or_b64 s[4:5], vcc, s[2:3]
	s_and_saveexec_b64 s[2:3], s[4:5]
	s_cbranch_execz .LBB93_370
; %bb.369:
	v_sub_f32_e32 v3, v3, v2
	s_mov_b32 s4, 0x3fb8aa3b
	v_mul_f32_e32 v6, 0x3fb8aa3b, v3
	v_fma_f32 v7, v3, s4, -v6
	v_rndne_f32_e32 v11, v6
	v_fmamk_f32 v7, v3, 0x32a5705f, v7
	v_sub_f32_e32 v6, v6, v11
	v_add_f32_e32 v6, v6, v7
	v_exp_f32_e32 v6, v6
	v_cvt_i32_f32_e32 v7, v11
	s_mov_b32 s4, 0xc2ce8ed0
	v_cmp_ngt_f32_e32 vcc, s4, v3
	s_mov_b32 s4, 0x42b17218
	v_ldexp_f32 v6, v6, v7
	v_cndmask_b32_e32 v6, 0, v6, vcc
	v_mov_b32_e32 v7, 0x7f800000
	v_cmp_nlt_f32_e32 vcc, s4, v3
	s_mov_b32 s4, 0x3f2aaaab
	s_mov_b32 s5, 0x7f800000
	v_cndmask_b32_e32 v11, v7, v6, vcc
	v_add_f32_e32 v3, 1.0, v11
	v_add_f32_e32 v6, -1.0, v3
	v_sub_f32_e32 v7, v6, v3
	v_add_f32_e32 v7, 1.0, v7
	v_sub_f32_e32 v6, v11, v6
	v_add_f32_e32 v18, v6, v7
	v_frexp_mant_f32_e32 v19, v3
	v_cvt_f64_f32_e32 v[6:7], v3
	v_frexp_exp_i32_f64_e32 v6, v[6:7]
	v_cmp_gt_f32_e32 vcc, s4, v19
	s_mov_b32 s4, 0x3f317218
	s_nop 0
	v_subbrev_co_u32_e32 v36, vcc, 0, v6, vcc
	v_sub_u32_e32 v6, 0, v36
	v_ldexp_f32 v3, v3, v6
	v_ldexp_f32 v6, v18, v6
	v_add_f32_e32 v18, -1.0, v3
	v_add_f32_e32 v7, 1.0, v18
	v_sub_f32_e32 v7, v3, v7
	v_add_f32_e32 v19, v6, v7
	v_add_f32_e32 v7, 1.0, v3
	v_add_f32_e32 v48, -1.0, v7
	v_sub_f32_e32 v3, v3, v48
	v_add_f32_e32 v3, v6, v3
	v_add_f32_e32 v48, v7, v3
	v_rcp_f32_e32 v101, v48
	v_sub_f32_e32 v6, v7, v48
	v_add_f32_e32 v7, v18, v19
	v_add_f32_e32 v3, v3, v6
	v_mul_f32_e32 v113, v7, v101
	v_sub_f32_e32 v6, v18, v7
	v_mul_f32_e32 v18, v48, v113
	v_fma_f32 v52, v113, v48, -v18
	v_fmac_f32_e32 v52, v113, v3
	v_add_f32_e32 v112, v19, v6
	v_add_f32_e32 v6, v18, v52
	v_sub_f32_e32 v19, v7, v6
	v_pk_add_f32 v[102:103], v[6:7], v[18:19] neg_lo:[0,1] neg_hi:[0,1]
	s_waitcnt lgkmcnt(0)
	v_mov_b32_e32 v53, v6
	v_pk_add_f32 v[6:7], v[102:103], v[52:53] neg_lo:[0,1] neg_hi:[0,1]
	v_cmp_eq_f32_e32 vcc, s5, v11
	v_add_f32_e32 v7, v112, v7
	v_add_f32_e32 v6, v6, v7
	;; [unrolled: 1-line block ×3, first 2 shown]
	v_mul_f32_e32 v112, v101, v7
	v_mul_f32_e32 v18, v48, v112
	v_fma_f32 v52, v112, v48, -v18
	v_fmac_f32_e32 v52, v112, v3
	v_sub_f32_e32 v3, v19, v7
	v_add_f32_e32 v3, v6, v3
	v_add_f32_e32 v6, v18, v52
	v_sub_f32_e32 v19, v7, v6
	v_pk_add_f32 v[102:103], v[6:7], v[18:19] neg_lo:[0,1] neg_hi:[0,1]
	v_mov_b32_e32 v53, v6
	v_pk_add_f32 v[6:7], v[102:103], v[52:53] neg_lo:[0,1] neg_hi:[0,1]
	v_cvt_f32_i32_e32 v18, v36
	v_add_f32_e32 v3, v3, v7
	v_add_f32_e32 v3, v6, v3
	;; [unrolled: 1-line block ×4, first 2 shown]
	v_sub_f32_e32 v7, v6, v113
	v_mul_f32_e32 v3, v101, v3
	v_sub_f32_e32 v7, v112, v7
	v_add_f32_e32 v3, v7, v3
	v_add_f32_e32 v19, v6, v3
	v_mul_f32_e32 v48, v19, v19
	v_mov_b32_e32 v7, 0x3ecc95a3
	v_fmac_f32_e32 v7, 0x3e9b6dac, v48
	v_sub_f32_e32 v6, v19, v6
	v_fmaak_f32 v7, v48, v7, 0x3f2aaada
	v_sub_f32_e32 v3, v3, v6
	v_ldexp_f32 v53, v19, 1
	v_mul_f32_e32 v19, v19, v48
	v_mov_b32_e32 v6, 0x3f317218
	v_pk_mul_f32 v[6:7], v[18:19], v[6:7]
	v_ldexp_f32 v3, v3, 1
	v_fma_f32 v19, v18, s4, -v6
	v_fmamk_f32 v52, v18, 0xb102e308, v19
	v_pk_add_f32 v[18:19], v[6:7], v[52:53]
	v_mov_b32_e32 v102, v6
	v_sub_f32_e32 v36, v19, v53
	v_sub_f32_e32 v36, v7, v36
	v_add_f32_e32 v103, v3, v36
	v_pk_add_f32 v[6:7], v[18:19], v[6:7] neg_lo:[0,1] neg_hi:[0,1]
	v_pk_add_f32 v[112:113], v[18:19], v[102:103]
	v_mov_b32_e32 v53, v18
	v_mov_b32_e32 v7, v113
	v_pk_add_f32 v[114:115], v[52:53], v[6:7] neg_lo:[0,1] neg_hi:[0,1]
	v_pk_add_f32 v[6:7], v[52:53], v[6:7]
	s_mov_b32 s4, 0x33800000
	v_mov_b32_e32 v36, v7
	v_pk_add_f32 v[52:53], v[36:37], v[18:19] neg_lo:[0,1] neg_hi:[0,1]
	v_mov_b32_e32 v6, v113
	v_mov_b32_e32 v3, v52
	v_pk_add_f32 v[116:117], v[112:113], v[2:3] neg_lo:[0,1] neg_hi:[0,1]
	v_mov_b32_e32 v112, v19
	v_mov_b32_e32 v113, v52
	;; [unrolled: 1-line block ×3, first 2 shown]
	v_pk_add_f32 v[6:7], v[6:7], v[112:113] neg_lo:[0,1] neg_hi:[0,1]
	v_mov_b32_e32 v52, v103
	v_mov_b32_e32 v53, v18
	v_pk_add_f32 v[6:7], v[52:53], v[6:7] neg_lo:[0,1] neg_hi:[0,1]
	v_mov_b32_e32 v116, v114
	v_pk_add_f32 v[18:19], v[116:117], v[6:7]
	v_cmp_lt_f32_e64 s[4:5], |v11|, s4
	v_mov_b32_e32 v48, v19
	v_pk_add_f32 v[52:53], v[18:19], v[48:49]
	s_or_b64 vcc, vcc, s[4:5]
	v_pk_add_f32 v[102:103], v[36:37], v[52:53]
	v_mov_b32_e32 v7, v52
	v_mov_b32_e32 v19, v102
	v_pk_add_f32 v[112:113], v[18:19], v[114:115] neg_lo:[0,1] neg_hi:[0,1]
	s_nop 0
	v_sub_f32_e32 v3, v18, v112
	v_pk_add_f32 v[6:7], v[6:7], v[112:113] neg_lo:[0,1] neg_hi:[0,1]
	v_sub_f32_e32 v3, v114, v3
	v_add_f32_e32 v3, v6, v3
	v_add_f32_e32 v3, v3, v7
	;; [unrolled: 1-line block ×3, first 2 shown]
	v_cndmask_b32_e32 v3, v3, v11, vcc
	v_add_f32_e32 v52, v2, v3
.LBB93_370:
	s_or_b64 exec, exec, s[2:3]
	v_max_f32_e32 v2, v52, v52
	v_min_f32_e32 v3, v2, v49
	v_cmp_u_f32_e32 vcc, v52, v52
	v_max_f32_e32 v2, v2, v49
	s_movk_i32 s4, 0x1f8
	v_cndmask_b32_e32 v3, v3, v52, vcc
	v_cndmask_b32_e32 v2, v2, v52, vcc
	v_cndmask_b32_e64 v3, v3, v37, s[10:11]
	v_cndmask_b32_e64 v2, v2, v37, s[10:11]
	v_cmp_neq_f32_e32 vcc, v3, v2
	v_cmp_class_f32_e64 s[2:3], v3, s4
	s_or_b64 s[6:7], vcc, s[2:3]
	s_waitcnt lgkmcnt(0)
	v_mov_b32_e32 v53, v52
	s_and_saveexec_b64 s[2:3], s[6:7]
	s_cbranch_execz .LBB93_372
; %bb.371:
	v_sub_f32_e32 v3, v3, v2
	s_mov_b32 s5, 0x3fb8aa3b
	v_mul_f32_e32 v6, 0x3fb8aa3b, v3
	v_fma_f32 v7, v3, s5, -v6
	v_rndne_f32_e32 v11, v6
	v_fmamk_f32 v7, v3, 0x32a5705f, v7
	v_sub_f32_e32 v6, v6, v11
	v_add_f32_e32 v6, v6, v7
	v_exp_f32_e32 v6, v6
	v_cvt_i32_f32_e32 v7, v11
	s_mov_b32 s5, 0xc2ce8ed0
	v_cmp_ngt_f32_e32 vcc, s5, v3
	s_mov_b32 s5, 0x42b17218
	v_ldexp_f32 v6, v6, v7
	v_cndmask_b32_e32 v6, 0, v6, vcc
	v_mov_b32_e32 v7, 0x7f800000
	v_cmp_nlt_f32_e32 vcc, s5, v3
	s_mov_b32 s5, 0x3f2aaaab
	s_mov_b32 s6, 0x7f800000
	v_cndmask_b32_e32 v11, v7, v6, vcc
	v_add_f32_e32 v3, 1.0, v11
	v_add_f32_e32 v6, -1.0, v3
	v_sub_f32_e32 v7, v6, v3
	v_add_f32_e32 v7, 1.0, v7
	v_sub_f32_e32 v6, v11, v6
	v_add_f32_e32 v18, v6, v7
	v_frexp_mant_f32_e32 v19, v3
	v_cvt_f64_f32_e32 v[6:7], v3
	v_frexp_exp_i32_f64_e32 v6, v[6:7]
	v_cmp_gt_f32_e32 vcc, s5, v19
	s_mov_b32 s5, 0x3f317218
	s_nop 0
	v_subbrev_co_u32_e32 v53, vcc, 0, v6, vcc
	v_sub_u32_e32 v6, 0, v53
	v_ldexp_f32 v3, v3, v6
	v_ldexp_f32 v6, v18, v6
	v_add_f32_e32 v18, -1.0, v3
	v_add_f32_e32 v7, 1.0, v18
	v_sub_f32_e32 v7, v3, v7
	v_add_f32_e32 v19, v6, v7
	v_add_f32_e32 v7, 1.0, v3
	v_add_f32_e32 v36, -1.0, v7
	v_sub_f32_e32 v3, v3, v36
	v_add_f32_e32 v3, v6, v3
	v_add_f32_e32 v101, v7, v3
	v_rcp_f32_e32 v102, v101
	v_sub_f32_e32 v6, v7, v101
	v_add_f32_e32 v7, v18, v19
	v_add_f32_e32 v3, v3, v6
	v_mul_f32_e32 v112, v7, v102
	v_sub_f32_e32 v6, v18, v7
	v_mul_f32_e32 v18, v101, v112
	v_fma_f32 v36, v112, v101, -v18
	v_fmac_f32_e32 v36, v112, v3
	v_add_f32_e32 v103, v19, v6
	v_add_f32_e32 v6, v18, v36
	v_sub_f32_e32 v19, v7, v6
	v_pk_add_f32 v[48:49], v[6:7], v[18:19] neg_lo:[0,1] neg_hi:[0,1]
	v_mov_b32_e32 v37, v6
	v_pk_add_f32 v[6:7], v[48:49], v[36:37] neg_lo:[0,1] neg_hi:[0,1]
	v_cmp_eq_f32_e32 vcc, s6, v11
	v_add_f32_e32 v7, v103, v7
	v_add_f32_e32 v6, v6, v7
	v_add_f32_e32 v7, v19, v6
	v_mul_f32_e32 v103, v102, v7
	v_mul_f32_e32 v18, v101, v103
	v_fma_f32 v36, v103, v101, -v18
	v_fmac_f32_e32 v36, v103, v3
	v_sub_f32_e32 v3, v19, v7
	v_add_f32_e32 v3, v6, v3
	v_add_f32_e32 v6, v18, v36
	v_sub_f32_e32 v19, v7, v6
	v_pk_add_f32 v[48:49], v[6:7], v[18:19] neg_lo:[0,1] neg_hi:[0,1]
	v_mov_b32_e32 v37, v6
	v_pk_add_f32 v[6:7], v[48:49], v[36:37] neg_lo:[0,1] neg_hi:[0,1]
	v_cvt_f32_i32_e32 v18, v53
	v_add_f32_e32 v3, v3, v7
	v_add_f32_e32 v3, v6, v3
	v_add_f32_e32 v6, v112, v103
	v_add_f32_e32 v3, v19, v3
	v_sub_f32_e32 v7, v6, v112
	v_mul_f32_e32 v3, v102, v3
	v_sub_f32_e32 v7, v103, v7
	v_add_f32_e32 v3, v7, v3
	v_add_f32_e32 v19, v6, v3
	v_mul_f32_e32 v36, v19, v19
	v_mov_b32_e32 v7, 0x3ecc95a3
	v_fmac_f32_e32 v7, 0x3e9b6dac, v36
	v_sub_f32_e32 v6, v19, v6
	v_fmaak_f32 v7, v36, v7, 0x3f2aaada
	v_sub_f32_e32 v3, v3, v6
	v_ldexp_f32 v37, v19, 1
	v_mul_f32_e32 v19, v19, v36
	v_mov_b32_e32 v6, 0x3f317218
	v_pk_mul_f32 v[6:7], v[18:19], v[6:7]
	v_ldexp_f32 v3, v3, 1
	v_fma_f32 v19, v18, s5, -v6
	v_fmamk_f32 v36, v18, 0xb102e308, v19
	v_pk_add_f32 v[18:19], v[6:7], v[36:37]
	v_mov_b32_e32 v48, v6
	v_sub_f32_e32 v37, v19, v37
	v_sub_f32_e32 v37, v7, v37
	v_add_f32_e32 v49, v3, v37
	v_pk_add_f32 v[6:7], v[18:19], v[6:7] neg_lo:[0,1] neg_hi:[0,1]
	v_pk_add_f32 v[102:103], v[18:19], v[48:49]
	v_mov_b32_e32 v37, v18
	v_mov_b32_e32 v7, v103
	v_pk_add_f32 v[112:113], v[36:37], v[6:7] neg_lo:[0,1] neg_hi:[0,1]
	v_pk_add_f32 v[6:7], v[36:37], v[6:7]
	v_mov_b32_e32 v48, v49
	v_mov_b32_e32 v36, v7
	v_pk_add_f32 v[114:115], v[36:37], v[18:19] neg_lo:[0,1] neg_hi:[0,1]
	v_mov_b32_e32 v6, v103
	v_mov_b32_e32 v3, v114
	v_pk_add_f32 v[116:117], v[102:103], v[2:3] neg_lo:[0,1] neg_hi:[0,1]
	v_mov_b32_e32 v102, v19
	v_mov_b32_e32 v103, v114
	;; [unrolled: 1-line block ×3, first 2 shown]
	v_pk_add_f32 v[6:7], v[6:7], v[102:103] neg_lo:[0,1] neg_hi:[0,1]
	v_mov_b32_e32 v49, v18
	v_pk_add_f32 v[6:7], v[48:49], v[6:7] neg_lo:[0,1] neg_hi:[0,1]
	v_mov_b32_e32 v116, v112
	v_pk_add_f32 v[18:19], v[116:117], v[6:7]
	s_mov_b32 s5, 0x33800000
	v_mov_b32_e32 v48, v19
	v_pk_add_f32 v[48:49], v[18:19], v[48:49]
	v_cmp_lt_f32_e64 s[6:7], |v11|, s5
	v_pk_add_f32 v[36:37], v[36:37], v[48:49]
	v_mov_b32_e32 v7, v48
	v_mov_b32_e32 v19, v36
	v_pk_add_f32 v[102:103], v[18:19], v[112:113] neg_lo:[0,1] neg_hi:[0,1]
	s_or_b64 vcc, vcc, s[6:7]
	v_sub_f32_e32 v3, v18, v102
	v_pk_add_f32 v[6:7], v[6:7], v[102:103] neg_lo:[0,1] neg_hi:[0,1]
	v_sub_f32_e32 v3, v112, v3
	v_add_f32_e32 v3, v6, v3
	v_add_f32_e32 v3, v3, v7
	;; [unrolled: 1-line block ×3, first 2 shown]
	v_cndmask_b32_e32 v3, v3, v11, vcc
	v_add_f32_e32 v53, v2, v3
.LBB93_372:
	s_or_b64 exec, exec, s[2:3]
	v_max_f32_e32 v2, v53, v53
	v_min_f32_e32 v3, v2, v54
	v_cmp_u_f32_e32 vcc, v53, v53
	v_max_f32_e32 v2, v2, v54
	v_mov_b32_e32 v54, v53
	v_cndmask_b32_e32 v3, v3, v53, vcc
	v_cndmask_b32_e32 v2, v2, v53, vcc
	v_cndmask_b32_e64 v3, v3, v38, s[12:13]
	v_cndmask_b32_e64 v2, v2, v38, s[12:13]
	v_cmp_neq_f32_e32 vcc, v3, v2
	v_cmp_class_f32_e64 s[2:3], v3, s4
	s_or_b64 s[4:5], vcc, s[2:3]
	s_and_saveexec_b64 s[2:3], s[4:5]
	s_cbranch_execz .LBB93_374
; %bb.373:
	v_sub_f32_e32 v3, v3, v2
	s_mov_b32 s4, 0x3fb8aa3b
	v_mul_f32_e32 v6, 0x3fb8aa3b, v3
	v_fma_f32 v7, v3, s4, -v6
	v_rndne_f32_e32 v11, v6
	v_fmamk_f32 v7, v3, 0x32a5705f, v7
	v_sub_f32_e32 v6, v6, v11
	v_add_f32_e32 v6, v6, v7
	v_exp_f32_e32 v6, v6
	v_cvt_i32_f32_e32 v7, v11
	s_mov_b32 s4, 0xc2ce8ed0
	v_cmp_ngt_f32_e32 vcc, s4, v3
	s_mov_b32 s4, 0x42b17218
	v_ldexp_f32 v6, v6, v7
	v_cndmask_b32_e32 v6, 0, v6, vcc
	v_mov_b32_e32 v7, 0x7f800000
	v_cmp_nlt_f32_e32 vcc, s4, v3
	s_mov_b32 s4, 0x3f2aaaab
	s_mov_b32 s5, 0x7f800000
	v_cndmask_b32_e32 v11, v7, v6, vcc
	v_add_f32_e32 v3, 1.0, v11
	v_add_f32_e32 v6, -1.0, v3
	v_sub_f32_e32 v7, v6, v3
	v_add_f32_e32 v7, 1.0, v7
	v_sub_f32_e32 v6, v11, v6
	v_add_f32_e32 v18, v6, v7
	v_frexp_mant_f32_e32 v19, v3
	v_cvt_f64_f32_e32 v[6:7], v3
	v_frexp_exp_i32_f64_e32 v6, v[6:7]
	v_cmp_gt_f32_e32 vcc, s4, v19
	s_mov_b32 s4, 0x3f317218
	s_nop 0
	v_subbrev_co_u32_e32 v38, vcc, 0, v6, vcc
	v_sub_u32_e32 v6, 0, v38
	v_ldexp_f32 v3, v3, v6
	v_ldexp_f32 v6, v18, v6
	v_add_f32_e32 v18, -1.0, v3
	v_add_f32_e32 v7, 1.0, v18
	v_sub_f32_e32 v7, v3, v7
	v_add_f32_e32 v19, v6, v7
	v_add_f32_e32 v7, 1.0, v3
	v_add_f32_e32 v36, -1.0, v7
	v_sub_f32_e32 v3, v3, v36
	v_add_f32_e32 v3, v6, v3
	v_add_f32_e32 v54, v7, v3
	v_rcp_f32_e32 v101, v54
	v_sub_f32_e32 v6, v7, v54
	v_add_f32_e32 v7, v18, v19
	v_add_f32_e32 v3, v3, v6
	v_mul_f32_e32 v103, v7, v101
	v_sub_f32_e32 v6, v18, v7
	v_mul_f32_e32 v18, v54, v103
	v_fma_f32 v36, v103, v54, -v18
	v_fmac_f32_e32 v36, v103, v3
	v_add_f32_e32 v102, v19, v6
	v_add_f32_e32 v6, v18, v36
	v_sub_f32_e32 v19, v7, v6
	v_pk_add_f32 v[48:49], v[6:7], v[18:19] neg_lo:[0,1] neg_hi:[0,1]
	v_mov_b32_e32 v37, v6
	v_pk_add_f32 v[6:7], v[48:49], v[36:37] neg_lo:[0,1] neg_hi:[0,1]
	v_cmp_eq_f32_e32 vcc, s5, v11
	v_add_f32_e32 v7, v102, v7
	v_add_f32_e32 v6, v6, v7
	;; [unrolled: 1-line block ×3, first 2 shown]
	v_mul_f32_e32 v102, v101, v7
	v_mul_f32_e32 v18, v54, v102
	v_fma_f32 v36, v102, v54, -v18
	v_fmac_f32_e32 v36, v102, v3
	v_sub_f32_e32 v3, v19, v7
	v_add_f32_e32 v3, v6, v3
	v_add_f32_e32 v6, v18, v36
	v_sub_f32_e32 v19, v7, v6
	v_pk_add_f32 v[48:49], v[6:7], v[18:19] neg_lo:[0,1] neg_hi:[0,1]
	v_mov_b32_e32 v37, v6
	v_pk_add_f32 v[6:7], v[48:49], v[36:37] neg_lo:[0,1] neg_hi:[0,1]
	v_cvt_f32_i32_e32 v18, v38
	v_add_f32_e32 v3, v3, v7
	v_add_f32_e32 v3, v6, v3
	;; [unrolled: 1-line block ×4, first 2 shown]
	v_sub_f32_e32 v7, v6, v103
	v_mul_f32_e32 v3, v101, v3
	v_sub_f32_e32 v7, v102, v7
	v_add_f32_e32 v3, v7, v3
	v_add_f32_e32 v19, v6, v3
	v_mul_f32_e32 v36, v19, v19
	v_mov_b32_e32 v7, 0x3ecc95a3
	v_fmac_f32_e32 v7, 0x3e9b6dac, v36
	v_sub_f32_e32 v6, v19, v6
	v_fmaak_f32 v7, v36, v7, 0x3f2aaada
	v_sub_f32_e32 v3, v3, v6
	v_ldexp_f32 v37, v19, 1
	v_mul_f32_e32 v19, v19, v36
	v_mov_b32_e32 v6, 0x3f317218
	v_pk_mul_f32 v[6:7], v[18:19], v[6:7]
	v_ldexp_f32 v3, v3, 1
	v_fma_f32 v19, v18, s4, -v6
	v_fmamk_f32 v36, v18, 0xb102e308, v19
	v_pk_add_f32 v[18:19], v[6:7], v[36:37]
	v_mov_b32_e32 v48, v6
	v_sub_f32_e32 v37, v19, v37
	v_sub_f32_e32 v37, v7, v37
	v_add_f32_e32 v49, v3, v37
	v_pk_add_f32 v[6:7], v[18:19], v[6:7] neg_lo:[0,1] neg_hi:[0,1]
	v_pk_add_f32 v[102:103], v[18:19], v[48:49]
	v_mov_b32_e32 v37, v18
	v_mov_b32_e32 v7, v103
	v_pk_add_f32 v[112:113], v[36:37], v[6:7] neg_lo:[0,1] neg_hi:[0,1]
	v_pk_add_f32 v[6:7], v[36:37], v[6:7]
	v_mov_b32_e32 v48, v49
	v_mov_b32_e32 v36, v7
	v_pk_add_f32 v[114:115], v[36:37], v[18:19] neg_lo:[0,1] neg_hi:[0,1]
	v_mov_b32_e32 v6, v103
	v_mov_b32_e32 v3, v114
	v_pk_add_f32 v[116:117], v[102:103], v[2:3] neg_lo:[0,1] neg_hi:[0,1]
	v_mov_b32_e32 v102, v19
	v_mov_b32_e32 v103, v114
	;; [unrolled: 1-line block ×3, first 2 shown]
	v_pk_add_f32 v[6:7], v[6:7], v[102:103] neg_lo:[0,1] neg_hi:[0,1]
	v_mov_b32_e32 v49, v18
	v_pk_add_f32 v[6:7], v[48:49], v[6:7] neg_lo:[0,1] neg_hi:[0,1]
	v_mov_b32_e32 v116, v112
	v_pk_add_f32 v[18:19], v[116:117], v[6:7]
	s_mov_b32 s4, 0x33800000
	v_mov_b32_e32 v38, v19
	v_pk_add_f32 v[48:49], v[18:19], v[38:39]
	v_cmp_lt_f32_e64 s[4:5], |v11|, s4
	v_pk_add_f32 v[36:37], v[36:37], v[48:49]
	v_mov_b32_e32 v7, v48
	v_mov_b32_e32 v19, v36
	v_pk_add_f32 v[102:103], v[18:19], v[112:113] neg_lo:[0,1] neg_hi:[0,1]
	s_or_b64 vcc, vcc, s[4:5]
	v_sub_f32_e32 v3, v18, v102
	v_pk_add_f32 v[6:7], v[6:7], v[102:103] neg_lo:[0,1] neg_hi:[0,1]
	v_sub_f32_e32 v3, v112, v3
	v_add_f32_e32 v3, v6, v3
	v_add_f32_e32 v3, v3, v7
	;; [unrolled: 1-line block ×3, first 2 shown]
	v_cndmask_b32_e32 v3, v3, v11, vcc
	v_add_f32_e32 v54, v2, v3
.LBB93_374:
	s_or_b64 exec, exec, s[2:3]
	v_max_f32_e32 v2, v54, v54
	v_min_f32_e32 v3, v2, v55
	v_cmp_u_f32_e32 vcc, v54, v54
	v_max_f32_e32 v2, v2, v55
	s_movk_i32 s4, 0x1f8
	v_cndmask_b32_e32 v3, v3, v54, vcc
	v_cndmask_b32_e32 v2, v2, v54, vcc
	v_cndmask_b32_e64 v3, v3, v39, s[14:15]
	v_cndmask_b32_e64 v2, v2, v39, s[14:15]
	v_cmp_neq_f32_e32 vcc, v3, v2
	v_cmp_class_f32_e64 s[2:3], v3, s4
	s_or_b64 s[6:7], vcc, s[2:3]
	v_mov_b32_e32 v55, v54
	s_and_saveexec_b64 s[2:3], s[6:7]
	s_cbranch_execz .LBB93_376
; %bb.375:
	v_sub_f32_e32 v3, v3, v2
	s_mov_b32 s5, 0x3fb8aa3b
	v_mul_f32_e32 v6, 0x3fb8aa3b, v3
	v_fma_f32 v7, v3, s5, -v6
	v_rndne_f32_e32 v11, v6
	v_fmamk_f32 v7, v3, 0x32a5705f, v7
	v_sub_f32_e32 v6, v6, v11
	v_add_f32_e32 v6, v6, v7
	v_exp_f32_e32 v6, v6
	v_cvt_i32_f32_e32 v7, v11
	s_mov_b32 s5, 0xc2ce8ed0
	v_cmp_ngt_f32_e32 vcc, s5, v3
	s_mov_b32 s5, 0x42b17218
	v_ldexp_f32 v6, v6, v7
	v_cndmask_b32_e32 v6, 0, v6, vcc
	v_mov_b32_e32 v7, 0x7f800000
	v_cmp_nlt_f32_e32 vcc, s5, v3
	s_mov_b32 s5, 0x3f2aaaab
	s_mov_b32 s6, 0x7f800000
	v_cndmask_b32_e32 v11, v7, v6, vcc
	v_add_f32_e32 v3, 1.0, v11
	v_add_f32_e32 v6, -1.0, v3
	v_sub_f32_e32 v7, v6, v3
	v_add_f32_e32 v7, 1.0, v7
	v_sub_f32_e32 v6, v11, v6
	v_add_f32_e32 v18, v6, v7
	v_frexp_mant_f32_e32 v19, v3
	v_cvt_f64_f32_e32 v[6:7], v3
	v_frexp_exp_i32_f64_e32 v6, v[6:7]
	v_cmp_gt_f32_e32 vcc, s5, v19
	s_mov_b32 s5, 0x3f317218
	s_nop 0
	v_subbrev_co_u32_e32 v48, vcc, 0, v6, vcc
	v_sub_u32_e32 v6, 0, v48
	v_ldexp_f32 v3, v3, v6
	v_ldexp_f32 v6, v18, v6
	v_add_f32_e32 v18, -1.0, v3
	v_add_f32_e32 v7, 1.0, v18
	v_sub_f32_e32 v7, v3, v7
	v_add_f32_e32 v19, v6, v7
	v_add_f32_e32 v7, 1.0, v3
	v_add_f32_e32 v36, -1.0, v7
	v_sub_f32_e32 v3, v3, v36
	v_add_f32_e32 v3, v6, v3
	v_add_f32_e32 v49, v7, v3
	v_rcp_f32_e32 v55, v49
	v_sub_f32_e32 v6, v7, v49
	v_add_f32_e32 v7, v18, v19
	v_add_f32_e32 v3, v3, v6
	v_mul_f32_e32 v102, v7, v55
	v_sub_f32_e32 v6, v18, v7
	v_mul_f32_e32 v18, v49, v102
	v_fma_f32 v36, v102, v49, -v18
	v_fmac_f32_e32 v36, v102, v3
	v_add_f32_e32 v101, v19, v6
	v_add_f32_e32 v6, v18, v36
	v_sub_f32_e32 v19, v7, v6
	v_pk_add_f32 v[38:39], v[6:7], v[18:19] neg_lo:[0,1] neg_hi:[0,1]
	v_mov_b32_e32 v37, v6
	v_pk_add_f32 v[6:7], v[38:39], v[36:37] neg_lo:[0,1] neg_hi:[0,1]
	v_cmp_eq_f32_e32 vcc, s6, v11
	v_add_f32_e32 v7, v101, v7
	v_add_f32_e32 v6, v6, v7
	;; [unrolled: 1-line block ×3, first 2 shown]
	v_mul_f32_e32 v101, v55, v7
	v_mul_f32_e32 v18, v49, v101
	v_fma_f32 v36, v101, v49, -v18
	v_fmac_f32_e32 v36, v101, v3
	v_sub_f32_e32 v3, v19, v7
	v_add_f32_e32 v3, v6, v3
	v_add_f32_e32 v6, v18, v36
	v_sub_f32_e32 v19, v7, v6
	v_pk_add_f32 v[38:39], v[6:7], v[18:19] neg_lo:[0,1] neg_hi:[0,1]
	v_mov_b32_e32 v37, v6
	v_pk_add_f32 v[6:7], v[38:39], v[36:37] neg_lo:[0,1] neg_hi:[0,1]
	v_cvt_f32_i32_e32 v18, v48
	v_add_f32_e32 v3, v3, v7
	v_add_f32_e32 v3, v6, v3
	;; [unrolled: 1-line block ×4, first 2 shown]
	v_sub_f32_e32 v7, v6, v102
	v_mul_f32_e32 v3, v55, v3
	v_sub_f32_e32 v7, v101, v7
	v_add_f32_e32 v3, v7, v3
	v_add_f32_e32 v19, v6, v3
	v_mul_f32_e32 v36, v19, v19
	v_mov_b32_e32 v7, 0x3ecc95a3
	v_fmac_f32_e32 v7, 0x3e9b6dac, v36
	v_sub_f32_e32 v6, v19, v6
	v_fmaak_f32 v7, v36, v7, 0x3f2aaada
	v_sub_f32_e32 v3, v3, v6
	v_ldexp_f32 v37, v19, 1
	v_mul_f32_e32 v19, v19, v36
	v_mov_b32_e32 v6, 0x3f317218
	v_pk_mul_f32 v[6:7], v[18:19], v[6:7]
	v_ldexp_f32 v3, v3, 1
	v_fma_f32 v19, v18, s5, -v6
	v_fmamk_f32 v36, v18, 0xb102e308, v19
	v_pk_add_f32 v[18:19], v[6:7], v[36:37]
	v_mov_b32_e32 v38, v6
	v_sub_f32_e32 v37, v19, v37
	v_sub_f32_e32 v37, v7, v37
	v_add_f32_e32 v39, v3, v37
	v_pk_add_f32 v[6:7], v[18:19], v[6:7] neg_lo:[0,1] neg_hi:[0,1]
	v_pk_add_f32 v[48:49], v[18:19], v[38:39]
	v_mov_b32_e32 v37, v18
	v_mov_b32_e32 v7, v49
	v_pk_add_f32 v[102:103], v[36:37], v[6:7] neg_lo:[0,1] neg_hi:[0,1]
	v_pk_add_f32 v[6:7], v[36:37], v[6:7]
	v_mov_b32_e32 v38, v39
	v_mov_b32_e32 v36, v7
	v_pk_add_f32 v[112:113], v[36:37], v[18:19] neg_lo:[0,1] neg_hi:[0,1]
	v_mov_b32_e32 v6, v49
	v_mov_b32_e32 v3, v112
	v_pk_add_f32 v[114:115], v[48:49], v[2:3] neg_lo:[0,1] neg_hi:[0,1]
	v_mov_b32_e32 v48, v19
	v_mov_b32_e32 v49, v112
	;; [unrolled: 1-line block ×3, first 2 shown]
	v_pk_add_f32 v[6:7], v[6:7], v[48:49] neg_lo:[0,1] neg_hi:[0,1]
	v_mov_b32_e32 v39, v18
	v_pk_add_f32 v[6:7], v[38:39], v[6:7] neg_lo:[0,1] neg_hi:[0,1]
	v_mov_b32_e32 v114, v102
	v_pk_add_f32 v[18:19], v[114:115], v[6:7]
	s_mov_b32 s5, 0x33800000
	v_mov_b32_e32 v38, v19
	v_pk_add_f32 v[38:39], v[18:19], v[38:39]
	v_cmp_lt_f32_e64 s[6:7], |v11|, s5
	v_pk_add_f32 v[36:37], v[36:37], v[38:39]
	v_mov_b32_e32 v7, v38
	v_mov_b32_e32 v19, v36
	v_pk_add_f32 v[48:49], v[18:19], v[102:103] neg_lo:[0,1] neg_hi:[0,1]
	s_or_b64 vcc, vcc, s[6:7]
	v_sub_f32_e32 v3, v18, v48
	v_pk_add_f32 v[6:7], v[6:7], v[48:49] neg_lo:[0,1] neg_hi:[0,1]
	v_sub_f32_e32 v3, v102, v3
	v_add_f32_e32 v3, v6, v3
	v_add_f32_e32 v3, v3, v7
	;; [unrolled: 1-line block ×3, first 2 shown]
	v_cndmask_b32_e32 v3, v3, v11, vcc
	v_add_f32_e32 v55, v2, v3
.LBB93_376:
	s_or_b64 exec, exec, s[2:3]
	v_max_f32_e32 v2, v55, v55
	v_min_f32_e32 v3, v2, v64
	v_cmp_u_f32_e32 vcc, v55, v55
	v_max_f32_e32 v2, v2, v64
	v_mov_b32_e32 v64, v55
	v_cndmask_b32_e32 v3, v3, v55, vcc
	v_cndmask_b32_e32 v2, v2, v55, vcc
	v_cndmask_b32_e64 v3, v3, v32, s[16:17]
	v_cndmask_b32_e64 v2, v2, v32, s[16:17]
	v_cmp_neq_f32_e32 vcc, v3, v2
	v_cmp_class_f32_e64 s[2:3], v3, s4
	s_or_b64 s[4:5], vcc, s[2:3]
	s_and_saveexec_b64 s[2:3], s[4:5]
	s_cbranch_execz .LBB93_378
; %bb.377:
	v_sub_f32_e32 v3, v3, v2
	s_mov_b32 s4, 0x3fb8aa3b
	v_mul_f32_e32 v6, 0x3fb8aa3b, v3
	v_fma_f32 v7, v3, s4, -v6
	v_rndne_f32_e32 v11, v6
	v_fmamk_f32 v7, v3, 0x32a5705f, v7
	v_sub_f32_e32 v6, v6, v11
	v_add_f32_e32 v6, v6, v7
	v_exp_f32_e32 v6, v6
	v_cvt_i32_f32_e32 v7, v11
	s_mov_b32 s4, 0xc2ce8ed0
	v_cmp_ngt_f32_e32 vcc, s4, v3
	s_mov_b32 s4, 0x42b17218
	v_ldexp_f32 v6, v6, v7
	v_cndmask_b32_e32 v6, 0, v6, vcc
	v_mov_b32_e32 v7, 0x7f800000
	v_cmp_nlt_f32_e32 vcc, s4, v3
	s_mov_b32 s4, 0x3f2aaaab
	s_mov_b32 s5, 0x7f800000
	v_cndmask_b32_e32 v11, v7, v6, vcc
	v_add_f32_e32 v3, 1.0, v11
	v_add_f32_e32 v6, -1.0, v3
	v_sub_f32_e32 v7, v6, v3
	v_add_f32_e32 v7, 1.0, v7
	v_sub_f32_e32 v6, v11, v6
	v_add_f32_e32 v18, v6, v7
	v_frexp_mant_f32_e32 v19, v3
	v_cvt_f64_f32_e32 v[6:7], v3
	v_frexp_exp_i32_f64_e32 v6, v[6:7]
	v_cmp_gt_f32_e32 vcc, s4, v19
	s_mov_b32 s4, 0x3f317218
	s_nop 0
	v_subbrev_co_u32_e32 v32, vcc, 0, v6, vcc
	v_sub_u32_e32 v6, 0, v32
	v_ldexp_f32 v3, v3, v6
	v_ldexp_f32 v6, v18, v6
	v_add_f32_e32 v18, -1.0, v3
	v_add_f32_e32 v7, 1.0, v18
	v_sub_f32_e32 v7, v3, v7
	v_add_f32_e32 v19, v6, v7
	v_add_f32_e32 v7, 1.0, v3
	v_add_f32_e32 v36, -1.0, v7
	v_sub_f32_e32 v3, v3, v36
	v_add_f32_e32 v3, v6, v3
	v_add_f32_e32 v48, v7, v3
	v_rcp_f32_e32 v49, v48
	v_sub_f32_e32 v6, v7, v48
	v_add_f32_e32 v7, v18, v19
	v_add_f32_e32 v3, v3, v6
	v_mul_f32_e32 v101, v7, v49
	v_sub_f32_e32 v6, v18, v7
	v_mul_f32_e32 v18, v48, v101
	v_fma_f32 v36, v101, v48, -v18
	v_fmac_f32_e32 v36, v101, v3
	v_add_f32_e32 v64, v19, v6
	v_add_f32_e32 v6, v18, v36
	v_sub_f32_e32 v19, v7, v6
	v_pk_add_f32 v[38:39], v[6:7], v[18:19] neg_lo:[0,1] neg_hi:[0,1]
	v_mov_b32_e32 v37, v6
	v_pk_add_f32 v[6:7], v[38:39], v[36:37] neg_lo:[0,1] neg_hi:[0,1]
	v_cmp_eq_f32_e32 vcc, s5, v11
	v_add_f32_e32 v7, v64, v7
	v_add_f32_e32 v6, v6, v7
	;; [unrolled: 1-line block ×3, first 2 shown]
	v_mul_f32_e32 v64, v49, v7
	v_mul_f32_e32 v18, v48, v64
	v_fma_f32 v36, v64, v48, -v18
	v_fmac_f32_e32 v36, v64, v3
	v_sub_f32_e32 v3, v19, v7
	v_add_f32_e32 v3, v6, v3
	v_add_f32_e32 v6, v18, v36
	v_sub_f32_e32 v19, v7, v6
	v_pk_add_f32 v[38:39], v[6:7], v[18:19] neg_lo:[0,1] neg_hi:[0,1]
	v_mov_b32_e32 v37, v6
	v_pk_add_f32 v[6:7], v[38:39], v[36:37] neg_lo:[0,1] neg_hi:[0,1]
	v_cvt_f32_i32_e32 v18, v32
	v_add_f32_e32 v3, v3, v7
	v_add_f32_e32 v3, v6, v3
	;; [unrolled: 1-line block ×4, first 2 shown]
	v_sub_f32_e32 v7, v6, v101
	v_mul_f32_e32 v3, v49, v3
	v_sub_f32_e32 v7, v64, v7
	v_add_f32_e32 v3, v7, v3
	v_add_f32_e32 v19, v6, v3
	v_mul_f32_e32 v36, v19, v19
	v_mov_b32_e32 v7, 0x3ecc95a3
	v_fmac_f32_e32 v7, 0x3e9b6dac, v36
	v_sub_f32_e32 v6, v19, v6
	v_fmaak_f32 v7, v36, v7, 0x3f2aaada
	v_sub_f32_e32 v3, v3, v6
	v_ldexp_f32 v37, v19, 1
	v_mul_f32_e32 v19, v19, v36
	v_mov_b32_e32 v6, 0x3f317218
	v_pk_mul_f32 v[6:7], v[18:19], v[6:7]
	v_ldexp_f32 v3, v3, 1
	v_fma_f32 v19, v18, s4, -v6
	v_fmamk_f32 v36, v18, 0xb102e308, v19
	v_pk_add_f32 v[18:19], v[6:7], v[36:37]
	v_mov_b32_e32 v38, v6
	v_sub_f32_e32 v32, v19, v37
	v_sub_f32_e32 v32, v7, v32
	v_add_f32_e32 v39, v3, v32
	v_pk_add_f32 v[6:7], v[18:19], v[6:7] neg_lo:[0,1] neg_hi:[0,1]
	v_pk_add_f32 v[48:49], v[18:19], v[38:39]
	v_mov_b32_e32 v37, v18
	v_mov_b32_e32 v7, v49
	v_pk_add_f32 v[102:103], v[36:37], v[6:7] neg_lo:[0,1] neg_hi:[0,1]
	v_pk_add_f32 v[6:7], v[36:37], v[6:7]
	s_mov_b32 s4, 0x33800000
	v_mov_b32_e32 v32, v7
	v_pk_add_f32 v[36:37], v[32:33], v[18:19] neg_lo:[0,1] neg_hi:[0,1]
	v_mov_b32_e32 v6, v49
	v_mov_b32_e32 v3, v36
	v_pk_add_f32 v[112:113], v[48:49], v[2:3] neg_lo:[0,1] neg_hi:[0,1]
	v_mov_b32_e32 v48, v19
	v_mov_b32_e32 v49, v36
	v_mov_b32_e32 v103, v7
	v_pk_add_f32 v[6:7], v[6:7], v[48:49] neg_lo:[0,1] neg_hi:[0,1]
	v_mov_b32_e32 v36, v39
	v_mov_b32_e32 v37, v18
	v_pk_add_f32 v[6:7], v[36:37], v[6:7] neg_lo:[0,1] neg_hi:[0,1]
	v_mov_b32_e32 v112, v102
	v_pk_add_f32 v[18:19], v[112:113], v[6:7]
	v_cmp_lt_f32_e64 s[4:5], |v11|, s4
	v_mov_b32_e32 v36, v19
	v_pk_add_f32 v[36:37], v[18:19], v[36:37]
	s_or_b64 vcc, vcc, s[4:5]
	v_pk_add_f32 v[38:39], v[32:33], v[36:37]
	v_mov_b32_e32 v7, v36
	v_mov_b32_e32 v19, v38
	v_pk_add_f32 v[48:49], v[18:19], v[102:103] neg_lo:[0,1] neg_hi:[0,1]
	s_nop 0
	v_sub_f32_e32 v3, v18, v48
	v_pk_add_f32 v[6:7], v[6:7], v[48:49] neg_lo:[0,1] neg_hi:[0,1]
	v_sub_f32_e32 v3, v102, v3
	v_add_f32_e32 v3, v6, v3
	v_add_f32_e32 v3, v3, v7
	;; [unrolled: 1-line block ×3, first 2 shown]
	v_cndmask_b32_e32 v3, v3, v11, vcc
	v_add_f32_e32 v64, v2, v3
.LBB93_378:
	s_or_b64 exec, exec, s[2:3]
	v_max_f32_e32 v2, v64, v64
	v_min_f32_e32 v3, v2, v65
	v_cmp_u_f32_e32 vcc, v64, v64
	v_max_f32_e32 v2, v2, v65
	s_movk_i32 s4, 0x1f8
	v_cndmask_b32_e32 v3, v3, v64, vcc
	v_cndmask_b32_e32 v2, v2, v64, vcc
	v_cndmask_b32_e64 v3, v3, v33, s[18:19]
	v_cndmask_b32_e64 v2, v2, v33, s[18:19]
	v_cmp_neq_f32_e32 vcc, v3, v2
	v_cmp_class_f32_e64 s[2:3], v3, s4
	s_or_b64 s[6:7], vcc, s[2:3]
	v_mov_b32_e32 v65, v64
	s_and_saveexec_b64 s[2:3], s[6:7]
	s_cbranch_execz .LBB93_380
; %bb.379:
	v_sub_f32_e32 v3, v3, v2
	s_mov_b32 s5, 0x3fb8aa3b
	v_mul_f32_e32 v6, 0x3fb8aa3b, v3
	v_fma_f32 v7, v3, s5, -v6
	v_rndne_f32_e32 v11, v6
	v_fmamk_f32 v7, v3, 0x32a5705f, v7
	v_sub_f32_e32 v6, v6, v11
	v_add_f32_e32 v6, v6, v7
	v_exp_f32_e32 v6, v6
	v_cvt_i32_f32_e32 v7, v11
	s_mov_b32 s5, 0xc2ce8ed0
	v_cmp_ngt_f32_e32 vcc, s5, v3
	s_mov_b32 s5, 0x42b17218
	v_ldexp_f32 v6, v6, v7
	v_cndmask_b32_e32 v6, 0, v6, vcc
	v_mov_b32_e32 v7, 0x7f800000
	v_cmp_nlt_f32_e32 vcc, s5, v3
	s_mov_b32 s5, 0x3f2aaaab
	s_mov_b32 s6, 0x7f800000
	v_cndmask_b32_e32 v11, v7, v6, vcc
	v_add_f32_e32 v3, 1.0, v11
	v_add_f32_e32 v6, -1.0, v3
	v_sub_f32_e32 v7, v6, v3
	v_add_f32_e32 v7, 1.0, v7
	v_sub_f32_e32 v6, v11, v6
	v_add_f32_e32 v18, v6, v7
	v_frexp_mant_f32_e32 v19, v3
	v_cvt_f64_f32_e32 v[6:7], v3
	v_frexp_exp_i32_f64_e32 v6, v[6:7]
	v_cmp_gt_f32_e32 vcc, s5, v19
	s_mov_b32 s5, 0x3f317218
	s_nop 0
	v_subbrev_co_u32_e32 v38, vcc, 0, v6, vcc
	v_sub_u32_e32 v6, 0, v38
	v_ldexp_f32 v3, v3, v6
	v_ldexp_f32 v6, v18, v6
	v_add_f32_e32 v18, -1.0, v3
	v_add_f32_e32 v7, 1.0, v18
	v_sub_f32_e32 v7, v3, v7
	v_add_f32_e32 v19, v6, v7
	v_add_f32_e32 v7, 1.0, v3
	v_add_f32_e32 v32, -1.0, v7
	v_sub_f32_e32 v3, v3, v32
	v_add_f32_e32 v3, v6, v3
	v_add_f32_e32 v39, v7, v3
	v_rcp_f32_e32 v48, v39
	v_sub_f32_e32 v6, v7, v39
	v_add_f32_e32 v7, v18, v19
	v_add_f32_e32 v3, v3, v6
	v_mul_f32_e32 v65, v7, v48
	v_sub_f32_e32 v6, v18, v7
	v_mul_f32_e32 v18, v39, v65
	v_fma_f32 v32, v65, v39, -v18
	v_fmac_f32_e32 v32, v65, v3
	v_add_f32_e32 v49, v19, v6
	v_add_f32_e32 v6, v18, v32
	v_sub_f32_e32 v19, v7, v6
	v_pk_add_f32 v[36:37], v[6:7], v[18:19] neg_lo:[0,1] neg_hi:[0,1]
	v_mov_b32_e32 v33, v6
	v_pk_add_f32 v[6:7], v[36:37], v[32:33] neg_lo:[0,1] neg_hi:[0,1]
	v_cmp_eq_f32_e32 vcc, s6, v11
	v_add_f32_e32 v7, v49, v7
	v_add_f32_e32 v6, v6, v7
	;; [unrolled: 1-line block ×3, first 2 shown]
	v_mul_f32_e32 v49, v48, v7
	v_mul_f32_e32 v18, v39, v49
	v_fma_f32 v32, v49, v39, -v18
	v_fmac_f32_e32 v32, v49, v3
	v_sub_f32_e32 v3, v19, v7
	v_add_f32_e32 v3, v6, v3
	v_add_f32_e32 v6, v18, v32
	v_sub_f32_e32 v19, v7, v6
	v_pk_add_f32 v[36:37], v[6:7], v[18:19] neg_lo:[0,1] neg_hi:[0,1]
	v_mov_b32_e32 v33, v6
	v_pk_add_f32 v[6:7], v[36:37], v[32:33] neg_lo:[0,1] neg_hi:[0,1]
	v_cvt_f32_i32_e32 v18, v38
	v_add_f32_e32 v3, v3, v7
	v_add_f32_e32 v3, v6, v3
	;; [unrolled: 1-line block ×4, first 2 shown]
	v_sub_f32_e32 v7, v6, v65
	v_mul_f32_e32 v3, v48, v3
	v_sub_f32_e32 v7, v49, v7
	v_add_f32_e32 v3, v7, v3
	v_add_f32_e32 v19, v6, v3
	v_mul_f32_e32 v32, v19, v19
	v_mov_b32_e32 v7, 0x3ecc95a3
	v_fmac_f32_e32 v7, 0x3e9b6dac, v32
	v_sub_f32_e32 v6, v19, v6
	v_fmaak_f32 v7, v32, v7, 0x3f2aaada
	v_sub_f32_e32 v3, v3, v6
	v_ldexp_f32 v33, v19, 1
	v_mul_f32_e32 v19, v19, v32
	v_mov_b32_e32 v6, 0x3f317218
	v_pk_mul_f32 v[6:7], v[18:19], v[6:7]
	v_ldexp_f32 v3, v3, 1
	v_fma_f32 v19, v18, s5, -v6
	v_fmamk_f32 v32, v18, 0xb102e308, v19
	v_pk_add_f32 v[18:19], v[6:7], v[32:33]
	v_mov_b32_e32 v36, v6
	v_sub_f32_e32 v33, v19, v33
	v_sub_f32_e32 v33, v7, v33
	v_add_f32_e32 v37, v3, v33
	v_pk_add_f32 v[6:7], v[18:19], v[6:7] neg_lo:[0,1] neg_hi:[0,1]
	v_pk_add_f32 v[38:39], v[18:19], v[36:37]
	v_mov_b32_e32 v33, v18
	v_mov_b32_e32 v7, v39
	v_pk_add_f32 v[48:49], v[32:33], v[6:7] neg_lo:[0,1] neg_hi:[0,1]
	v_pk_add_f32 v[6:7], v[32:33], v[6:7]
	v_mov_b32_e32 v36, v37
	v_mov_b32_e32 v32, v7
	v_pk_add_f32 v[102:103], v[32:33], v[18:19] neg_lo:[0,1] neg_hi:[0,1]
	v_mov_b32_e32 v6, v39
	v_mov_b32_e32 v3, v102
	v_pk_add_f32 v[112:113], v[38:39], v[2:3] neg_lo:[0,1] neg_hi:[0,1]
	v_mov_b32_e32 v38, v19
	v_mov_b32_e32 v39, v102
	;; [unrolled: 1-line block ×3, first 2 shown]
	v_pk_add_f32 v[6:7], v[6:7], v[38:39] neg_lo:[0,1] neg_hi:[0,1]
	v_mov_b32_e32 v37, v18
	v_pk_add_f32 v[6:7], v[36:37], v[6:7] neg_lo:[0,1] neg_hi:[0,1]
	v_mov_b32_e32 v112, v48
	v_pk_add_f32 v[18:19], v[112:113], v[6:7]
	s_mov_b32 s5, 0x33800000
	v_mov_b32_e32 v36, v19
	v_pk_add_f32 v[36:37], v[18:19], v[36:37]
	v_cmp_lt_f32_e64 s[6:7], |v11|, s5
	v_pk_add_f32 v[32:33], v[32:33], v[36:37]
	v_mov_b32_e32 v7, v36
	v_mov_b32_e32 v19, v32
	v_pk_add_f32 v[38:39], v[18:19], v[48:49] neg_lo:[0,1] neg_hi:[0,1]
	s_or_b64 vcc, vcc, s[6:7]
	v_sub_f32_e32 v3, v18, v38
	v_pk_add_f32 v[6:7], v[6:7], v[38:39] neg_lo:[0,1] neg_hi:[0,1]
	v_sub_f32_e32 v3, v48, v3
	v_add_f32_e32 v3, v6, v3
	v_add_f32_e32 v3, v3, v7
	;; [unrolled: 1-line block ×3, first 2 shown]
	v_cndmask_b32_e32 v3, v3, v11, vcc
	v_add_f32_e32 v65, v2, v3
.LBB93_380:
	s_or_b64 exec, exec, s[2:3]
	v_max_f32_e32 v2, v65, v65
	v_min_f32_e32 v3, v2, v66
	v_cmp_u_f32_e32 vcc, v65, v65
	v_max_f32_e32 v2, v2, v66
	v_mov_b32_e32 v66, v65
	v_cndmask_b32_e32 v3, v3, v65, vcc
	v_cndmask_b32_e32 v2, v2, v65, vcc
	v_cndmask_b32_e64 v3, v3, v34, s[20:21]
	v_cndmask_b32_e64 v2, v2, v34, s[20:21]
	v_cmp_neq_f32_e32 vcc, v3, v2
	v_cmp_class_f32_e64 s[2:3], v3, s4
	s_or_b64 s[4:5], vcc, s[2:3]
	s_and_saveexec_b64 s[2:3], s[4:5]
	s_cbranch_execz .LBB93_382
; %bb.381:
	v_sub_f32_e32 v3, v3, v2
	s_mov_b32 s4, 0x3fb8aa3b
	v_mul_f32_e32 v6, 0x3fb8aa3b, v3
	v_fma_f32 v7, v3, s4, -v6
	v_rndne_f32_e32 v11, v6
	v_fmamk_f32 v7, v3, 0x32a5705f, v7
	v_sub_f32_e32 v6, v6, v11
	v_add_f32_e32 v6, v6, v7
	v_exp_f32_e32 v6, v6
	v_cvt_i32_f32_e32 v7, v11
	s_mov_b32 s4, 0xc2ce8ed0
	v_cmp_ngt_f32_e32 vcc, s4, v3
	s_mov_b32 s4, 0x42b17218
	v_ldexp_f32 v6, v6, v7
	v_cndmask_b32_e32 v6, 0, v6, vcc
	v_mov_b32_e32 v7, 0x7f800000
	v_cmp_nlt_f32_e32 vcc, s4, v3
	s_mov_b32 s4, 0x3f2aaaab
	s_mov_b32 s5, 0x7f800000
	v_cndmask_b32_e32 v11, v7, v6, vcc
	v_add_f32_e32 v3, 1.0, v11
	v_add_f32_e32 v6, -1.0, v3
	v_sub_f32_e32 v7, v6, v3
	v_add_f32_e32 v7, 1.0, v7
	v_sub_f32_e32 v6, v11, v6
	v_add_f32_e32 v18, v6, v7
	v_frexp_mant_f32_e32 v19, v3
	v_cvt_f64_f32_e32 v[6:7], v3
	v_frexp_exp_i32_f64_e32 v6, v[6:7]
	v_cmp_gt_f32_e32 vcc, s4, v19
	s_mov_b32 s4, 0x3f317218
	s_nop 0
	v_subbrev_co_u32_e32 v34, vcc, 0, v6, vcc
	v_sub_u32_e32 v6, 0, v34
	v_ldexp_f32 v3, v3, v6
	v_ldexp_f32 v6, v18, v6
	v_add_f32_e32 v18, -1.0, v3
	v_add_f32_e32 v7, 1.0, v18
	v_sub_f32_e32 v7, v3, v7
	v_add_f32_e32 v19, v6, v7
	v_add_f32_e32 v7, 1.0, v3
	v_add_f32_e32 v32, -1.0, v7
	v_sub_f32_e32 v3, v3, v32
	v_add_f32_e32 v3, v6, v3
	v_add_f32_e32 v38, v7, v3
	v_rcp_f32_e32 v39, v38
	v_sub_f32_e32 v6, v7, v38
	v_add_f32_e32 v7, v18, v19
	v_add_f32_e32 v3, v3, v6
	v_mul_f32_e32 v49, v7, v39
	v_sub_f32_e32 v6, v18, v7
	v_mul_f32_e32 v18, v38, v49
	v_fma_f32 v32, v49, v38, -v18
	v_fmac_f32_e32 v32, v49, v3
	v_add_f32_e32 v48, v19, v6
	v_add_f32_e32 v6, v18, v32
	v_sub_f32_e32 v19, v7, v6
	v_pk_add_f32 v[36:37], v[6:7], v[18:19] neg_lo:[0,1] neg_hi:[0,1]
	v_mov_b32_e32 v33, v6
	v_pk_add_f32 v[6:7], v[36:37], v[32:33] neg_lo:[0,1] neg_hi:[0,1]
	v_cmp_eq_f32_e32 vcc, s5, v11
	v_add_f32_e32 v7, v48, v7
	v_add_f32_e32 v6, v6, v7
	;; [unrolled: 1-line block ×3, first 2 shown]
	v_mul_f32_e32 v48, v39, v7
	v_mul_f32_e32 v18, v38, v48
	v_fma_f32 v32, v48, v38, -v18
	v_fmac_f32_e32 v32, v48, v3
	v_sub_f32_e32 v3, v19, v7
	v_add_f32_e32 v3, v6, v3
	v_add_f32_e32 v6, v18, v32
	v_sub_f32_e32 v19, v7, v6
	v_pk_add_f32 v[36:37], v[6:7], v[18:19] neg_lo:[0,1] neg_hi:[0,1]
	v_mov_b32_e32 v33, v6
	v_pk_add_f32 v[6:7], v[36:37], v[32:33] neg_lo:[0,1] neg_hi:[0,1]
	v_cvt_f32_i32_e32 v18, v34
	v_add_f32_e32 v3, v3, v7
	v_add_f32_e32 v3, v6, v3
	;; [unrolled: 1-line block ×4, first 2 shown]
	v_sub_f32_e32 v7, v6, v49
	v_mul_f32_e32 v3, v39, v3
	v_sub_f32_e32 v7, v48, v7
	v_add_f32_e32 v3, v7, v3
	v_add_f32_e32 v19, v6, v3
	v_mul_f32_e32 v32, v19, v19
	v_mov_b32_e32 v7, 0x3ecc95a3
	v_fmac_f32_e32 v7, 0x3e9b6dac, v32
	v_sub_f32_e32 v6, v19, v6
	v_fmaak_f32 v7, v32, v7, 0x3f2aaada
	v_sub_f32_e32 v3, v3, v6
	v_ldexp_f32 v33, v19, 1
	v_mul_f32_e32 v19, v19, v32
	v_mov_b32_e32 v6, 0x3f317218
	v_pk_mul_f32 v[6:7], v[18:19], v[6:7]
	v_ldexp_f32 v3, v3, 1
	v_fma_f32 v19, v18, s4, -v6
	v_fmamk_f32 v32, v18, 0xb102e308, v19
	v_pk_add_f32 v[18:19], v[6:7], v[32:33]
	v_mov_b32_e32 v36, v6
	v_sub_f32_e32 v33, v19, v33
	v_sub_f32_e32 v33, v7, v33
	v_add_f32_e32 v37, v3, v33
	v_pk_add_f32 v[6:7], v[18:19], v[6:7] neg_lo:[0,1] neg_hi:[0,1]
	v_pk_add_f32 v[38:39], v[18:19], v[36:37]
	v_mov_b32_e32 v33, v18
	v_mov_b32_e32 v7, v39
	v_pk_add_f32 v[48:49], v[32:33], v[6:7] neg_lo:[0,1] neg_hi:[0,1]
	v_pk_add_f32 v[6:7], v[32:33], v[6:7]
	v_mov_b32_e32 v36, v37
	v_mov_b32_e32 v32, v7
	v_pk_add_f32 v[102:103], v[32:33], v[18:19] neg_lo:[0,1] neg_hi:[0,1]
	v_mov_b32_e32 v6, v39
	v_mov_b32_e32 v3, v102
	v_pk_add_f32 v[112:113], v[38:39], v[2:3] neg_lo:[0,1] neg_hi:[0,1]
	v_mov_b32_e32 v38, v19
	v_mov_b32_e32 v39, v102
	;; [unrolled: 1-line block ×3, first 2 shown]
	v_pk_add_f32 v[6:7], v[6:7], v[38:39] neg_lo:[0,1] neg_hi:[0,1]
	v_mov_b32_e32 v37, v18
	v_pk_add_f32 v[6:7], v[36:37], v[6:7] neg_lo:[0,1] neg_hi:[0,1]
	v_mov_b32_e32 v112, v48
	v_pk_add_f32 v[18:19], v[112:113], v[6:7]
	s_mov_b32 s4, 0x33800000
	v_mov_b32_e32 v34, v19
	v_pk_add_f32 v[36:37], v[18:19], v[34:35]
	v_cmp_lt_f32_e64 s[4:5], |v11|, s4
	v_pk_add_f32 v[32:33], v[32:33], v[36:37]
	v_mov_b32_e32 v7, v36
	v_mov_b32_e32 v19, v32
	v_pk_add_f32 v[38:39], v[18:19], v[48:49] neg_lo:[0,1] neg_hi:[0,1]
	s_or_b64 vcc, vcc, s[4:5]
	v_sub_f32_e32 v3, v18, v38
	v_pk_add_f32 v[6:7], v[6:7], v[38:39] neg_lo:[0,1] neg_hi:[0,1]
	v_sub_f32_e32 v3, v48, v3
	v_add_f32_e32 v3, v6, v3
	v_add_f32_e32 v3, v3, v7
	;; [unrolled: 1-line block ×3, first 2 shown]
	v_cndmask_b32_e32 v3, v3, v11, vcc
	v_add_f32_e32 v66, v2, v3
.LBB93_382:
	s_or_b64 exec, exec, s[2:3]
	v_max_f32_e32 v2, v66, v66
	v_min_f32_e32 v3, v2, v67
	v_cmp_u_f32_e32 vcc, v66, v66
	v_max_f32_e32 v2, v2, v67
	s_movk_i32 s4, 0x1f8
	v_cndmask_b32_e32 v3, v3, v66, vcc
	v_cndmask_b32_e32 v2, v2, v66, vcc
	v_cndmask_b32_e64 v3, v3, v35, s[22:23]
	v_cndmask_b32_e64 v2, v2, v35, s[22:23]
	v_cmp_neq_f32_e32 vcc, v3, v2
	v_cmp_class_f32_e64 s[2:3], v3, s4
	s_or_b64 s[6:7], vcc, s[2:3]
	v_mov_b32_e32 v67, v66
	s_and_saveexec_b64 s[2:3], s[6:7]
	s_cbranch_execz .LBB93_384
; %bb.383:
	v_sub_f32_e32 v3, v3, v2
	s_mov_b32 s5, 0x3fb8aa3b
	v_mul_f32_e32 v6, 0x3fb8aa3b, v3
	v_fma_f32 v7, v3, s5, -v6
	v_rndne_f32_e32 v11, v6
	v_fmamk_f32 v7, v3, 0x32a5705f, v7
	v_sub_f32_e32 v6, v6, v11
	v_add_f32_e32 v6, v6, v7
	v_exp_f32_e32 v6, v6
	v_cvt_i32_f32_e32 v7, v11
	s_mov_b32 s5, 0xc2ce8ed0
	v_cmp_ngt_f32_e32 vcc, s5, v3
	s_mov_b32 s5, 0x42b17218
	v_ldexp_f32 v6, v6, v7
	v_cndmask_b32_e32 v6, 0, v6, vcc
	v_mov_b32_e32 v7, 0x7f800000
	v_cmp_nlt_f32_e32 vcc, s5, v3
	s_mov_b32 s5, 0x3f2aaaab
	s_mov_b32 s6, 0x7f800000
	v_cndmask_b32_e32 v11, v7, v6, vcc
	v_add_f32_e32 v3, 1.0, v11
	v_add_f32_e32 v6, -1.0, v3
	v_sub_f32_e32 v7, v6, v3
	v_add_f32_e32 v7, 1.0, v7
	v_sub_f32_e32 v6, v11, v6
	v_add_f32_e32 v18, v6, v7
	v_frexp_mant_f32_e32 v19, v3
	v_cvt_f64_f32_e32 v[6:7], v3
	v_frexp_exp_i32_f64_e32 v6, v[6:7]
	v_cmp_gt_f32_e32 vcc, s5, v19
	s_mov_b32 s5, 0x3f317218
	s_nop 0
	v_subbrev_co_u32_e32 v36, vcc, 0, v6, vcc
	v_sub_u32_e32 v6, 0, v36
	v_ldexp_f32 v3, v3, v6
	v_ldexp_f32 v6, v18, v6
	v_add_f32_e32 v18, -1.0, v3
	v_add_f32_e32 v7, 1.0, v18
	v_sub_f32_e32 v7, v3, v7
	v_add_f32_e32 v19, v6, v7
	v_add_f32_e32 v7, 1.0, v3
	v_add_f32_e32 v32, -1.0, v7
	v_sub_f32_e32 v3, v3, v32
	v_add_f32_e32 v3, v6, v3
	v_add_f32_e32 v37, v7, v3
	v_rcp_f32_e32 v38, v37
	v_sub_f32_e32 v6, v7, v37
	v_add_f32_e32 v7, v18, v19
	v_add_f32_e32 v3, v3, v6
	v_mul_f32_e32 v48, v7, v38
	v_sub_f32_e32 v6, v18, v7
	v_mul_f32_e32 v18, v37, v48
	v_fma_f32 v32, v48, v37, -v18
	v_fmac_f32_e32 v32, v48, v3
	v_add_f32_e32 v39, v19, v6
	v_add_f32_e32 v6, v18, v32
	v_sub_f32_e32 v19, v7, v6
	v_pk_add_f32 v[34:35], v[6:7], v[18:19] neg_lo:[0,1] neg_hi:[0,1]
	v_mov_b32_e32 v33, v6
	v_pk_add_f32 v[6:7], v[34:35], v[32:33] neg_lo:[0,1] neg_hi:[0,1]
	v_cmp_eq_f32_e32 vcc, s6, v11
	v_add_f32_e32 v7, v39, v7
	v_add_f32_e32 v6, v6, v7
	;; [unrolled: 1-line block ×3, first 2 shown]
	v_mul_f32_e32 v39, v38, v7
	v_mul_f32_e32 v18, v37, v39
	v_fma_f32 v32, v39, v37, -v18
	v_fmac_f32_e32 v32, v39, v3
	v_sub_f32_e32 v3, v19, v7
	v_add_f32_e32 v3, v6, v3
	v_add_f32_e32 v6, v18, v32
	v_sub_f32_e32 v19, v7, v6
	v_pk_add_f32 v[34:35], v[6:7], v[18:19] neg_lo:[0,1] neg_hi:[0,1]
	v_mov_b32_e32 v33, v6
	v_pk_add_f32 v[6:7], v[34:35], v[32:33] neg_lo:[0,1] neg_hi:[0,1]
	v_cvt_f32_i32_e32 v18, v36
	v_add_f32_e32 v3, v3, v7
	v_add_f32_e32 v3, v6, v3
	;; [unrolled: 1-line block ×4, first 2 shown]
	v_sub_f32_e32 v7, v6, v48
	v_mul_f32_e32 v3, v38, v3
	v_sub_f32_e32 v7, v39, v7
	v_add_f32_e32 v3, v7, v3
	v_add_f32_e32 v19, v6, v3
	v_mul_f32_e32 v32, v19, v19
	v_mov_b32_e32 v7, 0x3ecc95a3
	v_fmac_f32_e32 v7, 0x3e9b6dac, v32
	v_sub_f32_e32 v6, v19, v6
	v_fmaak_f32 v7, v32, v7, 0x3f2aaada
	v_sub_f32_e32 v3, v3, v6
	v_ldexp_f32 v33, v19, 1
	v_mul_f32_e32 v19, v19, v32
	v_mov_b32_e32 v6, 0x3f317218
	v_pk_mul_f32 v[6:7], v[18:19], v[6:7]
	v_ldexp_f32 v3, v3, 1
	v_fma_f32 v19, v18, s5, -v6
	v_fmamk_f32 v32, v18, 0xb102e308, v19
	v_pk_add_f32 v[18:19], v[6:7], v[32:33]
	v_mov_b32_e32 v34, v6
	v_sub_f32_e32 v33, v19, v33
	v_sub_f32_e32 v33, v7, v33
	v_add_f32_e32 v35, v3, v33
	v_pk_add_f32 v[6:7], v[18:19], v[6:7] neg_lo:[0,1] neg_hi:[0,1]
	v_pk_add_f32 v[36:37], v[18:19], v[34:35]
	v_mov_b32_e32 v33, v18
	v_mov_b32_e32 v7, v37
	v_pk_add_f32 v[38:39], v[32:33], v[6:7] neg_lo:[0,1] neg_hi:[0,1]
	v_pk_add_f32 v[6:7], v[32:33], v[6:7]
	v_mov_b32_e32 v34, v35
	v_mov_b32_e32 v32, v7
	v_pk_add_f32 v[48:49], v[32:33], v[18:19] neg_lo:[0,1] neg_hi:[0,1]
	v_mov_b32_e32 v6, v37
	v_mov_b32_e32 v3, v48
	v_pk_add_f32 v[102:103], v[36:37], v[2:3] neg_lo:[0,1] neg_hi:[0,1]
	v_mov_b32_e32 v36, v19
	v_mov_b32_e32 v37, v48
	;; [unrolled: 1-line block ×3, first 2 shown]
	v_pk_add_f32 v[6:7], v[6:7], v[36:37] neg_lo:[0,1] neg_hi:[0,1]
	v_mov_b32_e32 v35, v18
	v_pk_add_f32 v[6:7], v[34:35], v[6:7] neg_lo:[0,1] neg_hi:[0,1]
	v_mov_b32_e32 v102, v38
	v_pk_add_f32 v[18:19], v[102:103], v[6:7]
	s_mov_b32 s5, 0x33800000
	v_mov_b32_e32 v34, v19
	v_pk_add_f32 v[34:35], v[18:19], v[34:35]
	v_cmp_lt_f32_e64 s[6:7], |v11|, s5
	v_pk_add_f32 v[32:33], v[32:33], v[34:35]
	v_mov_b32_e32 v7, v34
	v_mov_b32_e32 v19, v32
	v_pk_add_f32 v[36:37], v[18:19], v[38:39] neg_lo:[0,1] neg_hi:[0,1]
	s_or_b64 vcc, vcc, s[6:7]
	v_sub_f32_e32 v3, v18, v36
	v_pk_add_f32 v[6:7], v[6:7], v[36:37] neg_lo:[0,1] neg_hi:[0,1]
	v_sub_f32_e32 v3, v38, v3
	v_add_f32_e32 v3, v6, v3
	v_add_f32_e32 v3, v3, v7
	v_add_f32_e32 v3, v32, v3
	v_cndmask_b32_e32 v3, v3, v11, vcc
	v_add_f32_e32 v67, v2, v3
.LBB93_384:
	s_or_b64 exec, exec, s[2:3]
	v_max_f32_e32 v2, v67, v67
	v_min_f32_e32 v3, v2, v68
	v_cmp_u_f32_e32 vcc, v67, v67
	v_max_f32_e32 v2, v2, v68
	v_mov_b32_e32 v68, v67
	v_cndmask_b32_e32 v3, v3, v67, vcc
	v_cndmask_b32_e32 v2, v2, v67, vcc
	v_cndmask_b32_e64 v3, v3, v28, s[24:25]
	v_cndmask_b32_e64 v2, v2, v28, s[24:25]
	v_cmp_neq_f32_e32 vcc, v3, v2
	v_cmp_class_f32_e64 s[2:3], v3, s4
	s_or_b64 s[4:5], vcc, s[2:3]
	s_and_saveexec_b64 s[2:3], s[4:5]
	s_cbranch_execz .LBB93_386
; %bb.385:
	v_sub_f32_e32 v3, v3, v2
	s_mov_b32 s4, 0x3fb8aa3b
	v_mul_f32_e32 v6, 0x3fb8aa3b, v3
	v_fma_f32 v7, v3, s4, -v6
	v_rndne_f32_e32 v11, v6
	v_fmamk_f32 v7, v3, 0x32a5705f, v7
	v_sub_f32_e32 v6, v6, v11
	v_add_f32_e32 v6, v6, v7
	v_exp_f32_e32 v6, v6
	v_cvt_i32_f32_e32 v7, v11
	s_mov_b32 s4, 0xc2ce8ed0
	v_cmp_ngt_f32_e32 vcc, s4, v3
	s_mov_b32 s4, 0x42b17218
	v_ldexp_f32 v6, v6, v7
	v_cndmask_b32_e32 v6, 0, v6, vcc
	v_mov_b32_e32 v7, 0x7f800000
	v_cmp_nlt_f32_e32 vcc, s4, v3
	s_mov_b32 s4, 0x3f2aaaab
	s_mov_b32 s5, 0x7f800000
	v_cndmask_b32_e32 v11, v7, v6, vcc
	v_add_f32_e32 v3, 1.0, v11
	v_add_f32_e32 v6, -1.0, v3
	v_sub_f32_e32 v7, v6, v3
	v_add_f32_e32 v7, 1.0, v7
	v_sub_f32_e32 v6, v11, v6
	v_add_f32_e32 v18, v6, v7
	v_frexp_mant_f32_e32 v19, v3
	v_cvt_f64_f32_e32 v[6:7], v3
	v_frexp_exp_i32_f64_e32 v6, v[6:7]
	v_cmp_gt_f32_e32 vcc, s4, v19
	s_mov_b32 s4, 0x3f317218
	s_nop 0
	v_subbrev_co_u32_e32 v28, vcc, 0, v6, vcc
	v_sub_u32_e32 v6, 0, v28
	v_ldexp_f32 v3, v3, v6
	v_ldexp_f32 v6, v18, v6
	v_add_f32_e32 v18, -1.0, v3
	v_add_f32_e32 v7, 1.0, v18
	v_sub_f32_e32 v7, v3, v7
	v_add_f32_e32 v19, v6, v7
	v_add_f32_e32 v7, 1.0, v3
	v_add_f32_e32 v32, -1.0, v7
	v_sub_f32_e32 v3, v3, v32
	v_add_f32_e32 v3, v6, v3
	v_add_f32_e32 v36, v7, v3
	v_rcp_f32_e32 v37, v36
	v_sub_f32_e32 v6, v7, v36
	v_add_f32_e32 v7, v18, v19
	v_add_f32_e32 v3, v3, v6
	v_mul_f32_e32 v39, v7, v37
	v_sub_f32_e32 v6, v18, v7
	v_mul_f32_e32 v18, v36, v39
	v_fma_f32 v32, v39, v36, -v18
	v_fmac_f32_e32 v32, v39, v3
	v_add_f32_e32 v38, v19, v6
	v_add_f32_e32 v6, v18, v32
	v_sub_f32_e32 v19, v7, v6
	v_pk_add_f32 v[34:35], v[6:7], v[18:19] neg_lo:[0,1] neg_hi:[0,1]
	v_mov_b32_e32 v33, v6
	v_pk_add_f32 v[6:7], v[34:35], v[32:33] neg_lo:[0,1] neg_hi:[0,1]
	v_cmp_eq_f32_e32 vcc, s5, v11
	v_add_f32_e32 v7, v38, v7
	v_add_f32_e32 v6, v6, v7
	;; [unrolled: 1-line block ×3, first 2 shown]
	v_mul_f32_e32 v38, v37, v7
	v_mul_f32_e32 v18, v36, v38
	v_fma_f32 v32, v38, v36, -v18
	v_fmac_f32_e32 v32, v38, v3
	v_sub_f32_e32 v3, v19, v7
	v_add_f32_e32 v3, v6, v3
	v_add_f32_e32 v6, v18, v32
	v_sub_f32_e32 v19, v7, v6
	v_pk_add_f32 v[34:35], v[6:7], v[18:19] neg_lo:[0,1] neg_hi:[0,1]
	v_mov_b32_e32 v33, v6
	v_pk_add_f32 v[6:7], v[34:35], v[32:33] neg_lo:[0,1] neg_hi:[0,1]
	v_cvt_f32_i32_e32 v18, v28
	v_add_f32_e32 v3, v3, v7
	v_add_f32_e32 v3, v6, v3
	;; [unrolled: 1-line block ×4, first 2 shown]
	v_sub_f32_e32 v7, v6, v39
	v_mul_f32_e32 v3, v37, v3
	v_sub_f32_e32 v7, v38, v7
	v_add_f32_e32 v3, v7, v3
	v_add_f32_e32 v19, v6, v3
	v_mul_f32_e32 v32, v19, v19
	v_mov_b32_e32 v7, 0x3ecc95a3
	v_fmac_f32_e32 v7, 0x3e9b6dac, v32
	v_sub_f32_e32 v6, v19, v6
	v_fmaak_f32 v7, v32, v7, 0x3f2aaada
	v_sub_f32_e32 v3, v3, v6
	v_ldexp_f32 v33, v19, 1
	v_mul_f32_e32 v19, v19, v32
	v_mov_b32_e32 v6, 0x3f317218
	v_pk_mul_f32 v[6:7], v[18:19], v[6:7]
	v_ldexp_f32 v3, v3, 1
	v_fma_f32 v19, v18, s4, -v6
	v_fmamk_f32 v32, v18, 0xb102e308, v19
	v_pk_add_f32 v[18:19], v[6:7], v[32:33]
	v_mov_b32_e32 v34, v6
	v_sub_f32_e32 v28, v19, v33
	v_sub_f32_e32 v28, v7, v28
	v_add_f32_e32 v35, v3, v28
	v_pk_add_f32 v[6:7], v[18:19], v[6:7] neg_lo:[0,1] neg_hi:[0,1]
	v_pk_add_f32 v[36:37], v[18:19], v[34:35]
	v_mov_b32_e32 v33, v18
	v_mov_b32_e32 v7, v37
	v_pk_add_f32 v[38:39], v[32:33], v[6:7] neg_lo:[0,1] neg_hi:[0,1]
	v_pk_add_f32 v[6:7], v[32:33], v[6:7]
	s_mov_b32 s4, 0x33800000
	v_mov_b32_e32 v28, v7
	v_pk_add_f32 v[32:33], v[28:29], v[18:19] neg_lo:[0,1] neg_hi:[0,1]
	v_mov_b32_e32 v6, v37
	v_mov_b32_e32 v3, v32
	v_pk_add_f32 v[48:49], v[36:37], v[2:3] neg_lo:[0,1] neg_hi:[0,1]
	v_mov_b32_e32 v36, v19
	v_mov_b32_e32 v37, v32
	;; [unrolled: 1-line block ×3, first 2 shown]
	v_pk_add_f32 v[6:7], v[6:7], v[36:37] neg_lo:[0,1] neg_hi:[0,1]
	v_mov_b32_e32 v32, v35
	v_mov_b32_e32 v33, v18
	v_pk_add_f32 v[6:7], v[32:33], v[6:7] neg_lo:[0,1] neg_hi:[0,1]
	v_mov_b32_e32 v48, v38
	v_pk_add_f32 v[18:19], v[48:49], v[6:7]
	v_cmp_lt_f32_e64 s[4:5], |v11|, s4
	v_mov_b32_e32 v32, v19
	v_pk_add_f32 v[32:33], v[18:19], v[32:33]
	s_or_b64 vcc, vcc, s[4:5]
	v_pk_add_f32 v[34:35], v[28:29], v[32:33]
	v_mov_b32_e32 v7, v32
	v_mov_b32_e32 v19, v34
	v_pk_add_f32 v[36:37], v[18:19], v[38:39] neg_lo:[0,1] neg_hi:[0,1]
	s_nop 0
	v_sub_f32_e32 v3, v18, v36
	v_pk_add_f32 v[6:7], v[6:7], v[36:37] neg_lo:[0,1] neg_hi:[0,1]
	v_sub_f32_e32 v3, v38, v3
	v_add_f32_e32 v3, v6, v3
	v_add_f32_e32 v3, v3, v7
	;; [unrolled: 1-line block ×3, first 2 shown]
	v_cndmask_b32_e32 v3, v3, v11, vcc
	v_add_f32_e32 v68, v2, v3
.LBB93_386:
	s_or_b64 exec, exec, s[2:3]
	v_max_f32_e32 v2, v68, v68
	v_min_f32_e32 v3, v2, v69
	v_cmp_u_f32_e32 vcc, v68, v68
	v_max_f32_e32 v2, v2, v69
	s_movk_i32 s4, 0x1f8
	v_cndmask_b32_e32 v3, v3, v68, vcc
	v_cndmask_b32_e32 v2, v2, v68, vcc
	v_cndmask_b32_e64 v3, v3, v29, s[26:27]
	v_cndmask_b32_e64 v2, v2, v29, s[26:27]
	v_cmp_neq_f32_e32 vcc, v3, v2
	v_cmp_class_f32_e64 s[2:3], v3, s4
	s_or_b64 s[6:7], vcc, s[2:3]
	v_mov_b32_e32 v69, v68
	s_and_saveexec_b64 s[2:3], s[6:7]
	s_cbranch_execz .LBB93_388
; %bb.387:
	v_sub_f32_e32 v3, v3, v2
	s_mov_b32 s5, 0x3fb8aa3b
	v_mul_f32_e32 v6, 0x3fb8aa3b, v3
	v_fma_f32 v7, v3, s5, -v6
	v_rndne_f32_e32 v11, v6
	v_fmamk_f32 v7, v3, 0x32a5705f, v7
	v_sub_f32_e32 v6, v6, v11
	v_add_f32_e32 v6, v6, v7
	v_exp_f32_e32 v6, v6
	v_cvt_i32_f32_e32 v7, v11
	s_mov_b32 s5, 0xc2ce8ed0
	v_cmp_ngt_f32_e32 vcc, s5, v3
	s_mov_b32 s5, 0x42b17218
	v_ldexp_f32 v6, v6, v7
	v_cndmask_b32_e32 v6, 0, v6, vcc
	v_mov_b32_e32 v7, 0x7f800000
	v_cmp_nlt_f32_e32 vcc, s5, v3
	s_mov_b32 s5, 0x3f2aaaab
	s_mov_b32 s6, 0x7f800000
	v_cndmask_b32_e32 v11, v7, v6, vcc
	v_add_f32_e32 v3, 1.0, v11
	v_add_f32_e32 v6, -1.0, v3
	v_sub_f32_e32 v7, v6, v3
	v_add_f32_e32 v7, 1.0, v7
	v_sub_f32_e32 v6, v11, v6
	v_add_f32_e32 v18, v6, v7
	v_frexp_mant_f32_e32 v19, v3
	v_cvt_f64_f32_e32 v[6:7], v3
	v_frexp_exp_i32_f64_e32 v6, v[6:7]
	v_cmp_gt_f32_e32 vcc, s5, v19
	s_mov_b32 s5, 0x3f317218
	s_nop 0
	v_subbrev_co_u32_e32 v34, vcc, 0, v6, vcc
	v_sub_u32_e32 v6, 0, v34
	v_ldexp_f32 v3, v3, v6
	v_ldexp_f32 v6, v18, v6
	v_add_f32_e32 v18, -1.0, v3
	v_add_f32_e32 v7, 1.0, v18
	v_sub_f32_e32 v7, v3, v7
	v_add_f32_e32 v19, v6, v7
	v_add_f32_e32 v7, 1.0, v3
	v_add_f32_e32 v28, -1.0, v7
	v_sub_f32_e32 v3, v3, v28
	v_add_f32_e32 v3, v6, v3
	v_add_f32_e32 v35, v7, v3
	v_rcp_f32_e32 v36, v35
	v_sub_f32_e32 v6, v7, v35
	v_add_f32_e32 v7, v18, v19
	v_add_f32_e32 v3, v3, v6
	v_mul_f32_e32 v38, v7, v36
	v_sub_f32_e32 v6, v18, v7
	v_mul_f32_e32 v18, v35, v38
	v_fma_f32 v28, v38, v35, -v18
	v_fmac_f32_e32 v28, v38, v3
	v_add_f32_e32 v37, v19, v6
	v_add_f32_e32 v6, v18, v28
	v_sub_f32_e32 v19, v7, v6
	v_pk_add_f32 v[32:33], v[6:7], v[18:19] neg_lo:[0,1] neg_hi:[0,1]
	v_mov_b32_e32 v29, v6
	v_pk_add_f32 v[6:7], v[32:33], v[28:29] neg_lo:[0,1] neg_hi:[0,1]
	v_cmp_eq_f32_e32 vcc, s6, v11
	v_add_f32_e32 v7, v37, v7
	v_add_f32_e32 v6, v6, v7
	;; [unrolled: 1-line block ×3, first 2 shown]
	v_mul_f32_e32 v37, v36, v7
	v_mul_f32_e32 v18, v35, v37
	v_fma_f32 v28, v37, v35, -v18
	v_fmac_f32_e32 v28, v37, v3
	v_sub_f32_e32 v3, v19, v7
	v_add_f32_e32 v3, v6, v3
	v_add_f32_e32 v6, v18, v28
	v_sub_f32_e32 v19, v7, v6
	v_pk_add_f32 v[32:33], v[6:7], v[18:19] neg_lo:[0,1] neg_hi:[0,1]
	v_mov_b32_e32 v29, v6
	v_pk_add_f32 v[6:7], v[32:33], v[28:29] neg_lo:[0,1] neg_hi:[0,1]
	v_cvt_f32_i32_e32 v18, v34
	v_add_f32_e32 v3, v3, v7
	v_add_f32_e32 v3, v6, v3
	v_add_f32_e32 v6, v38, v37
	v_add_f32_e32 v3, v19, v3
	v_sub_f32_e32 v7, v6, v38
	v_mul_f32_e32 v3, v36, v3
	v_sub_f32_e32 v7, v37, v7
	v_add_f32_e32 v3, v7, v3
	v_add_f32_e32 v19, v6, v3
	v_mul_f32_e32 v28, v19, v19
	v_mov_b32_e32 v7, 0x3ecc95a3
	v_fmac_f32_e32 v7, 0x3e9b6dac, v28
	v_sub_f32_e32 v6, v19, v6
	v_fmaak_f32 v7, v28, v7, 0x3f2aaada
	v_sub_f32_e32 v3, v3, v6
	v_ldexp_f32 v29, v19, 1
	v_mul_f32_e32 v19, v19, v28
	v_mov_b32_e32 v6, 0x3f317218
	v_pk_mul_f32 v[6:7], v[18:19], v[6:7]
	v_ldexp_f32 v3, v3, 1
	v_fma_f32 v19, v18, s5, -v6
	v_fmamk_f32 v28, v18, 0xb102e308, v19
	v_pk_add_f32 v[18:19], v[6:7], v[28:29]
	v_mov_b32_e32 v32, v6
	v_sub_f32_e32 v29, v19, v29
	v_sub_f32_e32 v29, v7, v29
	v_add_f32_e32 v33, v3, v29
	v_pk_add_f32 v[6:7], v[18:19], v[6:7] neg_lo:[0,1] neg_hi:[0,1]
	v_pk_add_f32 v[34:35], v[18:19], v[32:33]
	v_mov_b32_e32 v29, v18
	v_mov_b32_e32 v7, v35
	v_pk_add_f32 v[36:37], v[28:29], v[6:7] neg_lo:[0,1] neg_hi:[0,1]
	v_pk_add_f32 v[6:7], v[28:29], v[6:7]
	v_mov_b32_e32 v32, v33
	v_mov_b32_e32 v28, v7
	v_pk_add_f32 v[38:39], v[28:29], v[18:19] neg_lo:[0,1] neg_hi:[0,1]
	v_mov_b32_e32 v6, v35
	v_mov_b32_e32 v3, v38
	v_pk_add_f32 v[48:49], v[34:35], v[2:3] neg_lo:[0,1] neg_hi:[0,1]
	v_mov_b32_e32 v34, v19
	v_mov_b32_e32 v35, v38
	;; [unrolled: 1-line block ×3, first 2 shown]
	v_pk_add_f32 v[6:7], v[6:7], v[34:35] neg_lo:[0,1] neg_hi:[0,1]
	v_mov_b32_e32 v33, v18
	v_pk_add_f32 v[6:7], v[32:33], v[6:7] neg_lo:[0,1] neg_hi:[0,1]
	v_mov_b32_e32 v48, v36
	v_pk_add_f32 v[18:19], v[48:49], v[6:7]
	s_mov_b32 s5, 0x33800000
	v_mov_b32_e32 v32, v19
	v_pk_add_f32 v[32:33], v[18:19], v[32:33]
	v_cmp_lt_f32_e64 s[6:7], |v11|, s5
	v_pk_add_f32 v[28:29], v[28:29], v[32:33]
	v_mov_b32_e32 v7, v32
	v_mov_b32_e32 v19, v28
	v_pk_add_f32 v[34:35], v[18:19], v[36:37] neg_lo:[0,1] neg_hi:[0,1]
	s_or_b64 vcc, vcc, s[6:7]
	v_sub_f32_e32 v3, v18, v34
	v_pk_add_f32 v[6:7], v[6:7], v[34:35] neg_lo:[0,1] neg_hi:[0,1]
	v_sub_f32_e32 v3, v36, v3
	v_add_f32_e32 v3, v6, v3
	v_add_f32_e32 v3, v3, v7
	;; [unrolled: 1-line block ×3, first 2 shown]
	v_cndmask_b32_e32 v3, v3, v11, vcc
	v_add_f32_e32 v69, v2, v3
.LBB93_388:
	s_or_b64 exec, exec, s[2:3]
	v_max_f32_e32 v2, v69, v69
	v_min_f32_e32 v3, v2, v70
	v_cmp_u_f32_e32 vcc, v69, v69
	v_max_f32_e32 v2, v2, v70
	v_mov_b32_e32 v70, v69
	v_cndmask_b32_e32 v3, v3, v69, vcc
	v_cndmask_b32_e32 v2, v2, v69, vcc
	v_cndmask_b32_e64 v3, v3, v30, s[28:29]
	v_cndmask_b32_e64 v2, v2, v30, s[28:29]
	v_cmp_neq_f32_e32 vcc, v3, v2
	v_cmp_class_f32_e64 s[2:3], v3, s4
	s_or_b64 s[4:5], vcc, s[2:3]
	s_and_saveexec_b64 s[2:3], s[4:5]
	s_cbranch_execz .LBB93_390
; %bb.389:
	v_sub_f32_e32 v3, v3, v2
	s_mov_b32 s4, 0x3fb8aa3b
	v_mul_f32_e32 v6, 0x3fb8aa3b, v3
	v_fma_f32 v7, v3, s4, -v6
	v_rndne_f32_e32 v11, v6
	v_fmamk_f32 v7, v3, 0x32a5705f, v7
	v_sub_f32_e32 v6, v6, v11
	v_add_f32_e32 v6, v6, v7
	v_exp_f32_e32 v6, v6
	v_cvt_i32_f32_e32 v7, v11
	s_mov_b32 s4, 0xc2ce8ed0
	v_cmp_ngt_f32_e32 vcc, s4, v3
	s_mov_b32 s4, 0x42b17218
	v_ldexp_f32 v6, v6, v7
	v_cndmask_b32_e32 v6, 0, v6, vcc
	v_mov_b32_e32 v7, 0x7f800000
	v_cmp_nlt_f32_e32 vcc, s4, v3
	s_mov_b32 s4, 0x3f2aaaab
	s_mov_b32 s5, 0x7f800000
	v_cndmask_b32_e32 v11, v7, v6, vcc
	v_add_f32_e32 v3, 1.0, v11
	v_add_f32_e32 v6, -1.0, v3
	v_sub_f32_e32 v7, v6, v3
	v_add_f32_e32 v7, 1.0, v7
	v_sub_f32_e32 v6, v11, v6
	v_add_f32_e32 v18, v6, v7
	v_frexp_mant_f32_e32 v19, v3
	v_cvt_f64_f32_e32 v[6:7], v3
	v_frexp_exp_i32_f64_e32 v6, v[6:7]
	v_cmp_gt_f32_e32 vcc, s4, v19
	s_mov_b32 s4, 0x3f317218
	s_nop 0
	v_subbrev_co_u32_e32 v30, vcc, 0, v6, vcc
	v_sub_u32_e32 v6, 0, v30
	v_ldexp_f32 v3, v3, v6
	v_ldexp_f32 v6, v18, v6
	v_add_f32_e32 v18, -1.0, v3
	v_add_f32_e32 v7, 1.0, v18
	v_sub_f32_e32 v7, v3, v7
	v_add_f32_e32 v19, v6, v7
	v_add_f32_e32 v7, 1.0, v3
	v_add_f32_e32 v28, -1.0, v7
	v_sub_f32_e32 v3, v3, v28
	v_add_f32_e32 v3, v6, v3
	v_add_f32_e32 v34, v7, v3
	v_rcp_f32_e32 v35, v34
	v_sub_f32_e32 v6, v7, v34
	v_add_f32_e32 v7, v18, v19
	v_add_f32_e32 v3, v3, v6
	v_mul_f32_e32 v37, v7, v35
	v_sub_f32_e32 v6, v18, v7
	v_mul_f32_e32 v18, v34, v37
	v_fma_f32 v28, v37, v34, -v18
	v_fmac_f32_e32 v28, v37, v3
	v_add_f32_e32 v36, v19, v6
	v_add_f32_e32 v6, v18, v28
	v_sub_f32_e32 v19, v7, v6
	v_pk_add_f32 v[32:33], v[6:7], v[18:19] neg_lo:[0,1] neg_hi:[0,1]
	v_mov_b32_e32 v29, v6
	v_pk_add_f32 v[6:7], v[32:33], v[28:29] neg_lo:[0,1] neg_hi:[0,1]
	v_cmp_eq_f32_e32 vcc, s5, v11
	v_add_f32_e32 v7, v36, v7
	v_add_f32_e32 v6, v6, v7
	;; [unrolled: 1-line block ×3, first 2 shown]
	v_mul_f32_e32 v36, v35, v7
	v_mul_f32_e32 v18, v34, v36
	v_fma_f32 v28, v36, v34, -v18
	v_fmac_f32_e32 v28, v36, v3
	v_sub_f32_e32 v3, v19, v7
	v_add_f32_e32 v3, v6, v3
	v_add_f32_e32 v6, v18, v28
	v_sub_f32_e32 v19, v7, v6
	v_pk_add_f32 v[32:33], v[6:7], v[18:19] neg_lo:[0,1] neg_hi:[0,1]
	v_mov_b32_e32 v29, v6
	v_pk_add_f32 v[6:7], v[32:33], v[28:29] neg_lo:[0,1] neg_hi:[0,1]
	v_cvt_f32_i32_e32 v18, v30
	v_add_f32_e32 v3, v3, v7
	v_add_f32_e32 v3, v6, v3
	;; [unrolled: 1-line block ×4, first 2 shown]
	v_sub_f32_e32 v7, v6, v37
	v_mul_f32_e32 v3, v35, v3
	v_sub_f32_e32 v7, v36, v7
	v_add_f32_e32 v3, v7, v3
	v_add_f32_e32 v19, v6, v3
	v_mul_f32_e32 v28, v19, v19
	v_mov_b32_e32 v7, 0x3ecc95a3
	v_fmac_f32_e32 v7, 0x3e9b6dac, v28
	v_sub_f32_e32 v6, v19, v6
	v_fmaak_f32 v7, v28, v7, 0x3f2aaada
	v_sub_f32_e32 v3, v3, v6
	v_ldexp_f32 v29, v19, 1
	v_mul_f32_e32 v19, v19, v28
	v_mov_b32_e32 v6, 0x3f317218
	v_pk_mul_f32 v[6:7], v[18:19], v[6:7]
	v_ldexp_f32 v3, v3, 1
	v_fma_f32 v19, v18, s4, -v6
	v_fmamk_f32 v28, v18, 0xb102e308, v19
	v_pk_add_f32 v[18:19], v[6:7], v[28:29]
	v_mov_b32_e32 v32, v6
	v_sub_f32_e32 v29, v19, v29
	v_sub_f32_e32 v29, v7, v29
	v_add_f32_e32 v33, v3, v29
	v_pk_add_f32 v[6:7], v[18:19], v[6:7] neg_lo:[0,1] neg_hi:[0,1]
	v_pk_add_f32 v[34:35], v[18:19], v[32:33]
	v_mov_b32_e32 v29, v18
	v_mov_b32_e32 v7, v35
	v_pk_add_f32 v[36:37], v[28:29], v[6:7] neg_lo:[0,1] neg_hi:[0,1]
	v_pk_add_f32 v[6:7], v[28:29], v[6:7]
	v_mov_b32_e32 v32, v33
	v_mov_b32_e32 v28, v7
	v_pk_add_f32 v[38:39], v[28:29], v[18:19] neg_lo:[0,1] neg_hi:[0,1]
	v_mov_b32_e32 v6, v35
	v_mov_b32_e32 v3, v38
	v_pk_add_f32 v[48:49], v[34:35], v[2:3] neg_lo:[0,1] neg_hi:[0,1]
	v_mov_b32_e32 v34, v19
	v_mov_b32_e32 v35, v38
	;; [unrolled: 1-line block ×3, first 2 shown]
	v_pk_add_f32 v[6:7], v[6:7], v[34:35] neg_lo:[0,1] neg_hi:[0,1]
	v_mov_b32_e32 v33, v18
	v_pk_add_f32 v[6:7], v[32:33], v[6:7] neg_lo:[0,1] neg_hi:[0,1]
	v_mov_b32_e32 v48, v36
	v_pk_add_f32 v[18:19], v[48:49], v[6:7]
	s_mov_b32 s4, 0x33800000
	v_mov_b32_e32 v30, v19
	v_pk_add_f32 v[32:33], v[18:19], v[30:31]
	v_cmp_lt_f32_e64 s[4:5], |v11|, s4
	v_pk_add_f32 v[28:29], v[28:29], v[32:33]
	v_mov_b32_e32 v7, v32
	v_mov_b32_e32 v19, v28
	v_pk_add_f32 v[34:35], v[18:19], v[36:37] neg_lo:[0,1] neg_hi:[0,1]
	s_or_b64 vcc, vcc, s[4:5]
	v_sub_f32_e32 v3, v18, v34
	v_pk_add_f32 v[6:7], v[6:7], v[34:35] neg_lo:[0,1] neg_hi:[0,1]
	v_sub_f32_e32 v3, v36, v3
	v_add_f32_e32 v3, v6, v3
	v_add_f32_e32 v3, v3, v7
	;; [unrolled: 1-line block ×3, first 2 shown]
	v_cndmask_b32_e32 v3, v3, v11, vcc
	v_add_f32_e32 v70, v2, v3
.LBB93_390:
	s_or_b64 exec, exec, s[2:3]
	v_max_f32_e32 v2, v70, v70
	v_min_f32_e32 v3, v2, v71
	v_cmp_u_f32_e32 vcc, v70, v70
	v_max_f32_e32 v2, v2, v71
	s_movk_i32 s4, 0x1f8
	v_cndmask_b32_e32 v3, v3, v70, vcc
	v_cndmask_b32_e32 v2, v2, v70, vcc
	v_cndmask_b32_e64 v3, v3, v31, s[30:31]
	v_cndmask_b32_e64 v2, v2, v31, s[30:31]
	v_cmp_neq_f32_e32 vcc, v3, v2
	v_cmp_class_f32_e64 s[2:3], v3, s4
	s_or_b64 s[6:7], vcc, s[2:3]
	v_mov_b32_e32 v71, v70
	s_and_saveexec_b64 s[2:3], s[6:7]
	s_cbranch_execz .LBB93_392
; %bb.391:
	v_sub_f32_e32 v3, v3, v2
	s_mov_b32 s5, 0x3fb8aa3b
	v_mul_f32_e32 v6, 0x3fb8aa3b, v3
	v_fma_f32 v7, v3, s5, -v6
	v_rndne_f32_e32 v11, v6
	v_fmamk_f32 v7, v3, 0x32a5705f, v7
	v_sub_f32_e32 v6, v6, v11
	v_add_f32_e32 v6, v6, v7
	v_exp_f32_e32 v6, v6
	v_cvt_i32_f32_e32 v7, v11
	s_mov_b32 s5, 0xc2ce8ed0
	v_cmp_ngt_f32_e32 vcc, s5, v3
	s_mov_b32 s5, 0x42b17218
	v_ldexp_f32 v6, v6, v7
	v_cndmask_b32_e32 v6, 0, v6, vcc
	v_mov_b32_e32 v7, 0x7f800000
	v_cmp_nlt_f32_e32 vcc, s5, v3
	s_mov_b32 s5, 0x3f2aaaab
	s_mov_b32 s6, 0x7f800000
	v_cndmask_b32_e32 v11, v7, v6, vcc
	v_add_f32_e32 v3, 1.0, v11
	v_add_f32_e32 v6, -1.0, v3
	v_sub_f32_e32 v7, v6, v3
	v_add_f32_e32 v7, 1.0, v7
	v_sub_f32_e32 v6, v11, v6
	v_add_f32_e32 v18, v6, v7
	v_frexp_mant_f32_e32 v19, v3
	v_cvt_f64_f32_e32 v[6:7], v3
	v_frexp_exp_i32_f64_e32 v6, v[6:7]
	v_cmp_gt_f32_e32 vcc, s5, v19
	s_mov_b32 s5, 0x3f317218
	s_nop 0
	v_subbrev_co_u32_e32 v32, vcc, 0, v6, vcc
	v_sub_u32_e32 v6, 0, v32
	v_ldexp_f32 v3, v3, v6
	v_ldexp_f32 v6, v18, v6
	v_add_f32_e32 v18, -1.0, v3
	v_add_f32_e32 v7, 1.0, v18
	v_sub_f32_e32 v7, v3, v7
	v_add_f32_e32 v19, v6, v7
	v_add_f32_e32 v7, 1.0, v3
	v_add_f32_e32 v28, -1.0, v7
	v_sub_f32_e32 v3, v3, v28
	v_add_f32_e32 v3, v6, v3
	v_add_f32_e32 v33, v7, v3
	v_rcp_f32_e32 v34, v33
	v_sub_f32_e32 v6, v7, v33
	v_add_f32_e32 v7, v18, v19
	v_add_f32_e32 v3, v3, v6
	v_mul_f32_e32 v36, v7, v34
	v_sub_f32_e32 v6, v18, v7
	v_mul_f32_e32 v18, v33, v36
	v_fma_f32 v28, v36, v33, -v18
	v_fmac_f32_e32 v28, v36, v3
	v_add_f32_e32 v35, v19, v6
	v_add_f32_e32 v6, v18, v28
	v_sub_f32_e32 v19, v7, v6
	v_pk_add_f32 v[30:31], v[6:7], v[18:19] neg_lo:[0,1] neg_hi:[0,1]
	v_mov_b32_e32 v29, v6
	v_pk_add_f32 v[6:7], v[30:31], v[28:29] neg_lo:[0,1] neg_hi:[0,1]
	v_cmp_eq_f32_e32 vcc, s6, v11
	v_add_f32_e32 v7, v35, v7
	v_add_f32_e32 v6, v6, v7
	;; [unrolled: 1-line block ×3, first 2 shown]
	v_mul_f32_e32 v35, v34, v7
	v_mul_f32_e32 v18, v33, v35
	v_fma_f32 v28, v35, v33, -v18
	v_fmac_f32_e32 v28, v35, v3
	v_sub_f32_e32 v3, v19, v7
	v_add_f32_e32 v3, v6, v3
	v_add_f32_e32 v6, v18, v28
	v_sub_f32_e32 v19, v7, v6
	v_pk_add_f32 v[30:31], v[6:7], v[18:19] neg_lo:[0,1] neg_hi:[0,1]
	v_mov_b32_e32 v29, v6
	v_pk_add_f32 v[6:7], v[30:31], v[28:29] neg_lo:[0,1] neg_hi:[0,1]
	v_cvt_f32_i32_e32 v18, v32
	v_add_f32_e32 v3, v3, v7
	v_add_f32_e32 v3, v6, v3
	;; [unrolled: 1-line block ×4, first 2 shown]
	v_sub_f32_e32 v7, v6, v36
	v_mul_f32_e32 v3, v34, v3
	v_sub_f32_e32 v7, v35, v7
	v_add_f32_e32 v3, v7, v3
	v_add_f32_e32 v19, v6, v3
	v_mul_f32_e32 v28, v19, v19
	v_mov_b32_e32 v7, 0x3ecc95a3
	v_fmac_f32_e32 v7, 0x3e9b6dac, v28
	v_sub_f32_e32 v6, v19, v6
	v_fmaak_f32 v7, v28, v7, 0x3f2aaada
	v_sub_f32_e32 v3, v3, v6
	v_ldexp_f32 v29, v19, 1
	v_mul_f32_e32 v19, v19, v28
	v_mov_b32_e32 v6, 0x3f317218
	v_pk_mul_f32 v[6:7], v[18:19], v[6:7]
	v_ldexp_f32 v3, v3, 1
	v_fma_f32 v19, v18, s5, -v6
	v_fmamk_f32 v28, v18, 0xb102e308, v19
	v_pk_add_f32 v[18:19], v[6:7], v[28:29]
	v_mov_b32_e32 v30, v6
	v_sub_f32_e32 v29, v19, v29
	v_sub_f32_e32 v29, v7, v29
	v_add_f32_e32 v31, v3, v29
	v_pk_add_f32 v[6:7], v[18:19], v[6:7] neg_lo:[0,1] neg_hi:[0,1]
	v_pk_add_f32 v[32:33], v[18:19], v[30:31]
	v_mov_b32_e32 v29, v18
	v_mov_b32_e32 v7, v33
	v_pk_add_f32 v[34:35], v[28:29], v[6:7] neg_lo:[0,1] neg_hi:[0,1]
	v_pk_add_f32 v[6:7], v[28:29], v[6:7]
	v_mov_b32_e32 v30, v31
	v_mov_b32_e32 v28, v7
	v_pk_add_f32 v[36:37], v[28:29], v[18:19] neg_lo:[0,1] neg_hi:[0,1]
	v_mov_b32_e32 v6, v33
	v_mov_b32_e32 v3, v36
	v_pk_add_f32 v[38:39], v[32:33], v[2:3] neg_lo:[0,1] neg_hi:[0,1]
	v_mov_b32_e32 v32, v19
	v_mov_b32_e32 v33, v36
	;; [unrolled: 1-line block ×3, first 2 shown]
	v_pk_add_f32 v[6:7], v[6:7], v[32:33] neg_lo:[0,1] neg_hi:[0,1]
	v_mov_b32_e32 v31, v18
	v_pk_add_f32 v[6:7], v[30:31], v[6:7] neg_lo:[0,1] neg_hi:[0,1]
	v_mov_b32_e32 v38, v34
	v_pk_add_f32 v[18:19], v[38:39], v[6:7]
	s_mov_b32 s5, 0x33800000
	v_mov_b32_e32 v30, v19
	v_pk_add_f32 v[30:31], v[18:19], v[30:31]
	v_cmp_lt_f32_e64 s[6:7], |v11|, s5
	v_pk_add_f32 v[28:29], v[28:29], v[30:31]
	v_mov_b32_e32 v7, v30
	v_mov_b32_e32 v19, v28
	v_pk_add_f32 v[32:33], v[18:19], v[34:35] neg_lo:[0,1] neg_hi:[0,1]
	s_or_b64 vcc, vcc, s[6:7]
	v_sub_f32_e32 v3, v18, v32
	v_pk_add_f32 v[6:7], v[6:7], v[32:33] neg_lo:[0,1] neg_hi:[0,1]
	v_sub_f32_e32 v3, v34, v3
	v_add_f32_e32 v3, v6, v3
	v_add_f32_e32 v3, v3, v7
	;; [unrolled: 1-line block ×3, first 2 shown]
	v_cndmask_b32_e32 v3, v3, v11, vcc
	v_add_f32_e32 v71, v2, v3
.LBB93_392:
	s_or_b64 exec, exec, s[2:3]
	v_max_f32_e32 v2, v71, v71
	v_min_f32_e32 v3, v2, v80
	v_cmp_u_f32_e32 vcc, v71, v71
	v_max_f32_e32 v2, v2, v80
	v_mov_b32_e32 v80, v71
	v_cndmask_b32_e32 v3, v3, v71, vcc
	v_cndmask_b32_e32 v2, v2, v71, vcc
	v_cndmask_b32_e64 v3, v3, v24, s[34:35]
	v_cndmask_b32_e64 v2, v2, v24, s[34:35]
	v_cmp_neq_f32_e32 vcc, v3, v2
	v_cmp_class_f32_e64 s[2:3], v3, s4
	s_or_b64 s[4:5], vcc, s[2:3]
	s_and_saveexec_b64 s[2:3], s[4:5]
	s_cbranch_execz .LBB93_394
; %bb.393:
	v_sub_f32_e32 v3, v3, v2
	s_mov_b32 s4, 0x3fb8aa3b
	v_mul_f32_e32 v6, 0x3fb8aa3b, v3
	v_fma_f32 v7, v3, s4, -v6
	v_rndne_f32_e32 v11, v6
	v_fmamk_f32 v7, v3, 0x32a5705f, v7
	v_sub_f32_e32 v6, v6, v11
	v_add_f32_e32 v6, v6, v7
	v_exp_f32_e32 v6, v6
	v_cvt_i32_f32_e32 v7, v11
	s_mov_b32 s4, 0xc2ce8ed0
	v_cmp_ngt_f32_e32 vcc, s4, v3
	s_mov_b32 s4, 0x42b17218
	v_ldexp_f32 v6, v6, v7
	v_cndmask_b32_e32 v6, 0, v6, vcc
	v_mov_b32_e32 v7, 0x7f800000
	v_cmp_nlt_f32_e32 vcc, s4, v3
	s_mov_b32 s4, 0x3f2aaaab
	s_mov_b32 s5, 0x7f800000
	v_cndmask_b32_e32 v11, v7, v6, vcc
	v_add_f32_e32 v3, 1.0, v11
	v_add_f32_e32 v6, -1.0, v3
	v_sub_f32_e32 v7, v6, v3
	v_add_f32_e32 v7, 1.0, v7
	v_sub_f32_e32 v6, v11, v6
	v_add_f32_e32 v18, v6, v7
	v_frexp_mant_f32_e32 v19, v3
	v_cvt_f64_f32_e32 v[6:7], v3
	v_frexp_exp_i32_f64_e32 v6, v[6:7]
	v_cmp_gt_f32_e32 vcc, s4, v19
	s_mov_b32 s4, 0x3f317218
	s_nop 0
	v_subbrev_co_u32_e32 v24, vcc, 0, v6, vcc
	v_sub_u32_e32 v6, 0, v24
	v_ldexp_f32 v3, v3, v6
	v_ldexp_f32 v6, v18, v6
	v_add_f32_e32 v18, -1.0, v3
	v_add_f32_e32 v7, 1.0, v18
	v_sub_f32_e32 v7, v3, v7
	v_add_f32_e32 v19, v6, v7
	v_add_f32_e32 v7, 1.0, v3
	v_add_f32_e32 v28, -1.0, v7
	v_sub_f32_e32 v3, v3, v28
	v_add_f32_e32 v3, v6, v3
	v_add_f32_e32 v32, v7, v3
	v_rcp_f32_e32 v33, v32
	v_sub_f32_e32 v6, v7, v32
	v_add_f32_e32 v7, v18, v19
	v_add_f32_e32 v3, v3, v6
	v_mul_f32_e32 v35, v7, v33
	v_sub_f32_e32 v6, v18, v7
	v_mul_f32_e32 v18, v32, v35
	v_fma_f32 v28, v35, v32, -v18
	v_fmac_f32_e32 v28, v35, v3
	v_add_f32_e32 v34, v19, v6
	v_add_f32_e32 v6, v18, v28
	v_sub_f32_e32 v19, v7, v6
	v_pk_add_f32 v[30:31], v[6:7], v[18:19] neg_lo:[0,1] neg_hi:[0,1]
	v_mov_b32_e32 v29, v6
	v_pk_add_f32 v[6:7], v[30:31], v[28:29] neg_lo:[0,1] neg_hi:[0,1]
	v_cmp_eq_f32_e32 vcc, s5, v11
	v_add_f32_e32 v7, v34, v7
	v_add_f32_e32 v6, v6, v7
	v_add_f32_e32 v7, v19, v6
	v_mul_f32_e32 v34, v33, v7
	v_mul_f32_e32 v18, v32, v34
	v_fma_f32 v28, v34, v32, -v18
	v_fmac_f32_e32 v28, v34, v3
	v_sub_f32_e32 v3, v19, v7
	v_add_f32_e32 v3, v6, v3
	v_add_f32_e32 v6, v18, v28
	v_sub_f32_e32 v19, v7, v6
	v_pk_add_f32 v[30:31], v[6:7], v[18:19] neg_lo:[0,1] neg_hi:[0,1]
	v_mov_b32_e32 v29, v6
	v_pk_add_f32 v[6:7], v[30:31], v[28:29] neg_lo:[0,1] neg_hi:[0,1]
	v_cvt_f32_i32_e32 v18, v24
	v_add_f32_e32 v3, v3, v7
	v_add_f32_e32 v3, v6, v3
	;; [unrolled: 1-line block ×4, first 2 shown]
	v_sub_f32_e32 v7, v6, v35
	v_mul_f32_e32 v3, v33, v3
	v_sub_f32_e32 v7, v34, v7
	v_add_f32_e32 v3, v7, v3
	v_add_f32_e32 v19, v6, v3
	v_mul_f32_e32 v28, v19, v19
	v_mov_b32_e32 v7, 0x3ecc95a3
	v_fmac_f32_e32 v7, 0x3e9b6dac, v28
	v_sub_f32_e32 v6, v19, v6
	v_fmaak_f32 v7, v28, v7, 0x3f2aaada
	v_sub_f32_e32 v3, v3, v6
	v_ldexp_f32 v29, v19, 1
	v_mul_f32_e32 v19, v19, v28
	v_mov_b32_e32 v6, 0x3f317218
	v_pk_mul_f32 v[6:7], v[18:19], v[6:7]
	v_ldexp_f32 v3, v3, 1
	v_fma_f32 v19, v18, s4, -v6
	v_fmamk_f32 v28, v18, 0xb102e308, v19
	v_pk_add_f32 v[18:19], v[6:7], v[28:29]
	v_mov_b32_e32 v30, v6
	v_sub_f32_e32 v24, v19, v29
	v_sub_f32_e32 v24, v7, v24
	v_add_f32_e32 v31, v3, v24
	v_pk_add_f32 v[6:7], v[18:19], v[6:7] neg_lo:[0,1] neg_hi:[0,1]
	v_pk_add_f32 v[32:33], v[18:19], v[30:31]
	v_mov_b32_e32 v29, v18
	v_mov_b32_e32 v7, v33
	v_pk_add_f32 v[34:35], v[28:29], v[6:7] neg_lo:[0,1] neg_hi:[0,1]
	v_pk_add_f32 v[6:7], v[28:29], v[6:7]
	s_mov_b32 s4, 0x33800000
	v_mov_b32_e32 v24, v7
	v_pk_add_f32 v[28:29], v[24:25], v[18:19] neg_lo:[0,1] neg_hi:[0,1]
	v_mov_b32_e32 v6, v33
	v_mov_b32_e32 v3, v28
	v_pk_add_f32 v[36:37], v[32:33], v[2:3] neg_lo:[0,1] neg_hi:[0,1]
	v_mov_b32_e32 v32, v19
	v_mov_b32_e32 v33, v28
	;; [unrolled: 1-line block ×3, first 2 shown]
	v_pk_add_f32 v[6:7], v[6:7], v[32:33] neg_lo:[0,1] neg_hi:[0,1]
	v_mov_b32_e32 v28, v31
	v_mov_b32_e32 v29, v18
	v_pk_add_f32 v[6:7], v[28:29], v[6:7] neg_lo:[0,1] neg_hi:[0,1]
	v_mov_b32_e32 v36, v34
	v_pk_add_f32 v[18:19], v[36:37], v[6:7]
	v_cmp_lt_f32_e64 s[4:5], |v11|, s4
	v_mov_b32_e32 v28, v19
	v_pk_add_f32 v[28:29], v[18:19], v[28:29]
	s_or_b64 vcc, vcc, s[4:5]
	v_pk_add_f32 v[30:31], v[24:25], v[28:29]
	v_mov_b32_e32 v7, v28
	v_mov_b32_e32 v19, v30
	v_pk_add_f32 v[32:33], v[18:19], v[34:35] neg_lo:[0,1] neg_hi:[0,1]
	s_nop 0
	v_sub_f32_e32 v3, v18, v32
	v_pk_add_f32 v[6:7], v[6:7], v[32:33] neg_lo:[0,1] neg_hi:[0,1]
	v_sub_f32_e32 v3, v34, v3
	v_add_f32_e32 v3, v6, v3
	v_add_f32_e32 v3, v3, v7
	;; [unrolled: 1-line block ×3, first 2 shown]
	v_cndmask_b32_e32 v3, v3, v11, vcc
	v_add_f32_e32 v80, v2, v3
.LBB93_394:
	s_or_b64 exec, exec, s[2:3]
	v_max_f32_e32 v2, v80, v80
	v_min_f32_e32 v3, v2, v81
	v_cmp_u_f32_e32 vcc, v80, v80
	v_max_f32_e32 v2, v2, v81
	s_movk_i32 s4, 0x1f8
	v_cndmask_b32_e32 v3, v3, v80, vcc
	v_cndmask_b32_e32 v2, v2, v80, vcc
	v_cndmask_b32_e64 v3, v3, v25, s[36:37]
	v_cndmask_b32_e64 v2, v2, v25, s[36:37]
	v_cmp_neq_f32_e32 vcc, v3, v2
	v_cmp_class_f32_e64 s[2:3], v3, s4
	s_or_b64 s[6:7], vcc, s[2:3]
	v_mov_b32_e32 v81, v80
	s_and_saveexec_b64 s[2:3], s[6:7]
	s_cbranch_execz .LBB93_396
; %bb.395:
	v_sub_f32_e32 v3, v3, v2
	s_mov_b32 s5, 0x3fb8aa3b
	v_mul_f32_e32 v6, 0x3fb8aa3b, v3
	v_fma_f32 v7, v3, s5, -v6
	v_rndne_f32_e32 v11, v6
	v_fmamk_f32 v7, v3, 0x32a5705f, v7
	v_sub_f32_e32 v6, v6, v11
	v_add_f32_e32 v6, v6, v7
	v_exp_f32_e32 v6, v6
	v_cvt_i32_f32_e32 v7, v11
	s_mov_b32 s5, 0xc2ce8ed0
	v_cmp_ngt_f32_e32 vcc, s5, v3
	s_mov_b32 s5, 0x42b17218
	v_ldexp_f32 v6, v6, v7
	v_cndmask_b32_e32 v6, 0, v6, vcc
	v_mov_b32_e32 v7, 0x7f800000
	v_cmp_nlt_f32_e32 vcc, s5, v3
	s_mov_b32 s5, 0x3f2aaaab
	s_mov_b32 s6, 0x7f800000
	v_cndmask_b32_e32 v11, v7, v6, vcc
	v_add_f32_e32 v3, 1.0, v11
	v_add_f32_e32 v6, -1.0, v3
	v_sub_f32_e32 v7, v6, v3
	v_add_f32_e32 v7, 1.0, v7
	v_sub_f32_e32 v6, v11, v6
	v_add_f32_e32 v18, v6, v7
	v_frexp_mant_f32_e32 v19, v3
	v_cvt_f64_f32_e32 v[6:7], v3
	v_frexp_exp_i32_f64_e32 v6, v[6:7]
	v_cmp_gt_f32_e32 vcc, s5, v19
	s_mov_b32 s5, 0x3f317218
	s_nop 0
	v_subbrev_co_u32_e32 v30, vcc, 0, v6, vcc
	v_sub_u32_e32 v6, 0, v30
	v_ldexp_f32 v3, v3, v6
	v_ldexp_f32 v6, v18, v6
	v_add_f32_e32 v18, -1.0, v3
	v_add_f32_e32 v7, 1.0, v18
	v_sub_f32_e32 v7, v3, v7
	v_add_f32_e32 v19, v6, v7
	v_add_f32_e32 v7, 1.0, v3
	v_add_f32_e32 v24, -1.0, v7
	v_sub_f32_e32 v3, v3, v24
	v_add_f32_e32 v3, v6, v3
	v_add_f32_e32 v31, v7, v3
	v_rcp_f32_e32 v32, v31
	v_sub_f32_e32 v6, v7, v31
	v_add_f32_e32 v7, v18, v19
	v_add_f32_e32 v3, v3, v6
	v_mul_f32_e32 v34, v7, v32
	v_sub_f32_e32 v6, v18, v7
	v_mul_f32_e32 v18, v31, v34
	v_fma_f32 v24, v34, v31, -v18
	v_fmac_f32_e32 v24, v34, v3
	v_add_f32_e32 v33, v19, v6
	v_add_f32_e32 v6, v18, v24
	v_sub_f32_e32 v19, v7, v6
	v_pk_add_f32 v[28:29], v[6:7], v[18:19] neg_lo:[0,1] neg_hi:[0,1]
	v_mov_b32_e32 v25, v6
	v_pk_add_f32 v[6:7], v[28:29], v[24:25] neg_lo:[0,1] neg_hi:[0,1]
	v_cmp_eq_f32_e32 vcc, s6, v11
	v_add_f32_e32 v7, v33, v7
	v_add_f32_e32 v6, v6, v7
	;; [unrolled: 1-line block ×3, first 2 shown]
	v_mul_f32_e32 v33, v32, v7
	v_mul_f32_e32 v18, v31, v33
	v_fma_f32 v24, v33, v31, -v18
	v_fmac_f32_e32 v24, v33, v3
	v_sub_f32_e32 v3, v19, v7
	v_add_f32_e32 v3, v6, v3
	v_add_f32_e32 v6, v18, v24
	v_sub_f32_e32 v19, v7, v6
	v_pk_add_f32 v[28:29], v[6:7], v[18:19] neg_lo:[0,1] neg_hi:[0,1]
	v_mov_b32_e32 v25, v6
	v_pk_add_f32 v[6:7], v[28:29], v[24:25] neg_lo:[0,1] neg_hi:[0,1]
	v_cvt_f32_i32_e32 v18, v30
	v_add_f32_e32 v3, v3, v7
	v_add_f32_e32 v3, v6, v3
	;; [unrolled: 1-line block ×4, first 2 shown]
	v_sub_f32_e32 v7, v6, v34
	v_mul_f32_e32 v3, v32, v3
	v_sub_f32_e32 v7, v33, v7
	v_add_f32_e32 v3, v7, v3
	v_add_f32_e32 v19, v6, v3
	v_mul_f32_e32 v24, v19, v19
	v_mov_b32_e32 v7, 0x3ecc95a3
	v_fmac_f32_e32 v7, 0x3e9b6dac, v24
	v_sub_f32_e32 v6, v19, v6
	v_fmaak_f32 v7, v24, v7, 0x3f2aaada
	v_sub_f32_e32 v3, v3, v6
	v_ldexp_f32 v25, v19, 1
	v_mul_f32_e32 v19, v19, v24
	v_mov_b32_e32 v6, 0x3f317218
	v_pk_mul_f32 v[6:7], v[18:19], v[6:7]
	v_ldexp_f32 v3, v3, 1
	v_fma_f32 v19, v18, s5, -v6
	v_fmamk_f32 v24, v18, 0xb102e308, v19
	v_pk_add_f32 v[18:19], v[6:7], v[24:25]
	v_mov_b32_e32 v28, v6
	v_sub_f32_e32 v25, v19, v25
	v_sub_f32_e32 v25, v7, v25
	v_add_f32_e32 v29, v3, v25
	v_pk_add_f32 v[6:7], v[18:19], v[6:7] neg_lo:[0,1] neg_hi:[0,1]
	v_pk_add_f32 v[30:31], v[18:19], v[28:29]
	v_mov_b32_e32 v25, v18
	v_mov_b32_e32 v7, v31
	v_pk_add_f32 v[32:33], v[24:25], v[6:7] neg_lo:[0,1] neg_hi:[0,1]
	v_pk_add_f32 v[6:7], v[24:25], v[6:7]
	v_mov_b32_e32 v28, v29
	v_mov_b32_e32 v24, v7
	v_pk_add_f32 v[34:35], v[24:25], v[18:19] neg_lo:[0,1] neg_hi:[0,1]
	v_mov_b32_e32 v6, v31
	v_mov_b32_e32 v3, v34
	v_pk_add_f32 v[36:37], v[30:31], v[2:3] neg_lo:[0,1] neg_hi:[0,1]
	v_mov_b32_e32 v30, v19
	v_mov_b32_e32 v31, v34
	;; [unrolled: 1-line block ×3, first 2 shown]
	v_pk_add_f32 v[6:7], v[6:7], v[30:31] neg_lo:[0,1] neg_hi:[0,1]
	v_mov_b32_e32 v29, v18
	v_pk_add_f32 v[6:7], v[28:29], v[6:7] neg_lo:[0,1] neg_hi:[0,1]
	v_mov_b32_e32 v36, v32
	v_pk_add_f32 v[18:19], v[36:37], v[6:7]
	s_mov_b32 s5, 0x33800000
	v_mov_b32_e32 v28, v19
	v_pk_add_f32 v[28:29], v[18:19], v[28:29]
	v_cmp_lt_f32_e64 s[6:7], |v11|, s5
	v_pk_add_f32 v[24:25], v[24:25], v[28:29]
	v_mov_b32_e32 v7, v28
	v_mov_b32_e32 v19, v24
	v_pk_add_f32 v[30:31], v[18:19], v[32:33] neg_lo:[0,1] neg_hi:[0,1]
	s_or_b64 vcc, vcc, s[6:7]
	v_sub_f32_e32 v3, v18, v30
	v_pk_add_f32 v[6:7], v[6:7], v[30:31] neg_lo:[0,1] neg_hi:[0,1]
	v_sub_f32_e32 v3, v32, v3
	v_add_f32_e32 v3, v6, v3
	v_add_f32_e32 v3, v3, v7
	v_add_f32_e32 v3, v24, v3
	v_cndmask_b32_e32 v3, v3, v11, vcc
	v_add_f32_e32 v81, v2, v3
.LBB93_396:
	s_or_b64 exec, exec, s[2:3]
	v_max_f32_e32 v2, v81, v81
	v_min_f32_e32 v3, v2, v82
	v_cmp_u_f32_e32 vcc, v81, v81
	v_max_f32_e32 v2, v2, v82
	v_mov_b32_e32 v82, v81
	v_cndmask_b32_e32 v3, v3, v81, vcc
	v_cndmask_b32_e32 v2, v2, v81, vcc
	v_cndmask_b32_e64 v3, v3, v26, s[38:39]
	v_cndmask_b32_e64 v2, v2, v26, s[38:39]
	v_cmp_neq_f32_e32 vcc, v3, v2
	v_cmp_class_f32_e64 s[2:3], v3, s4
	s_or_b64 s[4:5], vcc, s[2:3]
	s_and_saveexec_b64 s[2:3], s[4:5]
	s_cbranch_execz .LBB93_398
; %bb.397:
	v_sub_f32_e32 v3, v3, v2
	s_mov_b32 s4, 0x3fb8aa3b
	v_mul_f32_e32 v6, 0x3fb8aa3b, v3
	v_fma_f32 v7, v3, s4, -v6
	v_rndne_f32_e32 v11, v6
	v_fmamk_f32 v7, v3, 0x32a5705f, v7
	v_sub_f32_e32 v6, v6, v11
	v_add_f32_e32 v6, v6, v7
	v_exp_f32_e32 v6, v6
	v_cvt_i32_f32_e32 v7, v11
	s_mov_b32 s4, 0xc2ce8ed0
	v_cmp_ngt_f32_e32 vcc, s4, v3
	s_mov_b32 s4, 0x42b17218
	v_ldexp_f32 v6, v6, v7
	v_cndmask_b32_e32 v6, 0, v6, vcc
	v_mov_b32_e32 v7, 0x7f800000
	v_cmp_nlt_f32_e32 vcc, s4, v3
	s_mov_b32 s4, 0x3f2aaaab
	s_mov_b32 s5, 0x7f800000
	v_cndmask_b32_e32 v11, v7, v6, vcc
	v_add_f32_e32 v3, 1.0, v11
	v_add_f32_e32 v6, -1.0, v3
	v_sub_f32_e32 v7, v6, v3
	v_add_f32_e32 v7, 1.0, v7
	v_sub_f32_e32 v6, v11, v6
	v_add_f32_e32 v18, v6, v7
	v_frexp_mant_f32_e32 v19, v3
	v_cvt_f64_f32_e32 v[6:7], v3
	v_frexp_exp_i32_f64_e32 v6, v[6:7]
	v_cmp_gt_f32_e32 vcc, s4, v19
	s_mov_b32 s4, 0x3f317218
	s_nop 0
	v_subbrev_co_u32_e32 v26, vcc, 0, v6, vcc
	v_sub_u32_e32 v6, 0, v26
	v_ldexp_f32 v3, v3, v6
	v_ldexp_f32 v6, v18, v6
	v_add_f32_e32 v18, -1.0, v3
	v_add_f32_e32 v7, 1.0, v18
	v_sub_f32_e32 v7, v3, v7
	v_add_f32_e32 v19, v6, v7
	v_add_f32_e32 v7, 1.0, v3
	v_add_f32_e32 v24, -1.0, v7
	v_sub_f32_e32 v3, v3, v24
	v_add_f32_e32 v3, v6, v3
	v_add_f32_e32 v30, v7, v3
	v_rcp_f32_e32 v31, v30
	v_sub_f32_e32 v6, v7, v30
	v_add_f32_e32 v7, v18, v19
	v_add_f32_e32 v3, v3, v6
	v_mul_f32_e32 v33, v7, v31
	v_sub_f32_e32 v6, v18, v7
	v_mul_f32_e32 v18, v30, v33
	v_fma_f32 v24, v33, v30, -v18
	v_fmac_f32_e32 v24, v33, v3
	v_add_f32_e32 v32, v19, v6
	v_add_f32_e32 v6, v18, v24
	v_sub_f32_e32 v19, v7, v6
	v_pk_add_f32 v[28:29], v[6:7], v[18:19] neg_lo:[0,1] neg_hi:[0,1]
	v_mov_b32_e32 v25, v6
	v_pk_add_f32 v[6:7], v[28:29], v[24:25] neg_lo:[0,1] neg_hi:[0,1]
	v_cmp_eq_f32_e32 vcc, s5, v11
	v_add_f32_e32 v7, v32, v7
	v_add_f32_e32 v6, v6, v7
	;; [unrolled: 1-line block ×3, first 2 shown]
	v_mul_f32_e32 v32, v31, v7
	v_mul_f32_e32 v18, v30, v32
	v_fma_f32 v24, v32, v30, -v18
	v_fmac_f32_e32 v24, v32, v3
	v_sub_f32_e32 v3, v19, v7
	v_add_f32_e32 v3, v6, v3
	v_add_f32_e32 v6, v18, v24
	v_sub_f32_e32 v19, v7, v6
	v_pk_add_f32 v[28:29], v[6:7], v[18:19] neg_lo:[0,1] neg_hi:[0,1]
	v_mov_b32_e32 v25, v6
	v_pk_add_f32 v[6:7], v[28:29], v[24:25] neg_lo:[0,1] neg_hi:[0,1]
	v_cvt_f32_i32_e32 v18, v26
	v_add_f32_e32 v3, v3, v7
	v_add_f32_e32 v3, v6, v3
	;; [unrolled: 1-line block ×4, first 2 shown]
	v_sub_f32_e32 v7, v6, v33
	v_mul_f32_e32 v3, v31, v3
	v_sub_f32_e32 v7, v32, v7
	v_add_f32_e32 v3, v7, v3
	v_add_f32_e32 v19, v6, v3
	v_mul_f32_e32 v24, v19, v19
	v_mov_b32_e32 v7, 0x3ecc95a3
	v_fmac_f32_e32 v7, 0x3e9b6dac, v24
	v_sub_f32_e32 v6, v19, v6
	v_fmaak_f32 v7, v24, v7, 0x3f2aaada
	v_sub_f32_e32 v3, v3, v6
	v_ldexp_f32 v25, v19, 1
	v_mul_f32_e32 v19, v19, v24
	v_mov_b32_e32 v6, 0x3f317218
	v_pk_mul_f32 v[6:7], v[18:19], v[6:7]
	v_ldexp_f32 v3, v3, 1
	v_fma_f32 v19, v18, s4, -v6
	v_fmamk_f32 v24, v18, 0xb102e308, v19
	v_pk_add_f32 v[18:19], v[6:7], v[24:25]
	v_mov_b32_e32 v28, v6
	v_sub_f32_e32 v25, v19, v25
	v_sub_f32_e32 v25, v7, v25
	v_add_f32_e32 v29, v3, v25
	v_pk_add_f32 v[6:7], v[18:19], v[6:7] neg_lo:[0,1] neg_hi:[0,1]
	v_pk_add_f32 v[30:31], v[18:19], v[28:29]
	v_mov_b32_e32 v25, v18
	v_mov_b32_e32 v7, v31
	v_pk_add_f32 v[32:33], v[24:25], v[6:7] neg_lo:[0,1] neg_hi:[0,1]
	v_pk_add_f32 v[6:7], v[24:25], v[6:7]
	v_mov_b32_e32 v28, v29
	v_mov_b32_e32 v24, v7
	v_pk_add_f32 v[34:35], v[24:25], v[18:19] neg_lo:[0,1] neg_hi:[0,1]
	v_mov_b32_e32 v6, v31
	v_mov_b32_e32 v3, v34
	v_pk_add_f32 v[36:37], v[30:31], v[2:3] neg_lo:[0,1] neg_hi:[0,1]
	v_mov_b32_e32 v30, v19
	v_mov_b32_e32 v31, v34
	;; [unrolled: 1-line block ×3, first 2 shown]
	v_pk_add_f32 v[6:7], v[6:7], v[30:31] neg_lo:[0,1] neg_hi:[0,1]
	v_mov_b32_e32 v29, v18
	v_pk_add_f32 v[6:7], v[28:29], v[6:7] neg_lo:[0,1] neg_hi:[0,1]
	v_mov_b32_e32 v36, v32
	v_pk_add_f32 v[18:19], v[36:37], v[6:7]
	s_mov_b32 s4, 0x33800000
	v_mov_b32_e32 v26, v19
	v_pk_add_f32 v[28:29], v[18:19], v[26:27]
	v_cmp_lt_f32_e64 s[4:5], |v11|, s4
	v_pk_add_f32 v[24:25], v[24:25], v[28:29]
	v_mov_b32_e32 v7, v28
	v_mov_b32_e32 v19, v24
	v_pk_add_f32 v[30:31], v[18:19], v[32:33] neg_lo:[0,1] neg_hi:[0,1]
	s_or_b64 vcc, vcc, s[4:5]
	v_sub_f32_e32 v3, v18, v30
	v_pk_add_f32 v[6:7], v[6:7], v[30:31] neg_lo:[0,1] neg_hi:[0,1]
	v_sub_f32_e32 v3, v32, v3
	v_add_f32_e32 v3, v6, v3
	v_add_f32_e32 v3, v3, v7
	;; [unrolled: 1-line block ×3, first 2 shown]
	v_cndmask_b32_e32 v3, v3, v11, vcc
	v_add_f32_e32 v82, v2, v3
.LBB93_398:
	s_or_b64 exec, exec, s[2:3]
	v_max_f32_e32 v2, v82, v82
	v_min_f32_e32 v3, v2, v83
	v_cmp_u_f32_e32 vcc, v82, v82
	v_max_f32_e32 v2, v2, v83
	s_movk_i32 s4, 0x1f8
	v_cndmask_b32_e32 v3, v3, v82, vcc
	v_cndmask_b32_e32 v2, v2, v82, vcc
	v_cndmask_b32_e64 v3, v3, v27, s[40:41]
	v_cndmask_b32_e64 v2, v2, v27, s[40:41]
	v_cmp_neq_f32_e32 vcc, v3, v2
	v_cmp_class_f32_e64 s[2:3], v3, s4
	s_or_b64 s[6:7], vcc, s[2:3]
	v_mov_b32_e32 v83, v82
	s_and_saveexec_b64 s[2:3], s[6:7]
	s_cbranch_execz .LBB93_400
; %bb.399:
	v_sub_f32_e32 v3, v3, v2
	s_mov_b32 s5, 0x3fb8aa3b
	v_mul_f32_e32 v6, 0x3fb8aa3b, v3
	v_fma_f32 v7, v3, s5, -v6
	v_rndne_f32_e32 v11, v6
	v_fmamk_f32 v7, v3, 0x32a5705f, v7
	v_sub_f32_e32 v6, v6, v11
	v_add_f32_e32 v6, v6, v7
	v_exp_f32_e32 v6, v6
	v_cvt_i32_f32_e32 v7, v11
	s_mov_b32 s5, 0xc2ce8ed0
	v_cmp_ngt_f32_e32 vcc, s5, v3
	s_mov_b32 s5, 0x42b17218
	v_ldexp_f32 v6, v6, v7
	v_cndmask_b32_e32 v6, 0, v6, vcc
	v_mov_b32_e32 v7, 0x7f800000
	v_cmp_nlt_f32_e32 vcc, s5, v3
	s_mov_b32 s5, 0x3f2aaaab
	s_mov_b32 s6, 0x7f800000
	v_cndmask_b32_e32 v11, v7, v6, vcc
	v_add_f32_e32 v3, 1.0, v11
	v_add_f32_e32 v6, -1.0, v3
	v_sub_f32_e32 v7, v6, v3
	v_add_f32_e32 v7, 1.0, v7
	v_sub_f32_e32 v6, v11, v6
	v_add_f32_e32 v18, v6, v7
	v_frexp_mant_f32_e32 v19, v3
	v_cvt_f64_f32_e32 v[6:7], v3
	v_frexp_exp_i32_f64_e32 v6, v[6:7]
	v_cmp_gt_f32_e32 vcc, s5, v19
	s_mov_b32 s5, 0x3f317218
	s_nop 0
	v_subbrev_co_u32_e32 v28, vcc, 0, v6, vcc
	v_sub_u32_e32 v6, 0, v28
	v_ldexp_f32 v3, v3, v6
	v_ldexp_f32 v6, v18, v6
	v_add_f32_e32 v18, -1.0, v3
	v_add_f32_e32 v7, 1.0, v18
	v_sub_f32_e32 v7, v3, v7
	v_add_f32_e32 v19, v6, v7
	v_add_f32_e32 v7, 1.0, v3
	v_add_f32_e32 v24, -1.0, v7
	v_sub_f32_e32 v3, v3, v24
	v_add_f32_e32 v3, v6, v3
	v_add_f32_e32 v29, v7, v3
	v_rcp_f32_e32 v30, v29
	v_sub_f32_e32 v6, v7, v29
	v_add_f32_e32 v7, v18, v19
	v_add_f32_e32 v3, v3, v6
	v_mul_f32_e32 v32, v7, v30
	v_sub_f32_e32 v6, v18, v7
	v_mul_f32_e32 v18, v29, v32
	v_fma_f32 v24, v32, v29, -v18
	v_fmac_f32_e32 v24, v32, v3
	v_add_f32_e32 v31, v19, v6
	v_add_f32_e32 v6, v18, v24
	v_sub_f32_e32 v19, v7, v6
	v_pk_add_f32 v[26:27], v[6:7], v[18:19] neg_lo:[0,1] neg_hi:[0,1]
	v_mov_b32_e32 v25, v6
	v_pk_add_f32 v[6:7], v[26:27], v[24:25] neg_lo:[0,1] neg_hi:[0,1]
	v_cmp_eq_f32_e32 vcc, s6, v11
	v_add_f32_e32 v7, v31, v7
	v_add_f32_e32 v6, v6, v7
	;; [unrolled: 1-line block ×3, first 2 shown]
	v_mul_f32_e32 v31, v30, v7
	v_mul_f32_e32 v18, v29, v31
	v_fma_f32 v24, v31, v29, -v18
	v_fmac_f32_e32 v24, v31, v3
	v_sub_f32_e32 v3, v19, v7
	v_add_f32_e32 v3, v6, v3
	v_add_f32_e32 v6, v18, v24
	v_sub_f32_e32 v19, v7, v6
	v_pk_add_f32 v[26:27], v[6:7], v[18:19] neg_lo:[0,1] neg_hi:[0,1]
	v_mov_b32_e32 v25, v6
	v_pk_add_f32 v[6:7], v[26:27], v[24:25] neg_lo:[0,1] neg_hi:[0,1]
	v_cvt_f32_i32_e32 v18, v28
	v_add_f32_e32 v3, v3, v7
	v_add_f32_e32 v3, v6, v3
	;; [unrolled: 1-line block ×4, first 2 shown]
	v_sub_f32_e32 v7, v6, v32
	v_mul_f32_e32 v3, v30, v3
	v_sub_f32_e32 v7, v31, v7
	v_add_f32_e32 v3, v7, v3
	v_add_f32_e32 v19, v6, v3
	v_mul_f32_e32 v24, v19, v19
	v_mov_b32_e32 v7, 0x3ecc95a3
	v_fmac_f32_e32 v7, 0x3e9b6dac, v24
	v_sub_f32_e32 v6, v19, v6
	v_fmaak_f32 v7, v24, v7, 0x3f2aaada
	v_sub_f32_e32 v3, v3, v6
	v_ldexp_f32 v25, v19, 1
	v_mul_f32_e32 v19, v19, v24
	v_mov_b32_e32 v6, 0x3f317218
	v_pk_mul_f32 v[6:7], v[18:19], v[6:7]
	v_ldexp_f32 v3, v3, 1
	v_fma_f32 v19, v18, s5, -v6
	v_fmamk_f32 v24, v18, 0xb102e308, v19
	v_pk_add_f32 v[18:19], v[6:7], v[24:25]
	v_mov_b32_e32 v26, v6
	v_sub_f32_e32 v25, v19, v25
	v_sub_f32_e32 v25, v7, v25
	v_add_f32_e32 v27, v3, v25
	v_pk_add_f32 v[6:7], v[18:19], v[6:7] neg_lo:[0,1] neg_hi:[0,1]
	v_pk_add_f32 v[28:29], v[18:19], v[26:27]
	v_mov_b32_e32 v25, v18
	v_mov_b32_e32 v7, v29
	v_pk_add_f32 v[30:31], v[24:25], v[6:7] neg_lo:[0,1] neg_hi:[0,1]
	v_pk_add_f32 v[6:7], v[24:25], v[6:7]
	v_mov_b32_e32 v26, v27
	v_mov_b32_e32 v24, v7
	v_pk_add_f32 v[32:33], v[24:25], v[18:19] neg_lo:[0,1] neg_hi:[0,1]
	v_mov_b32_e32 v6, v29
	v_mov_b32_e32 v3, v32
	v_pk_add_f32 v[34:35], v[28:29], v[2:3] neg_lo:[0,1] neg_hi:[0,1]
	v_mov_b32_e32 v28, v19
	v_mov_b32_e32 v29, v32
	;; [unrolled: 1-line block ×3, first 2 shown]
	v_pk_add_f32 v[6:7], v[6:7], v[28:29] neg_lo:[0,1] neg_hi:[0,1]
	v_mov_b32_e32 v27, v18
	v_pk_add_f32 v[6:7], v[26:27], v[6:7] neg_lo:[0,1] neg_hi:[0,1]
	v_mov_b32_e32 v34, v30
	v_pk_add_f32 v[18:19], v[34:35], v[6:7]
	s_mov_b32 s5, 0x33800000
	v_mov_b32_e32 v26, v19
	v_pk_add_f32 v[26:27], v[18:19], v[26:27]
	v_cmp_lt_f32_e64 s[6:7], |v11|, s5
	v_pk_add_f32 v[24:25], v[24:25], v[26:27]
	v_mov_b32_e32 v7, v26
	v_mov_b32_e32 v19, v24
	v_pk_add_f32 v[28:29], v[18:19], v[30:31] neg_lo:[0,1] neg_hi:[0,1]
	s_or_b64 vcc, vcc, s[6:7]
	v_sub_f32_e32 v3, v18, v28
	v_pk_add_f32 v[6:7], v[6:7], v[28:29] neg_lo:[0,1] neg_hi:[0,1]
	v_sub_f32_e32 v3, v30, v3
	v_add_f32_e32 v3, v6, v3
	v_add_f32_e32 v3, v3, v7
	;; [unrolled: 1-line block ×3, first 2 shown]
	v_cndmask_b32_e32 v3, v3, v11, vcc
	v_add_f32_e32 v83, v2, v3
.LBB93_400:
	s_or_b64 exec, exec, s[2:3]
	v_max_f32_e32 v2, v83, v83
	v_min_f32_e32 v3, v2, v84
	v_cmp_u_f32_e32 vcc, v83, v83
	v_max_f32_e32 v2, v2, v84
	v_mov_b32_e32 v84, v83
	v_cndmask_b32_e32 v3, v3, v83, vcc
	v_cndmask_b32_e32 v2, v2, v83, vcc
	v_cndmask_b32_e64 v3, v3, v20, s[42:43]
	v_cndmask_b32_e64 v2, v2, v20, s[42:43]
	v_cmp_neq_f32_e32 vcc, v3, v2
	v_cmp_class_f32_e64 s[2:3], v3, s4
	s_or_b64 s[4:5], vcc, s[2:3]
	s_and_saveexec_b64 s[2:3], s[4:5]
	s_cbranch_execz .LBB93_402
; %bb.401:
	v_sub_f32_e32 v3, v3, v2
	s_mov_b32 s4, 0x3fb8aa3b
	v_mul_f32_e32 v6, 0x3fb8aa3b, v3
	v_fma_f32 v7, v3, s4, -v6
	v_rndne_f32_e32 v11, v6
	v_fmamk_f32 v7, v3, 0x32a5705f, v7
	v_sub_f32_e32 v6, v6, v11
	v_add_f32_e32 v6, v6, v7
	v_exp_f32_e32 v6, v6
	v_cvt_i32_f32_e32 v7, v11
	s_mov_b32 s4, 0xc2ce8ed0
	v_cmp_ngt_f32_e32 vcc, s4, v3
	s_mov_b32 s4, 0x42b17218
	v_ldexp_f32 v6, v6, v7
	v_cndmask_b32_e32 v6, 0, v6, vcc
	v_mov_b32_e32 v7, 0x7f800000
	v_cmp_nlt_f32_e32 vcc, s4, v3
	s_mov_b32 s4, 0x3f2aaaab
	s_mov_b32 s5, 0x7f800000
	v_cndmask_b32_e32 v11, v7, v6, vcc
	v_add_f32_e32 v3, 1.0, v11
	v_add_f32_e32 v6, -1.0, v3
	v_sub_f32_e32 v7, v6, v3
	v_add_f32_e32 v7, 1.0, v7
	v_sub_f32_e32 v6, v11, v6
	v_add_f32_e32 v18, v6, v7
	v_frexp_mant_f32_e32 v19, v3
	v_cvt_f64_f32_e32 v[6:7], v3
	v_frexp_exp_i32_f64_e32 v6, v[6:7]
	v_cmp_gt_f32_e32 vcc, s4, v19
	s_mov_b32 s4, 0x3f317218
	s_nop 0
	v_subbrev_co_u32_e32 v20, vcc, 0, v6, vcc
	v_sub_u32_e32 v6, 0, v20
	v_ldexp_f32 v3, v3, v6
	v_ldexp_f32 v6, v18, v6
	v_add_f32_e32 v18, -1.0, v3
	v_add_f32_e32 v7, 1.0, v18
	v_sub_f32_e32 v7, v3, v7
	v_add_f32_e32 v19, v6, v7
	v_add_f32_e32 v7, 1.0, v3
	v_add_f32_e32 v24, -1.0, v7
	v_sub_f32_e32 v3, v3, v24
	v_add_f32_e32 v3, v6, v3
	v_add_f32_e32 v28, v7, v3
	v_rcp_f32_e32 v29, v28
	v_sub_f32_e32 v6, v7, v28
	v_add_f32_e32 v7, v18, v19
	v_add_f32_e32 v3, v3, v6
	v_mul_f32_e32 v31, v7, v29
	v_sub_f32_e32 v6, v18, v7
	v_mul_f32_e32 v18, v28, v31
	v_fma_f32 v24, v31, v28, -v18
	v_fmac_f32_e32 v24, v31, v3
	v_add_f32_e32 v30, v19, v6
	v_add_f32_e32 v6, v18, v24
	v_sub_f32_e32 v19, v7, v6
	v_pk_add_f32 v[26:27], v[6:7], v[18:19] neg_lo:[0,1] neg_hi:[0,1]
	v_mov_b32_e32 v25, v6
	v_pk_add_f32 v[6:7], v[26:27], v[24:25] neg_lo:[0,1] neg_hi:[0,1]
	v_cmp_eq_f32_e32 vcc, s5, v11
	v_add_f32_e32 v7, v30, v7
	v_add_f32_e32 v6, v6, v7
	;; [unrolled: 1-line block ×3, first 2 shown]
	v_mul_f32_e32 v30, v29, v7
	v_mul_f32_e32 v18, v28, v30
	v_fma_f32 v24, v30, v28, -v18
	v_fmac_f32_e32 v24, v30, v3
	v_sub_f32_e32 v3, v19, v7
	v_add_f32_e32 v3, v6, v3
	v_add_f32_e32 v6, v18, v24
	v_sub_f32_e32 v19, v7, v6
	v_pk_add_f32 v[26:27], v[6:7], v[18:19] neg_lo:[0,1] neg_hi:[0,1]
	v_mov_b32_e32 v25, v6
	v_pk_add_f32 v[6:7], v[26:27], v[24:25] neg_lo:[0,1] neg_hi:[0,1]
	v_cvt_f32_i32_e32 v18, v20
	v_add_f32_e32 v3, v3, v7
	v_add_f32_e32 v3, v6, v3
	;; [unrolled: 1-line block ×4, first 2 shown]
	v_sub_f32_e32 v7, v6, v31
	v_mul_f32_e32 v3, v29, v3
	v_sub_f32_e32 v7, v30, v7
	v_add_f32_e32 v3, v7, v3
	v_add_f32_e32 v19, v6, v3
	v_mul_f32_e32 v24, v19, v19
	v_mov_b32_e32 v7, 0x3ecc95a3
	v_fmac_f32_e32 v7, 0x3e9b6dac, v24
	v_sub_f32_e32 v6, v19, v6
	v_fmaak_f32 v7, v24, v7, 0x3f2aaada
	v_sub_f32_e32 v3, v3, v6
	v_ldexp_f32 v25, v19, 1
	v_mul_f32_e32 v19, v19, v24
	v_mov_b32_e32 v6, 0x3f317218
	v_pk_mul_f32 v[6:7], v[18:19], v[6:7]
	v_ldexp_f32 v3, v3, 1
	v_fma_f32 v19, v18, s4, -v6
	v_fmamk_f32 v24, v18, 0xb102e308, v19
	v_pk_add_f32 v[18:19], v[6:7], v[24:25]
	v_mov_b32_e32 v26, v6
	v_sub_f32_e32 v20, v19, v25
	v_sub_f32_e32 v20, v7, v20
	v_add_f32_e32 v27, v3, v20
	v_pk_add_f32 v[6:7], v[18:19], v[6:7] neg_lo:[0,1] neg_hi:[0,1]
	v_pk_add_f32 v[28:29], v[18:19], v[26:27]
	v_mov_b32_e32 v25, v18
	v_mov_b32_e32 v7, v29
	v_pk_add_f32 v[30:31], v[24:25], v[6:7] neg_lo:[0,1] neg_hi:[0,1]
	v_pk_add_f32 v[6:7], v[24:25], v[6:7]
	s_mov_b32 s4, 0x33800000
	v_mov_b32_e32 v20, v7
	v_pk_add_f32 v[24:25], v[20:21], v[18:19] neg_lo:[0,1] neg_hi:[0,1]
	v_mov_b32_e32 v6, v29
	v_mov_b32_e32 v3, v24
	v_pk_add_f32 v[32:33], v[28:29], v[2:3] neg_lo:[0,1] neg_hi:[0,1]
	v_mov_b32_e32 v28, v19
	v_mov_b32_e32 v29, v24
	;; [unrolled: 1-line block ×3, first 2 shown]
	v_pk_add_f32 v[6:7], v[6:7], v[28:29] neg_lo:[0,1] neg_hi:[0,1]
	v_mov_b32_e32 v24, v27
	v_mov_b32_e32 v25, v18
	v_pk_add_f32 v[6:7], v[24:25], v[6:7] neg_lo:[0,1] neg_hi:[0,1]
	v_mov_b32_e32 v32, v30
	v_pk_add_f32 v[18:19], v[32:33], v[6:7]
	v_cmp_lt_f32_e64 s[4:5], |v11|, s4
	v_mov_b32_e32 v24, v19
	v_pk_add_f32 v[24:25], v[18:19], v[24:25]
	s_or_b64 vcc, vcc, s[4:5]
	v_pk_add_f32 v[26:27], v[20:21], v[24:25]
	v_mov_b32_e32 v7, v24
	v_mov_b32_e32 v19, v26
	v_pk_add_f32 v[28:29], v[18:19], v[30:31] neg_lo:[0,1] neg_hi:[0,1]
	s_nop 0
	v_sub_f32_e32 v3, v18, v28
	v_pk_add_f32 v[6:7], v[6:7], v[28:29] neg_lo:[0,1] neg_hi:[0,1]
	v_sub_f32_e32 v3, v30, v3
	v_add_f32_e32 v3, v6, v3
	v_add_f32_e32 v3, v3, v7
	;; [unrolled: 1-line block ×3, first 2 shown]
	v_cndmask_b32_e32 v3, v3, v11, vcc
	v_add_f32_e32 v84, v2, v3
.LBB93_402:
	s_or_b64 exec, exec, s[2:3]
	v_max_f32_e32 v2, v84, v84
	v_min_f32_e32 v3, v2, v85
	v_cmp_u_f32_e32 vcc, v84, v84
	v_max_f32_e32 v2, v2, v85
	s_movk_i32 s4, 0x1f8
	v_cndmask_b32_e32 v3, v3, v84, vcc
	v_cndmask_b32_e32 v2, v2, v84, vcc
	v_cndmask_b32_e64 v3, v3, v21, s[44:45]
	v_cndmask_b32_e64 v2, v2, v21, s[44:45]
	v_cmp_neq_f32_e32 vcc, v3, v2
	v_cmp_class_f32_e64 s[2:3], v3, s4
	s_or_b64 s[6:7], vcc, s[2:3]
	v_mov_b32_e32 v85, v84
	s_and_saveexec_b64 s[2:3], s[6:7]
	s_cbranch_execz .LBB93_404
; %bb.403:
	v_sub_f32_e32 v3, v3, v2
	s_mov_b32 s5, 0x3fb8aa3b
	v_mul_f32_e32 v6, 0x3fb8aa3b, v3
	v_fma_f32 v7, v3, s5, -v6
	v_rndne_f32_e32 v11, v6
	v_fmamk_f32 v7, v3, 0x32a5705f, v7
	v_sub_f32_e32 v6, v6, v11
	v_add_f32_e32 v6, v6, v7
	v_exp_f32_e32 v6, v6
	v_cvt_i32_f32_e32 v7, v11
	s_mov_b32 s5, 0xc2ce8ed0
	v_cmp_ngt_f32_e32 vcc, s5, v3
	s_mov_b32 s5, 0x42b17218
	v_ldexp_f32 v6, v6, v7
	v_cndmask_b32_e32 v6, 0, v6, vcc
	v_mov_b32_e32 v7, 0x7f800000
	v_cmp_nlt_f32_e32 vcc, s5, v3
	s_mov_b32 s5, 0x3f2aaaab
	s_mov_b32 s6, 0x7f800000
	v_cndmask_b32_e32 v11, v7, v6, vcc
	v_add_f32_e32 v3, 1.0, v11
	v_add_f32_e32 v6, -1.0, v3
	v_sub_f32_e32 v7, v6, v3
	v_add_f32_e32 v7, 1.0, v7
	v_sub_f32_e32 v6, v11, v6
	v_add_f32_e32 v18, v6, v7
	v_frexp_mant_f32_e32 v19, v3
	v_cvt_f64_f32_e32 v[6:7], v3
	v_frexp_exp_i32_f64_e32 v6, v[6:7]
	v_cmp_gt_f32_e32 vcc, s5, v19
	s_mov_b32 s5, 0x3f317218
	s_nop 0
	v_subbrev_co_u32_e32 v26, vcc, 0, v6, vcc
	v_sub_u32_e32 v6, 0, v26
	v_ldexp_f32 v3, v3, v6
	v_ldexp_f32 v6, v18, v6
	v_add_f32_e32 v18, -1.0, v3
	v_add_f32_e32 v7, 1.0, v18
	v_sub_f32_e32 v7, v3, v7
	v_add_f32_e32 v19, v6, v7
	v_add_f32_e32 v7, 1.0, v3
	v_add_f32_e32 v20, -1.0, v7
	v_sub_f32_e32 v3, v3, v20
	v_add_f32_e32 v3, v6, v3
	v_add_f32_e32 v27, v7, v3
	v_rcp_f32_e32 v28, v27
	v_sub_f32_e32 v6, v7, v27
	v_add_f32_e32 v7, v18, v19
	v_add_f32_e32 v3, v3, v6
	v_mul_f32_e32 v30, v7, v28
	v_sub_f32_e32 v6, v18, v7
	v_mul_f32_e32 v18, v27, v30
	v_fma_f32 v20, v30, v27, -v18
	v_fmac_f32_e32 v20, v30, v3
	v_add_f32_e32 v29, v19, v6
	v_add_f32_e32 v6, v18, v20
	v_sub_f32_e32 v19, v7, v6
	v_pk_add_f32 v[24:25], v[6:7], v[18:19] neg_lo:[0,1] neg_hi:[0,1]
	v_mov_b32_e32 v21, v6
	v_pk_add_f32 v[6:7], v[24:25], v[20:21] neg_lo:[0,1] neg_hi:[0,1]
	v_cmp_eq_f32_e32 vcc, s6, v11
	v_add_f32_e32 v7, v29, v7
	v_add_f32_e32 v6, v6, v7
	v_add_f32_e32 v7, v19, v6
	v_mul_f32_e32 v29, v28, v7
	v_mul_f32_e32 v18, v27, v29
	v_fma_f32 v20, v29, v27, -v18
	v_fmac_f32_e32 v20, v29, v3
	v_sub_f32_e32 v3, v19, v7
	v_add_f32_e32 v3, v6, v3
	v_add_f32_e32 v6, v18, v20
	v_sub_f32_e32 v19, v7, v6
	v_pk_add_f32 v[24:25], v[6:7], v[18:19] neg_lo:[0,1] neg_hi:[0,1]
	v_mov_b32_e32 v21, v6
	v_pk_add_f32 v[6:7], v[24:25], v[20:21] neg_lo:[0,1] neg_hi:[0,1]
	v_cvt_f32_i32_e32 v18, v26
	v_add_f32_e32 v3, v3, v7
	v_add_f32_e32 v3, v6, v3
	;; [unrolled: 1-line block ×4, first 2 shown]
	v_sub_f32_e32 v7, v6, v30
	v_mul_f32_e32 v3, v28, v3
	v_sub_f32_e32 v7, v29, v7
	v_add_f32_e32 v3, v7, v3
	v_add_f32_e32 v19, v6, v3
	v_mul_f32_e32 v20, v19, v19
	v_mov_b32_e32 v7, 0x3ecc95a3
	v_fmac_f32_e32 v7, 0x3e9b6dac, v20
	v_sub_f32_e32 v6, v19, v6
	v_fmaak_f32 v7, v20, v7, 0x3f2aaada
	v_sub_f32_e32 v3, v3, v6
	v_ldexp_f32 v21, v19, 1
	v_mul_f32_e32 v19, v19, v20
	v_mov_b32_e32 v6, 0x3f317218
	v_pk_mul_f32 v[6:7], v[18:19], v[6:7]
	v_ldexp_f32 v3, v3, 1
	v_fma_f32 v19, v18, s5, -v6
	v_fmamk_f32 v20, v18, 0xb102e308, v19
	v_pk_add_f32 v[18:19], v[6:7], v[20:21]
	v_mov_b32_e32 v24, v6
	v_sub_f32_e32 v21, v19, v21
	v_sub_f32_e32 v21, v7, v21
	v_add_f32_e32 v25, v3, v21
	v_pk_add_f32 v[6:7], v[18:19], v[6:7] neg_lo:[0,1] neg_hi:[0,1]
	v_pk_add_f32 v[26:27], v[18:19], v[24:25]
	v_mov_b32_e32 v21, v18
	v_mov_b32_e32 v7, v27
	v_pk_add_f32 v[28:29], v[20:21], v[6:7] neg_lo:[0,1] neg_hi:[0,1]
	v_pk_add_f32 v[6:7], v[20:21], v[6:7]
	v_mov_b32_e32 v24, v25
	v_mov_b32_e32 v20, v7
	v_pk_add_f32 v[30:31], v[20:21], v[18:19] neg_lo:[0,1] neg_hi:[0,1]
	v_mov_b32_e32 v6, v27
	v_mov_b32_e32 v3, v30
	v_pk_add_f32 v[32:33], v[26:27], v[2:3] neg_lo:[0,1] neg_hi:[0,1]
	v_mov_b32_e32 v26, v19
	v_mov_b32_e32 v27, v30
	;; [unrolled: 1-line block ×3, first 2 shown]
	v_pk_add_f32 v[6:7], v[6:7], v[26:27] neg_lo:[0,1] neg_hi:[0,1]
	v_mov_b32_e32 v25, v18
	v_pk_add_f32 v[6:7], v[24:25], v[6:7] neg_lo:[0,1] neg_hi:[0,1]
	v_mov_b32_e32 v32, v28
	v_pk_add_f32 v[18:19], v[32:33], v[6:7]
	s_mov_b32 s5, 0x33800000
	v_mov_b32_e32 v24, v19
	v_pk_add_f32 v[24:25], v[18:19], v[24:25]
	v_cmp_lt_f32_e64 s[6:7], |v11|, s5
	v_pk_add_f32 v[20:21], v[20:21], v[24:25]
	v_mov_b32_e32 v7, v24
	v_mov_b32_e32 v19, v20
	v_pk_add_f32 v[26:27], v[18:19], v[28:29] neg_lo:[0,1] neg_hi:[0,1]
	s_or_b64 vcc, vcc, s[6:7]
	v_sub_f32_e32 v3, v18, v26
	v_pk_add_f32 v[6:7], v[6:7], v[26:27] neg_lo:[0,1] neg_hi:[0,1]
	v_sub_f32_e32 v3, v28, v3
	v_add_f32_e32 v3, v6, v3
	v_add_f32_e32 v3, v3, v7
	;; [unrolled: 1-line block ×3, first 2 shown]
	v_cndmask_b32_e32 v3, v3, v11, vcc
	v_add_f32_e32 v85, v2, v3
.LBB93_404:
	s_or_b64 exec, exec, s[2:3]
	v_max_f32_e32 v2, v85, v85
	v_min_f32_e32 v3, v2, v86
	v_cmp_u_f32_e32 vcc, v85, v85
	v_max_f32_e32 v2, v2, v86
	v_mov_b32_e32 v86, v85
	v_cndmask_b32_e32 v3, v3, v85, vcc
	v_cndmask_b32_e32 v2, v2, v85, vcc
	v_cndmask_b32_e64 v3, v3, v22, s[46:47]
	v_cndmask_b32_e64 v2, v2, v22, s[46:47]
	v_cmp_neq_f32_e32 vcc, v3, v2
	v_cmp_class_f32_e64 s[2:3], v3, s4
	s_or_b64 s[4:5], vcc, s[2:3]
	s_and_saveexec_b64 s[2:3], s[4:5]
	s_cbranch_execz .LBB93_406
; %bb.405:
	v_sub_f32_e32 v3, v3, v2
	s_mov_b32 s4, 0x3fb8aa3b
	v_mul_f32_e32 v6, 0x3fb8aa3b, v3
	v_fma_f32 v7, v3, s4, -v6
	v_rndne_f32_e32 v11, v6
	v_fmamk_f32 v7, v3, 0x32a5705f, v7
	v_sub_f32_e32 v6, v6, v11
	v_add_f32_e32 v6, v6, v7
	v_exp_f32_e32 v6, v6
	v_cvt_i32_f32_e32 v7, v11
	s_mov_b32 s4, 0xc2ce8ed0
	v_cmp_ngt_f32_e32 vcc, s4, v3
	s_mov_b32 s4, 0x42b17218
	v_ldexp_f32 v6, v6, v7
	v_cndmask_b32_e32 v6, 0, v6, vcc
	v_mov_b32_e32 v7, 0x7f800000
	v_cmp_nlt_f32_e32 vcc, s4, v3
	s_mov_b32 s4, 0x3f2aaaab
	s_mov_b32 s5, 0x7f800000
	v_cndmask_b32_e32 v11, v7, v6, vcc
	v_add_f32_e32 v3, 1.0, v11
	v_add_f32_e32 v6, -1.0, v3
	v_sub_f32_e32 v7, v6, v3
	v_add_f32_e32 v7, 1.0, v7
	v_sub_f32_e32 v6, v11, v6
	v_add_f32_e32 v18, v6, v7
	v_frexp_mant_f32_e32 v19, v3
	v_cvt_f64_f32_e32 v[6:7], v3
	v_frexp_exp_i32_f64_e32 v6, v[6:7]
	v_cmp_gt_f32_e32 vcc, s4, v19
	s_mov_b32 s4, 0x3f317218
	s_nop 0
	v_subbrev_co_u32_e32 v22, vcc, 0, v6, vcc
	v_sub_u32_e32 v6, 0, v22
	v_ldexp_f32 v3, v3, v6
	v_ldexp_f32 v6, v18, v6
	v_add_f32_e32 v18, -1.0, v3
	v_add_f32_e32 v7, 1.0, v18
	v_sub_f32_e32 v7, v3, v7
	v_add_f32_e32 v19, v6, v7
	v_add_f32_e32 v7, 1.0, v3
	v_add_f32_e32 v20, -1.0, v7
	v_sub_f32_e32 v3, v3, v20
	v_add_f32_e32 v3, v6, v3
	v_add_f32_e32 v26, v7, v3
	v_rcp_f32_e32 v27, v26
	v_sub_f32_e32 v6, v7, v26
	v_add_f32_e32 v7, v18, v19
	v_add_f32_e32 v3, v3, v6
	v_mul_f32_e32 v29, v7, v27
	v_sub_f32_e32 v6, v18, v7
	v_mul_f32_e32 v18, v26, v29
	v_fma_f32 v20, v29, v26, -v18
	v_fmac_f32_e32 v20, v29, v3
	v_add_f32_e32 v28, v19, v6
	v_add_f32_e32 v6, v18, v20
	v_sub_f32_e32 v19, v7, v6
	v_pk_add_f32 v[24:25], v[6:7], v[18:19] neg_lo:[0,1] neg_hi:[0,1]
	v_mov_b32_e32 v21, v6
	v_pk_add_f32 v[6:7], v[24:25], v[20:21] neg_lo:[0,1] neg_hi:[0,1]
	v_cmp_eq_f32_e32 vcc, s5, v11
	v_add_f32_e32 v7, v28, v7
	v_add_f32_e32 v6, v6, v7
	;; [unrolled: 1-line block ×3, first 2 shown]
	v_mul_f32_e32 v28, v27, v7
	v_mul_f32_e32 v18, v26, v28
	v_fma_f32 v20, v28, v26, -v18
	v_fmac_f32_e32 v20, v28, v3
	v_sub_f32_e32 v3, v19, v7
	v_add_f32_e32 v3, v6, v3
	v_add_f32_e32 v6, v18, v20
	v_sub_f32_e32 v19, v7, v6
	v_pk_add_f32 v[24:25], v[6:7], v[18:19] neg_lo:[0,1] neg_hi:[0,1]
	v_mov_b32_e32 v21, v6
	v_pk_add_f32 v[6:7], v[24:25], v[20:21] neg_lo:[0,1] neg_hi:[0,1]
	v_cvt_f32_i32_e32 v18, v22
	v_add_f32_e32 v3, v3, v7
	v_add_f32_e32 v3, v6, v3
	;; [unrolled: 1-line block ×4, first 2 shown]
	v_sub_f32_e32 v7, v6, v29
	v_mul_f32_e32 v3, v27, v3
	v_sub_f32_e32 v7, v28, v7
	v_add_f32_e32 v3, v7, v3
	v_add_f32_e32 v19, v6, v3
	v_mul_f32_e32 v20, v19, v19
	v_mov_b32_e32 v7, 0x3ecc95a3
	v_fmac_f32_e32 v7, 0x3e9b6dac, v20
	v_sub_f32_e32 v6, v19, v6
	v_fmaak_f32 v7, v20, v7, 0x3f2aaada
	v_sub_f32_e32 v3, v3, v6
	v_ldexp_f32 v21, v19, 1
	v_mul_f32_e32 v19, v19, v20
	v_mov_b32_e32 v6, 0x3f317218
	v_pk_mul_f32 v[6:7], v[18:19], v[6:7]
	v_ldexp_f32 v3, v3, 1
	v_fma_f32 v19, v18, s4, -v6
	v_fmamk_f32 v20, v18, 0xb102e308, v19
	v_pk_add_f32 v[18:19], v[6:7], v[20:21]
	v_mov_b32_e32 v24, v6
	v_sub_f32_e32 v21, v19, v21
	v_sub_f32_e32 v21, v7, v21
	v_add_f32_e32 v25, v3, v21
	v_pk_add_f32 v[6:7], v[18:19], v[6:7] neg_lo:[0,1] neg_hi:[0,1]
	v_pk_add_f32 v[26:27], v[18:19], v[24:25]
	v_mov_b32_e32 v21, v18
	v_mov_b32_e32 v7, v27
	v_pk_add_f32 v[28:29], v[20:21], v[6:7] neg_lo:[0,1] neg_hi:[0,1]
	v_pk_add_f32 v[6:7], v[20:21], v[6:7]
	v_mov_b32_e32 v24, v25
	v_mov_b32_e32 v20, v7
	v_pk_add_f32 v[30:31], v[20:21], v[18:19] neg_lo:[0,1] neg_hi:[0,1]
	v_mov_b32_e32 v6, v27
	v_mov_b32_e32 v3, v30
	v_pk_add_f32 v[32:33], v[26:27], v[2:3] neg_lo:[0,1] neg_hi:[0,1]
	v_mov_b32_e32 v26, v19
	v_mov_b32_e32 v27, v30
	;; [unrolled: 1-line block ×3, first 2 shown]
	v_pk_add_f32 v[6:7], v[6:7], v[26:27] neg_lo:[0,1] neg_hi:[0,1]
	v_mov_b32_e32 v25, v18
	v_pk_add_f32 v[6:7], v[24:25], v[6:7] neg_lo:[0,1] neg_hi:[0,1]
	v_mov_b32_e32 v32, v28
	v_pk_add_f32 v[18:19], v[32:33], v[6:7]
	s_mov_b32 s4, 0x33800000
	v_mov_b32_e32 v22, v19
	v_pk_add_f32 v[24:25], v[18:19], v[22:23]
	v_cmp_lt_f32_e64 s[4:5], |v11|, s4
	v_pk_add_f32 v[20:21], v[20:21], v[24:25]
	v_mov_b32_e32 v7, v24
	v_mov_b32_e32 v19, v20
	v_pk_add_f32 v[26:27], v[18:19], v[28:29] neg_lo:[0,1] neg_hi:[0,1]
	s_or_b64 vcc, vcc, s[4:5]
	v_sub_f32_e32 v3, v18, v26
	v_pk_add_f32 v[6:7], v[6:7], v[26:27] neg_lo:[0,1] neg_hi:[0,1]
	v_sub_f32_e32 v3, v28, v3
	v_add_f32_e32 v3, v6, v3
	v_add_f32_e32 v3, v3, v7
	;; [unrolled: 1-line block ×3, first 2 shown]
	v_cndmask_b32_e32 v3, v3, v11, vcc
	v_add_f32_e32 v86, v2, v3
.LBB93_406:
	s_or_b64 exec, exec, s[2:3]
	v_max_f32_e32 v2, v86, v86
	v_min_f32_e32 v3, v2, v87
	v_cmp_u_f32_e32 vcc, v86, v86
	v_max_f32_e32 v2, v2, v87
	s_movk_i32 s2, 0x1f8
	v_cndmask_b32_e32 v3, v3, v86, vcc
	v_cndmask_b32_e32 v2, v2, v86, vcc
	v_cndmask_b32_e64 v3, v3, v23, s[48:49]
	v_cndmask_b32_e64 v2, v2, v23, s[48:49]
	v_cmp_neq_f32_e32 vcc, v3, v2
	v_cmp_class_f32_e64 s[2:3], v3, s2
	s_or_b64 s[4:5], vcc, s[2:3]
	v_mov_b32_e32 v87, v86
	s_and_saveexec_b64 s[2:3], s[4:5]
	s_cbranch_execz .LBB93_408
; %bb.407:
	v_sub_f32_e32 v3, v3, v2
	s_mov_b32 s4, 0x3fb8aa3b
	v_mul_f32_e32 v6, 0x3fb8aa3b, v3
	v_fma_f32 v7, v3, s4, -v6
	v_rndne_f32_e32 v11, v6
	v_fmamk_f32 v7, v3, 0x32a5705f, v7
	v_sub_f32_e32 v6, v6, v11
	v_add_f32_e32 v6, v6, v7
	v_exp_f32_e32 v6, v6
	v_cvt_i32_f32_e32 v7, v11
	s_mov_b32 s4, 0xc2ce8ed0
	v_cmp_ngt_f32_e32 vcc, s4, v3
	s_mov_b32 s4, 0x42b17218
	v_ldexp_f32 v6, v6, v7
	v_cndmask_b32_e32 v6, 0, v6, vcc
	v_mov_b32_e32 v7, 0x7f800000
	v_cmp_nlt_f32_e32 vcc, s4, v3
	s_mov_b32 s4, 0x3f2aaaab
	s_mov_b32 s5, 0x7f800000
	v_cndmask_b32_e32 v11, v7, v6, vcc
	v_add_f32_e32 v3, 1.0, v11
	v_add_f32_e32 v6, -1.0, v3
	v_sub_f32_e32 v7, v6, v3
	v_add_f32_e32 v7, 1.0, v7
	v_sub_f32_e32 v6, v11, v6
	v_add_f32_e32 v18, v6, v7
	v_frexp_mant_f32_e32 v19, v3
	v_cvt_f64_f32_e32 v[6:7], v3
	v_frexp_exp_i32_f64_e32 v6, v[6:7]
	v_cmp_gt_f32_e32 vcc, s4, v19
	s_mov_b32 s4, 0x3f317218
	s_nop 0
	v_subbrev_co_u32_e32 v24, vcc, 0, v6, vcc
	v_sub_u32_e32 v6, 0, v24
	v_ldexp_f32 v3, v3, v6
	v_ldexp_f32 v6, v18, v6
	v_add_f32_e32 v18, -1.0, v3
	v_add_f32_e32 v7, 1.0, v18
	v_sub_f32_e32 v7, v3, v7
	v_add_f32_e32 v19, v6, v7
	v_add_f32_e32 v7, 1.0, v3
	v_add_f32_e32 v20, -1.0, v7
	v_sub_f32_e32 v3, v3, v20
	v_add_f32_e32 v3, v6, v3
	v_add_f32_e32 v25, v7, v3
	v_rcp_f32_e32 v26, v25
	v_sub_f32_e32 v6, v7, v25
	v_add_f32_e32 v7, v18, v19
	v_add_f32_e32 v3, v3, v6
	v_mul_f32_e32 v28, v7, v26
	v_sub_f32_e32 v6, v18, v7
	v_mul_f32_e32 v18, v25, v28
	v_fma_f32 v20, v28, v25, -v18
	v_fmac_f32_e32 v20, v28, v3
	v_add_f32_e32 v27, v19, v6
	v_add_f32_e32 v6, v18, v20
	v_sub_f32_e32 v19, v7, v6
	v_pk_add_f32 v[22:23], v[6:7], v[18:19] neg_lo:[0,1] neg_hi:[0,1]
	v_mov_b32_e32 v21, v6
	v_pk_add_f32 v[6:7], v[22:23], v[20:21] neg_lo:[0,1] neg_hi:[0,1]
	v_cmp_eq_f32_e32 vcc, s5, v11
	v_add_f32_e32 v7, v27, v7
	v_add_f32_e32 v6, v6, v7
	;; [unrolled: 1-line block ×3, first 2 shown]
	v_mul_f32_e32 v27, v26, v7
	v_mul_f32_e32 v18, v25, v27
	v_fma_f32 v20, v27, v25, -v18
	v_fmac_f32_e32 v20, v27, v3
	v_sub_f32_e32 v3, v19, v7
	v_add_f32_e32 v3, v6, v3
	v_add_f32_e32 v6, v18, v20
	v_sub_f32_e32 v19, v7, v6
	v_pk_add_f32 v[22:23], v[6:7], v[18:19] neg_lo:[0,1] neg_hi:[0,1]
	v_mov_b32_e32 v21, v6
	v_pk_add_f32 v[6:7], v[22:23], v[20:21] neg_lo:[0,1] neg_hi:[0,1]
	v_cvt_f32_i32_e32 v18, v24
	v_add_f32_e32 v3, v3, v7
	v_add_f32_e32 v3, v6, v3
	;; [unrolled: 1-line block ×4, first 2 shown]
	v_sub_f32_e32 v7, v6, v28
	v_mul_f32_e32 v3, v26, v3
	v_sub_f32_e32 v7, v27, v7
	v_add_f32_e32 v3, v7, v3
	v_add_f32_e32 v19, v6, v3
	v_mul_f32_e32 v20, v19, v19
	v_mov_b32_e32 v7, 0x3ecc95a3
	v_fmac_f32_e32 v7, 0x3e9b6dac, v20
	v_sub_f32_e32 v6, v19, v6
	v_fmaak_f32 v7, v20, v7, 0x3f2aaada
	v_sub_f32_e32 v3, v3, v6
	v_ldexp_f32 v21, v19, 1
	v_mul_f32_e32 v19, v19, v20
	v_mov_b32_e32 v6, 0x3f317218
	v_pk_mul_f32 v[6:7], v[18:19], v[6:7]
	v_ldexp_f32 v3, v3, 1
	v_fma_f32 v19, v18, s4, -v6
	v_fmamk_f32 v20, v18, 0xb102e308, v19
	v_pk_add_f32 v[18:19], v[6:7], v[20:21]
	v_mov_b32_e32 v22, v6
	v_sub_f32_e32 v21, v19, v21
	v_sub_f32_e32 v21, v7, v21
	v_add_f32_e32 v23, v3, v21
	v_pk_add_f32 v[6:7], v[18:19], v[6:7] neg_lo:[0,1] neg_hi:[0,1]
	v_pk_add_f32 v[24:25], v[18:19], v[22:23]
	v_mov_b32_e32 v21, v18
	v_mov_b32_e32 v7, v25
	v_pk_add_f32 v[26:27], v[20:21], v[6:7] neg_lo:[0,1] neg_hi:[0,1]
	v_pk_add_f32 v[6:7], v[20:21], v[6:7]
	v_mov_b32_e32 v22, v23
	v_mov_b32_e32 v20, v7
	v_pk_add_f32 v[28:29], v[20:21], v[18:19] neg_lo:[0,1] neg_hi:[0,1]
	v_mov_b32_e32 v6, v25
	v_mov_b32_e32 v3, v28
	v_pk_add_f32 v[30:31], v[24:25], v[2:3] neg_lo:[0,1] neg_hi:[0,1]
	v_mov_b32_e32 v24, v19
	v_mov_b32_e32 v25, v28
	;; [unrolled: 1-line block ×3, first 2 shown]
	v_pk_add_f32 v[6:7], v[6:7], v[24:25] neg_lo:[0,1] neg_hi:[0,1]
	v_mov_b32_e32 v23, v18
	v_pk_add_f32 v[6:7], v[22:23], v[6:7] neg_lo:[0,1] neg_hi:[0,1]
	v_mov_b32_e32 v30, v26
	v_pk_add_f32 v[18:19], v[30:31], v[6:7]
	s_mov_b32 s4, 0x33800000
	v_mov_b32_e32 v22, v19
	v_pk_add_f32 v[22:23], v[18:19], v[22:23]
	v_cmp_lt_f32_e64 s[4:5], |v11|, s4
	v_pk_add_f32 v[20:21], v[20:21], v[22:23]
	v_mov_b32_e32 v7, v22
	v_mov_b32_e32 v19, v20
	v_pk_add_f32 v[24:25], v[18:19], v[26:27] neg_lo:[0,1] neg_hi:[0,1]
	s_or_b64 vcc, vcc, s[4:5]
	v_sub_f32_e32 v3, v18, v24
	v_pk_add_f32 v[6:7], v[6:7], v[24:25] neg_lo:[0,1] neg_hi:[0,1]
	v_sub_f32_e32 v3, v26, v3
	v_add_f32_e32 v3, v6, v3
	v_add_f32_e32 v3, v3, v7
	;; [unrolled: 1-line block ×3, first 2 shown]
	v_cndmask_b32_e32 v3, v3, v11, vcc
	v_add_f32_e32 v87, v2, v3
.LBB93_408:
	s_or_b64 exec, exec, s[2:3]
	s_movk_i32 s2, 0xff
	v_cmp_eq_u32_e32 vcc, s2, v0
	s_and_saveexec_b64 s[2:3], vcc
	s_cbranch_execz .LBB93_410
; %bb.409:
	v_mov_b32_e32 v3, 2
	v_mov_b32_e32 v2, v87
	flat_store_dwordx2 v[96:97], v[2:3] offset:512 sc1
.LBB93_410:
	s_or_b64 exec, exec, s[2:3]
	v_mov_b64_e32 v[48:49], v[16:17]
.LBB93_411:
	v_lshl_add_u64 v[2:3], v[12:13], 2, v[14:15]
	v_lshl_add_u64 v[32:33], s[62:63], 2, v[2:3]
	s_waitcnt lgkmcnt(0)
	s_barrier
	s_and_saveexec_b64 s[2:3], s[0:1]
	s_xor_b64 s[0:1], exec, s[2:3]
	s_cbranch_execz .LBB93_413
; %bb.412:
	v_mov_b32_e32 v11, 0
	ds_write_b128 v1, v[48:51]
	ds_write_b128 v1, v[52:55] offset:16
	ds_write_b128 v1, v[64:67] offset:32
	;; [unrolled: 1-line block ×5, first 2 shown]
	s_waitcnt lgkmcnt(0)
	s_barrier
	ds_read2st64_b32 v[0:1], v10 offset1:4
	ds_read2st64_b32 v[2:3], v10 offset0:8 offset1:12
	ds_read2st64_b32 v[4:5], v10 offset0:16 offset1:20
	;; [unrolled: 1-line block ×11, first 2 shown]
	v_lshl_add_u64 v[10:11], v[32:33], 0, v[10:11]
	s_movk_i32 s2, 0x1000
	s_waitcnt lgkmcnt(0)
	flat_store_dword v[10:11], v0
	flat_store_dword v[10:11], v1 offset:1024
	flat_store_dword v[10:11], v2 offset:2048
	;; [unrolled: 1-line block ×3, first 2 shown]
	v_add_co_u32_e32 v0, vcc, s2, v10
	s_movk_i32 s2, 0x2000
	s_nop 0
	v_addc_co_u32_e32 v1, vcc, 0, v11, vcc
	flat_store_dword v[0:1], v4
	flat_store_dword v[0:1], v5 offset:1024
	flat_store_dword v[0:1], v6 offset:2048
	;; [unrolled: 1-line block ×3, first 2 shown]
	v_add_co_u32_e32 v0, vcc, s2, v10
	s_movk_i32 s2, 0x3000
	s_nop 0
	v_addc_co_u32_e32 v1, vcc, 0, v11, vcc
	flat_store_dword v[0:1], v8
	flat_store_dword v[0:1], v9 offset:1024
	flat_store_dword v[0:1], v12 offset:2048
	;; [unrolled: 1-line block ×3, first 2 shown]
	v_add_co_u32_e32 v0, vcc, s2, v10
                                        ; implicit-def: $vgpr2_vgpr3_vgpr4_vgpr5
                                        ; implicit-def: $vgpr6_vgpr7_vgpr8_vgpr9
                                        ; implicit-def: $vgpr98_vgpr99
                                        ; implicit-def: $vgpr87
                                        ; implicit-def: $vgpr82_vgpr83
                                        ; implicit-def: $vgpr70_vgpr71
                                        ; implicit-def: $vgpr66_vgpr67
                                        ; implicit-def: $vgpr54_vgpr55
                                        ; implicit-def: $vgpr50_vgpr51
                                        ; implicit-def: $vgpr32_vgpr33
                                        ; implicit-def: $vgpr100
	s_nop 1
	v_addc_co_u32_e32 v1, vcc, 0, v11, vcc
	flat_store_dword v[0:1], v14
	flat_store_dword v[0:1], v15 offset:1024
	flat_store_dword v[0:1], v16 offset:2048
	;; [unrolled: 1-line block ×3, first 2 shown]
	v_add_co_u32_e32 v0, vcc, 0x4000, v10
	s_nop 1
	v_addc_co_u32_e32 v1, vcc, 0, v11, vcc
	flat_store_dword v[0:1], v18
	flat_store_dword v[0:1], v19 offset:1024
	flat_store_dword v[0:1], v20 offset:2048
	;; [unrolled: 1-line block ×3, first 2 shown]
	v_add_co_u32_e32 v0, vcc, 0x5000, v10
                                        ; implicit-def: $vgpr10
	s_nop 1
	v_addc_co_u32_e32 v1, vcc, 0, v11, vcc
	flat_store_dword v[0:1], v22
	flat_store_dword v[0:1], v23 offset:1024
	flat_store_dword v[0:1], v24 offset:2048
	;; [unrolled: 1-line block ×3, first 2 shown]
                                        ; implicit-def: $vgpr0
                                        ; implicit-def: $vgpr1
.LBB93_413:
	s_andn2_saveexec_b64 s[2:3], s[0:1]
	s_cbranch_execz .LBB93_552
; %bb.414:
	ds_write_b128 v1, v[48:51]
	ds_write_b128 v1, v[52:55] offset:16
	ds_write_b128 v1, v[64:67] offset:32
	;; [unrolled: 1-line block ×5, first 2 shown]
	s_waitcnt lgkmcnt(0)
	s_barrier
	ds_read2st64_b32 v[2:3], v10 offset1:4
	ds_read2st64_b32 v[6:7], v10 offset0:8 offset1:12
	ds_read2st64_b32 v[12:13], v10 offset0:16 offset1:20
	ds_read2st64_b32 v[22:23], v10 offset0:24 offset1:28
	ds_read2st64_b32 v[20:21], v10 offset0:32 offset1:36
	ds_read2st64_b32 v[24:25], v10 offset0:40 offset1:44
	ds_read2st64_b32 v[18:19], v10 offset0:48 offset1:52
	ds_read2st64_b32 v[14:15], v10 offset0:56 offset1:60
	ds_read2st64_b32 v[28:29], v10 offset0:64 offset1:68
	ds_read2st64_b32 v[26:27], v10 offset0:72 offset1:76
	ds_read2st64_b32 v[16:17], v10 offset0:80 offset1:84
	ds_read2st64_b32 v[30:31], v10 offset0:88 offset1:92
	v_mov_b32_e32 v11, 0
	v_lshl_add_u64 v[32:33], v[32:33], 0, v[10:11]
	v_cmp_lt_u32_e32 vcc, v0, v98
	s_and_saveexec_b64 s[0:1], vcc
	s_cbranch_execz .LBB93_416
; %bb.415:
	s_waitcnt lgkmcnt(0)
	flat_store_dword v[32:33], v2
.LBB93_416:
	s_or_b64 exec, exec, s[0:1]
	v_add_u32_e32 v1, 0x100, v0
	v_cmp_lt_u32_e32 vcc, v1, v98
	s_and_saveexec_b64 s[0:1], vcc
	s_cbranch_execz .LBB93_418
; %bb.417:
	s_waitcnt lgkmcnt(0)
	flat_store_dword v[32:33], v3 offset:1024
.LBB93_418:
	s_or_b64 exec, exec, s[0:1]
	v_add_u32_e32 v1, 0x200, v0
	v_cmp_lt_u32_e32 vcc, v1, v98
	s_and_saveexec_b64 s[0:1], vcc
	s_cbranch_execz .LBB93_420
; %bb.419:
	s_waitcnt lgkmcnt(0)
	flat_store_dword v[32:33], v6 offset:2048
.LBB93_420:
	;; [unrolled: 9-line block ×3, first 2 shown]
	s_or_b64 exec, exec, s[0:1]
	v_or_b32_e32 v1, 0x400, v0
	v_cmp_lt_u32_e32 vcc, v1, v98
	s_and_saveexec_b64 s[0:1], vcc
	s_cbranch_execz .LBB93_424
; %bb.423:
	v_add_co_u32_e32 v34, vcc, 0x1000, v32
	s_nop 1
	v_addc_co_u32_e32 v35, vcc, 0, v33, vcc
	s_waitcnt lgkmcnt(0)
	flat_store_dword v[34:35], v12
.LBB93_424:
	s_or_b64 exec, exec, s[0:1]
	v_add_u32_e32 v1, 0x500, v0
	v_cmp_lt_u32_e32 vcc, v1, v98
	s_and_saveexec_b64 s[0:1], vcc
	s_cbranch_execz .LBB93_426
; %bb.425:
	v_add_co_u32_e32 v34, vcc, 0x1000, v32
	s_nop 1
	v_addc_co_u32_e32 v35, vcc, 0, v33, vcc
	s_waitcnt lgkmcnt(0)
	flat_store_dword v[34:35], v13 offset:1024
.LBB93_426:
	s_or_b64 exec, exec, s[0:1]
	v_add_u32_e32 v1, 0x600, v0
	v_cmp_lt_u32_e32 vcc, v1, v98
	s_and_saveexec_b64 s[0:1], vcc
	s_cbranch_execz .LBB93_428
; %bb.427:
	v_add_co_u32_e32 v34, vcc, 0x1000, v32
	s_nop 1
	v_addc_co_u32_e32 v35, vcc, 0, v33, vcc
	s_waitcnt lgkmcnt(0)
	flat_store_dword v[34:35], v22 offset:2048
.LBB93_428:
	s_or_b64 exec, exec, s[0:1]
	v_add_u32_e32 v1, 0x700, v0
	v_cmp_lt_u32_e32 vcc, v1, v98
	s_and_saveexec_b64 s[0:1], vcc
	s_cbranch_execz .LBB93_430
; %bb.429:
	v_add_co_u32_e32 v34, vcc, 0x1000, v32
	s_nop 1
	v_addc_co_u32_e32 v35, vcc, 0, v33, vcc
	s_waitcnt lgkmcnt(0)
	flat_store_dword v[34:35], v23 offset:3072
.LBB93_430:
	s_or_b64 exec, exec, s[0:1]
	v_or_b32_e32 v1, 0x800, v0
	v_cmp_lt_u32_e32 vcc, v1, v98
	s_and_saveexec_b64 s[0:1], vcc
	s_cbranch_execz .LBB93_432
; %bb.431:
	v_add_co_u32_e32 v34, vcc, 0x2000, v32
	s_nop 1
	v_addc_co_u32_e32 v35, vcc, 0, v33, vcc
	s_waitcnt lgkmcnt(0)
	flat_store_dword v[34:35], v20
.LBB93_432:
	s_or_b64 exec, exec, s[0:1]
	v_add_u32_e32 v1, 0x900, v0
	v_cmp_lt_u32_e32 vcc, v1, v98
	s_and_saveexec_b64 s[0:1], vcc
	s_cbranch_execz .LBB93_434
; %bb.433:
	v_add_co_u32_e32 v34, vcc, 0x2000, v32
	s_nop 1
	v_addc_co_u32_e32 v35, vcc, 0, v33, vcc
	s_waitcnt lgkmcnt(0)
	flat_store_dword v[34:35], v21 offset:1024
.LBB93_434:
	s_or_b64 exec, exec, s[0:1]
	v_add_u32_e32 v1, 0xa00, v0
	v_cmp_lt_u32_e32 vcc, v1, v98
	s_and_saveexec_b64 s[0:1], vcc
	s_cbranch_execz .LBB93_436
; %bb.435:
	v_add_co_u32_e32 v34, vcc, 0x2000, v32
	s_nop 1
	v_addc_co_u32_e32 v35, vcc, 0, v33, vcc
	s_waitcnt lgkmcnt(0)
	flat_store_dword v[34:35], v24 offset:2048
.LBB93_436:
	s_or_b64 exec, exec, s[0:1]
	v_add_u32_e32 v1, 0xb00, v0
	v_cmp_lt_u32_e32 vcc, v1, v98
	s_and_saveexec_b64 s[0:1], vcc
	s_cbranch_execz .LBB93_438
; %bb.437:
	v_add_co_u32_e32 v34, vcc, 0x2000, v32
	s_nop 1
	v_addc_co_u32_e32 v35, vcc, 0, v33, vcc
	s_waitcnt lgkmcnt(0)
	flat_store_dword v[34:35], v25 offset:3072
.LBB93_438:
	;; [unrolled: 48-line block ×5, first 2 shown]
	s_or_b64 exec, exec, s[0:1]
	v_cmp_lt_u64_e32 vcc, 1, v[8:9]
	s_and_saveexec_b64 s[4:5], vcc
	s_cbranch_execz .LBB93_551
; %bb.463:
	s_add_u32 s0, 0, 0xaaaa0000
	s_addc_u32 s1, 0, 42
	s_add_i32 s1, s1, 0xaaaaa80
	s_mul_hi_u32 s9, s0, 0xffffffe8
	s_sub_i32 s9, s9, s0
	s_mul_i32 s10, s1, 0xffffffe8
	s_mul_i32 s6, s0, 0xffffffe8
	s_add_i32 s9, s9, s10
	s_mul_hi_u32 s7, s1, s6
	s_mul_i32 s8, s1, s6
	s_mul_i32 s11, s0, s9
	s_mul_hi_u32 s6, s0, s6
	s_mul_hi_u32 s10, s0, s9
	s_add_u32 s6, s6, s11
	s_addc_u32 s10, 0, s10
	s_add_u32 s6, s6, s8
	s_mul_hi_u32 s11, s1, s9
	s_addc_u32 s6, s10, s7
	s_addc_u32 s7, s11, 0
	s_mul_i32 s8, s1, s9
	s_add_u32 s6, s6, s8
	v_mov_b32_e32 v10, s6
	s_addc_u32 s7, 0, s7
	v_add_co_u32_e32 v36, vcc, s0, v10
	s_cmp_lg_u64 vcc, 0
	v_lshl_add_u64 v[8:9], v[98:99], 0, -1
	s_addc_u32 s6, s1, s7
	v_mov_b32_e32 v1, v11
	v_mad_u64_u32 v[10:11], s[0:1], v8, s6, 0
	v_mul_hi_u32 v32, v8, v36
	v_mov_b32_e32 v33, 0
	v_lshl_add_u64 v[10:11], v[32:33], 0, v[10:11]
	v_mad_u64_u32 v[36:37], s[0:1], v9, v36, 0
	v_add_co_u32_e32 v10, vcc, v10, v36
	v_mad_u64_u32 v[34:35], s[0:1], v9, s6, 0
	s_nop 0
	v_addc_co_u32_e32 v32, vcc, v11, v37, vcc
	s_nop 1
	v_addc_co_u32_e32 v35, vcc, 0, v35, vcc
	v_lshl_add_u64 v[10:11], v[32:33], 0, v[34:35]
	v_mad_u64_u32 v[32:33], s[0:1], v10, 24, 0
	v_mov_b32_e32 v34, v33
	v_mad_u64_u32 v[34:35], s[0:1], v11, 24, v[34:35]
	v_sub_co_u32_e32 v36, vcc, v8, v32
	v_cmp_lt_u32_e64 s[0:1], 23, v36
	s_nop 0
	v_subb_co_u32_e32 v37, vcc, v9, v34, vcc
	v_subrev_co_u32_e32 v32, vcc, 24, v36
	v_lshl_add_u64 v[34:35], v[10:11], 0, 1
	s_nop 0
	v_subbrev_co_u32_e32 v33, vcc, 0, v37, vcc
	v_cmp_lt_u32_e32 vcc, 23, v32
	s_nop 1
	v_cndmask_b32_e64 v32, 0, -1, vcc
	v_cmp_eq_u32_e32 vcc, 0, v33
	s_nop 1
	v_cndmask_b32_e32 v38, -1, v32, vcc
	v_lshl_add_u64 v[32:33], v[10:11], 0, 2
	v_cmp_ne_u32_e32 vcc, 0, v38
	s_nop 1
	v_cndmask_b32_e32 v33, v35, v33, vcc
	v_cndmask_b32_e64 v35, 0, -1, s[0:1]
	v_cmp_eq_u32_e64 s[0:1], 0, v37
	v_cndmask_b32_e32 v32, v34, v32, vcc
	s_nop 0
	v_cndmask_b32_e64 v35, -1, v35, s[0:1]
	v_cmp_ne_u32_e64 s[0:1], 0, v35
	s_nop 1
	v_cndmask_b32_e64 v11, v11, v33, s[0:1]
	v_cndmask_b32_e64 v10, v10, v32, s[0:1]
	v_cmp_eq_u64_e32 vcc, v[10:11], v[0:1]
	s_and_b64 exec, exec, vcc
	s_cbranch_execz .LBB93_551
; %bb.464:
	v_mul_hi_u32_u24_e32 v1, 24, v0
	v_sub_co_u32_e32 v0, vcc, v8, v100
	s_mov_b64 s[0:1], 0
	s_nop 0
	v_subb_co_u32_e32 v1, vcc, v9, v1, vcc
	v_cmp_lt_i64_e32 vcc, 11, v[0:1]
	s_mov_b64 s[12:13], 0
	s_mov_b64 s[10:11], 0
	;; [unrolled: 1-line block ×3, first 2 shown]
	s_and_saveexec_b64 s[6:7], vcc
	s_xor_b64 s[6:7], exec, s[6:7]
	s_cbranch_execnz .LBB93_470
; %bb.465:
	s_andn2_saveexec_b64 s[6:7], s[6:7]
	s_cbranch_execnz .LBB93_515
.LBB93_466:
	s_or_b64 exec, exec, s[6:7]
	s_and_saveexec_b64 s[6:7], s[12:13]
	s_cbranch_execnz .LBB93_530
.LBB93_467:
	s_or_b64 exec, exec, s[6:7]
	s_and_saveexec_b64 s[6:7], s[10:11]
	s_cbranch_execnz .LBB93_531
.LBB93_468:
	s_or_b64 exec, exec, s[6:7]
	s_and_saveexec_b64 s[6:7], s[8:9]
	s_xor_b64 s[6:7], exec, s[6:7]
	s_cbranch_execnz .LBB93_532
.LBB93_469:
	s_or_b64 exec, exec, s[6:7]
	s_and_b64 exec, exec, s[0:1]
	s_cbranch_execnz .LBB93_533
	s_branch .LBB93_551
.LBB93_470:
	v_cmp_lt_i64_e32 vcc, 17, v[0:1]
	s_and_saveexec_b64 s[14:15], vcc
	s_xor_b64 s[14:15], exec, s[14:15]
	s_cbranch_execz .LBB93_492
; %bb.471:
	v_cmp_lt_i64_e32 vcc, 20, v[0:1]
                                        ; implicit-def: $vgpr15
	s_and_saveexec_b64 s[16:17], vcc
	s_xor_b64 s[16:17], exec, s[16:17]
	s_cbranch_execz .LBB93_481
; %bb.472:
	v_cmp_lt_i64_e32 vcc, 21, v[0:1]
	s_mov_b64 s[18:19], 0
                                        ; implicit-def: $vgpr15
	s_and_saveexec_b64 s[8:9], vcc
	s_xor_b64 s[8:9], exec, s[8:9]
	s_cbranch_execz .LBB93_478
; %bb.473:
	v_cmp_lt_i64_e32 vcc, 22, v[0:1]
	s_and_saveexec_b64 s[18:19], vcc
	s_xor_b64 s[18:19], exec, s[18:19]
	s_cbranch_execz .LBB93_475
; %bb.474:
	s_waitcnt lgkmcnt(0)
	flat_store_dword v[4:5], v31
                                        ; implicit-def: $vgpr30
.LBB93_475:
	s_or_saveexec_b64 s[18:19], s[18:19]
	s_mov_b64 s[20:21], 0
	s_xor_b64 exec, exec, s[18:19]
; %bb.476:
	s_mov_b64 s[20:21], exec
; %bb.477:
	s_or_b64 exec, exec, s[18:19]
	s_and_b64 s[18:19], s[20:21], exec
	s_waitcnt lgkmcnt(0)
	v_mov_b32_e32 v15, v30
                                        ; implicit-def: $vgpr17
.LBB93_478:
	s_andn2_saveexec_b64 s[8:9], s[8:9]
; %bb.479:
	s_mov_b64 s[10:11], exec
                                        ; implicit-def: $vgpr15
; %bb.480:
	s_or_b64 exec, exec, s[8:9]
	s_and_b64 s[8:9], s[18:19], exec
	s_and_b64 s[10:11], s[10:11], exec
                                        ; implicit-def: $vgpr26_vgpr27
.LBB93_481:
	s_andn2_saveexec_b64 s[16:17], s[16:17]
	s_cbranch_execz .LBB93_491
; %bb.482:
	v_cmp_lt_i64_e32 vcc, 18, v[0:1]
	s_mov_b64 s[18:19], 0
	s_and_saveexec_b64 s[12:13], vcc
	s_xor_b64 s[12:13], exec, s[12:13]
	s_cbranch_execz .LBB93_488
; %bb.483:
	v_cmp_lt_i64_e32 vcc, 19, v[0:1]
	s_and_saveexec_b64 s[20:21], vcc
	s_xor_b64 s[20:21], exec, s[20:21]
; %bb.484:
	s_mov_b64 s[18:19], exec
                                        ; implicit-def: $vgpr26_vgpr27
; %bb.485:
	s_andn2_saveexec_b64 s[20:21], s[20:21]
	s_cbranch_execz .LBB93_487
; %bb.486:
	s_waitcnt lgkmcnt(0)
	flat_store_dword v[4:5], v27
                                        ; implicit-def: $vgpr16
.LBB93_487:
	s_or_b64 exec, exec, s[20:21]
	s_and_b64 s[18:19], s[18:19], exec
                                        ; implicit-def: $vgpr26_vgpr27
.LBB93_488:
	s_andn2_saveexec_b64 s[12:13], s[12:13]
	s_cbranch_execz .LBB93_490
; %bb.489:
	s_waitcnt lgkmcnt(0)
	flat_store_dword v[4:5], v26
                                        ; implicit-def: $vgpr16
.LBB93_490:
	s_or_b64 exec, exec, s[12:13]
	s_and_b64 s[12:13], s[18:19], exec
                                        ; implicit-def: $vgpr15
.LBB93_491:
	s_or_b64 exec, exec, s[16:17]
	s_and_b64 s[8:9], s[8:9], exec
	s_and_b64 s[10:11], s[10:11], exec
	;; [unrolled: 1-line block ×3, first 2 shown]
                                        ; implicit-def: $vgpr18
                                        ; implicit-def: $vgpr28_vgpr29
.LBB93_492:
	s_andn2_saveexec_b64 s[14:15], s[14:15]
	s_cbranch_execz .LBB93_514
; %bb.493:
	v_cmp_lt_i64_e32 vcc, 14, v[0:1]
	s_mov_b64 s[16:17], s[8:9]
	s_and_saveexec_b64 s[18:19], vcc
	s_xor_b64 s[18:19], exec, s[18:19]
	s_cbranch_execz .LBB93_503
; %bb.494:
	v_cmp_lt_i64_e32 vcc, 15, v[0:1]
	s_and_saveexec_b64 s[16:17], vcc
	s_xor_b64 s[16:17], exec, s[16:17]
	s_cbranch_execz .LBB93_500
; %bb.495:
	v_cmp_lt_i64_e32 vcc, 16, v[0:1]
	s_and_saveexec_b64 s[20:21], vcc
	s_xor_b64 s[20:21], exec, s[20:21]
	s_cbranch_execz .LBB93_497
; %bb.496:
	s_waitcnt lgkmcnt(0)
	flat_store_dword v[4:5], v29
                                        ; implicit-def: $vgpr28_vgpr29
.LBB93_497:
	s_andn2_saveexec_b64 s[20:21], s[20:21]
	s_cbranch_execz .LBB93_499
; %bb.498:
	s_waitcnt lgkmcnt(0)
	flat_store_dword v[4:5], v28
.LBB93_499:
	s_or_b64 exec, exec, s[20:21]
                                        ; implicit-def: $vgpr15
.LBB93_500:
	s_or_saveexec_b64 s[16:17], s[16:17]
	s_mov_b64 s[20:21], s[8:9]
	s_xor_b64 exec, exec, s[16:17]
; %bb.501:
	s_or_b64 s[20:21], s[8:9], exec
; %bb.502:
	s_or_b64 exec, exec, s[16:17]
	s_andn2_b64 s[16:17], s[8:9], exec
	s_and_b64 s[20:21], s[20:21], exec
	s_or_b64 s[16:17], s[16:17], s[20:21]
                                        ; implicit-def: $vgpr18
.LBB93_503:
	s_or_saveexec_b64 s[18:19], s[18:19]
	s_mov_b64 s[20:21], s[10:11]
                                        ; implicit-def: $vgpr17
	s_xor_b64 exec, exec, s[18:19]
	s_cbranch_execz .LBB93_513
; %bb.504:
	v_cmp_lt_i64_e32 vcc, 12, v[0:1]
	s_mov_b64 s[22:23], s[10:11]
	s_mov_b64 s[24:25], s[16:17]
                                        ; implicit-def: $vgpr17
	s_and_saveexec_b64 s[20:21], vcc
	s_xor_b64 s[20:21], exec, s[20:21]
	s_cbranch_execz .LBB93_510
; %bb.505:
	v_cmp_lt_i64_e32 vcc, 13, v[0:1]
	s_mov_b64 s[22:23], s[16:17]
	s_and_saveexec_b64 s[24:25], vcc
	s_xor_b64 s[24:25], exec, s[24:25]
; %bb.506:
	s_or_b64 s[22:23], s[16:17], exec
                                        ; implicit-def: $vgpr19
; %bb.507:
	s_or_saveexec_b64 s[24:25], s[24:25]
	s_mov_b64 s[26:27], s[10:11]
	s_xor_b64 exec, exec, s[24:25]
; %bb.508:
	s_or_b64 s[26:27], s[10:11], exec
                                        ; implicit-def: $vgpr14
; %bb.509:
	s_or_b64 exec, exec, s[24:25]
	s_andn2_b64 s[24:25], s[16:17], exec
	s_and_b64 s[22:23], s[22:23], exec
	s_or_b64 s[24:25], s[24:25], s[22:23]
	s_andn2_b64 s[22:23], s[10:11], exec
	s_and_b64 s[26:27], s[26:27], exec
	s_or_b64 s[22:23], s[22:23], s[26:27]
	s_waitcnt lgkmcnt(0)
	v_mov_b32_e32 v15, v14
	v_mov_b32_e32 v17, v19
                                        ; implicit-def: $vgpr18
.LBB93_510:
	s_andn2_saveexec_b64 s[20:21], s[20:21]
	s_cbranch_execz .LBB93_512
; %bb.511:
	s_or_b64 s[22:23], s[22:23], exec
                                        ; implicit-def: $vgpr15
	s_waitcnt lgkmcnt(0)
	v_mov_b32_e32 v17, v18
.LBB93_512:
	s_or_b64 exec, exec, s[20:21]
	s_andn2_b64 s[16:17], s[16:17], exec
	s_and_b64 s[20:21], s[24:25], exec
	s_or_b64 s[16:17], s[16:17], s[20:21]
	s_andn2_b64 s[20:21], s[10:11], exec
	s_and_b64 s[22:23], s[22:23], exec
	s_or_b64 s[20:21], s[20:21], s[22:23]
.LBB93_513:
	s_or_b64 exec, exec, s[18:19]
	s_andn2_b64 s[8:9], s[8:9], exec
	s_and_b64 s[16:17], s[16:17], exec
	s_or_b64 s[8:9], s[8:9], s[16:17]
	s_andn2_b64 s[10:11], s[10:11], exec
	s_and_b64 s[16:17], s[20:21], exec
	s_or_b64 s[10:11], s[10:11], s[16:17]
.LBB93_514:
	s_or_b64 exec, exec, s[14:15]
	s_and_b64 s[8:9], s[8:9], exec
	s_and_b64 s[10:11], s[10:11], exec
	;; [unrolled: 1-line block ×3, first 2 shown]
                                        ; implicit-def: $vgpr22
                                        ; implicit-def: $vgpr20
                                        ; implicit-def: $vgpr24
	s_andn2_saveexec_b64 s[6:7], s[6:7]
	s_cbranch_execz .LBB93_466
.LBB93_515:
	v_cmp_lt_i64_e32 vcc, 5, v[0:1]
	s_mov_b64 s[16:17], -1
	s_mov_b64 s[14:15], s[12:13]
	s_mov_b64 s[18:19], s[10:11]
	;; [unrolled: 1-line block ×3, first 2 shown]
                                        ; implicit-def: $vgpr15
                                        ; implicit-def: $vgpr17
	s_and_saveexec_b64 s[0:1], vcc
	s_cbranch_execz .LBB93_529
; %bb.516:
	v_cmp_lt_i64_e32 vcc, 8, v[0:1]
	s_mov_b64 s[14:15], s[12:13]
                                        ; implicit-def: $vgpr16
	s_and_saveexec_b64 s[16:17], vcc
	s_xor_b64 s[16:17], exec, s[16:17]
	s_cbranch_execz .LBB93_524
; %bb.517:
	v_cmp_lt_i64_e32 vcc, 9, v[0:1]
	s_and_saveexec_b64 s[14:15], vcc
	s_xor_b64 s[14:15], exec, s[14:15]
	s_cbranch_execz .LBB93_521
; %bb.518:
	v_cmp_lt_i64_e32 vcc, 10, v[0:1]
	s_and_saveexec_b64 s[18:19], vcc
	s_xor_b64 s[18:19], exec, s[18:19]
	s_andn2_saveexec_b64 s[18:19], s[18:19]
	s_cbranch_execz .LBB93_520
; %bb.519:
	s_waitcnt lgkmcnt(0)
	v_mov_b32_e32 v25, v24
.LBB93_520:
	s_or_b64 exec, exec, s[18:19]
                                        ; implicit-def: $vgpr21
.LBB93_521:
	s_andn2_saveexec_b64 s[14:15], s[14:15]
	s_cbranch_execz .LBB93_523
; %bb.522:
	s_waitcnt lgkmcnt(0)
	v_mov_b32_e32 v25, v21
.LBB93_523:
	s_or_b64 exec, exec, s[14:15]
	s_or_b64 s[14:15], s[12:13], exec
	s_waitcnt lgkmcnt(0)
	v_mov_b32_e32 v16, v25
                                        ; implicit-def: $vgpr22
                                        ; implicit-def: $vgpr20
.LBB93_524:
	s_or_saveexec_b64 s[16:17], s[16:17]
	s_mov_b64 s[18:19], s[10:11]
	s_mov_b64 s[22:23], s[8:9]
                                        ; implicit-def: $vgpr15
	s_xor_b64 exec, exec, s[16:17]
	s_cbranch_execz .LBB93_528
; %bb.525:
	v_cmp_lt_i64_e32 vcc, 6, v[0:1]
	s_mov_b64 s[22:23], -1
	s_mov_b64 s[20:21], s[14:15]
	s_mov_b64 s[18:19], s[10:11]
	s_and_saveexec_b64 s[24:25], vcc
; %bb.526:
	v_cmp_lt_i64_e32 vcc, 7, v[0:1]
	s_andn2_b64 s[20:21], s[14:15], exec
	s_and_b64 s[26:27], vcc, exec
	s_xor_b64 s[22:23], exec, -1
	s_or_b64 s[18:19], s[10:11], exec
	s_or_b64 s[20:21], s[20:21], s[26:27]
; %bb.527:
	s_or_b64 exec, exec, s[24:25]
	s_andn2_b64 s[24:25], s[8:9], exec
	s_and_b64 s[22:23], s[22:23], exec
	s_or_b64 s[22:23], s[24:25], s[22:23]
	s_andn2_b64 s[24:25], s[10:11], exec
	s_and_b64 s[18:19], s[18:19], exec
	s_andn2_b64 s[14:15], s[14:15], exec
	s_and_b64 s[20:21], s[20:21], exec
	s_or_b64 s[18:19], s[24:25], s[18:19]
	s_or_b64 s[14:15], s[14:15], s[20:21]
	s_waitcnt lgkmcnt(0)
	v_mov_b32_e32 v15, v22
	v_mov_b32_e32 v17, v23
	;; [unrolled: 1-line block ×3, first 2 shown]
.LBB93_528:
	s_or_b64 exec, exec, s[16:17]
	s_andn2_b64 s[20:21], s[8:9], exec
	s_and_b64 s[22:23], s[22:23], exec
	s_or_b64 s[20:21], s[20:21], s[22:23]
	s_andn2_b64 s[22:23], s[10:11], exec
	s_and_b64 s[18:19], s[18:19], exec
	s_or_b64 s[18:19], s[22:23], s[18:19]
	s_andn2_b64 s[22:23], s[12:13], exec
	s_and_b64 s[14:15], s[14:15], exec
	s_xor_b64 s[16:17], exec, -1
	s_or_b64 s[14:15], s[22:23], s[14:15]
.LBB93_529:
	s_or_b64 exec, exec, s[0:1]
	s_and_b64 s[0:1], s[16:17], exec
	s_andn2_b64 s[8:9], s[8:9], exec
	s_and_b64 s[16:17], s[20:21], exec
	s_or_b64 s[8:9], s[8:9], s[16:17]
	s_andn2_b64 s[10:11], s[10:11], exec
	s_and_b64 s[16:17], s[18:19], exec
	s_andn2_b64 s[12:13], s[12:13], exec
	s_and_b64 s[14:15], s[14:15], exec
	s_or_b64 s[10:11], s[10:11], s[16:17]
	s_or_b64 s[12:13], s[12:13], s[14:15]
	s_or_b64 exec, exec, s[6:7]
	s_and_saveexec_b64 s[6:7], s[12:13]
	s_cbranch_execz .LBB93_467
.LBB93_530:
	s_andn2_b64 s[10:11], s[10:11], exec
	s_waitcnt lgkmcnt(0)
	flat_store_dword v[4:5], v16
                                        ; implicit-def: $vgpr15
                                        ; implicit-def: $vgpr17
	s_or_b64 exec, exec, s[6:7]
	s_and_saveexec_b64 s[6:7], s[10:11]
	s_cbranch_execz .LBB93_468
.LBB93_531:
	s_waitcnt lgkmcnt(0)
	flat_store_dword v[4:5], v17
                                        ; implicit-def: $vgpr15
	s_or_b64 exec, exec, s[6:7]
	s_and_saveexec_b64 s[6:7], s[8:9]
	s_xor_b64 s[6:7], exec, s[6:7]
	s_cbranch_execz .LBB93_469
.LBB93_532:
	s_waitcnt lgkmcnt(0)
	flat_store_dword v[4:5], v15
	s_or_b64 exec, exec, s[6:7]
	s_and_b64 exec, exec, s[0:1]
	s_cbranch_execz .LBB93_551
.LBB93_533:
	v_cmp_lt_i64_e32 vcc, 2, v[0:1]
	s_and_saveexec_b64 s[0:1], vcc
	s_xor_b64 s[0:1], exec, s[0:1]
	s_cbranch_execz .LBB93_543
; %bb.534:
	v_cmp_lt_i64_e32 vcc, 3, v[0:1]
	s_and_saveexec_b64 s[6:7], vcc
	s_xor_b64 s[6:7], exec, s[6:7]
	s_cbranch_execz .LBB93_540
; %bb.535:
	;; [unrolled: 5-line block ×3, first 2 shown]
	s_waitcnt lgkmcnt(0)
	flat_store_dword v[4:5], v13
                                        ; implicit-def: $vgpr4_vgpr5
                                        ; implicit-def: $vgpr12_vgpr13
.LBB93_537:
	s_andn2_saveexec_b64 s[8:9], s[8:9]
	s_cbranch_execz .LBB93_539
; %bb.538:
	s_waitcnt lgkmcnt(0)
	flat_store_dword v[4:5], v12
.LBB93_539:
	s_or_b64 exec, exec, s[8:9]
                                        ; implicit-def: $vgpr4_vgpr5
                                        ; implicit-def: $vgpr6_vgpr7
.LBB93_540:
	s_andn2_saveexec_b64 s[6:7], s[6:7]
	s_cbranch_execz .LBB93_542
; %bb.541:
	s_waitcnt lgkmcnt(0)
	flat_store_dword v[4:5], v7
.LBB93_542:
	s_or_b64 exec, exec, s[6:7]
                                        ; implicit-def: $vgpr0_vgpr1
                                        ; implicit-def: $vgpr4_vgpr5
                                        ; implicit-def: $vgpr6_vgpr7
                                        ; implicit-def: $vgpr2_vgpr3
.LBB93_543:
	s_andn2_saveexec_b64 s[0:1], s[0:1]
	s_cbranch_execz .LBB93_551
; %bb.544:
	v_cmp_lt_i64_e32 vcc, 1, v[0:1]
	s_and_saveexec_b64 s[0:1], vcc
	s_xor_b64 s[0:1], exec, s[0:1]
	s_cbranch_execz .LBB93_546
; %bb.545:
	s_waitcnt lgkmcnt(0)
	flat_store_dword v[4:5], v6
                                        ; implicit-def: $vgpr4_vgpr5
                                        ; implicit-def: $vgpr2_vgpr3
                                        ; implicit-def: $vgpr0_vgpr1
.LBB93_546:
	s_andn2_saveexec_b64 s[0:1], s[0:1]
	s_cbranch_execz .LBB93_551
; %bb.547:
	v_cmp_ne_u64_e32 vcc, 1, v[0:1]
	s_and_saveexec_b64 s[0:1], vcc
	s_xor_b64 s[0:1], exec, s[0:1]
	s_cbranch_execz .LBB93_549
; %bb.548:
	s_waitcnt lgkmcnt(0)
	flat_store_dword v[4:5], v2
                                        ; implicit-def: $vgpr4_vgpr5
                                        ; implicit-def: $vgpr2_vgpr3
.LBB93_549:
	s_andn2_saveexec_b64 s[0:1], s[0:1]
	s_cbranch_execz .LBB93_551
; %bb.550:
	s_waitcnt lgkmcnt(0)
	flat_store_dword v[4:5], v3
.LBB93_551:
	s_or_b64 exec, exec, s[4:5]
.LBB93_552:
	s_or_b64 exec, exec, s[2:3]
	v_readlane_b32 s30, v40, 0
	v_readlane_b32 s31, v40, 1
	s_or_saveexec_b64 s[0:1], -1
	scratch_load_dword v40, off, s32        ; 4-byte Folded Reload
	s_mov_b64 exec, s[0:1]
	s_waitcnt vmcnt(0) lgkmcnt(0)
	s_setpc_b64 s[30:31]
.Lfunc_end93:
	.size	_ZZZN7rocprim17ROCPRIM_400000_NS6detail9scan_implILNS1_25lookback_scan_determinismE0ELb0ELb0ENS0_14default_configEPKfPffZZZN2at6native31launch_logcumsumexp_cuda_kernelERKNS8_10TensorBaseESC_lENKUlvE_clEvENKUlvE0_clEvEUlffE_fEEDaPvRmT3_T4_T5_mT6_P12ihipStream_tbENKUlT_T0_E_clISt17integral_constantIbLb0EEST_EEDaSO_SP_ENKUlSO_E_clINS1_13target_configIS4_NS1_20scan_config_selectorIfEENS1_11comp_targetILNS1_3genE5ELNS1_11target_archE942ELNS1_3gpuE9ELNS1_3repE0EEELNS0_4arch9wavefront6targetE1EEEEEDaSO_, .Lfunc_end93-_ZZZN7rocprim17ROCPRIM_400000_NS6detail9scan_implILNS1_25lookback_scan_determinismE0ELb0ELb0ENS0_14default_configEPKfPffZZZN2at6native31launch_logcumsumexp_cuda_kernelERKNS8_10TensorBaseESC_lENKUlvE_clEvENKUlvE0_clEvEUlffE_fEEDaPvRmT3_T4_T5_mT6_P12ihipStream_tbENKUlT_T0_E_clISt17integral_constantIbLb0EEST_EEDaSO_SP_ENKUlSO_E_clINS1_13target_configIS4_NS1_20scan_config_selectorIfEENS1_11comp_targetILNS1_3genE5ELNS1_11target_archE942ELNS1_3gpuE9ELNS1_3repE0EEELNS0_4arch9wavefront6targetE1EEEEEDaSO_
                                        ; -- End function
	.section	.AMDGPU.csdata,"",@progbits
; Function info:
; codeLenInByte = 121296
; NumSgprs: 84
; NumVgprs: 184
; NumAgprs: 0
; TotalNumVgprs: 184
; ScratchSize: 8
; MemoryBound: 0
	.section	.text._ZN7rocprim17ROCPRIM_400000_NS6detail17trampoline_kernelINS0_14default_configENS1_20scan_config_selectorIfEEZZNS1_9scan_implILNS1_25lookback_scan_determinismE0ELb0ELb0ES3_PKfPffZZZN2at6native31launch_logcumsumexp_cuda_kernelERKNSB_10TensorBaseESF_lENKUlvE_clEvENKUlvE0_clEvEUlffE_fEEDaPvRmT3_T4_T5_mT6_P12ihipStream_tbENKUlT_T0_E_clISt17integral_constantIbLb0EESW_EEDaSR_SS_EUlSR_E_NS1_11comp_targetILNS1_3genE5ELNS1_11target_archE942ELNS1_3gpuE9ELNS1_3repE0EEENS1_30default_config_static_selectorELNS0_4arch9wavefront6targetE1EEEvT1_,"axG",@progbits,_ZN7rocprim17ROCPRIM_400000_NS6detail17trampoline_kernelINS0_14default_configENS1_20scan_config_selectorIfEEZZNS1_9scan_implILNS1_25lookback_scan_determinismE0ELb0ELb0ES3_PKfPffZZZN2at6native31launch_logcumsumexp_cuda_kernelERKNSB_10TensorBaseESF_lENKUlvE_clEvENKUlvE0_clEvEUlffE_fEEDaPvRmT3_T4_T5_mT6_P12ihipStream_tbENKUlT_T0_E_clISt17integral_constantIbLb0EESW_EEDaSR_SS_EUlSR_E_NS1_11comp_targetILNS1_3genE5ELNS1_11target_archE942ELNS1_3gpuE9ELNS1_3repE0EEENS1_30default_config_static_selectorELNS0_4arch9wavefront6targetE1EEEvT1_,comdat
	.globl	_ZN7rocprim17ROCPRIM_400000_NS6detail17trampoline_kernelINS0_14default_configENS1_20scan_config_selectorIfEEZZNS1_9scan_implILNS1_25lookback_scan_determinismE0ELb0ELb0ES3_PKfPffZZZN2at6native31launch_logcumsumexp_cuda_kernelERKNSB_10TensorBaseESF_lENKUlvE_clEvENKUlvE0_clEvEUlffE_fEEDaPvRmT3_T4_T5_mT6_P12ihipStream_tbENKUlT_T0_E_clISt17integral_constantIbLb0EESW_EEDaSR_SS_EUlSR_E_NS1_11comp_targetILNS1_3genE5ELNS1_11target_archE942ELNS1_3gpuE9ELNS1_3repE0EEENS1_30default_config_static_selectorELNS0_4arch9wavefront6targetE1EEEvT1_ ; -- Begin function _ZN7rocprim17ROCPRIM_400000_NS6detail17trampoline_kernelINS0_14default_configENS1_20scan_config_selectorIfEEZZNS1_9scan_implILNS1_25lookback_scan_determinismE0ELb0ELb0ES3_PKfPffZZZN2at6native31launch_logcumsumexp_cuda_kernelERKNSB_10TensorBaseESF_lENKUlvE_clEvENKUlvE0_clEvEUlffE_fEEDaPvRmT3_T4_T5_mT6_P12ihipStream_tbENKUlT_T0_E_clISt17integral_constantIbLb0EESW_EEDaSR_SS_EUlSR_E_NS1_11comp_targetILNS1_3genE5ELNS1_11target_archE942ELNS1_3gpuE9ELNS1_3repE0EEENS1_30default_config_static_selectorELNS0_4arch9wavefront6targetE1EEEvT1_
	.p2align	8
	.type	_ZN7rocprim17ROCPRIM_400000_NS6detail17trampoline_kernelINS0_14default_configENS1_20scan_config_selectorIfEEZZNS1_9scan_implILNS1_25lookback_scan_determinismE0ELb0ELb0ES3_PKfPffZZZN2at6native31launch_logcumsumexp_cuda_kernelERKNSB_10TensorBaseESF_lENKUlvE_clEvENKUlvE0_clEvEUlffE_fEEDaPvRmT3_T4_T5_mT6_P12ihipStream_tbENKUlT_T0_E_clISt17integral_constantIbLb0EESW_EEDaSR_SS_EUlSR_E_NS1_11comp_targetILNS1_3genE5ELNS1_11target_archE942ELNS1_3gpuE9ELNS1_3repE0EEENS1_30default_config_static_selectorELNS0_4arch9wavefront6targetE1EEEvT1_,@function
_ZN7rocprim17ROCPRIM_400000_NS6detail17trampoline_kernelINS0_14default_configENS1_20scan_config_selectorIfEEZZNS1_9scan_implILNS1_25lookback_scan_determinismE0ELb0ELb0ES3_PKfPffZZZN2at6native31launch_logcumsumexp_cuda_kernelERKNSB_10TensorBaseESF_lENKUlvE_clEvENKUlvE0_clEvEUlffE_fEEDaPvRmT3_T4_T5_mT6_P12ihipStream_tbENKUlT_T0_E_clISt17integral_constantIbLb0EESW_EEDaSR_SS_EUlSR_E_NS1_11comp_targetILNS1_3genE5ELNS1_11target_archE942ELNS1_3gpuE9ELNS1_3repE0EEENS1_30default_config_static_selectorELNS0_4arch9wavefront6targetE1EEEvT1_: ; @_ZN7rocprim17ROCPRIM_400000_NS6detail17trampoline_kernelINS0_14default_configENS1_20scan_config_selectorIfEEZZNS1_9scan_implILNS1_25lookback_scan_determinismE0ELb0ELb0ES3_PKfPffZZZN2at6native31launch_logcumsumexp_cuda_kernelERKNSB_10TensorBaseESF_lENKUlvE_clEvENKUlvE0_clEvEUlffE_fEEDaPvRmT3_T4_T5_mT6_P12ihipStream_tbENKUlT_T0_E_clISt17integral_constantIbLb0EESW_EEDaSR_SS_EUlSR_E_NS1_11comp_targetILNS1_3genE5ELNS1_11target_archE942ELNS1_3gpuE9ELNS1_3repE0EEENS1_30default_config_static_selectorELNS0_4arch9wavefront6targetE1EEEvT1_
; %bb.0:
	s_load_dwordx8 s[4:11], s[0:1], 0x0
	s_load_dwordx8 s[12:19], s[0:1], 0x20
	s_mov_b64 s[20:21], src_private_base
	v_mov_b32_e32 v31, v0
	v_mov_b32_e32 v0, 0
	s_waitcnt lgkmcnt(0)
	v_mov_b64_e32 v[2:3], s[4:5]
	v_mov_b64_e32 v[4:5], s[6:7]
	scratch_store_dwordx4 off, v[2:5], off
	v_mov_b32_e32 v1, s21
	s_movk_i32 s32, 0x70
	v_mov_b64_e32 v[2:3], s[8:9]
	v_mov_b64_e32 v[4:5], s[10:11]
	s_load_dwordx8 s[4:11], s[0:1], 0x40
	scratch_store_dwordx4 off, v[2:5], off offset:16
	s_nop 1
	v_mov_b64_e32 v[2:3], s[12:13]
	v_mov_b64_e32 v[4:5], s[14:15]
	scratch_store_dwordx4 off, v[2:5], off offset:32
	s_mov_b32 s12, s2
	s_nop 0
	v_mov_b64_e32 v[2:3], s[16:17]
	v_mov_b64_e32 v[4:5], s[18:19]
	scratch_store_dwordx4 off, v[2:5], off offset:48
	s_waitcnt lgkmcnt(0)
	s_nop 0
	v_mov_b64_e32 v[2:3], s[4:5]
	v_mov_b64_e32 v[4:5], s[6:7]
	scratch_store_dwordx4 off, v[2:5], off offset:64
	s_nop 1
	v_mov_b64_e32 v[2:3], s[8:9]
	v_mov_b64_e32 v[4:5], s[10:11]
	s_add_u32 s8, s0, 0x60
	s_addc_u32 s9, s1, 0
	scratch_store_dwordx4 off, v[2:5], off offset:80
	s_getpc_b64 s[0:1]
	s_add_u32 s0, s0, _ZZZN7rocprim17ROCPRIM_400000_NS6detail9scan_implILNS1_25lookback_scan_determinismE0ELb0ELb0ENS0_14default_configEPKfPffZZZN2at6native31launch_logcumsumexp_cuda_kernelERKNS8_10TensorBaseESC_lENKUlvE_clEvENKUlvE0_clEvEUlffE_fEEDaPvRmT3_T4_T5_mT6_P12ihipStream_tbENKUlT_T0_E_clISt17integral_constantIbLb0EEST_EEDaSO_SP_ENKUlSO_E_clINS1_13target_configIS4_NS1_20scan_config_selectorIfEENS1_11comp_targetILNS1_3genE5ELNS1_11target_archE942ELNS1_3gpuE9ELNS1_3repE0EEELNS0_4arch9wavefront6targetE1EEEEEDaSO_@rel32@lo+4
	s_addc_u32 s1, s1, _ZZZN7rocprim17ROCPRIM_400000_NS6detail9scan_implILNS1_25lookback_scan_determinismE0ELb0ELb0ENS0_14default_configEPKfPffZZZN2at6native31launch_logcumsumexp_cuda_kernelERKNS8_10TensorBaseESC_lENKUlvE_clEvENKUlvE0_clEvEUlffE_fEEDaPvRmT3_T4_T5_mT6_P12ihipStream_tbENKUlT_T0_E_clISt17integral_constantIbLb0EEST_EEDaSO_SP_ENKUlSO_E_clINS1_13target_configIS4_NS1_20scan_config_selectorIfEENS1_11comp_targetILNS1_3genE5ELNS1_11target_archE942ELNS1_3gpuE9ELNS1_3repE0EEELNS0_4arch9wavefront6targetE1EEEEEDaSO_@rel32@hi+12
	s_swappc_b64 s[30:31], s[0:1]
	s_endpgm
	.section	.rodata,"a",@progbits
	.p2align	6, 0x0
	.amdhsa_kernel _ZN7rocprim17ROCPRIM_400000_NS6detail17trampoline_kernelINS0_14default_configENS1_20scan_config_selectorIfEEZZNS1_9scan_implILNS1_25lookback_scan_determinismE0ELb0ELb0ES3_PKfPffZZZN2at6native31launch_logcumsumexp_cuda_kernelERKNSB_10TensorBaseESF_lENKUlvE_clEvENKUlvE0_clEvEUlffE_fEEDaPvRmT3_T4_T5_mT6_P12ihipStream_tbENKUlT_T0_E_clISt17integral_constantIbLb0EESW_EEDaSR_SS_EUlSR_E_NS1_11comp_targetILNS1_3genE5ELNS1_11target_archE942ELNS1_3gpuE9ELNS1_3repE0EEENS1_30default_config_static_selectorELNS0_4arch9wavefront6targetE1EEEvT1_
		.amdhsa_group_segment_fixed_size 24576
		.amdhsa_private_segment_fixed_size 120
		.amdhsa_kernarg_size 352
		.amdhsa_user_sgpr_count 2
		.amdhsa_user_sgpr_dispatch_ptr 0
		.amdhsa_user_sgpr_queue_ptr 0
		.amdhsa_user_sgpr_kernarg_segment_ptr 1
		.amdhsa_user_sgpr_dispatch_id 0
		.amdhsa_user_sgpr_kernarg_preload_length 0
		.amdhsa_user_sgpr_kernarg_preload_offset 0
		.amdhsa_user_sgpr_private_segment_size 0
		.amdhsa_uses_dynamic_stack 0
		.amdhsa_enable_private_segment 1
		.amdhsa_system_sgpr_workgroup_id_x 1
		.amdhsa_system_sgpr_workgroup_id_y 0
		.amdhsa_system_sgpr_workgroup_id_z 0
		.amdhsa_system_sgpr_workgroup_info 0
		.amdhsa_system_vgpr_workitem_id 0
		.amdhsa_next_free_vgpr 184
		.amdhsa_next_free_sgpr 78
		.amdhsa_accum_offset 184
		.amdhsa_reserve_vcc 1
		.amdhsa_float_round_mode_32 0
		.amdhsa_float_round_mode_16_64 0
		.amdhsa_float_denorm_mode_32 3
		.amdhsa_float_denorm_mode_16_64 3
		.amdhsa_dx10_clamp 1
		.amdhsa_ieee_mode 1
		.amdhsa_fp16_overflow 0
		.amdhsa_tg_split 0
		.amdhsa_exception_fp_ieee_invalid_op 0
		.amdhsa_exception_fp_denorm_src 0
		.amdhsa_exception_fp_ieee_div_zero 0
		.amdhsa_exception_fp_ieee_overflow 0
		.amdhsa_exception_fp_ieee_underflow 0
		.amdhsa_exception_fp_ieee_inexact 0
		.amdhsa_exception_int_div_zero 0
	.end_amdhsa_kernel
	.section	.text._ZN7rocprim17ROCPRIM_400000_NS6detail17trampoline_kernelINS0_14default_configENS1_20scan_config_selectorIfEEZZNS1_9scan_implILNS1_25lookback_scan_determinismE0ELb0ELb0ES3_PKfPffZZZN2at6native31launch_logcumsumexp_cuda_kernelERKNSB_10TensorBaseESF_lENKUlvE_clEvENKUlvE0_clEvEUlffE_fEEDaPvRmT3_T4_T5_mT6_P12ihipStream_tbENKUlT_T0_E_clISt17integral_constantIbLb0EESW_EEDaSR_SS_EUlSR_E_NS1_11comp_targetILNS1_3genE5ELNS1_11target_archE942ELNS1_3gpuE9ELNS1_3repE0EEENS1_30default_config_static_selectorELNS0_4arch9wavefront6targetE1EEEvT1_,"axG",@progbits,_ZN7rocprim17ROCPRIM_400000_NS6detail17trampoline_kernelINS0_14default_configENS1_20scan_config_selectorIfEEZZNS1_9scan_implILNS1_25lookback_scan_determinismE0ELb0ELb0ES3_PKfPffZZZN2at6native31launch_logcumsumexp_cuda_kernelERKNSB_10TensorBaseESF_lENKUlvE_clEvENKUlvE0_clEvEUlffE_fEEDaPvRmT3_T4_T5_mT6_P12ihipStream_tbENKUlT_T0_E_clISt17integral_constantIbLb0EESW_EEDaSR_SS_EUlSR_E_NS1_11comp_targetILNS1_3genE5ELNS1_11target_archE942ELNS1_3gpuE9ELNS1_3repE0EEENS1_30default_config_static_selectorELNS0_4arch9wavefront6targetE1EEEvT1_,comdat
.Lfunc_end94:
	.size	_ZN7rocprim17ROCPRIM_400000_NS6detail17trampoline_kernelINS0_14default_configENS1_20scan_config_selectorIfEEZZNS1_9scan_implILNS1_25lookback_scan_determinismE0ELb0ELb0ES3_PKfPffZZZN2at6native31launch_logcumsumexp_cuda_kernelERKNSB_10TensorBaseESF_lENKUlvE_clEvENKUlvE0_clEvEUlffE_fEEDaPvRmT3_T4_T5_mT6_P12ihipStream_tbENKUlT_T0_E_clISt17integral_constantIbLb0EESW_EEDaSR_SS_EUlSR_E_NS1_11comp_targetILNS1_3genE5ELNS1_11target_archE942ELNS1_3gpuE9ELNS1_3repE0EEENS1_30default_config_static_selectorELNS0_4arch9wavefront6targetE1EEEvT1_, .Lfunc_end94-_ZN7rocprim17ROCPRIM_400000_NS6detail17trampoline_kernelINS0_14default_configENS1_20scan_config_selectorIfEEZZNS1_9scan_implILNS1_25lookback_scan_determinismE0ELb0ELb0ES3_PKfPffZZZN2at6native31launch_logcumsumexp_cuda_kernelERKNSB_10TensorBaseESF_lENKUlvE_clEvENKUlvE0_clEvEUlffE_fEEDaPvRmT3_T4_T5_mT6_P12ihipStream_tbENKUlT_T0_E_clISt17integral_constantIbLb0EESW_EEDaSR_SS_EUlSR_E_NS1_11comp_targetILNS1_3genE5ELNS1_11target_archE942ELNS1_3gpuE9ELNS1_3repE0EEENS1_30default_config_static_selectorELNS0_4arch9wavefront6targetE1EEEvT1_
                                        ; -- End function
	.section	.AMDGPU.csdata,"",@progbits
; Kernel info:
; codeLenInByte = 208
; NumSgprs: 84
; NumVgprs: 184
; NumAgprs: 0
; TotalNumVgprs: 184
; ScratchSize: 120
; MemoryBound: 0
; FloatMode: 240
; IeeeMode: 1
; LDSByteSize: 24576 bytes/workgroup (compile time only)
; SGPRBlocks: 10
; VGPRBlocks: 22
; NumSGPRsForWavesPerEU: 84
; NumVGPRsForWavesPerEU: 184
; AccumOffset: 184
; Occupancy: 2
; WaveLimiterHint : 1
; COMPUTE_PGM_RSRC2:SCRATCH_EN: 1
; COMPUTE_PGM_RSRC2:USER_SGPR: 2
; COMPUTE_PGM_RSRC2:TRAP_HANDLER: 0
; COMPUTE_PGM_RSRC2:TGID_X_EN: 1
; COMPUTE_PGM_RSRC2:TGID_Y_EN: 0
; COMPUTE_PGM_RSRC2:TGID_Z_EN: 0
; COMPUTE_PGM_RSRC2:TIDIG_COMP_CNT: 0
; COMPUTE_PGM_RSRC3_GFX90A:ACCUM_OFFSET: 45
; COMPUTE_PGM_RSRC3_GFX90A:TG_SPLIT: 0
	.section	.text._ZN7rocprim17ROCPRIM_400000_NS6detail17trampoline_kernelINS0_14default_configENS1_20scan_config_selectorIfEEZZNS1_9scan_implILNS1_25lookback_scan_determinismE0ELb0ELb0ES3_PKfPffZZZN2at6native31launch_logcumsumexp_cuda_kernelERKNSB_10TensorBaseESF_lENKUlvE_clEvENKUlvE0_clEvEUlffE_fEEDaPvRmT3_T4_T5_mT6_P12ihipStream_tbENKUlT_T0_E_clISt17integral_constantIbLb0EESW_EEDaSR_SS_EUlSR_E_NS1_11comp_targetILNS1_3genE4ELNS1_11target_archE910ELNS1_3gpuE8ELNS1_3repE0EEENS1_30default_config_static_selectorELNS0_4arch9wavefront6targetE1EEEvT1_,"axG",@progbits,_ZN7rocprim17ROCPRIM_400000_NS6detail17trampoline_kernelINS0_14default_configENS1_20scan_config_selectorIfEEZZNS1_9scan_implILNS1_25lookback_scan_determinismE0ELb0ELb0ES3_PKfPffZZZN2at6native31launch_logcumsumexp_cuda_kernelERKNSB_10TensorBaseESF_lENKUlvE_clEvENKUlvE0_clEvEUlffE_fEEDaPvRmT3_T4_T5_mT6_P12ihipStream_tbENKUlT_T0_E_clISt17integral_constantIbLb0EESW_EEDaSR_SS_EUlSR_E_NS1_11comp_targetILNS1_3genE4ELNS1_11target_archE910ELNS1_3gpuE8ELNS1_3repE0EEENS1_30default_config_static_selectorELNS0_4arch9wavefront6targetE1EEEvT1_,comdat
	.globl	_ZN7rocprim17ROCPRIM_400000_NS6detail17trampoline_kernelINS0_14default_configENS1_20scan_config_selectorIfEEZZNS1_9scan_implILNS1_25lookback_scan_determinismE0ELb0ELb0ES3_PKfPffZZZN2at6native31launch_logcumsumexp_cuda_kernelERKNSB_10TensorBaseESF_lENKUlvE_clEvENKUlvE0_clEvEUlffE_fEEDaPvRmT3_T4_T5_mT6_P12ihipStream_tbENKUlT_T0_E_clISt17integral_constantIbLb0EESW_EEDaSR_SS_EUlSR_E_NS1_11comp_targetILNS1_3genE4ELNS1_11target_archE910ELNS1_3gpuE8ELNS1_3repE0EEENS1_30default_config_static_selectorELNS0_4arch9wavefront6targetE1EEEvT1_ ; -- Begin function _ZN7rocprim17ROCPRIM_400000_NS6detail17trampoline_kernelINS0_14default_configENS1_20scan_config_selectorIfEEZZNS1_9scan_implILNS1_25lookback_scan_determinismE0ELb0ELb0ES3_PKfPffZZZN2at6native31launch_logcumsumexp_cuda_kernelERKNSB_10TensorBaseESF_lENKUlvE_clEvENKUlvE0_clEvEUlffE_fEEDaPvRmT3_T4_T5_mT6_P12ihipStream_tbENKUlT_T0_E_clISt17integral_constantIbLb0EESW_EEDaSR_SS_EUlSR_E_NS1_11comp_targetILNS1_3genE4ELNS1_11target_archE910ELNS1_3gpuE8ELNS1_3repE0EEENS1_30default_config_static_selectorELNS0_4arch9wavefront6targetE1EEEvT1_
	.p2align	8
	.type	_ZN7rocprim17ROCPRIM_400000_NS6detail17trampoline_kernelINS0_14default_configENS1_20scan_config_selectorIfEEZZNS1_9scan_implILNS1_25lookback_scan_determinismE0ELb0ELb0ES3_PKfPffZZZN2at6native31launch_logcumsumexp_cuda_kernelERKNSB_10TensorBaseESF_lENKUlvE_clEvENKUlvE0_clEvEUlffE_fEEDaPvRmT3_T4_T5_mT6_P12ihipStream_tbENKUlT_T0_E_clISt17integral_constantIbLb0EESW_EEDaSR_SS_EUlSR_E_NS1_11comp_targetILNS1_3genE4ELNS1_11target_archE910ELNS1_3gpuE8ELNS1_3repE0EEENS1_30default_config_static_selectorELNS0_4arch9wavefront6targetE1EEEvT1_,@function
_ZN7rocprim17ROCPRIM_400000_NS6detail17trampoline_kernelINS0_14default_configENS1_20scan_config_selectorIfEEZZNS1_9scan_implILNS1_25lookback_scan_determinismE0ELb0ELb0ES3_PKfPffZZZN2at6native31launch_logcumsumexp_cuda_kernelERKNSB_10TensorBaseESF_lENKUlvE_clEvENKUlvE0_clEvEUlffE_fEEDaPvRmT3_T4_T5_mT6_P12ihipStream_tbENKUlT_T0_E_clISt17integral_constantIbLb0EESW_EEDaSR_SS_EUlSR_E_NS1_11comp_targetILNS1_3genE4ELNS1_11target_archE910ELNS1_3gpuE8ELNS1_3repE0EEENS1_30default_config_static_selectorELNS0_4arch9wavefront6targetE1EEEvT1_: ; @_ZN7rocprim17ROCPRIM_400000_NS6detail17trampoline_kernelINS0_14default_configENS1_20scan_config_selectorIfEEZZNS1_9scan_implILNS1_25lookback_scan_determinismE0ELb0ELb0ES3_PKfPffZZZN2at6native31launch_logcumsumexp_cuda_kernelERKNSB_10TensorBaseESF_lENKUlvE_clEvENKUlvE0_clEvEUlffE_fEEDaPvRmT3_T4_T5_mT6_P12ihipStream_tbENKUlT_T0_E_clISt17integral_constantIbLb0EESW_EEDaSR_SS_EUlSR_E_NS1_11comp_targetILNS1_3genE4ELNS1_11target_archE910ELNS1_3gpuE8ELNS1_3repE0EEENS1_30default_config_static_selectorELNS0_4arch9wavefront6targetE1EEEvT1_
; %bb.0:
	.section	.rodata,"a",@progbits
	.p2align	6, 0x0
	.amdhsa_kernel _ZN7rocprim17ROCPRIM_400000_NS6detail17trampoline_kernelINS0_14default_configENS1_20scan_config_selectorIfEEZZNS1_9scan_implILNS1_25lookback_scan_determinismE0ELb0ELb0ES3_PKfPffZZZN2at6native31launch_logcumsumexp_cuda_kernelERKNSB_10TensorBaseESF_lENKUlvE_clEvENKUlvE0_clEvEUlffE_fEEDaPvRmT3_T4_T5_mT6_P12ihipStream_tbENKUlT_T0_E_clISt17integral_constantIbLb0EESW_EEDaSR_SS_EUlSR_E_NS1_11comp_targetILNS1_3genE4ELNS1_11target_archE910ELNS1_3gpuE8ELNS1_3repE0EEENS1_30default_config_static_selectorELNS0_4arch9wavefront6targetE1EEEvT1_
		.amdhsa_group_segment_fixed_size 0
		.amdhsa_private_segment_fixed_size 0
		.amdhsa_kernarg_size 96
		.amdhsa_user_sgpr_count 2
		.amdhsa_user_sgpr_dispatch_ptr 0
		.amdhsa_user_sgpr_queue_ptr 0
		.amdhsa_user_sgpr_kernarg_segment_ptr 1
		.amdhsa_user_sgpr_dispatch_id 0
		.amdhsa_user_sgpr_kernarg_preload_length 0
		.amdhsa_user_sgpr_kernarg_preload_offset 0
		.amdhsa_user_sgpr_private_segment_size 0
		.amdhsa_uses_dynamic_stack 0
		.amdhsa_enable_private_segment 0
		.amdhsa_system_sgpr_workgroup_id_x 1
		.amdhsa_system_sgpr_workgroup_id_y 0
		.amdhsa_system_sgpr_workgroup_id_z 0
		.amdhsa_system_sgpr_workgroup_info 0
		.amdhsa_system_vgpr_workitem_id 0
		.amdhsa_next_free_vgpr 1
		.amdhsa_next_free_sgpr 0
		.amdhsa_accum_offset 4
		.amdhsa_reserve_vcc 0
		.amdhsa_float_round_mode_32 0
		.amdhsa_float_round_mode_16_64 0
		.amdhsa_float_denorm_mode_32 3
		.amdhsa_float_denorm_mode_16_64 3
		.amdhsa_dx10_clamp 1
		.amdhsa_ieee_mode 1
		.amdhsa_fp16_overflow 0
		.amdhsa_tg_split 0
		.amdhsa_exception_fp_ieee_invalid_op 0
		.amdhsa_exception_fp_denorm_src 0
		.amdhsa_exception_fp_ieee_div_zero 0
		.amdhsa_exception_fp_ieee_overflow 0
		.amdhsa_exception_fp_ieee_underflow 0
		.amdhsa_exception_fp_ieee_inexact 0
		.amdhsa_exception_int_div_zero 0
	.end_amdhsa_kernel
	.section	.text._ZN7rocprim17ROCPRIM_400000_NS6detail17trampoline_kernelINS0_14default_configENS1_20scan_config_selectorIfEEZZNS1_9scan_implILNS1_25lookback_scan_determinismE0ELb0ELb0ES3_PKfPffZZZN2at6native31launch_logcumsumexp_cuda_kernelERKNSB_10TensorBaseESF_lENKUlvE_clEvENKUlvE0_clEvEUlffE_fEEDaPvRmT3_T4_T5_mT6_P12ihipStream_tbENKUlT_T0_E_clISt17integral_constantIbLb0EESW_EEDaSR_SS_EUlSR_E_NS1_11comp_targetILNS1_3genE4ELNS1_11target_archE910ELNS1_3gpuE8ELNS1_3repE0EEENS1_30default_config_static_selectorELNS0_4arch9wavefront6targetE1EEEvT1_,"axG",@progbits,_ZN7rocprim17ROCPRIM_400000_NS6detail17trampoline_kernelINS0_14default_configENS1_20scan_config_selectorIfEEZZNS1_9scan_implILNS1_25lookback_scan_determinismE0ELb0ELb0ES3_PKfPffZZZN2at6native31launch_logcumsumexp_cuda_kernelERKNSB_10TensorBaseESF_lENKUlvE_clEvENKUlvE0_clEvEUlffE_fEEDaPvRmT3_T4_T5_mT6_P12ihipStream_tbENKUlT_T0_E_clISt17integral_constantIbLb0EESW_EEDaSR_SS_EUlSR_E_NS1_11comp_targetILNS1_3genE4ELNS1_11target_archE910ELNS1_3gpuE8ELNS1_3repE0EEENS1_30default_config_static_selectorELNS0_4arch9wavefront6targetE1EEEvT1_,comdat
.Lfunc_end95:
	.size	_ZN7rocprim17ROCPRIM_400000_NS6detail17trampoline_kernelINS0_14default_configENS1_20scan_config_selectorIfEEZZNS1_9scan_implILNS1_25lookback_scan_determinismE0ELb0ELb0ES3_PKfPffZZZN2at6native31launch_logcumsumexp_cuda_kernelERKNSB_10TensorBaseESF_lENKUlvE_clEvENKUlvE0_clEvEUlffE_fEEDaPvRmT3_T4_T5_mT6_P12ihipStream_tbENKUlT_T0_E_clISt17integral_constantIbLb0EESW_EEDaSR_SS_EUlSR_E_NS1_11comp_targetILNS1_3genE4ELNS1_11target_archE910ELNS1_3gpuE8ELNS1_3repE0EEENS1_30default_config_static_selectorELNS0_4arch9wavefront6targetE1EEEvT1_, .Lfunc_end95-_ZN7rocprim17ROCPRIM_400000_NS6detail17trampoline_kernelINS0_14default_configENS1_20scan_config_selectorIfEEZZNS1_9scan_implILNS1_25lookback_scan_determinismE0ELb0ELb0ES3_PKfPffZZZN2at6native31launch_logcumsumexp_cuda_kernelERKNSB_10TensorBaseESF_lENKUlvE_clEvENKUlvE0_clEvEUlffE_fEEDaPvRmT3_T4_T5_mT6_P12ihipStream_tbENKUlT_T0_E_clISt17integral_constantIbLb0EESW_EEDaSR_SS_EUlSR_E_NS1_11comp_targetILNS1_3genE4ELNS1_11target_archE910ELNS1_3gpuE8ELNS1_3repE0EEENS1_30default_config_static_selectorELNS0_4arch9wavefront6targetE1EEEvT1_
                                        ; -- End function
	.section	.AMDGPU.csdata,"",@progbits
; Kernel info:
; codeLenInByte = 0
; NumSgprs: 6
; NumVgprs: 0
; NumAgprs: 0
; TotalNumVgprs: 0
; ScratchSize: 0
; MemoryBound: 0
; FloatMode: 240
; IeeeMode: 1
; LDSByteSize: 0 bytes/workgroup (compile time only)
; SGPRBlocks: 0
; VGPRBlocks: 0
; NumSGPRsForWavesPerEU: 6
; NumVGPRsForWavesPerEU: 1
; AccumOffset: 4
; Occupancy: 8
; WaveLimiterHint : 0
; COMPUTE_PGM_RSRC2:SCRATCH_EN: 0
; COMPUTE_PGM_RSRC2:USER_SGPR: 2
; COMPUTE_PGM_RSRC2:TRAP_HANDLER: 0
; COMPUTE_PGM_RSRC2:TGID_X_EN: 1
; COMPUTE_PGM_RSRC2:TGID_Y_EN: 0
; COMPUTE_PGM_RSRC2:TGID_Z_EN: 0
; COMPUTE_PGM_RSRC2:TIDIG_COMP_CNT: 0
; COMPUTE_PGM_RSRC3_GFX90A:ACCUM_OFFSET: 0
; COMPUTE_PGM_RSRC3_GFX90A:TG_SPLIT: 0
	.section	.text._ZN7rocprim17ROCPRIM_400000_NS6detail17trampoline_kernelINS0_14default_configENS1_20scan_config_selectorIfEEZZNS1_9scan_implILNS1_25lookback_scan_determinismE0ELb0ELb0ES3_PKfPffZZZN2at6native31launch_logcumsumexp_cuda_kernelERKNSB_10TensorBaseESF_lENKUlvE_clEvENKUlvE0_clEvEUlffE_fEEDaPvRmT3_T4_T5_mT6_P12ihipStream_tbENKUlT_T0_E_clISt17integral_constantIbLb0EESW_EEDaSR_SS_EUlSR_E_NS1_11comp_targetILNS1_3genE3ELNS1_11target_archE908ELNS1_3gpuE7ELNS1_3repE0EEENS1_30default_config_static_selectorELNS0_4arch9wavefront6targetE1EEEvT1_,"axG",@progbits,_ZN7rocprim17ROCPRIM_400000_NS6detail17trampoline_kernelINS0_14default_configENS1_20scan_config_selectorIfEEZZNS1_9scan_implILNS1_25lookback_scan_determinismE0ELb0ELb0ES3_PKfPffZZZN2at6native31launch_logcumsumexp_cuda_kernelERKNSB_10TensorBaseESF_lENKUlvE_clEvENKUlvE0_clEvEUlffE_fEEDaPvRmT3_T4_T5_mT6_P12ihipStream_tbENKUlT_T0_E_clISt17integral_constantIbLb0EESW_EEDaSR_SS_EUlSR_E_NS1_11comp_targetILNS1_3genE3ELNS1_11target_archE908ELNS1_3gpuE7ELNS1_3repE0EEENS1_30default_config_static_selectorELNS0_4arch9wavefront6targetE1EEEvT1_,comdat
	.globl	_ZN7rocprim17ROCPRIM_400000_NS6detail17trampoline_kernelINS0_14default_configENS1_20scan_config_selectorIfEEZZNS1_9scan_implILNS1_25lookback_scan_determinismE0ELb0ELb0ES3_PKfPffZZZN2at6native31launch_logcumsumexp_cuda_kernelERKNSB_10TensorBaseESF_lENKUlvE_clEvENKUlvE0_clEvEUlffE_fEEDaPvRmT3_T4_T5_mT6_P12ihipStream_tbENKUlT_T0_E_clISt17integral_constantIbLb0EESW_EEDaSR_SS_EUlSR_E_NS1_11comp_targetILNS1_3genE3ELNS1_11target_archE908ELNS1_3gpuE7ELNS1_3repE0EEENS1_30default_config_static_selectorELNS0_4arch9wavefront6targetE1EEEvT1_ ; -- Begin function _ZN7rocprim17ROCPRIM_400000_NS6detail17trampoline_kernelINS0_14default_configENS1_20scan_config_selectorIfEEZZNS1_9scan_implILNS1_25lookback_scan_determinismE0ELb0ELb0ES3_PKfPffZZZN2at6native31launch_logcumsumexp_cuda_kernelERKNSB_10TensorBaseESF_lENKUlvE_clEvENKUlvE0_clEvEUlffE_fEEDaPvRmT3_T4_T5_mT6_P12ihipStream_tbENKUlT_T0_E_clISt17integral_constantIbLb0EESW_EEDaSR_SS_EUlSR_E_NS1_11comp_targetILNS1_3genE3ELNS1_11target_archE908ELNS1_3gpuE7ELNS1_3repE0EEENS1_30default_config_static_selectorELNS0_4arch9wavefront6targetE1EEEvT1_
	.p2align	8
	.type	_ZN7rocprim17ROCPRIM_400000_NS6detail17trampoline_kernelINS0_14default_configENS1_20scan_config_selectorIfEEZZNS1_9scan_implILNS1_25lookback_scan_determinismE0ELb0ELb0ES3_PKfPffZZZN2at6native31launch_logcumsumexp_cuda_kernelERKNSB_10TensorBaseESF_lENKUlvE_clEvENKUlvE0_clEvEUlffE_fEEDaPvRmT3_T4_T5_mT6_P12ihipStream_tbENKUlT_T0_E_clISt17integral_constantIbLb0EESW_EEDaSR_SS_EUlSR_E_NS1_11comp_targetILNS1_3genE3ELNS1_11target_archE908ELNS1_3gpuE7ELNS1_3repE0EEENS1_30default_config_static_selectorELNS0_4arch9wavefront6targetE1EEEvT1_,@function
_ZN7rocprim17ROCPRIM_400000_NS6detail17trampoline_kernelINS0_14default_configENS1_20scan_config_selectorIfEEZZNS1_9scan_implILNS1_25lookback_scan_determinismE0ELb0ELb0ES3_PKfPffZZZN2at6native31launch_logcumsumexp_cuda_kernelERKNSB_10TensorBaseESF_lENKUlvE_clEvENKUlvE0_clEvEUlffE_fEEDaPvRmT3_T4_T5_mT6_P12ihipStream_tbENKUlT_T0_E_clISt17integral_constantIbLb0EESW_EEDaSR_SS_EUlSR_E_NS1_11comp_targetILNS1_3genE3ELNS1_11target_archE908ELNS1_3gpuE7ELNS1_3repE0EEENS1_30default_config_static_selectorELNS0_4arch9wavefront6targetE1EEEvT1_: ; @_ZN7rocprim17ROCPRIM_400000_NS6detail17trampoline_kernelINS0_14default_configENS1_20scan_config_selectorIfEEZZNS1_9scan_implILNS1_25lookback_scan_determinismE0ELb0ELb0ES3_PKfPffZZZN2at6native31launch_logcumsumexp_cuda_kernelERKNSB_10TensorBaseESF_lENKUlvE_clEvENKUlvE0_clEvEUlffE_fEEDaPvRmT3_T4_T5_mT6_P12ihipStream_tbENKUlT_T0_E_clISt17integral_constantIbLb0EESW_EEDaSR_SS_EUlSR_E_NS1_11comp_targetILNS1_3genE3ELNS1_11target_archE908ELNS1_3gpuE7ELNS1_3repE0EEENS1_30default_config_static_selectorELNS0_4arch9wavefront6targetE1EEEvT1_
; %bb.0:
	.section	.rodata,"a",@progbits
	.p2align	6, 0x0
	.amdhsa_kernel _ZN7rocprim17ROCPRIM_400000_NS6detail17trampoline_kernelINS0_14default_configENS1_20scan_config_selectorIfEEZZNS1_9scan_implILNS1_25lookback_scan_determinismE0ELb0ELb0ES3_PKfPffZZZN2at6native31launch_logcumsumexp_cuda_kernelERKNSB_10TensorBaseESF_lENKUlvE_clEvENKUlvE0_clEvEUlffE_fEEDaPvRmT3_T4_T5_mT6_P12ihipStream_tbENKUlT_T0_E_clISt17integral_constantIbLb0EESW_EEDaSR_SS_EUlSR_E_NS1_11comp_targetILNS1_3genE3ELNS1_11target_archE908ELNS1_3gpuE7ELNS1_3repE0EEENS1_30default_config_static_selectorELNS0_4arch9wavefront6targetE1EEEvT1_
		.amdhsa_group_segment_fixed_size 0
		.amdhsa_private_segment_fixed_size 0
		.amdhsa_kernarg_size 96
		.amdhsa_user_sgpr_count 2
		.amdhsa_user_sgpr_dispatch_ptr 0
		.amdhsa_user_sgpr_queue_ptr 0
		.amdhsa_user_sgpr_kernarg_segment_ptr 1
		.amdhsa_user_sgpr_dispatch_id 0
		.amdhsa_user_sgpr_kernarg_preload_length 0
		.amdhsa_user_sgpr_kernarg_preload_offset 0
		.amdhsa_user_sgpr_private_segment_size 0
		.amdhsa_uses_dynamic_stack 0
		.amdhsa_enable_private_segment 0
		.amdhsa_system_sgpr_workgroup_id_x 1
		.amdhsa_system_sgpr_workgroup_id_y 0
		.amdhsa_system_sgpr_workgroup_id_z 0
		.amdhsa_system_sgpr_workgroup_info 0
		.amdhsa_system_vgpr_workitem_id 0
		.amdhsa_next_free_vgpr 1
		.amdhsa_next_free_sgpr 0
		.amdhsa_accum_offset 4
		.amdhsa_reserve_vcc 0
		.amdhsa_float_round_mode_32 0
		.amdhsa_float_round_mode_16_64 0
		.amdhsa_float_denorm_mode_32 3
		.amdhsa_float_denorm_mode_16_64 3
		.amdhsa_dx10_clamp 1
		.amdhsa_ieee_mode 1
		.amdhsa_fp16_overflow 0
		.amdhsa_tg_split 0
		.amdhsa_exception_fp_ieee_invalid_op 0
		.amdhsa_exception_fp_denorm_src 0
		.amdhsa_exception_fp_ieee_div_zero 0
		.amdhsa_exception_fp_ieee_overflow 0
		.amdhsa_exception_fp_ieee_underflow 0
		.amdhsa_exception_fp_ieee_inexact 0
		.amdhsa_exception_int_div_zero 0
	.end_amdhsa_kernel
	.section	.text._ZN7rocprim17ROCPRIM_400000_NS6detail17trampoline_kernelINS0_14default_configENS1_20scan_config_selectorIfEEZZNS1_9scan_implILNS1_25lookback_scan_determinismE0ELb0ELb0ES3_PKfPffZZZN2at6native31launch_logcumsumexp_cuda_kernelERKNSB_10TensorBaseESF_lENKUlvE_clEvENKUlvE0_clEvEUlffE_fEEDaPvRmT3_T4_T5_mT6_P12ihipStream_tbENKUlT_T0_E_clISt17integral_constantIbLb0EESW_EEDaSR_SS_EUlSR_E_NS1_11comp_targetILNS1_3genE3ELNS1_11target_archE908ELNS1_3gpuE7ELNS1_3repE0EEENS1_30default_config_static_selectorELNS0_4arch9wavefront6targetE1EEEvT1_,"axG",@progbits,_ZN7rocprim17ROCPRIM_400000_NS6detail17trampoline_kernelINS0_14default_configENS1_20scan_config_selectorIfEEZZNS1_9scan_implILNS1_25lookback_scan_determinismE0ELb0ELb0ES3_PKfPffZZZN2at6native31launch_logcumsumexp_cuda_kernelERKNSB_10TensorBaseESF_lENKUlvE_clEvENKUlvE0_clEvEUlffE_fEEDaPvRmT3_T4_T5_mT6_P12ihipStream_tbENKUlT_T0_E_clISt17integral_constantIbLb0EESW_EEDaSR_SS_EUlSR_E_NS1_11comp_targetILNS1_3genE3ELNS1_11target_archE908ELNS1_3gpuE7ELNS1_3repE0EEENS1_30default_config_static_selectorELNS0_4arch9wavefront6targetE1EEEvT1_,comdat
.Lfunc_end96:
	.size	_ZN7rocprim17ROCPRIM_400000_NS6detail17trampoline_kernelINS0_14default_configENS1_20scan_config_selectorIfEEZZNS1_9scan_implILNS1_25lookback_scan_determinismE0ELb0ELb0ES3_PKfPffZZZN2at6native31launch_logcumsumexp_cuda_kernelERKNSB_10TensorBaseESF_lENKUlvE_clEvENKUlvE0_clEvEUlffE_fEEDaPvRmT3_T4_T5_mT6_P12ihipStream_tbENKUlT_T0_E_clISt17integral_constantIbLb0EESW_EEDaSR_SS_EUlSR_E_NS1_11comp_targetILNS1_3genE3ELNS1_11target_archE908ELNS1_3gpuE7ELNS1_3repE0EEENS1_30default_config_static_selectorELNS0_4arch9wavefront6targetE1EEEvT1_, .Lfunc_end96-_ZN7rocprim17ROCPRIM_400000_NS6detail17trampoline_kernelINS0_14default_configENS1_20scan_config_selectorIfEEZZNS1_9scan_implILNS1_25lookback_scan_determinismE0ELb0ELb0ES3_PKfPffZZZN2at6native31launch_logcumsumexp_cuda_kernelERKNSB_10TensorBaseESF_lENKUlvE_clEvENKUlvE0_clEvEUlffE_fEEDaPvRmT3_T4_T5_mT6_P12ihipStream_tbENKUlT_T0_E_clISt17integral_constantIbLb0EESW_EEDaSR_SS_EUlSR_E_NS1_11comp_targetILNS1_3genE3ELNS1_11target_archE908ELNS1_3gpuE7ELNS1_3repE0EEENS1_30default_config_static_selectorELNS0_4arch9wavefront6targetE1EEEvT1_
                                        ; -- End function
	.section	.AMDGPU.csdata,"",@progbits
; Kernel info:
; codeLenInByte = 0
; NumSgprs: 6
; NumVgprs: 0
; NumAgprs: 0
; TotalNumVgprs: 0
; ScratchSize: 0
; MemoryBound: 0
; FloatMode: 240
; IeeeMode: 1
; LDSByteSize: 0 bytes/workgroup (compile time only)
; SGPRBlocks: 0
; VGPRBlocks: 0
; NumSGPRsForWavesPerEU: 6
; NumVGPRsForWavesPerEU: 1
; AccumOffset: 4
; Occupancy: 8
; WaveLimiterHint : 0
; COMPUTE_PGM_RSRC2:SCRATCH_EN: 0
; COMPUTE_PGM_RSRC2:USER_SGPR: 2
; COMPUTE_PGM_RSRC2:TRAP_HANDLER: 0
; COMPUTE_PGM_RSRC2:TGID_X_EN: 1
; COMPUTE_PGM_RSRC2:TGID_Y_EN: 0
; COMPUTE_PGM_RSRC2:TGID_Z_EN: 0
; COMPUTE_PGM_RSRC2:TIDIG_COMP_CNT: 0
; COMPUTE_PGM_RSRC3_GFX90A:ACCUM_OFFSET: 0
; COMPUTE_PGM_RSRC3_GFX90A:TG_SPLIT: 0
	.section	.text._ZN7rocprim17ROCPRIM_400000_NS6detail17trampoline_kernelINS0_14default_configENS1_20scan_config_selectorIfEEZZNS1_9scan_implILNS1_25lookback_scan_determinismE0ELb0ELb0ES3_PKfPffZZZN2at6native31launch_logcumsumexp_cuda_kernelERKNSB_10TensorBaseESF_lENKUlvE_clEvENKUlvE0_clEvEUlffE_fEEDaPvRmT3_T4_T5_mT6_P12ihipStream_tbENKUlT_T0_E_clISt17integral_constantIbLb0EESW_EEDaSR_SS_EUlSR_E_NS1_11comp_targetILNS1_3genE2ELNS1_11target_archE906ELNS1_3gpuE6ELNS1_3repE0EEENS1_30default_config_static_selectorELNS0_4arch9wavefront6targetE1EEEvT1_,"axG",@progbits,_ZN7rocprim17ROCPRIM_400000_NS6detail17trampoline_kernelINS0_14default_configENS1_20scan_config_selectorIfEEZZNS1_9scan_implILNS1_25lookback_scan_determinismE0ELb0ELb0ES3_PKfPffZZZN2at6native31launch_logcumsumexp_cuda_kernelERKNSB_10TensorBaseESF_lENKUlvE_clEvENKUlvE0_clEvEUlffE_fEEDaPvRmT3_T4_T5_mT6_P12ihipStream_tbENKUlT_T0_E_clISt17integral_constantIbLb0EESW_EEDaSR_SS_EUlSR_E_NS1_11comp_targetILNS1_3genE2ELNS1_11target_archE906ELNS1_3gpuE6ELNS1_3repE0EEENS1_30default_config_static_selectorELNS0_4arch9wavefront6targetE1EEEvT1_,comdat
	.globl	_ZN7rocprim17ROCPRIM_400000_NS6detail17trampoline_kernelINS0_14default_configENS1_20scan_config_selectorIfEEZZNS1_9scan_implILNS1_25lookback_scan_determinismE0ELb0ELb0ES3_PKfPffZZZN2at6native31launch_logcumsumexp_cuda_kernelERKNSB_10TensorBaseESF_lENKUlvE_clEvENKUlvE0_clEvEUlffE_fEEDaPvRmT3_T4_T5_mT6_P12ihipStream_tbENKUlT_T0_E_clISt17integral_constantIbLb0EESW_EEDaSR_SS_EUlSR_E_NS1_11comp_targetILNS1_3genE2ELNS1_11target_archE906ELNS1_3gpuE6ELNS1_3repE0EEENS1_30default_config_static_selectorELNS0_4arch9wavefront6targetE1EEEvT1_ ; -- Begin function _ZN7rocprim17ROCPRIM_400000_NS6detail17trampoline_kernelINS0_14default_configENS1_20scan_config_selectorIfEEZZNS1_9scan_implILNS1_25lookback_scan_determinismE0ELb0ELb0ES3_PKfPffZZZN2at6native31launch_logcumsumexp_cuda_kernelERKNSB_10TensorBaseESF_lENKUlvE_clEvENKUlvE0_clEvEUlffE_fEEDaPvRmT3_T4_T5_mT6_P12ihipStream_tbENKUlT_T0_E_clISt17integral_constantIbLb0EESW_EEDaSR_SS_EUlSR_E_NS1_11comp_targetILNS1_3genE2ELNS1_11target_archE906ELNS1_3gpuE6ELNS1_3repE0EEENS1_30default_config_static_selectorELNS0_4arch9wavefront6targetE1EEEvT1_
	.p2align	8
	.type	_ZN7rocprim17ROCPRIM_400000_NS6detail17trampoline_kernelINS0_14default_configENS1_20scan_config_selectorIfEEZZNS1_9scan_implILNS1_25lookback_scan_determinismE0ELb0ELb0ES3_PKfPffZZZN2at6native31launch_logcumsumexp_cuda_kernelERKNSB_10TensorBaseESF_lENKUlvE_clEvENKUlvE0_clEvEUlffE_fEEDaPvRmT3_T4_T5_mT6_P12ihipStream_tbENKUlT_T0_E_clISt17integral_constantIbLb0EESW_EEDaSR_SS_EUlSR_E_NS1_11comp_targetILNS1_3genE2ELNS1_11target_archE906ELNS1_3gpuE6ELNS1_3repE0EEENS1_30default_config_static_selectorELNS0_4arch9wavefront6targetE1EEEvT1_,@function
_ZN7rocprim17ROCPRIM_400000_NS6detail17trampoline_kernelINS0_14default_configENS1_20scan_config_selectorIfEEZZNS1_9scan_implILNS1_25lookback_scan_determinismE0ELb0ELb0ES3_PKfPffZZZN2at6native31launch_logcumsumexp_cuda_kernelERKNSB_10TensorBaseESF_lENKUlvE_clEvENKUlvE0_clEvEUlffE_fEEDaPvRmT3_T4_T5_mT6_P12ihipStream_tbENKUlT_T0_E_clISt17integral_constantIbLb0EESW_EEDaSR_SS_EUlSR_E_NS1_11comp_targetILNS1_3genE2ELNS1_11target_archE906ELNS1_3gpuE6ELNS1_3repE0EEENS1_30default_config_static_selectorELNS0_4arch9wavefront6targetE1EEEvT1_: ; @_ZN7rocprim17ROCPRIM_400000_NS6detail17trampoline_kernelINS0_14default_configENS1_20scan_config_selectorIfEEZZNS1_9scan_implILNS1_25lookback_scan_determinismE0ELb0ELb0ES3_PKfPffZZZN2at6native31launch_logcumsumexp_cuda_kernelERKNSB_10TensorBaseESF_lENKUlvE_clEvENKUlvE0_clEvEUlffE_fEEDaPvRmT3_T4_T5_mT6_P12ihipStream_tbENKUlT_T0_E_clISt17integral_constantIbLb0EESW_EEDaSR_SS_EUlSR_E_NS1_11comp_targetILNS1_3genE2ELNS1_11target_archE906ELNS1_3gpuE6ELNS1_3repE0EEENS1_30default_config_static_selectorELNS0_4arch9wavefront6targetE1EEEvT1_
; %bb.0:
	.section	.rodata,"a",@progbits
	.p2align	6, 0x0
	.amdhsa_kernel _ZN7rocprim17ROCPRIM_400000_NS6detail17trampoline_kernelINS0_14default_configENS1_20scan_config_selectorIfEEZZNS1_9scan_implILNS1_25lookback_scan_determinismE0ELb0ELb0ES3_PKfPffZZZN2at6native31launch_logcumsumexp_cuda_kernelERKNSB_10TensorBaseESF_lENKUlvE_clEvENKUlvE0_clEvEUlffE_fEEDaPvRmT3_T4_T5_mT6_P12ihipStream_tbENKUlT_T0_E_clISt17integral_constantIbLb0EESW_EEDaSR_SS_EUlSR_E_NS1_11comp_targetILNS1_3genE2ELNS1_11target_archE906ELNS1_3gpuE6ELNS1_3repE0EEENS1_30default_config_static_selectorELNS0_4arch9wavefront6targetE1EEEvT1_
		.amdhsa_group_segment_fixed_size 0
		.amdhsa_private_segment_fixed_size 0
		.amdhsa_kernarg_size 96
		.amdhsa_user_sgpr_count 2
		.amdhsa_user_sgpr_dispatch_ptr 0
		.amdhsa_user_sgpr_queue_ptr 0
		.amdhsa_user_sgpr_kernarg_segment_ptr 1
		.amdhsa_user_sgpr_dispatch_id 0
		.amdhsa_user_sgpr_kernarg_preload_length 0
		.amdhsa_user_sgpr_kernarg_preload_offset 0
		.amdhsa_user_sgpr_private_segment_size 0
		.amdhsa_uses_dynamic_stack 0
		.amdhsa_enable_private_segment 0
		.amdhsa_system_sgpr_workgroup_id_x 1
		.amdhsa_system_sgpr_workgroup_id_y 0
		.amdhsa_system_sgpr_workgroup_id_z 0
		.amdhsa_system_sgpr_workgroup_info 0
		.amdhsa_system_vgpr_workitem_id 0
		.amdhsa_next_free_vgpr 1
		.amdhsa_next_free_sgpr 0
		.amdhsa_accum_offset 4
		.amdhsa_reserve_vcc 0
		.amdhsa_float_round_mode_32 0
		.amdhsa_float_round_mode_16_64 0
		.amdhsa_float_denorm_mode_32 3
		.amdhsa_float_denorm_mode_16_64 3
		.amdhsa_dx10_clamp 1
		.amdhsa_ieee_mode 1
		.amdhsa_fp16_overflow 0
		.amdhsa_tg_split 0
		.amdhsa_exception_fp_ieee_invalid_op 0
		.amdhsa_exception_fp_denorm_src 0
		.amdhsa_exception_fp_ieee_div_zero 0
		.amdhsa_exception_fp_ieee_overflow 0
		.amdhsa_exception_fp_ieee_underflow 0
		.amdhsa_exception_fp_ieee_inexact 0
		.amdhsa_exception_int_div_zero 0
	.end_amdhsa_kernel
	.section	.text._ZN7rocprim17ROCPRIM_400000_NS6detail17trampoline_kernelINS0_14default_configENS1_20scan_config_selectorIfEEZZNS1_9scan_implILNS1_25lookback_scan_determinismE0ELb0ELb0ES3_PKfPffZZZN2at6native31launch_logcumsumexp_cuda_kernelERKNSB_10TensorBaseESF_lENKUlvE_clEvENKUlvE0_clEvEUlffE_fEEDaPvRmT3_T4_T5_mT6_P12ihipStream_tbENKUlT_T0_E_clISt17integral_constantIbLb0EESW_EEDaSR_SS_EUlSR_E_NS1_11comp_targetILNS1_3genE2ELNS1_11target_archE906ELNS1_3gpuE6ELNS1_3repE0EEENS1_30default_config_static_selectorELNS0_4arch9wavefront6targetE1EEEvT1_,"axG",@progbits,_ZN7rocprim17ROCPRIM_400000_NS6detail17trampoline_kernelINS0_14default_configENS1_20scan_config_selectorIfEEZZNS1_9scan_implILNS1_25lookback_scan_determinismE0ELb0ELb0ES3_PKfPffZZZN2at6native31launch_logcumsumexp_cuda_kernelERKNSB_10TensorBaseESF_lENKUlvE_clEvENKUlvE0_clEvEUlffE_fEEDaPvRmT3_T4_T5_mT6_P12ihipStream_tbENKUlT_T0_E_clISt17integral_constantIbLb0EESW_EEDaSR_SS_EUlSR_E_NS1_11comp_targetILNS1_3genE2ELNS1_11target_archE906ELNS1_3gpuE6ELNS1_3repE0EEENS1_30default_config_static_selectorELNS0_4arch9wavefront6targetE1EEEvT1_,comdat
.Lfunc_end97:
	.size	_ZN7rocprim17ROCPRIM_400000_NS6detail17trampoline_kernelINS0_14default_configENS1_20scan_config_selectorIfEEZZNS1_9scan_implILNS1_25lookback_scan_determinismE0ELb0ELb0ES3_PKfPffZZZN2at6native31launch_logcumsumexp_cuda_kernelERKNSB_10TensorBaseESF_lENKUlvE_clEvENKUlvE0_clEvEUlffE_fEEDaPvRmT3_T4_T5_mT6_P12ihipStream_tbENKUlT_T0_E_clISt17integral_constantIbLb0EESW_EEDaSR_SS_EUlSR_E_NS1_11comp_targetILNS1_3genE2ELNS1_11target_archE906ELNS1_3gpuE6ELNS1_3repE0EEENS1_30default_config_static_selectorELNS0_4arch9wavefront6targetE1EEEvT1_, .Lfunc_end97-_ZN7rocprim17ROCPRIM_400000_NS6detail17trampoline_kernelINS0_14default_configENS1_20scan_config_selectorIfEEZZNS1_9scan_implILNS1_25lookback_scan_determinismE0ELb0ELb0ES3_PKfPffZZZN2at6native31launch_logcumsumexp_cuda_kernelERKNSB_10TensorBaseESF_lENKUlvE_clEvENKUlvE0_clEvEUlffE_fEEDaPvRmT3_T4_T5_mT6_P12ihipStream_tbENKUlT_T0_E_clISt17integral_constantIbLb0EESW_EEDaSR_SS_EUlSR_E_NS1_11comp_targetILNS1_3genE2ELNS1_11target_archE906ELNS1_3gpuE6ELNS1_3repE0EEENS1_30default_config_static_selectorELNS0_4arch9wavefront6targetE1EEEvT1_
                                        ; -- End function
	.section	.AMDGPU.csdata,"",@progbits
; Kernel info:
; codeLenInByte = 0
; NumSgprs: 6
; NumVgprs: 0
; NumAgprs: 0
; TotalNumVgprs: 0
; ScratchSize: 0
; MemoryBound: 0
; FloatMode: 240
; IeeeMode: 1
; LDSByteSize: 0 bytes/workgroup (compile time only)
; SGPRBlocks: 0
; VGPRBlocks: 0
; NumSGPRsForWavesPerEU: 6
; NumVGPRsForWavesPerEU: 1
; AccumOffset: 4
; Occupancy: 8
; WaveLimiterHint : 0
; COMPUTE_PGM_RSRC2:SCRATCH_EN: 0
; COMPUTE_PGM_RSRC2:USER_SGPR: 2
; COMPUTE_PGM_RSRC2:TRAP_HANDLER: 0
; COMPUTE_PGM_RSRC2:TGID_X_EN: 1
; COMPUTE_PGM_RSRC2:TGID_Y_EN: 0
; COMPUTE_PGM_RSRC2:TGID_Z_EN: 0
; COMPUTE_PGM_RSRC2:TIDIG_COMP_CNT: 0
; COMPUTE_PGM_RSRC3_GFX90A:ACCUM_OFFSET: 0
; COMPUTE_PGM_RSRC3_GFX90A:TG_SPLIT: 0
	.section	.text._ZN7rocprim17ROCPRIM_400000_NS6detail17trampoline_kernelINS0_14default_configENS1_20scan_config_selectorIfEEZZNS1_9scan_implILNS1_25lookback_scan_determinismE0ELb0ELb0ES3_PKfPffZZZN2at6native31launch_logcumsumexp_cuda_kernelERKNSB_10TensorBaseESF_lENKUlvE_clEvENKUlvE0_clEvEUlffE_fEEDaPvRmT3_T4_T5_mT6_P12ihipStream_tbENKUlT_T0_E_clISt17integral_constantIbLb0EESW_EEDaSR_SS_EUlSR_E_NS1_11comp_targetILNS1_3genE10ELNS1_11target_archE1201ELNS1_3gpuE5ELNS1_3repE0EEENS1_30default_config_static_selectorELNS0_4arch9wavefront6targetE1EEEvT1_,"axG",@progbits,_ZN7rocprim17ROCPRIM_400000_NS6detail17trampoline_kernelINS0_14default_configENS1_20scan_config_selectorIfEEZZNS1_9scan_implILNS1_25lookback_scan_determinismE0ELb0ELb0ES3_PKfPffZZZN2at6native31launch_logcumsumexp_cuda_kernelERKNSB_10TensorBaseESF_lENKUlvE_clEvENKUlvE0_clEvEUlffE_fEEDaPvRmT3_T4_T5_mT6_P12ihipStream_tbENKUlT_T0_E_clISt17integral_constantIbLb0EESW_EEDaSR_SS_EUlSR_E_NS1_11comp_targetILNS1_3genE10ELNS1_11target_archE1201ELNS1_3gpuE5ELNS1_3repE0EEENS1_30default_config_static_selectorELNS0_4arch9wavefront6targetE1EEEvT1_,comdat
	.globl	_ZN7rocprim17ROCPRIM_400000_NS6detail17trampoline_kernelINS0_14default_configENS1_20scan_config_selectorIfEEZZNS1_9scan_implILNS1_25lookback_scan_determinismE0ELb0ELb0ES3_PKfPffZZZN2at6native31launch_logcumsumexp_cuda_kernelERKNSB_10TensorBaseESF_lENKUlvE_clEvENKUlvE0_clEvEUlffE_fEEDaPvRmT3_T4_T5_mT6_P12ihipStream_tbENKUlT_T0_E_clISt17integral_constantIbLb0EESW_EEDaSR_SS_EUlSR_E_NS1_11comp_targetILNS1_3genE10ELNS1_11target_archE1201ELNS1_3gpuE5ELNS1_3repE0EEENS1_30default_config_static_selectorELNS0_4arch9wavefront6targetE1EEEvT1_ ; -- Begin function _ZN7rocprim17ROCPRIM_400000_NS6detail17trampoline_kernelINS0_14default_configENS1_20scan_config_selectorIfEEZZNS1_9scan_implILNS1_25lookback_scan_determinismE0ELb0ELb0ES3_PKfPffZZZN2at6native31launch_logcumsumexp_cuda_kernelERKNSB_10TensorBaseESF_lENKUlvE_clEvENKUlvE0_clEvEUlffE_fEEDaPvRmT3_T4_T5_mT6_P12ihipStream_tbENKUlT_T0_E_clISt17integral_constantIbLb0EESW_EEDaSR_SS_EUlSR_E_NS1_11comp_targetILNS1_3genE10ELNS1_11target_archE1201ELNS1_3gpuE5ELNS1_3repE0EEENS1_30default_config_static_selectorELNS0_4arch9wavefront6targetE1EEEvT1_
	.p2align	8
	.type	_ZN7rocprim17ROCPRIM_400000_NS6detail17trampoline_kernelINS0_14default_configENS1_20scan_config_selectorIfEEZZNS1_9scan_implILNS1_25lookback_scan_determinismE0ELb0ELb0ES3_PKfPffZZZN2at6native31launch_logcumsumexp_cuda_kernelERKNSB_10TensorBaseESF_lENKUlvE_clEvENKUlvE0_clEvEUlffE_fEEDaPvRmT3_T4_T5_mT6_P12ihipStream_tbENKUlT_T0_E_clISt17integral_constantIbLb0EESW_EEDaSR_SS_EUlSR_E_NS1_11comp_targetILNS1_3genE10ELNS1_11target_archE1201ELNS1_3gpuE5ELNS1_3repE0EEENS1_30default_config_static_selectorELNS0_4arch9wavefront6targetE1EEEvT1_,@function
_ZN7rocprim17ROCPRIM_400000_NS6detail17trampoline_kernelINS0_14default_configENS1_20scan_config_selectorIfEEZZNS1_9scan_implILNS1_25lookback_scan_determinismE0ELb0ELb0ES3_PKfPffZZZN2at6native31launch_logcumsumexp_cuda_kernelERKNSB_10TensorBaseESF_lENKUlvE_clEvENKUlvE0_clEvEUlffE_fEEDaPvRmT3_T4_T5_mT6_P12ihipStream_tbENKUlT_T0_E_clISt17integral_constantIbLb0EESW_EEDaSR_SS_EUlSR_E_NS1_11comp_targetILNS1_3genE10ELNS1_11target_archE1201ELNS1_3gpuE5ELNS1_3repE0EEENS1_30default_config_static_selectorELNS0_4arch9wavefront6targetE1EEEvT1_: ; @_ZN7rocprim17ROCPRIM_400000_NS6detail17trampoline_kernelINS0_14default_configENS1_20scan_config_selectorIfEEZZNS1_9scan_implILNS1_25lookback_scan_determinismE0ELb0ELb0ES3_PKfPffZZZN2at6native31launch_logcumsumexp_cuda_kernelERKNSB_10TensorBaseESF_lENKUlvE_clEvENKUlvE0_clEvEUlffE_fEEDaPvRmT3_T4_T5_mT6_P12ihipStream_tbENKUlT_T0_E_clISt17integral_constantIbLb0EESW_EEDaSR_SS_EUlSR_E_NS1_11comp_targetILNS1_3genE10ELNS1_11target_archE1201ELNS1_3gpuE5ELNS1_3repE0EEENS1_30default_config_static_selectorELNS0_4arch9wavefront6targetE1EEEvT1_
; %bb.0:
	.section	.rodata,"a",@progbits
	.p2align	6, 0x0
	.amdhsa_kernel _ZN7rocprim17ROCPRIM_400000_NS6detail17trampoline_kernelINS0_14default_configENS1_20scan_config_selectorIfEEZZNS1_9scan_implILNS1_25lookback_scan_determinismE0ELb0ELb0ES3_PKfPffZZZN2at6native31launch_logcumsumexp_cuda_kernelERKNSB_10TensorBaseESF_lENKUlvE_clEvENKUlvE0_clEvEUlffE_fEEDaPvRmT3_T4_T5_mT6_P12ihipStream_tbENKUlT_T0_E_clISt17integral_constantIbLb0EESW_EEDaSR_SS_EUlSR_E_NS1_11comp_targetILNS1_3genE10ELNS1_11target_archE1201ELNS1_3gpuE5ELNS1_3repE0EEENS1_30default_config_static_selectorELNS0_4arch9wavefront6targetE1EEEvT1_
		.amdhsa_group_segment_fixed_size 0
		.amdhsa_private_segment_fixed_size 0
		.amdhsa_kernarg_size 96
		.amdhsa_user_sgpr_count 2
		.amdhsa_user_sgpr_dispatch_ptr 0
		.amdhsa_user_sgpr_queue_ptr 0
		.amdhsa_user_sgpr_kernarg_segment_ptr 1
		.amdhsa_user_sgpr_dispatch_id 0
		.amdhsa_user_sgpr_kernarg_preload_length 0
		.amdhsa_user_sgpr_kernarg_preload_offset 0
		.amdhsa_user_sgpr_private_segment_size 0
		.amdhsa_uses_dynamic_stack 0
		.amdhsa_enable_private_segment 0
		.amdhsa_system_sgpr_workgroup_id_x 1
		.amdhsa_system_sgpr_workgroup_id_y 0
		.amdhsa_system_sgpr_workgroup_id_z 0
		.amdhsa_system_sgpr_workgroup_info 0
		.amdhsa_system_vgpr_workitem_id 0
		.amdhsa_next_free_vgpr 1
		.amdhsa_next_free_sgpr 0
		.amdhsa_accum_offset 4
		.amdhsa_reserve_vcc 0
		.amdhsa_float_round_mode_32 0
		.amdhsa_float_round_mode_16_64 0
		.amdhsa_float_denorm_mode_32 3
		.amdhsa_float_denorm_mode_16_64 3
		.amdhsa_dx10_clamp 1
		.amdhsa_ieee_mode 1
		.amdhsa_fp16_overflow 0
		.amdhsa_tg_split 0
		.amdhsa_exception_fp_ieee_invalid_op 0
		.amdhsa_exception_fp_denorm_src 0
		.amdhsa_exception_fp_ieee_div_zero 0
		.amdhsa_exception_fp_ieee_overflow 0
		.amdhsa_exception_fp_ieee_underflow 0
		.amdhsa_exception_fp_ieee_inexact 0
		.amdhsa_exception_int_div_zero 0
	.end_amdhsa_kernel
	.section	.text._ZN7rocprim17ROCPRIM_400000_NS6detail17trampoline_kernelINS0_14default_configENS1_20scan_config_selectorIfEEZZNS1_9scan_implILNS1_25lookback_scan_determinismE0ELb0ELb0ES3_PKfPffZZZN2at6native31launch_logcumsumexp_cuda_kernelERKNSB_10TensorBaseESF_lENKUlvE_clEvENKUlvE0_clEvEUlffE_fEEDaPvRmT3_T4_T5_mT6_P12ihipStream_tbENKUlT_T0_E_clISt17integral_constantIbLb0EESW_EEDaSR_SS_EUlSR_E_NS1_11comp_targetILNS1_3genE10ELNS1_11target_archE1201ELNS1_3gpuE5ELNS1_3repE0EEENS1_30default_config_static_selectorELNS0_4arch9wavefront6targetE1EEEvT1_,"axG",@progbits,_ZN7rocprim17ROCPRIM_400000_NS6detail17trampoline_kernelINS0_14default_configENS1_20scan_config_selectorIfEEZZNS1_9scan_implILNS1_25lookback_scan_determinismE0ELb0ELb0ES3_PKfPffZZZN2at6native31launch_logcumsumexp_cuda_kernelERKNSB_10TensorBaseESF_lENKUlvE_clEvENKUlvE0_clEvEUlffE_fEEDaPvRmT3_T4_T5_mT6_P12ihipStream_tbENKUlT_T0_E_clISt17integral_constantIbLb0EESW_EEDaSR_SS_EUlSR_E_NS1_11comp_targetILNS1_3genE10ELNS1_11target_archE1201ELNS1_3gpuE5ELNS1_3repE0EEENS1_30default_config_static_selectorELNS0_4arch9wavefront6targetE1EEEvT1_,comdat
.Lfunc_end98:
	.size	_ZN7rocprim17ROCPRIM_400000_NS6detail17trampoline_kernelINS0_14default_configENS1_20scan_config_selectorIfEEZZNS1_9scan_implILNS1_25lookback_scan_determinismE0ELb0ELb0ES3_PKfPffZZZN2at6native31launch_logcumsumexp_cuda_kernelERKNSB_10TensorBaseESF_lENKUlvE_clEvENKUlvE0_clEvEUlffE_fEEDaPvRmT3_T4_T5_mT6_P12ihipStream_tbENKUlT_T0_E_clISt17integral_constantIbLb0EESW_EEDaSR_SS_EUlSR_E_NS1_11comp_targetILNS1_3genE10ELNS1_11target_archE1201ELNS1_3gpuE5ELNS1_3repE0EEENS1_30default_config_static_selectorELNS0_4arch9wavefront6targetE1EEEvT1_, .Lfunc_end98-_ZN7rocprim17ROCPRIM_400000_NS6detail17trampoline_kernelINS0_14default_configENS1_20scan_config_selectorIfEEZZNS1_9scan_implILNS1_25lookback_scan_determinismE0ELb0ELb0ES3_PKfPffZZZN2at6native31launch_logcumsumexp_cuda_kernelERKNSB_10TensorBaseESF_lENKUlvE_clEvENKUlvE0_clEvEUlffE_fEEDaPvRmT3_T4_T5_mT6_P12ihipStream_tbENKUlT_T0_E_clISt17integral_constantIbLb0EESW_EEDaSR_SS_EUlSR_E_NS1_11comp_targetILNS1_3genE10ELNS1_11target_archE1201ELNS1_3gpuE5ELNS1_3repE0EEENS1_30default_config_static_selectorELNS0_4arch9wavefront6targetE1EEEvT1_
                                        ; -- End function
	.section	.AMDGPU.csdata,"",@progbits
; Kernel info:
; codeLenInByte = 0
; NumSgprs: 6
; NumVgprs: 0
; NumAgprs: 0
; TotalNumVgprs: 0
; ScratchSize: 0
; MemoryBound: 0
; FloatMode: 240
; IeeeMode: 1
; LDSByteSize: 0 bytes/workgroup (compile time only)
; SGPRBlocks: 0
; VGPRBlocks: 0
; NumSGPRsForWavesPerEU: 6
; NumVGPRsForWavesPerEU: 1
; AccumOffset: 4
; Occupancy: 8
; WaveLimiterHint : 0
; COMPUTE_PGM_RSRC2:SCRATCH_EN: 0
; COMPUTE_PGM_RSRC2:USER_SGPR: 2
; COMPUTE_PGM_RSRC2:TRAP_HANDLER: 0
; COMPUTE_PGM_RSRC2:TGID_X_EN: 1
; COMPUTE_PGM_RSRC2:TGID_Y_EN: 0
; COMPUTE_PGM_RSRC2:TGID_Z_EN: 0
; COMPUTE_PGM_RSRC2:TIDIG_COMP_CNT: 0
; COMPUTE_PGM_RSRC3_GFX90A:ACCUM_OFFSET: 0
; COMPUTE_PGM_RSRC3_GFX90A:TG_SPLIT: 0
	.section	.text._ZN7rocprim17ROCPRIM_400000_NS6detail17trampoline_kernelINS0_14default_configENS1_20scan_config_selectorIfEEZZNS1_9scan_implILNS1_25lookback_scan_determinismE0ELb0ELb0ES3_PKfPffZZZN2at6native31launch_logcumsumexp_cuda_kernelERKNSB_10TensorBaseESF_lENKUlvE_clEvENKUlvE0_clEvEUlffE_fEEDaPvRmT3_T4_T5_mT6_P12ihipStream_tbENKUlT_T0_E_clISt17integral_constantIbLb0EESW_EEDaSR_SS_EUlSR_E_NS1_11comp_targetILNS1_3genE10ELNS1_11target_archE1200ELNS1_3gpuE4ELNS1_3repE0EEENS1_30default_config_static_selectorELNS0_4arch9wavefront6targetE1EEEvT1_,"axG",@progbits,_ZN7rocprim17ROCPRIM_400000_NS6detail17trampoline_kernelINS0_14default_configENS1_20scan_config_selectorIfEEZZNS1_9scan_implILNS1_25lookback_scan_determinismE0ELb0ELb0ES3_PKfPffZZZN2at6native31launch_logcumsumexp_cuda_kernelERKNSB_10TensorBaseESF_lENKUlvE_clEvENKUlvE0_clEvEUlffE_fEEDaPvRmT3_T4_T5_mT6_P12ihipStream_tbENKUlT_T0_E_clISt17integral_constantIbLb0EESW_EEDaSR_SS_EUlSR_E_NS1_11comp_targetILNS1_3genE10ELNS1_11target_archE1200ELNS1_3gpuE4ELNS1_3repE0EEENS1_30default_config_static_selectorELNS0_4arch9wavefront6targetE1EEEvT1_,comdat
	.globl	_ZN7rocprim17ROCPRIM_400000_NS6detail17trampoline_kernelINS0_14default_configENS1_20scan_config_selectorIfEEZZNS1_9scan_implILNS1_25lookback_scan_determinismE0ELb0ELb0ES3_PKfPffZZZN2at6native31launch_logcumsumexp_cuda_kernelERKNSB_10TensorBaseESF_lENKUlvE_clEvENKUlvE0_clEvEUlffE_fEEDaPvRmT3_T4_T5_mT6_P12ihipStream_tbENKUlT_T0_E_clISt17integral_constantIbLb0EESW_EEDaSR_SS_EUlSR_E_NS1_11comp_targetILNS1_3genE10ELNS1_11target_archE1200ELNS1_3gpuE4ELNS1_3repE0EEENS1_30default_config_static_selectorELNS0_4arch9wavefront6targetE1EEEvT1_ ; -- Begin function _ZN7rocprim17ROCPRIM_400000_NS6detail17trampoline_kernelINS0_14default_configENS1_20scan_config_selectorIfEEZZNS1_9scan_implILNS1_25lookback_scan_determinismE0ELb0ELb0ES3_PKfPffZZZN2at6native31launch_logcumsumexp_cuda_kernelERKNSB_10TensorBaseESF_lENKUlvE_clEvENKUlvE0_clEvEUlffE_fEEDaPvRmT3_T4_T5_mT6_P12ihipStream_tbENKUlT_T0_E_clISt17integral_constantIbLb0EESW_EEDaSR_SS_EUlSR_E_NS1_11comp_targetILNS1_3genE10ELNS1_11target_archE1200ELNS1_3gpuE4ELNS1_3repE0EEENS1_30default_config_static_selectorELNS0_4arch9wavefront6targetE1EEEvT1_
	.p2align	8
	.type	_ZN7rocprim17ROCPRIM_400000_NS6detail17trampoline_kernelINS0_14default_configENS1_20scan_config_selectorIfEEZZNS1_9scan_implILNS1_25lookback_scan_determinismE0ELb0ELb0ES3_PKfPffZZZN2at6native31launch_logcumsumexp_cuda_kernelERKNSB_10TensorBaseESF_lENKUlvE_clEvENKUlvE0_clEvEUlffE_fEEDaPvRmT3_T4_T5_mT6_P12ihipStream_tbENKUlT_T0_E_clISt17integral_constantIbLb0EESW_EEDaSR_SS_EUlSR_E_NS1_11comp_targetILNS1_3genE10ELNS1_11target_archE1200ELNS1_3gpuE4ELNS1_3repE0EEENS1_30default_config_static_selectorELNS0_4arch9wavefront6targetE1EEEvT1_,@function
_ZN7rocprim17ROCPRIM_400000_NS6detail17trampoline_kernelINS0_14default_configENS1_20scan_config_selectorIfEEZZNS1_9scan_implILNS1_25lookback_scan_determinismE0ELb0ELb0ES3_PKfPffZZZN2at6native31launch_logcumsumexp_cuda_kernelERKNSB_10TensorBaseESF_lENKUlvE_clEvENKUlvE0_clEvEUlffE_fEEDaPvRmT3_T4_T5_mT6_P12ihipStream_tbENKUlT_T0_E_clISt17integral_constantIbLb0EESW_EEDaSR_SS_EUlSR_E_NS1_11comp_targetILNS1_3genE10ELNS1_11target_archE1200ELNS1_3gpuE4ELNS1_3repE0EEENS1_30default_config_static_selectorELNS0_4arch9wavefront6targetE1EEEvT1_: ; @_ZN7rocprim17ROCPRIM_400000_NS6detail17trampoline_kernelINS0_14default_configENS1_20scan_config_selectorIfEEZZNS1_9scan_implILNS1_25lookback_scan_determinismE0ELb0ELb0ES3_PKfPffZZZN2at6native31launch_logcumsumexp_cuda_kernelERKNSB_10TensorBaseESF_lENKUlvE_clEvENKUlvE0_clEvEUlffE_fEEDaPvRmT3_T4_T5_mT6_P12ihipStream_tbENKUlT_T0_E_clISt17integral_constantIbLb0EESW_EEDaSR_SS_EUlSR_E_NS1_11comp_targetILNS1_3genE10ELNS1_11target_archE1200ELNS1_3gpuE4ELNS1_3repE0EEENS1_30default_config_static_selectorELNS0_4arch9wavefront6targetE1EEEvT1_
; %bb.0:
	.section	.rodata,"a",@progbits
	.p2align	6, 0x0
	.amdhsa_kernel _ZN7rocprim17ROCPRIM_400000_NS6detail17trampoline_kernelINS0_14default_configENS1_20scan_config_selectorIfEEZZNS1_9scan_implILNS1_25lookback_scan_determinismE0ELb0ELb0ES3_PKfPffZZZN2at6native31launch_logcumsumexp_cuda_kernelERKNSB_10TensorBaseESF_lENKUlvE_clEvENKUlvE0_clEvEUlffE_fEEDaPvRmT3_T4_T5_mT6_P12ihipStream_tbENKUlT_T0_E_clISt17integral_constantIbLb0EESW_EEDaSR_SS_EUlSR_E_NS1_11comp_targetILNS1_3genE10ELNS1_11target_archE1200ELNS1_3gpuE4ELNS1_3repE0EEENS1_30default_config_static_selectorELNS0_4arch9wavefront6targetE1EEEvT1_
		.amdhsa_group_segment_fixed_size 0
		.amdhsa_private_segment_fixed_size 0
		.amdhsa_kernarg_size 96
		.amdhsa_user_sgpr_count 2
		.amdhsa_user_sgpr_dispatch_ptr 0
		.amdhsa_user_sgpr_queue_ptr 0
		.amdhsa_user_sgpr_kernarg_segment_ptr 1
		.amdhsa_user_sgpr_dispatch_id 0
		.amdhsa_user_sgpr_kernarg_preload_length 0
		.amdhsa_user_sgpr_kernarg_preload_offset 0
		.amdhsa_user_sgpr_private_segment_size 0
		.amdhsa_uses_dynamic_stack 0
		.amdhsa_enable_private_segment 0
		.amdhsa_system_sgpr_workgroup_id_x 1
		.amdhsa_system_sgpr_workgroup_id_y 0
		.amdhsa_system_sgpr_workgroup_id_z 0
		.amdhsa_system_sgpr_workgroup_info 0
		.amdhsa_system_vgpr_workitem_id 0
		.amdhsa_next_free_vgpr 1
		.amdhsa_next_free_sgpr 0
		.amdhsa_accum_offset 4
		.amdhsa_reserve_vcc 0
		.amdhsa_float_round_mode_32 0
		.amdhsa_float_round_mode_16_64 0
		.amdhsa_float_denorm_mode_32 3
		.amdhsa_float_denorm_mode_16_64 3
		.amdhsa_dx10_clamp 1
		.amdhsa_ieee_mode 1
		.amdhsa_fp16_overflow 0
		.amdhsa_tg_split 0
		.amdhsa_exception_fp_ieee_invalid_op 0
		.amdhsa_exception_fp_denorm_src 0
		.amdhsa_exception_fp_ieee_div_zero 0
		.amdhsa_exception_fp_ieee_overflow 0
		.amdhsa_exception_fp_ieee_underflow 0
		.amdhsa_exception_fp_ieee_inexact 0
		.amdhsa_exception_int_div_zero 0
	.end_amdhsa_kernel
	.section	.text._ZN7rocprim17ROCPRIM_400000_NS6detail17trampoline_kernelINS0_14default_configENS1_20scan_config_selectorIfEEZZNS1_9scan_implILNS1_25lookback_scan_determinismE0ELb0ELb0ES3_PKfPffZZZN2at6native31launch_logcumsumexp_cuda_kernelERKNSB_10TensorBaseESF_lENKUlvE_clEvENKUlvE0_clEvEUlffE_fEEDaPvRmT3_T4_T5_mT6_P12ihipStream_tbENKUlT_T0_E_clISt17integral_constantIbLb0EESW_EEDaSR_SS_EUlSR_E_NS1_11comp_targetILNS1_3genE10ELNS1_11target_archE1200ELNS1_3gpuE4ELNS1_3repE0EEENS1_30default_config_static_selectorELNS0_4arch9wavefront6targetE1EEEvT1_,"axG",@progbits,_ZN7rocprim17ROCPRIM_400000_NS6detail17trampoline_kernelINS0_14default_configENS1_20scan_config_selectorIfEEZZNS1_9scan_implILNS1_25lookback_scan_determinismE0ELb0ELb0ES3_PKfPffZZZN2at6native31launch_logcumsumexp_cuda_kernelERKNSB_10TensorBaseESF_lENKUlvE_clEvENKUlvE0_clEvEUlffE_fEEDaPvRmT3_T4_T5_mT6_P12ihipStream_tbENKUlT_T0_E_clISt17integral_constantIbLb0EESW_EEDaSR_SS_EUlSR_E_NS1_11comp_targetILNS1_3genE10ELNS1_11target_archE1200ELNS1_3gpuE4ELNS1_3repE0EEENS1_30default_config_static_selectorELNS0_4arch9wavefront6targetE1EEEvT1_,comdat
.Lfunc_end99:
	.size	_ZN7rocprim17ROCPRIM_400000_NS6detail17trampoline_kernelINS0_14default_configENS1_20scan_config_selectorIfEEZZNS1_9scan_implILNS1_25lookback_scan_determinismE0ELb0ELb0ES3_PKfPffZZZN2at6native31launch_logcumsumexp_cuda_kernelERKNSB_10TensorBaseESF_lENKUlvE_clEvENKUlvE0_clEvEUlffE_fEEDaPvRmT3_T4_T5_mT6_P12ihipStream_tbENKUlT_T0_E_clISt17integral_constantIbLb0EESW_EEDaSR_SS_EUlSR_E_NS1_11comp_targetILNS1_3genE10ELNS1_11target_archE1200ELNS1_3gpuE4ELNS1_3repE0EEENS1_30default_config_static_selectorELNS0_4arch9wavefront6targetE1EEEvT1_, .Lfunc_end99-_ZN7rocprim17ROCPRIM_400000_NS6detail17trampoline_kernelINS0_14default_configENS1_20scan_config_selectorIfEEZZNS1_9scan_implILNS1_25lookback_scan_determinismE0ELb0ELb0ES3_PKfPffZZZN2at6native31launch_logcumsumexp_cuda_kernelERKNSB_10TensorBaseESF_lENKUlvE_clEvENKUlvE0_clEvEUlffE_fEEDaPvRmT3_T4_T5_mT6_P12ihipStream_tbENKUlT_T0_E_clISt17integral_constantIbLb0EESW_EEDaSR_SS_EUlSR_E_NS1_11comp_targetILNS1_3genE10ELNS1_11target_archE1200ELNS1_3gpuE4ELNS1_3repE0EEENS1_30default_config_static_selectorELNS0_4arch9wavefront6targetE1EEEvT1_
                                        ; -- End function
	.section	.AMDGPU.csdata,"",@progbits
; Kernel info:
; codeLenInByte = 0
; NumSgprs: 6
; NumVgprs: 0
; NumAgprs: 0
; TotalNumVgprs: 0
; ScratchSize: 0
; MemoryBound: 0
; FloatMode: 240
; IeeeMode: 1
; LDSByteSize: 0 bytes/workgroup (compile time only)
; SGPRBlocks: 0
; VGPRBlocks: 0
; NumSGPRsForWavesPerEU: 6
; NumVGPRsForWavesPerEU: 1
; AccumOffset: 4
; Occupancy: 8
; WaveLimiterHint : 0
; COMPUTE_PGM_RSRC2:SCRATCH_EN: 0
; COMPUTE_PGM_RSRC2:USER_SGPR: 2
; COMPUTE_PGM_RSRC2:TRAP_HANDLER: 0
; COMPUTE_PGM_RSRC2:TGID_X_EN: 1
; COMPUTE_PGM_RSRC2:TGID_Y_EN: 0
; COMPUTE_PGM_RSRC2:TGID_Z_EN: 0
; COMPUTE_PGM_RSRC2:TIDIG_COMP_CNT: 0
; COMPUTE_PGM_RSRC3_GFX90A:ACCUM_OFFSET: 0
; COMPUTE_PGM_RSRC3_GFX90A:TG_SPLIT: 0
	.section	.text._ZN7rocprim17ROCPRIM_400000_NS6detail17trampoline_kernelINS0_14default_configENS1_20scan_config_selectorIfEEZZNS1_9scan_implILNS1_25lookback_scan_determinismE0ELb0ELb0ES3_PKfPffZZZN2at6native31launch_logcumsumexp_cuda_kernelERKNSB_10TensorBaseESF_lENKUlvE_clEvENKUlvE0_clEvEUlffE_fEEDaPvRmT3_T4_T5_mT6_P12ihipStream_tbENKUlT_T0_E_clISt17integral_constantIbLb0EESW_EEDaSR_SS_EUlSR_E_NS1_11comp_targetILNS1_3genE9ELNS1_11target_archE1100ELNS1_3gpuE3ELNS1_3repE0EEENS1_30default_config_static_selectorELNS0_4arch9wavefront6targetE1EEEvT1_,"axG",@progbits,_ZN7rocprim17ROCPRIM_400000_NS6detail17trampoline_kernelINS0_14default_configENS1_20scan_config_selectorIfEEZZNS1_9scan_implILNS1_25lookback_scan_determinismE0ELb0ELb0ES3_PKfPffZZZN2at6native31launch_logcumsumexp_cuda_kernelERKNSB_10TensorBaseESF_lENKUlvE_clEvENKUlvE0_clEvEUlffE_fEEDaPvRmT3_T4_T5_mT6_P12ihipStream_tbENKUlT_T0_E_clISt17integral_constantIbLb0EESW_EEDaSR_SS_EUlSR_E_NS1_11comp_targetILNS1_3genE9ELNS1_11target_archE1100ELNS1_3gpuE3ELNS1_3repE0EEENS1_30default_config_static_selectorELNS0_4arch9wavefront6targetE1EEEvT1_,comdat
	.globl	_ZN7rocprim17ROCPRIM_400000_NS6detail17trampoline_kernelINS0_14default_configENS1_20scan_config_selectorIfEEZZNS1_9scan_implILNS1_25lookback_scan_determinismE0ELb0ELb0ES3_PKfPffZZZN2at6native31launch_logcumsumexp_cuda_kernelERKNSB_10TensorBaseESF_lENKUlvE_clEvENKUlvE0_clEvEUlffE_fEEDaPvRmT3_T4_T5_mT6_P12ihipStream_tbENKUlT_T0_E_clISt17integral_constantIbLb0EESW_EEDaSR_SS_EUlSR_E_NS1_11comp_targetILNS1_3genE9ELNS1_11target_archE1100ELNS1_3gpuE3ELNS1_3repE0EEENS1_30default_config_static_selectorELNS0_4arch9wavefront6targetE1EEEvT1_ ; -- Begin function _ZN7rocprim17ROCPRIM_400000_NS6detail17trampoline_kernelINS0_14default_configENS1_20scan_config_selectorIfEEZZNS1_9scan_implILNS1_25lookback_scan_determinismE0ELb0ELb0ES3_PKfPffZZZN2at6native31launch_logcumsumexp_cuda_kernelERKNSB_10TensorBaseESF_lENKUlvE_clEvENKUlvE0_clEvEUlffE_fEEDaPvRmT3_T4_T5_mT6_P12ihipStream_tbENKUlT_T0_E_clISt17integral_constantIbLb0EESW_EEDaSR_SS_EUlSR_E_NS1_11comp_targetILNS1_3genE9ELNS1_11target_archE1100ELNS1_3gpuE3ELNS1_3repE0EEENS1_30default_config_static_selectorELNS0_4arch9wavefront6targetE1EEEvT1_
	.p2align	8
	.type	_ZN7rocprim17ROCPRIM_400000_NS6detail17trampoline_kernelINS0_14default_configENS1_20scan_config_selectorIfEEZZNS1_9scan_implILNS1_25lookback_scan_determinismE0ELb0ELb0ES3_PKfPffZZZN2at6native31launch_logcumsumexp_cuda_kernelERKNSB_10TensorBaseESF_lENKUlvE_clEvENKUlvE0_clEvEUlffE_fEEDaPvRmT3_T4_T5_mT6_P12ihipStream_tbENKUlT_T0_E_clISt17integral_constantIbLb0EESW_EEDaSR_SS_EUlSR_E_NS1_11comp_targetILNS1_3genE9ELNS1_11target_archE1100ELNS1_3gpuE3ELNS1_3repE0EEENS1_30default_config_static_selectorELNS0_4arch9wavefront6targetE1EEEvT1_,@function
_ZN7rocprim17ROCPRIM_400000_NS6detail17trampoline_kernelINS0_14default_configENS1_20scan_config_selectorIfEEZZNS1_9scan_implILNS1_25lookback_scan_determinismE0ELb0ELb0ES3_PKfPffZZZN2at6native31launch_logcumsumexp_cuda_kernelERKNSB_10TensorBaseESF_lENKUlvE_clEvENKUlvE0_clEvEUlffE_fEEDaPvRmT3_T4_T5_mT6_P12ihipStream_tbENKUlT_T0_E_clISt17integral_constantIbLb0EESW_EEDaSR_SS_EUlSR_E_NS1_11comp_targetILNS1_3genE9ELNS1_11target_archE1100ELNS1_3gpuE3ELNS1_3repE0EEENS1_30default_config_static_selectorELNS0_4arch9wavefront6targetE1EEEvT1_: ; @_ZN7rocprim17ROCPRIM_400000_NS6detail17trampoline_kernelINS0_14default_configENS1_20scan_config_selectorIfEEZZNS1_9scan_implILNS1_25lookback_scan_determinismE0ELb0ELb0ES3_PKfPffZZZN2at6native31launch_logcumsumexp_cuda_kernelERKNSB_10TensorBaseESF_lENKUlvE_clEvENKUlvE0_clEvEUlffE_fEEDaPvRmT3_T4_T5_mT6_P12ihipStream_tbENKUlT_T0_E_clISt17integral_constantIbLb0EESW_EEDaSR_SS_EUlSR_E_NS1_11comp_targetILNS1_3genE9ELNS1_11target_archE1100ELNS1_3gpuE3ELNS1_3repE0EEENS1_30default_config_static_selectorELNS0_4arch9wavefront6targetE1EEEvT1_
; %bb.0:
	.section	.rodata,"a",@progbits
	.p2align	6, 0x0
	.amdhsa_kernel _ZN7rocprim17ROCPRIM_400000_NS6detail17trampoline_kernelINS0_14default_configENS1_20scan_config_selectorIfEEZZNS1_9scan_implILNS1_25lookback_scan_determinismE0ELb0ELb0ES3_PKfPffZZZN2at6native31launch_logcumsumexp_cuda_kernelERKNSB_10TensorBaseESF_lENKUlvE_clEvENKUlvE0_clEvEUlffE_fEEDaPvRmT3_T4_T5_mT6_P12ihipStream_tbENKUlT_T0_E_clISt17integral_constantIbLb0EESW_EEDaSR_SS_EUlSR_E_NS1_11comp_targetILNS1_3genE9ELNS1_11target_archE1100ELNS1_3gpuE3ELNS1_3repE0EEENS1_30default_config_static_selectorELNS0_4arch9wavefront6targetE1EEEvT1_
		.amdhsa_group_segment_fixed_size 0
		.amdhsa_private_segment_fixed_size 0
		.amdhsa_kernarg_size 96
		.amdhsa_user_sgpr_count 2
		.amdhsa_user_sgpr_dispatch_ptr 0
		.amdhsa_user_sgpr_queue_ptr 0
		.amdhsa_user_sgpr_kernarg_segment_ptr 1
		.amdhsa_user_sgpr_dispatch_id 0
		.amdhsa_user_sgpr_kernarg_preload_length 0
		.amdhsa_user_sgpr_kernarg_preload_offset 0
		.amdhsa_user_sgpr_private_segment_size 0
		.amdhsa_uses_dynamic_stack 0
		.amdhsa_enable_private_segment 0
		.amdhsa_system_sgpr_workgroup_id_x 1
		.amdhsa_system_sgpr_workgroup_id_y 0
		.amdhsa_system_sgpr_workgroup_id_z 0
		.amdhsa_system_sgpr_workgroup_info 0
		.amdhsa_system_vgpr_workitem_id 0
		.amdhsa_next_free_vgpr 1
		.amdhsa_next_free_sgpr 0
		.amdhsa_accum_offset 4
		.amdhsa_reserve_vcc 0
		.amdhsa_float_round_mode_32 0
		.amdhsa_float_round_mode_16_64 0
		.amdhsa_float_denorm_mode_32 3
		.amdhsa_float_denorm_mode_16_64 3
		.amdhsa_dx10_clamp 1
		.amdhsa_ieee_mode 1
		.amdhsa_fp16_overflow 0
		.amdhsa_tg_split 0
		.amdhsa_exception_fp_ieee_invalid_op 0
		.amdhsa_exception_fp_denorm_src 0
		.amdhsa_exception_fp_ieee_div_zero 0
		.amdhsa_exception_fp_ieee_overflow 0
		.amdhsa_exception_fp_ieee_underflow 0
		.amdhsa_exception_fp_ieee_inexact 0
		.amdhsa_exception_int_div_zero 0
	.end_amdhsa_kernel
	.section	.text._ZN7rocprim17ROCPRIM_400000_NS6detail17trampoline_kernelINS0_14default_configENS1_20scan_config_selectorIfEEZZNS1_9scan_implILNS1_25lookback_scan_determinismE0ELb0ELb0ES3_PKfPffZZZN2at6native31launch_logcumsumexp_cuda_kernelERKNSB_10TensorBaseESF_lENKUlvE_clEvENKUlvE0_clEvEUlffE_fEEDaPvRmT3_T4_T5_mT6_P12ihipStream_tbENKUlT_T0_E_clISt17integral_constantIbLb0EESW_EEDaSR_SS_EUlSR_E_NS1_11comp_targetILNS1_3genE9ELNS1_11target_archE1100ELNS1_3gpuE3ELNS1_3repE0EEENS1_30default_config_static_selectorELNS0_4arch9wavefront6targetE1EEEvT1_,"axG",@progbits,_ZN7rocprim17ROCPRIM_400000_NS6detail17trampoline_kernelINS0_14default_configENS1_20scan_config_selectorIfEEZZNS1_9scan_implILNS1_25lookback_scan_determinismE0ELb0ELb0ES3_PKfPffZZZN2at6native31launch_logcumsumexp_cuda_kernelERKNSB_10TensorBaseESF_lENKUlvE_clEvENKUlvE0_clEvEUlffE_fEEDaPvRmT3_T4_T5_mT6_P12ihipStream_tbENKUlT_T0_E_clISt17integral_constantIbLb0EESW_EEDaSR_SS_EUlSR_E_NS1_11comp_targetILNS1_3genE9ELNS1_11target_archE1100ELNS1_3gpuE3ELNS1_3repE0EEENS1_30default_config_static_selectorELNS0_4arch9wavefront6targetE1EEEvT1_,comdat
.Lfunc_end100:
	.size	_ZN7rocprim17ROCPRIM_400000_NS6detail17trampoline_kernelINS0_14default_configENS1_20scan_config_selectorIfEEZZNS1_9scan_implILNS1_25lookback_scan_determinismE0ELb0ELb0ES3_PKfPffZZZN2at6native31launch_logcumsumexp_cuda_kernelERKNSB_10TensorBaseESF_lENKUlvE_clEvENKUlvE0_clEvEUlffE_fEEDaPvRmT3_T4_T5_mT6_P12ihipStream_tbENKUlT_T0_E_clISt17integral_constantIbLb0EESW_EEDaSR_SS_EUlSR_E_NS1_11comp_targetILNS1_3genE9ELNS1_11target_archE1100ELNS1_3gpuE3ELNS1_3repE0EEENS1_30default_config_static_selectorELNS0_4arch9wavefront6targetE1EEEvT1_, .Lfunc_end100-_ZN7rocprim17ROCPRIM_400000_NS6detail17trampoline_kernelINS0_14default_configENS1_20scan_config_selectorIfEEZZNS1_9scan_implILNS1_25lookback_scan_determinismE0ELb0ELb0ES3_PKfPffZZZN2at6native31launch_logcumsumexp_cuda_kernelERKNSB_10TensorBaseESF_lENKUlvE_clEvENKUlvE0_clEvEUlffE_fEEDaPvRmT3_T4_T5_mT6_P12ihipStream_tbENKUlT_T0_E_clISt17integral_constantIbLb0EESW_EEDaSR_SS_EUlSR_E_NS1_11comp_targetILNS1_3genE9ELNS1_11target_archE1100ELNS1_3gpuE3ELNS1_3repE0EEENS1_30default_config_static_selectorELNS0_4arch9wavefront6targetE1EEEvT1_
                                        ; -- End function
	.section	.AMDGPU.csdata,"",@progbits
; Kernel info:
; codeLenInByte = 0
; NumSgprs: 6
; NumVgprs: 0
; NumAgprs: 0
; TotalNumVgprs: 0
; ScratchSize: 0
; MemoryBound: 0
; FloatMode: 240
; IeeeMode: 1
; LDSByteSize: 0 bytes/workgroup (compile time only)
; SGPRBlocks: 0
; VGPRBlocks: 0
; NumSGPRsForWavesPerEU: 6
; NumVGPRsForWavesPerEU: 1
; AccumOffset: 4
; Occupancy: 8
; WaveLimiterHint : 0
; COMPUTE_PGM_RSRC2:SCRATCH_EN: 0
; COMPUTE_PGM_RSRC2:USER_SGPR: 2
; COMPUTE_PGM_RSRC2:TRAP_HANDLER: 0
; COMPUTE_PGM_RSRC2:TGID_X_EN: 1
; COMPUTE_PGM_RSRC2:TGID_Y_EN: 0
; COMPUTE_PGM_RSRC2:TGID_Z_EN: 0
; COMPUTE_PGM_RSRC2:TIDIG_COMP_CNT: 0
; COMPUTE_PGM_RSRC3_GFX90A:ACCUM_OFFSET: 0
; COMPUTE_PGM_RSRC3_GFX90A:TG_SPLIT: 0
	.section	.text._ZN7rocprim17ROCPRIM_400000_NS6detail17trampoline_kernelINS0_14default_configENS1_20scan_config_selectorIfEEZZNS1_9scan_implILNS1_25lookback_scan_determinismE0ELb0ELb0ES3_PKfPffZZZN2at6native31launch_logcumsumexp_cuda_kernelERKNSB_10TensorBaseESF_lENKUlvE_clEvENKUlvE0_clEvEUlffE_fEEDaPvRmT3_T4_T5_mT6_P12ihipStream_tbENKUlT_T0_E_clISt17integral_constantIbLb0EESW_EEDaSR_SS_EUlSR_E_NS1_11comp_targetILNS1_3genE8ELNS1_11target_archE1030ELNS1_3gpuE2ELNS1_3repE0EEENS1_30default_config_static_selectorELNS0_4arch9wavefront6targetE1EEEvT1_,"axG",@progbits,_ZN7rocprim17ROCPRIM_400000_NS6detail17trampoline_kernelINS0_14default_configENS1_20scan_config_selectorIfEEZZNS1_9scan_implILNS1_25lookback_scan_determinismE0ELb0ELb0ES3_PKfPffZZZN2at6native31launch_logcumsumexp_cuda_kernelERKNSB_10TensorBaseESF_lENKUlvE_clEvENKUlvE0_clEvEUlffE_fEEDaPvRmT3_T4_T5_mT6_P12ihipStream_tbENKUlT_T0_E_clISt17integral_constantIbLb0EESW_EEDaSR_SS_EUlSR_E_NS1_11comp_targetILNS1_3genE8ELNS1_11target_archE1030ELNS1_3gpuE2ELNS1_3repE0EEENS1_30default_config_static_selectorELNS0_4arch9wavefront6targetE1EEEvT1_,comdat
	.globl	_ZN7rocprim17ROCPRIM_400000_NS6detail17trampoline_kernelINS0_14default_configENS1_20scan_config_selectorIfEEZZNS1_9scan_implILNS1_25lookback_scan_determinismE0ELb0ELb0ES3_PKfPffZZZN2at6native31launch_logcumsumexp_cuda_kernelERKNSB_10TensorBaseESF_lENKUlvE_clEvENKUlvE0_clEvEUlffE_fEEDaPvRmT3_T4_T5_mT6_P12ihipStream_tbENKUlT_T0_E_clISt17integral_constantIbLb0EESW_EEDaSR_SS_EUlSR_E_NS1_11comp_targetILNS1_3genE8ELNS1_11target_archE1030ELNS1_3gpuE2ELNS1_3repE0EEENS1_30default_config_static_selectorELNS0_4arch9wavefront6targetE1EEEvT1_ ; -- Begin function _ZN7rocprim17ROCPRIM_400000_NS6detail17trampoline_kernelINS0_14default_configENS1_20scan_config_selectorIfEEZZNS1_9scan_implILNS1_25lookback_scan_determinismE0ELb0ELb0ES3_PKfPffZZZN2at6native31launch_logcumsumexp_cuda_kernelERKNSB_10TensorBaseESF_lENKUlvE_clEvENKUlvE0_clEvEUlffE_fEEDaPvRmT3_T4_T5_mT6_P12ihipStream_tbENKUlT_T0_E_clISt17integral_constantIbLb0EESW_EEDaSR_SS_EUlSR_E_NS1_11comp_targetILNS1_3genE8ELNS1_11target_archE1030ELNS1_3gpuE2ELNS1_3repE0EEENS1_30default_config_static_selectorELNS0_4arch9wavefront6targetE1EEEvT1_
	.p2align	8
	.type	_ZN7rocprim17ROCPRIM_400000_NS6detail17trampoline_kernelINS0_14default_configENS1_20scan_config_selectorIfEEZZNS1_9scan_implILNS1_25lookback_scan_determinismE0ELb0ELb0ES3_PKfPffZZZN2at6native31launch_logcumsumexp_cuda_kernelERKNSB_10TensorBaseESF_lENKUlvE_clEvENKUlvE0_clEvEUlffE_fEEDaPvRmT3_T4_T5_mT6_P12ihipStream_tbENKUlT_T0_E_clISt17integral_constantIbLb0EESW_EEDaSR_SS_EUlSR_E_NS1_11comp_targetILNS1_3genE8ELNS1_11target_archE1030ELNS1_3gpuE2ELNS1_3repE0EEENS1_30default_config_static_selectorELNS0_4arch9wavefront6targetE1EEEvT1_,@function
_ZN7rocprim17ROCPRIM_400000_NS6detail17trampoline_kernelINS0_14default_configENS1_20scan_config_selectorIfEEZZNS1_9scan_implILNS1_25lookback_scan_determinismE0ELb0ELb0ES3_PKfPffZZZN2at6native31launch_logcumsumexp_cuda_kernelERKNSB_10TensorBaseESF_lENKUlvE_clEvENKUlvE0_clEvEUlffE_fEEDaPvRmT3_T4_T5_mT6_P12ihipStream_tbENKUlT_T0_E_clISt17integral_constantIbLb0EESW_EEDaSR_SS_EUlSR_E_NS1_11comp_targetILNS1_3genE8ELNS1_11target_archE1030ELNS1_3gpuE2ELNS1_3repE0EEENS1_30default_config_static_selectorELNS0_4arch9wavefront6targetE1EEEvT1_: ; @_ZN7rocprim17ROCPRIM_400000_NS6detail17trampoline_kernelINS0_14default_configENS1_20scan_config_selectorIfEEZZNS1_9scan_implILNS1_25lookback_scan_determinismE0ELb0ELb0ES3_PKfPffZZZN2at6native31launch_logcumsumexp_cuda_kernelERKNSB_10TensorBaseESF_lENKUlvE_clEvENKUlvE0_clEvEUlffE_fEEDaPvRmT3_T4_T5_mT6_P12ihipStream_tbENKUlT_T0_E_clISt17integral_constantIbLb0EESW_EEDaSR_SS_EUlSR_E_NS1_11comp_targetILNS1_3genE8ELNS1_11target_archE1030ELNS1_3gpuE2ELNS1_3repE0EEENS1_30default_config_static_selectorELNS0_4arch9wavefront6targetE1EEEvT1_
; %bb.0:
	.section	.rodata,"a",@progbits
	.p2align	6, 0x0
	.amdhsa_kernel _ZN7rocprim17ROCPRIM_400000_NS6detail17trampoline_kernelINS0_14default_configENS1_20scan_config_selectorIfEEZZNS1_9scan_implILNS1_25lookback_scan_determinismE0ELb0ELb0ES3_PKfPffZZZN2at6native31launch_logcumsumexp_cuda_kernelERKNSB_10TensorBaseESF_lENKUlvE_clEvENKUlvE0_clEvEUlffE_fEEDaPvRmT3_T4_T5_mT6_P12ihipStream_tbENKUlT_T0_E_clISt17integral_constantIbLb0EESW_EEDaSR_SS_EUlSR_E_NS1_11comp_targetILNS1_3genE8ELNS1_11target_archE1030ELNS1_3gpuE2ELNS1_3repE0EEENS1_30default_config_static_selectorELNS0_4arch9wavefront6targetE1EEEvT1_
		.amdhsa_group_segment_fixed_size 0
		.amdhsa_private_segment_fixed_size 0
		.amdhsa_kernarg_size 96
		.amdhsa_user_sgpr_count 2
		.amdhsa_user_sgpr_dispatch_ptr 0
		.amdhsa_user_sgpr_queue_ptr 0
		.amdhsa_user_sgpr_kernarg_segment_ptr 1
		.amdhsa_user_sgpr_dispatch_id 0
		.amdhsa_user_sgpr_kernarg_preload_length 0
		.amdhsa_user_sgpr_kernarg_preload_offset 0
		.amdhsa_user_sgpr_private_segment_size 0
		.amdhsa_uses_dynamic_stack 0
		.amdhsa_enable_private_segment 0
		.amdhsa_system_sgpr_workgroup_id_x 1
		.amdhsa_system_sgpr_workgroup_id_y 0
		.amdhsa_system_sgpr_workgroup_id_z 0
		.amdhsa_system_sgpr_workgroup_info 0
		.amdhsa_system_vgpr_workitem_id 0
		.amdhsa_next_free_vgpr 1
		.amdhsa_next_free_sgpr 0
		.amdhsa_accum_offset 4
		.amdhsa_reserve_vcc 0
		.amdhsa_float_round_mode_32 0
		.amdhsa_float_round_mode_16_64 0
		.amdhsa_float_denorm_mode_32 3
		.amdhsa_float_denorm_mode_16_64 3
		.amdhsa_dx10_clamp 1
		.amdhsa_ieee_mode 1
		.amdhsa_fp16_overflow 0
		.amdhsa_tg_split 0
		.amdhsa_exception_fp_ieee_invalid_op 0
		.amdhsa_exception_fp_denorm_src 0
		.amdhsa_exception_fp_ieee_div_zero 0
		.amdhsa_exception_fp_ieee_overflow 0
		.amdhsa_exception_fp_ieee_underflow 0
		.amdhsa_exception_fp_ieee_inexact 0
		.amdhsa_exception_int_div_zero 0
	.end_amdhsa_kernel
	.section	.text._ZN7rocprim17ROCPRIM_400000_NS6detail17trampoline_kernelINS0_14default_configENS1_20scan_config_selectorIfEEZZNS1_9scan_implILNS1_25lookback_scan_determinismE0ELb0ELb0ES3_PKfPffZZZN2at6native31launch_logcumsumexp_cuda_kernelERKNSB_10TensorBaseESF_lENKUlvE_clEvENKUlvE0_clEvEUlffE_fEEDaPvRmT3_T4_T5_mT6_P12ihipStream_tbENKUlT_T0_E_clISt17integral_constantIbLb0EESW_EEDaSR_SS_EUlSR_E_NS1_11comp_targetILNS1_3genE8ELNS1_11target_archE1030ELNS1_3gpuE2ELNS1_3repE0EEENS1_30default_config_static_selectorELNS0_4arch9wavefront6targetE1EEEvT1_,"axG",@progbits,_ZN7rocprim17ROCPRIM_400000_NS6detail17trampoline_kernelINS0_14default_configENS1_20scan_config_selectorIfEEZZNS1_9scan_implILNS1_25lookback_scan_determinismE0ELb0ELb0ES3_PKfPffZZZN2at6native31launch_logcumsumexp_cuda_kernelERKNSB_10TensorBaseESF_lENKUlvE_clEvENKUlvE0_clEvEUlffE_fEEDaPvRmT3_T4_T5_mT6_P12ihipStream_tbENKUlT_T0_E_clISt17integral_constantIbLb0EESW_EEDaSR_SS_EUlSR_E_NS1_11comp_targetILNS1_3genE8ELNS1_11target_archE1030ELNS1_3gpuE2ELNS1_3repE0EEENS1_30default_config_static_selectorELNS0_4arch9wavefront6targetE1EEEvT1_,comdat
.Lfunc_end101:
	.size	_ZN7rocprim17ROCPRIM_400000_NS6detail17trampoline_kernelINS0_14default_configENS1_20scan_config_selectorIfEEZZNS1_9scan_implILNS1_25lookback_scan_determinismE0ELb0ELb0ES3_PKfPffZZZN2at6native31launch_logcumsumexp_cuda_kernelERKNSB_10TensorBaseESF_lENKUlvE_clEvENKUlvE0_clEvEUlffE_fEEDaPvRmT3_T4_T5_mT6_P12ihipStream_tbENKUlT_T0_E_clISt17integral_constantIbLb0EESW_EEDaSR_SS_EUlSR_E_NS1_11comp_targetILNS1_3genE8ELNS1_11target_archE1030ELNS1_3gpuE2ELNS1_3repE0EEENS1_30default_config_static_selectorELNS0_4arch9wavefront6targetE1EEEvT1_, .Lfunc_end101-_ZN7rocprim17ROCPRIM_400000_NS6detail17trampoline_kernelINS0_14default_configENS1_20scan_config_selectorIfEEZZNS1_9scan_implILNS1_25lookback_scan_determinismE0ELb0ELb0ES3_PKfPffZZZN2at6native31launch_logcumsumexp_cuda_kernelERKNSB_10TensorBaseESF_lENKUlvE_clEvENKUlvE0_clEvEUlffE_fEEDaPvRmT3_T4_T5_mT6_P12ihipStream_tbENKUlT_T0_E_clISt17integral_constantIbLb0EESW_EEDaSR_SS_EUlSR_E_NS1_11comp_targetILNS1_3genE8ELNS1_11target_archE1030ELNS1_3gpuE2ELNS1_3repE0EEENS1_30default_config_static_selectorELNS0_4arch9wavefront6targetE1EEEvT1_
                                        ; -- End function
	.section	.AMDGPU.csdata,"",@progbits
; Kernel info:
; codeLenInByte = 0
; NumSgprs: 6
; NumVgprs: 0
; NumAgprs: 0
; TotalNumVgprs: 0
; ScratchSize: 0
; MemoryBound: 0
; FloatMode: 240
; IeeeMode: 1
; LDSByteSize: 0 bytes/workgroup (compile time only)
; SGPRBlocks: 0
; VGPRBlocks: 0
; NumSGPRsForWavesPerEU: 6
; NumVGPRsForWavesPerEU: 1
; AccumOffset: 4
; Occupancy: 8
; WaveLimiterHint : 0
; COMPUTE_PGM_RSRC2:SCRATCH_EN: 0
; COMPUTE_PGM_RSRC2:USER_SGPR: 2
; COMPUTE_PGM_RSRC2:TRAP_HANDLER: 0
; COMPUTE_PGM_RSRC2:TGID_X_EN: 1
; COMPUTE_PGM_RSRC2:TGID_Y_EN: 0
; COMPUTE_PGM_RSRC2:TGID_Z_EN: 0
; COMPUTE_PGM_RSRC2:TIDIG_COMP_CNT: 0
; COMPUTE_PGM_RSRC3_GFX90A:ACCUM_OFFSET: 0
; COMPUTE_PGM_RSRC3_GFX90A:TG_SPLIT: 0
	.section	.text._ZN7rocprim17ROCPRIM_400000_NS6detail17trampoline_kernelINS0_14default_configENS1_25transform_config_selectorIfLb1EEEZNS1_14transform_implILb1ES3_S5_PfS7_NS0_8identityIfEEEE10hipError_tT2_T3_mT4_P12ihipStream_tbEUlT_E_NS1_11comp_targetILNS1_3genE0ELNS1_11target_archE4294967295ELNS1_3gpuE0ELNS1_3repE0EEENS1_30default_config_static_selectorELNS0_4arch9wavefront6targetE1EEEvT1_,"axG",@progbits,_ZN7rocprim17ROCPRIM_400000_NS6detail17trampoline_kernelINS0_14default_configENS1_25transform_config_selectorIfLb1EEEZNS1_14transform_implILb1ES3_S5_PfS7_NS0_8identityIfEEEE10hipError_tT2_T3_mT4_P12ihipStream_tbEUlT_E_NS1_11comp_targetILNS1_3genE0ELNS1_11target_archE4294967295ELNS1_3gpuE0ELNS1_3repE0EEENS1_30default_config_static_selectorELNS0_4arch9wavefront6targetE1EEEvT1_,comdat
	.protected	_ZN7rocprim17ROCPRIM_400000_NS6detail17trampoline_kernelINS0_14default_configENS1_25transform_config_selectorIfLb1EEEZNS1_14transform_implILb1ES3_S5_PfS7_NS0_8identityIfEEEE10hipError_tT2_T3_mT4_P12ihipStream_tbEUlT_E_NS1_11comp_targetILNS1_3genE0ELNS1_11target_archE4294967295ELNS1_3gpuE0ELNS1_3repE0EEENS1_30default_config_static_selectorELNS0_4arch9wavefront6targetE1EEEvT1_ ; -- Begin function _ZN7rocprim17ROCPRIM_400000_NS6detail17trampoline_kernelINS0_14default_configENS1_25transform_config_selectorIfLb1EEEZNS1_14transform_implILb1ES3_S5_PfS7_NS0_8identityIfEEEE10hipError_tT2_T3_mT4_P12ihipStream_tbEUlT_E_NS1_11comp_targetILNS1_3genE0ELNS1_11target_archE4294967295ELNS1_3gpuE0ELNS1_3repE0EEENS1_30default_config_static_selectorELNS0_4arch9wavefront6targetE1EEEvT1_
	.globl	_ZN7rocprim17ROCPRIM_400000_NS6detail17trampoline_kernelINS0_14default_configENS1_25transform_config_selectorIfLb1EEEZNS1_14transform_implILb1ES3_S5_PfS7_NS0_8identityIfEEEE10hipError_tT2_T3_mT4_P12ihipStream_tbEUlT_E_NS1_11comp_targetILNS1_3genE0ELNS1_11target_archE4294967295ELNS1_3gpuE0ELNS1_3repE0EEENS1_30default_config_static_selectorELNS0_4arch9wavefront6targetE1EEEvT1_
	.p2align	8
	.type	_ZN7rocprim17ROCPRIM_400000_NS6detail17trampoline_kernelINS0_14default_configENS1_25transform_config_selectorIfLb1EEEZNS1_14transform_implILb1ES3_S5_PfS7_NS0_8identityIfEEEE10hipError_tT2_T3_mT4_P12ihipStream_tbEUlT_E_NS1_11comp_targetILNS1_3genE0ELNS1_11target_archE4294967295ELNS1_3gpuE0ELNS1_3repE0EEENS1_30default_config_static_selectorELNS0_4arch9wavefront6targetE1EEEvT1_,@function
_ZN7rocprim17ROCPRIM_400000_NS6detail17trampoline_kernelINS0_14default_configENS1_25transform_config_selectorIfLb1EEEZNS1_14transform_implILb1ES3_S5_PfS7_NS0_8identityIfEEEE10hipError_tT2_T3_mT4_P12ihipStream_tbEUlT_E_NS1_11comp_targetILNS1_3genE0ELNS1_11target_archE4294967295ELNS1_3gpuE0ELNS1_3repE0EEENS1_30default_config_static_selectorELNS0_4arch9wavefront6targetE1EEEvT1_: ; @_ZN7rocprim17ROCPRIM_400000_NS6detail17trampoline_kernelINS0_14default_configENS1_25transform_config_selectorIfLb1EEEZNS1_14transform_implILb1ES3_S5_PfS7_NS0_8identityIfEEEE10hipError_tT2_T3_mT4_P12ihipStream_tbEUlT_E_NS1_11comp_targetILNS1_3genE0ELNS1_11target_archE4294967295ELNS1_3gpuE0ELNS1_3repE0EEENS1_30default_config_static_selectorELNS0_4arch9wavefront6targetE1EEEvT1_
; %bb.0:
	.section	.rodata,"a",@progbits
	.p2align	6, 0x0
	.amdhsa_kernel _ZN7rocprim17ROCPRIM_400000_NS6detail17trampoline_kernelINS0_14default_configENS1_25transform_config_selectorIfLb1EEEZNS1_14transform_implILb1ES3_S5_PfS7_NS0_8identityIfEEEE10hipError_tT2_T3_mT4_P12ihipStream_tbEUlT_E_NS1_11comp_targetILNS1_3genE0ELNS1_11target_archE4294967295ELNS1_3gpuE0ELNS1_3repE0EEENS1_30default_config_static_selectorELNS0_4arch9wavefront6targetE1EEEvT1_
		.amdhsa_group_segment_fixed_size 0
		.amdhsa_private_segment_fixed_size 0
		.amdhsa_kernarg_size 40
		.amdhsa_user_sgpr_count 2
		.amdhsa_user_sgpr_dispatch_ptr 0
		.amdhsa_user_sgpr_queue_ptr 0
		.amdhsa_user_sgpr_kernarg_segment_ptr 1
		.amdhsa_user_sgpr_dispatch_id 0
		.amdhsa_user_sgpr_kernarg_preload_length 0
		.amdhsa_user_sgpr_kernarg_preload_offset 0
		.amdhsa_user_sgpr_private_segment_size 0
		.amdhsa_uses_dynamic_stack 0
		.amdhsa_enable_private_segment 0
		.amdhsa_system_sgpr_workgroup_id_x 1
		.amdhsa_system_sgpr_workgroup_id_y 0
		.amdhsa_system_sgpr_workgroup_id_z 0
		.amdhsa_system_sgpr_workgroup_info 0
		.amdhsa_system_vgpr_workitem_id 0
		.amdhsa_next_free_vgpr 1
		.amdhsa_next_free_sgpr 0
		.amdhsa_accum_offset 4
		.amdhsa_reserve_vcc 0
		.amdhsa_float_round_mode_32 0
		.amdhsa_float_round_mode_16_64 0
		.amdhsa_float_denorm_mode_32 3
		.amdhsa_float_denorm_mode_16_64 3
		.amdhsa_dx10_clamp 1
		.amdhsa_ieee_mode 1
		.amdhsa_fp16_overflow 0
		.amdhsa_tg_split 0
		.amdhsa_exception_fp_ieee_invalid_op 0
		.amdhsa_exception_fp_denorm_src 0
		.amdhsa_exception_fp_ieee_div_zero 0
		.amdhsa_exception_fp_ieee_overflow 0
		.amdhsa_exception_fp_ieee_underflow 0
		.amdhsa_exception_fp_ieee_inexact 0
		.amdhsa_exception_int_div_zero 0
	.end_amdhsa_kernel
	.section	.text._ZN7rocprim17ROCPRIM_400000_NS6detail17trampoline_kernelINS0_14default_configENS1_25transform_config_selectorIfLb1EEEZNS1_14transform_implILb1ES3_S5_PfS7_NS0_8identityIfEEEE10hipError_tT2_T3_mT4_P12ihipStream_tbEUlT_E_NS1_11comp_targetILNS1_3genE0ELNS1_11target_archE4294967295ELNS1_3gpuE0ELNS1_3repE0EEENS1_30default_config_static_selectorELNS0_4arch9wavefront6targetE1EEEvT1_,"axG",@progbits,_ZN7rocprim17ROCPRIM_400000_NS6detail17trampoline_kernelINS0_14default_configENS1_25transform_config_selectorIfLb1EEEZNS1_14transform_implILb1ES3_S5_PfS7_NS0_8identityIfEEEE10hipError_tT2_T3_mT4_P12ihipStream_tbEUlT_E_NS1_11comp_targetILNS1_3genE0ELNS1_11target_archE4294967295ELNS1_3gpuE0ELNS1_3repE0EEENS1_30default_config_static_selectorELNS0_4arch9wavefront6targetE1EEEvT1_,comdat
.Lfunc_end102:
	.size	_ZN7rocprim17ROCPRIM_400000_NS6detail17trampoline_kernelINS0_14default_configENS1_25transform_config_selectorIfLb1EEEZNS1_14transform_implILb1ES3_S5_PfS7_NS0_8identityIfEEEE10hipError_tT2_T3_mT4_P12ihipStream_tbEUlT_E_NS1_11comp_targetILNS1_3genE0ELNS1_11target_archE4294967295ELNS1_3gpuE0ELNS1_3repE0EEENS1_30default_config_static_selectorELNS0_4arch9wavefront6targetE1EEEvT1_, .Lfunc_end102-_ZN7rocprim17ROCPRIM_400000_NS6detail17trampoline_kernelINS0_14default_configENS1_25transform_config_selectorIfLb1EEEZNS1_14transform_implILb1ES3_S5_PfS7_NS0_8identityIfEEEE10hipError_tT2_T3_mT4_P12ihipStream_tbEUlT_E_NS1_11comp_targetILNS1_3genE0ELNS1_11target_archE4294967295ELNS1_3gpuE0ELNS1_3repE0EEENS1_30default_config_static_selectorELNS0_4arch9wavefront6targetE1EEEvT1_
                                        ; -- End function
	.section	.AMDGPU.csdata,"",@progbits
; Kernel info:
; codeLenInByte = 0
; NumSgprs: 6
; NumVgprs: 0
; NumAgprs: 0
; TotalNumVgprs: 0
; ScratchSize: 0
; MemoryBound: 0
; FloatMode: 240
; IeeeMode: 1
; LDSByteSize: 0 bytes/workgroup (compile time only)
; SGPRBlocks: 0
; VGPRBlocks: 0
; NumSGPRsForWavesPerEU: 6
; NumVGPRsForWavesPerEU: 1
; AccumOffset: 4
; Occupancy: 8
; WaveLimiterHint : 0
; COMPUTE_PGM_RSRC2:SCRATCH_EN: 0
; COMPUTE_PGM_RSRC2:USER_SGPR: 2
; COMPUTE_PGM_RSRC2:TRAP_HANDLER: 0
; COMPUTE_PGM_RSRC2:TGID_X_EN: 1
; COMPUTE_PGM_RSRC2:TGID_Y_EN: 0
; COMPUTE_PGM_RSRC2:TGID_Z_EN: 0
; COMPUTE_PGM_RSRC2:TIDIG_COMP_CNT: 0
; COMPUTE_PGM_RSRC3_GFX90A:ACCUM_OFFSET: 0
; COMPUTE_PGM_RSRC3_GFX90A:TG_SPLIT: 0
	.section	.text._ZN7rocprim17ROCPRIM_400000_NS6detail17trampoline_kernelINS0_14default_configENS1_25transform_config_selectorIfLb1EEEZNS1_14transform_implILb1ES3_S5_PfS7_NS0_8identityIfEEEE10hipError_tT2_T3_mT4_P12ihipStream_tbEUlT_E_NS1_11comp_targetILNS1_3genE10ELNS1_11target_archE1201ELNS1_3gpuE5ELNS1_3repE0EEENS1_30default_config_static_selectorELNS0_4arch9wavefront6targetE1EEEvT1_,"axG",@progbits,_ZN7rocprim17ROCPRIM_400000_NS6detail17trampoline_kernelINS0_14default_configENS1_25transform_config_selectorIfLb1EEEZNS1_14transform_implILb1ES3_S5_PfS7_NS0_8identityIfEEEE10hipError_tT2_T3_mT4_P12ihipStream_tbEUlT_E_NS1_11comp_targetILNS1_3genE10ELNS1_11target_archE1201ELNS1_3gpuE5ELNS1_3repE0EEENS1_30default_config_static_selectorELNS0_4arch9wavefront6targetE1EEEvT1_,comdat
	.protected	_ZN7rocprim17ROCPRIM_400000_NS6detail17trampoline_kernelINS0_14default_configENS1_25transform_config_selectorIfLb1EEEZNS1_14transform_implILb1ES3_S5_PfS7_NS0_8identityIfEEEE10hipError_tT2_T3_mT4_P12ihipStream_tbEUlT_E_NS1_11comp_targetILNS1_3genE10ELNS1_11target_archE1201ELNS1_3gpuE5ELNS1_3repE0EEENS1_30default_config_static_selectorELNS0_4arch9wavefront6targetE1EEEvT1_ ; -- Begin function _ZN7rocprim17ROCPRIM_400000_NS6detail17trampoline_kernelINS0_14default_configENS1_25transform_config_selectorIfLb1EEEZNS1_14transform_implILb1ES3_S5_PfS7_NS0_8identityIfEEEE10hipError_tT2_T3_mT4_P12ihipStream_tbEUlT_E_NS1_11comp_targetILNS1_3genE10ELNS1_11target_archE1201ELNS1_3gpuE5ELNS1_3repE0EEENS1_30default_config_static_selectorELNS0_4arch9wavefront6targetE1EEEvT1_
	.globl	_ZN7rocprim17ROCPRIM_400000_NS6detail17trampoline_kernelINS0_14default_configENS1_25transform_config_selectorIfLb1EEEZNS1_14transform_implILb1ES3_S5_PfS7_NS0_8identityIfEEEE10hipError_tT2_T3_mT4_P12ihipStream_tbEUlT_E_NS1_11comp_targetILNS1_3genE10ELNS1_11target_archE1201ELNS1_3gpuE5ELNS1_3repE0EEENS1_30default_config_static_selectorELNS0_4arch9wavefront6targetE1EEEvT1_
	.p2align	8
	.type	_ZN7rocprim17ROCPRIM_400000_NS6detail17trampoline_kernelINS0_14default_configENS1_25transform_config_selectorIfLb1EEEZNS1_14transform_implILb1ES3_S5_PfS7_NS0_8identityIfEEEE10hipError_tT2_T3_mT4_P12ihipStream_tbEUlT_E_NS1_11comp_targetILNS1_3genE10ELNS1_11target_archE1201ELNS1_3gpuE5ELNS1_3repE0EEENS1_30default_config_static_selectorELNS0_4arch9wavefront6targetE1EEEvT1_,@function
_ZN7rocprim17ROCPRIM_400000_NS6detail17trampoline_kernelINS0_14default_configENS1_25transform_config_selectorIfLb1EEEZNS1_14transform_implILb1ES3_S5_PfS7_NS0_8identityIfEEEE10hipError_tT2_T3_mT4_P12ihipStream_tbEUlT_E_NS1_11comp_targetILNS1_3genE10ELNS1_11target_archE1201ELNS1_3gpuE5ELNS1_3repE0EEENS1_30default_config_static_selectorELNS0_4arch9wavefront6targetE1EEEvT1_: ; @_ZN7rocprim17ROCPRIM_400000_NS6detail17trampoline_kernelINS0_14default_configENS1_25transform_config_selectorIfLb1EEEZNS1_14transform_implILb1ES3_S5_PfS7_NS0_8identityIfEEEE10hipError_tT2_T3_mT4_P12ihipStream_tbEUlT_E_NS1_11comp_targetILNS1_3genE10ELNS1_11target_archE1201ELNS1_3gpuE5ELNS1_3repE0EEENS1_30default_config_static_selectorELNS0_4arch9wavefront6targetE1EEEvT1_
; %bb.0:
	.section	.rodata,"a",@progbits
	.p2align	6, 0x0
	.amdhsa_kernel _ZN7rocprim17ROCPRIM_400000_NS6detail17trampoline_kernelINS0_14default_configENS1_25transform_config_selectorIfLb1EEEZNS1_14transform_implILb1ES3_S5_PfS7_NS0_8identityIfEEEE10hipError_tT2_T3_mT4_P12ihipStream_tbEUlT_E_NS1_11comp_targetILNS1_3genE10ELNS1_11target_archE1201ELNS1_3gpuE5ELNS1_3repE0EEENS1_30default_config_static_selectorELNS0_4arch9wavefront6targetE1EEEvT1_
		.amdhsa_group_segment_fixed_size 0
		.amdhsa_private_segment_fixed_size 0
		.amdhsa_kernarg_size 40
		.amdhsa_user_sgpr_count 2
		.amdhsa_user_sgpr_dispatch_ptr 0
		.amdhsa_user_sgpr_queue_ptr 0
		.amdhsa_user_sgpr_kernarg_segment_ptr 1
		.amdhsa_user_sgpr_dispatch_id 0
		.amdhsa_user_sgpr_kernarg_preload_length 0
		.amdhsa_user_sgpr_kernarg_preload_offset 0
		.amdhsa_user_sgpr_private_segment_size 0
		.amdhsa_uses_dynamic_stack 0
		.amdhsa_enable_private_segment 0
		.amdhsa_system_sgpr_workgroup_id_x 1
		.amdhsa_system_sgpr_workgroup_id_y 0
		.amdhsa_system_sgpr_workgroup_id_z 0
		.amdhsa_system_sgpr_workgroup_info 0
		.amdhsa_system_vgpr_workitem_id 0
		.amdhsa_next_free_vgpr 1
		.amdhsa_next_free_sgpr 0
		.amdhsa_accum_offset 4
		.amdhsa_reserve_vcc 0
		.amdhsa_float_round_mode_32 0
		.amdhsa_float_round_mode_16_64 0
		.amdhsa_float_denorm_mode_32 3
		.amdhsa_float_denorm_mode_16_64 3
		.amdhsa_dx10_clamp 1
		.amdhsa_ieee_mode 1
		.amdhsa_fp16_overflow 0
		.amdhsa_tg_split 0
		.amdhsa_exception_fp_ieee_invalid_op 0
		.amdhsa_exception_fp_denorm_src 0
		.amdhsa_exception_fp_ieee_div_zero 0
		.amdhsa_exception_fp_ieee_overflow 0
		.amdhsa_exception_fp_ieee_underflow 0
		.amdhsa_exception_fp_ieee_inexact 0
		.amdhsa_exception_int_div_zero 0
	.end_amdhsa_kernel
	.section	.text._ZN7rocprim17ROCPRIM_400000_NS6detail17trampoline_kernelINS0_14default_configENS1_25transform_config_selectorIfLb1EEEZNS1_14transform_implILb1ES3_S5_PfS7_NS0_8identityIfEEEE10hipError_tT2_T3_mT4_P12ihipStream_tbEUlT_E_NS1_11comp_targetILNS1_3genE10ELNS1_11target_archE1201ELNS1_3gpuE5ELNS1_3repE0EEENS1_30default_config_static_selectorELNS0_4arch9wavefront6targetE1EEEvT1_,"axG",@progbits,_ZN7rocprim17ROCPRIM_400000_NS6detail17trampoline_kernelINS0_14default_configENS1_25transform_config_selectorIfLb1EEEZNS1_14transform_implILb1ES3_S5_PfS7_NS0_8identityIfEEEE10hipError_tT2_T3_mT4_P12ihipStream_tbEUlT_E_NS1_11comp_targetILNS1_3genE10ELNS1_11target_archE1201ELNS1_3gpuE5ELNS1_3repE0EEENS1_30default_config_static_selectorELNS0_4arch9wavefront6targetE1EEEvT1_,comdat
.Lfunc_end103:
	.size	_ZN7rocprim17ROCPRIM_400000_NS6detail17trampoline_kernelINS0_14default_configENS1_25transform_config_selectorIfLb1EEEZNS1_14transform_implILb1ES3_S5_PfS7_NS0_8identityIfEEEE10hipError_tT2_T3_mT4_P12ihipStream_tbEUlT_E_NS1_11comp_targetILNS1_3genE10ELNS1_11target_archE1201ELNS1_3gpuE5ELNS1_3repE0EEENS1_30default_config_static_selectorELNS0_4arch9wavefront6targetE1EEEvT1_, .Lfunc_end103-_ZN7rocprim17ROCPRIM_400000_NS6detail17trampoline_kernelINS0_14default_configENS1_25transform_config_selectorIfLb1EEEZNS1_14transform_implILb1ES3_S5_PfS7_NS0_8identityIfEEEE10hipError_tT2_T3_mT4_P12ihipStream_tbEUlT_E_NS1_11comp_targetILNS1_3genE10ELNS1_11target_archE1201ELNS1_3gpuE5ELNS1_3repE0EEENS1_30default_config_static_selectorELNS0_4arch9wavefront6targetE1EEEvT1_
                                        ; -- End function
	.section	.AMDGPU.csdata,"",@progbits
; Kernel info:
; codeLenInByte = 0
; NumSgprs: 6
; NumVgprs: 0
; NumAgprs: 0
; TotalNumVgprs: 0
; ScratchSize: 0
; MemoryBound: 0
; FloatMode: 240
; IeeeMode: 1
; LDSByteSize: 0 bytes/workgroup (compile time only)
; SGPRBlocks: 0
; VGPRBlocks: 0
; NumSGPRsForWavesPerEU: 6
; NumVGPRsForWavesPerEU: 1
; AccumOffset: 4
; Occupancy: 8
; WaveLimiterHint : 0
; COMPUTE_PGM_RSRC2:SCRATCH_EN: 0
; COMPUTE_PGM_RSRC2:USER_SGPR: 2
; COMPUTE_PGM_RSRC2:TRAP_HANDLER: 0
; COMPUTE_PGM_RSRC2:TGID_X_EN: 1
; COMPUTE_PGM_RSRC2:TGID_Y_EN: 0
; COMPUTE_PGM_RSRC2:TGID_Z_EN: 0
; COMPUTE_PGM_RSRC2:TIDIG_COMP_CNT: 0
; COMPUTE_PGM_RSRC3_GFX90A:ACCUM_OFFSET: 0
; COMPUTE_PGM_RSRC3_GFX90A:TG_SPLIT: 0
	.section	.text._ZN7rocprim17ROCPRIM_400000_NS6detail17trampoline_kernelINS0_14default_configENS1_25transform_config_selectorIfLb1EEEZNS1_14transform_implILb1ES3_S5_PfS7_NS0_8identityIfEEEE10hipError_tT2_T3_mT4_P12ihipStream_tbEUlT_E_NS1_11comp_targetILNS1_3genE5ELNS1_11target_archE942ELNS1_3gpuE9ELNS1_3repE0EEENS1_30default_config_static_selectorELNS0_4arch9wavefront6targetE1EEEvT1_,"axG",@progbits,_ZN7rocprim17ROCPRIM_400000_NS6detail17trampoline_kernelINS0_14default_configENS1_25transform_config_selectorIfLb1EEEZNS1_14transform_implILb1ES3_S5_PfS7_NS0_8identityIfEEEE10hipError_tT2_T3_mT4_P12ihipStream_tbEUlT_E_NS1_11comp_targetILNS1_3genE5ELNS1_11target_archE942ELNS1_3gpuE9ELNS1_3repE0EEENS1_30default_config_static_selectorELNS0_4arch9wavefront6targetE1EEEvT1_,comdat
	.protected	_ZN7rocprim17ROCPRIM_400000_NS6detail17trampoline_kernelINS0_14default_configENS1_25transform_config_selectorIfLb1EEEZNS1_14transform_implILb1ES3_S5_PfS7_NS0_8identityIfEEEE10hipError_tT2_T3_mT4_P12ihipStream_tbEUlT_E_NS1_11comp_targetILNS1_3genE5ELNS1_11target_archE942ELNS1_3gpuE9ELNS1_3repE0EEENS1_30default_config_static_selectorELNS0_4arch9wavefront6targetE1EEEvT1_ ; -- Begin function _ZN7rocprim17ROCPRIM_400000_NS6detail17trampoline_kernelINS0_14default_configENS1_25transform_config_selectorIfLb1EEEZNS1_14transform_implILb1ES3_S5_PfS7_NS0_8identityIfEEEE10hipError_tT2_T3_mT4_P12ihipStream_tbEUlT_E_NS1_11comp_targetILNS1_3genE5ELNS1_11target_archE942ELNS1_3gpuE9ELNS1_3repE0EEENS1_30default_config_static_selectorELNS0_4arch9wavefront6targetE1EEEvT1_
	.globl	_ZN7rocprim17ROCPRIM_400000_NS6detail17trampoline_kernelINS0_14default_configENS1_25transform_config_selectorIfLb1EEEZNS1_14transform_implILb1ES3_S5_PfS7_NS0_8identityIfEEEE10hipError_tT2_T3_mT4_P12ihipStream_tbEUlT_E_NS1_11comp_targetILNS1_3genE5ELNS1_11target_archE942ELNS1_3gpuE9ELNS1_3repE0EEENS1_30default_config_static_selectorELNS0_4arch9wavefront6targetE1EEEvT1_
	.p2align	8
	.type	_ZN7rocprim17ROCPRIM_400000_NS6detail17trampoline_kernelINS0_14default_configENS1_25transform_config_selectorIfLb1EEEZNS1_14transform_implILb1ES3_S5_PfS7_NS0_8identityIfEEEE10hipError_tT2_T3_mT4_P12ihipStream_tbEUlT_E_NS1_11comp_targetILNS1_3genE5ELNS1_11target_archE942ELNS1_3gpuE9ELNS1_3repE0EEENS1_30default_config_static_selectorELNS0_4arch9wavefront6targetE1EEEvT1_,@function
_ZN7rocprim17ROCPRIM_400000_NS6detail17trampoline_kernelINS0_14default_configENS1_25transform_config_selectorIfLb1EEEZNS1_14transform_implILb1ES3_S5_PfS7_NS0_8identityIfEEEE10hipError_tT2_T3_mT4_P12ihipStream_tbEUlT_E_NS1_11comp_targetILNS1_3genE5ELNS1_11target_archE942ELNS1_3gpuE9ELNS1_3repE0EEENS1_30default_config_static_selectorELNS0_4arch9wavefront6targetE1EEEvT1_: ; @_ZN7rocprim17ROCPRIM_400000_NS6detail17trampoline_kernelINS0_14default_configENS1_25transform_config_selectorIfLb1EEEZNS1_14transform_implILb1ES3_S5_PfS7_NS0_8identityIfEEEE10hipError_tT2_T3_mT4_P12ihipStream_tbEUlT_E_NS1_11comp_targetILNS1_3genE5ELNS1_11target_archE942ELNS1_3gpuE9ELNS1_3repE0EEENS1_30default_config_static_selectorELNS0_4arch9wavefront6targetE1EEEvT1_
; %bb.0:
	s_load_dwordx8 s[4:11], s[0:1], 0x0
	s_load_dword s3, s[0:1], 0x28
	s_waitcnt lgkmcnt(0)
	s_lshl_b64 s[0:1], s[6:7], 2
	s_add_u32 s4, s4, s0
	s_addc_u32 s5, s5, s1
	s_add_u32 s9, s10, s0
	s_addc_u32 s14, s11, s1
	s_lshl_b32 s0, s2, 10
	s_mov_b32 s1, 0
	s_add_i32 s3, s3, -1
	s_lshl_b64 s[10:11], s[0:1], 2
	s_add_u32 s12, s4, s10
	s_addc_u32 s13, s5, s11
	s_cmp_lg_u32 s2, s3
	s_mov_b64 s[2:3], -1
	s_cbranch_scc0 .LBB104_2
; %bb.1:
	v_lshlrev_b32_e32 v1, 4, v0
	global_load_dwordx4 v[2:5], v1, s[12:13] nt
	s_add_u32 s2, s9, s10
	s_addc_u32 s3, s14, s11
	s_waitcnt vmcnt(0)
	global_store_dwordx4 v1, v[2:5], s[2:3]
	s_mov_b64 s[2:3], 0
.LBB104_2:
	s_andn2_b64 vcc, exec, s[2:3]
	s_cbranch_vccnz .LBB104_18
; %bb.3:
	s_sub_i32 s6, s8, s0
	v_cmp_gt_u32_e32 vcc, s6, v0
	v_lshlrev_b32_e32 v6, 2, v0
                                        ; implicit-def: $vgpr2_vgpr3_vgpr4_vgpr5
	s_and_saveexec_b64 s[0:1], vcc
	s_cbranch_execz .LBB104_5
; %bb.4:
	global_load_dword v2, v6, s[12:13]
.LBB104_5:
	s_or_b64 exec, exec, s[0:1]
	v_or_b32_e32 v1, 0x100, v0
	v_cmp_gt_u32_e64 s[0:1], s6, v1
	s_and_saveexec_b64 s[2:3], s[0:1]
	s_cbranch_execz .LBB104_7
; %bb.6:
	global_load_dword v3, v6, s[12:13] offset:1024
.LBB104_7:
	s_or_b64 exec, exec, s[2:3]
	v_or_b32_e32 v1, 0x200, v0
	v_cmp_gt_u32_e64 s[2:3], s6, v1
	s_and_saveexec_b64 s[4:5], s[2:3]
	s_cbranch_execz .LBB104_9
; %bb.8:
	global_load_dword v4, v6, s[12:13] offset:2048
.LBB104_9:
	s_or_b64 exec, exec, s[4:5]
	v_or_b32_e32 v1, 0x300, v0
	v_cmp_gt_u32_e64 s[4:5], s6, v1
	v_cmp_le_u32_e64 s[6:7], s6, v1
	s_and_saveexec_b64 s[16:17], s[6:7]
	s_xor_b64 s[6:7], exec, s[16:17]
; %bb.10:
	v_mov_b32_e32 v1, 0
                                        ; implicit-def: $vgpr6
; %bb.11:
	s_andn2_saveexec_b64 s[6:7], s[6:7]
	s_cbranch_execz .LBB104_13
; %bb.12:
	global_load_dword v5, v6, s[12:13] offset:3072
	v_mov_b32_e32 v1, 0
.LBB104_13:
	s_or_b64 exec, exec, s[6:7]
	s_add_u32 s6, s9, s10
	s_addc_u32 s7, s14, s11
	v_lshl_add_u64 v[0:1], v[0:1], 2, s[6:7]
	s_and_saveexec_b64 s[6:7], vcc
	s_cbranch_execnz .LBB104_19
; %bb.14:
	s_or_b64 exec, exec, s[6:7]
	s_and_saveexec_b64 s[6:7], s[0:1]
	s_cbranch_execnz .LBB104_20
.LBB104_15:
	s_or_b64 exec, exec, s[6:7]
	s_and_saveexec_b64 s[0:1], s[2:3]
	s_cbranch_execnz .LBB104_21
.LBB104_16:
	s_or_b64 exec, exec, s[0:1]
	s_and_saveexec_b64 s[0:1], s[4:5]
	s_cbranch_execz .LBB104_18
.LBB104_17:
	s_waitcnt vmcnt(0)
	v_cndmask_b32_e64 v2, v5, v5, s[4:5]
	global_store_dword v[0:1], v2, off offset:3072
.LBB104_18:
	s_endpgm
.LBB104_19:
	s_waitcnt vmcnt(0)
	global_store_dword v[0:1], v2, off
	s_or_b64 exec, exec, s[6:7]
	s_and_saveexec_b64 s[6:7], s[0:1]
	s_cbranch_execz .LBB104_15
.LBB104_20:
	s_waitcnt vmcnt(0)
	global_store_dword v[0:1], v3, off offset:1024
	s_or_b64 exec, exec, s[6:7]
	s_and_saveexec_b64 s[0:1], s[2:3]
	s_cbranch_execz .LBB104_16
.LBB104_21:
	s_waitcnt vmcnt(0)
	v_cndmask_b32_e64 v2, v4, v4, s[2:3]
	global_store_dword v[0:1], v2, off offset:2048
	s_or_b64 exec, exec, s[0:1]
	s_and_saveexec_b64 s[0:1], s[4:5]
	s_cbranch_execnz .LBB104_17
	s_branch .LBB104_18
	.section	.rodata,"a",@progbits
	.p2align	6, 0x0
	.amdhsa_kernel _ZN7rocprim17ROCPRIM_400000_NS6detail17trampoline_kernelINS0_14default_configENS1_25transform_config_selectorIfLb1EEEZNS1_14transform_implILb1ES3_S5_PfS7_NS0_8identityIfEEEE10hipError_tT2_T3_mT4_P12ihipStream_tbEUlT_E_NS1_11comp_targetILNS1_3genE5ELNS1_11target_archE942ELNS1_3gpuE9ELNS1_3repE0EEENS1_30default_config_static_selectorELNS0_4arch9wavefront6targetE1EEEvT1_
		.amdhsa_group_segment_fixed_size 0
		.amdhsa_private_segment_fixed_size 0
		.amdhsa_kernarg_size 296
		.amdhsa_user_sgpr_count 2
		.amdhsa_user_sgpr_dispatch_ptr 0
		.amdhsa_user_sgpr_queue_ptr 0
		.amdhsa_user_sgpr_kernarg_segment_ptr 1
		.amdhsa_user_sgpr_dispatch_id 0
		.amdhsa_user_sgpr_kernarg_preload_length 0
		.amdhsa_user_sgpr_kernarg_preload_offset 0
		.amdhsa_user_sgpr_private_segment_size 0
		.amdhsa_uses_dynamic_stack 0
		.amdhsa_enable_private_segment 0
		.amdhsa_system_sgpr_workgroup_id_x 1
		.amdhsa_system_sgpr_workgroup_id_y 0
		.amdhsa_system_sgpr_workgroup_id_z 0
		.amdhsa_system_sgpr_workgroup_info 0
		.amdhsa_system_vgpr_workitem_id 0
		.amdhsa_next_free_vgpr 7
		.amdhsa_next_free_sgpr 18
		.amdhsa_accum_offset 8
		.amdhsa_reserve_vcc 1
		.amdhsa_float_round_mode_32 0
		.amdhsa_float_round_mode_16_64 0
		.amdhsa_float_denorm_mode_32 3
		.amdhsa_float_denorm_mode_16_64 3
		.amdhsa_dx10_clamp 1
		.amdhsa_ieee_mode 1
		.amdhsa_fp16_overflow 0
		.amdhsa_tg_split 0
		.amdhsa_exception_fp_ieee_invalid_op 0
		.amdhsa_exception_fp_denorm_src 0
		.amdhsa_exception_fp_ieee_div_zero 0
		.amdhsa_exception_fp_ieee_overflow 0
		.amdhsa_exception_fp_ieee_underflow 0
		.amdhsa_exception_fp_ieee_inexact 0
		.amdhsa_exception_int_div_zero 0
	.end_amdhsa_kernel
	.section	.text._ZN7rocprim17ROCPRIM_400000_NS6detail17trampoline_kernelINS0_14default_configENS1_25transform_config_selectorIfLb1EEEZNS1_14transform_implILb1ES3_S5_PfS7_NS0_8identityIfEEEE10hipError_tT2_T3_mT4_P12ihipStream_tbEUlT_E_NS1_11comp_targetILNS1_3genE5ELNS1_11target_archE942ELNS1_3gpuE9ELNS1_3repE0EEENS1_30default_config_static_selectorELNS0_4arch9wavefront6targetE1EEEvT1_,"axG",@progbits,_ZN7rocprim17ROCPRIM_400000_NS6detail17trampoline_kernelINS0_14default_configENS1_25transform_config_selectorIfLb1EEEZNS1_14transform_implILb1ES3_S5_PfS7_NS0_8identityIfEEEE10hipError_tT2_T3_mT4_P12ihipStream_tbEUlT_E_NS1_11comp_targetILNS1_3genE5ELNS1_11target_archE942ELNS1_3gpuE9ELNS1_3repE0EEENS1_30default_config_static_selectorELNS0_4arch9wavefront6targetE1EEEvT1_,comdat
.Lfunc_end104:
	.size	_ZN7rocprim17ROCPRIM_400000_NS6detail17trampoline_kernelINS0_14default_configENS1_25transform_config_selectorIfLb1EEEZNS1_14transform_implILb1ES3_S5_PfS7_NS0_8identityIfEEEE10hipError_tT2_T3_mT4_P12ihipStream_tbEUlT_E_NS1_11comp_targetILNS1_3genE5ELNS1_11target_archE942ELNS1_3gpuE9ELNS1_3repE0EEENS1_30default_config_static_selectorELNS0_4arch9wavefront6targetE1EEEvT1_, .Lfunc_end104-_ZN7rocprim17ROCPRIM_400000_NS6detail17trampoline_kernelINS0_14default_configENS1_25transform_config_selectorIfLb1EEEZNS1_14transform_implILb1ES3_S5_PfS7_NS0_8identityIfEEEE10hipError_tT2_T3_mT4_P12ihipStream_tbEUlT_E_NS1_11comp_targetILNS1_3genE5ELNS1_11target_archE942ELNS1_3gpuE9ELNS1_3repE0EEENS1_30default_config_static_selectorELNS0_4arch9wavefront6targetE1EEEvT1_
                                        ; -- End function
	.section	.AMDGPU.csdata,"",@progbits
; Kernel info:
; codeLenInByte = 452
; NumSgprs: 24
; NumVgprs: 7
; NumAgprs: 0
; TotalNumVgprs: 7
; ScratchSize: 0
; MemoryBound: 1
; FloatMode: 240
; IeeeMode: 1
; LDSByteSize: 0 bytes/workgroup (compile time only)
; SGPRBlocks: 2
; VGPRBlocks: 0
; NumSGPRsForWavesPerEU: 24
; NumVGPRsForWavesPerEU: 7
; AccumOffset: 8
; Occupancy: 8
; WaveLimiterHint : 0
; COMPUTE_PGM_RSRC2:SCRATCH_EN: 0
; COMPUTE_PGM_RSRC2:USER_SGPR: 2
; COMPUTE_PGM_RSRC2:TRAP_HANDLER: 0
; COMPUTE_PGM_RSRC2:TGID_X_EN: 1
; COMPUTE_PGM_RSRC2:TGID_Y_EN: 0
; COMPUTE_PGM_RSRC2:TGID_Z_EN: 0
; COMPUTE_PGM_RSRC2:TIDIG_COMP_CNT: 0
; COMPUTE_PGM_RSRC3_GFX90A:ACCUM_OFFSET: 1
; COMPUTE_PGM_RSRC3_GFX90A:TG_SPLIT: 0
	.section	.text._ZN7rocprim17ROCPRIM_400000_NS6detail17trampoline_kernelINS0_14default_configENS1_25transform_config_selectorIfLb1EEEZNS1_14transform_implILb1ES3_S5_PfS7_NS0_8identityIfEEEE10hipError_tT2_T3_mT4_P12ihipStream_tbEUlT_E_NS1_11comp_targetILNS1_3genE4ELNS1_11target_archE910ELNS1_3gpuE8ELNS1_3repE0EEENS1_30default_config_static_selectorELNS0_4arch9wavefront6targetE1EEEvT1_,"axG",@progbits,_ZN7rocprim17ROCPRIM_400000_NS6detail17trampoline_kernelINS0_14default_configENS1_25transform_config_selectorIfLb1EEEZNS1_14transform_implILb1ES3_S5_PfS7_NS0_8identityIfEEEE10hipError_tT2_T3_mT4_P12ihipStream_tbEUlT_E_NS1_11comp_targetILNS1_3genE4ELNS1_11target_archE910ELNS1_3gpuE8ELNS1_3repE0EEENS1_30default_config_static_selectorELNS0_4arch9wavefront6targetE1EEEvT1_,comdat
	.protected	_ZN7rocprim17ROCPRIM_400000_NS6detail17trampoline_kernelINS0_14default_configENS1_25transform_config_selectorIfLb1EEEZNS1_14transform_implILb1ES3_S5_PfS7_NS0_8identityIfEEEE10hipError_tT2_T3_mT4_P12ihipStream_tbEUlT_E_NS1_11comp_targetILNS1_3genE4ELNS1_11target_archE910ELNS1_3gpuE8ELNS1_3repE0EEENS1_30default_config_static_selectorELNS0_4arch9wavefront6targetE1EEEvT1_ ; -- Begin function _ZN7rocprim17ROCPRIM_400000_NS6detail17trampoline_kernelINS0_14default_configENS1_25transform_config_selectorIfLb1EEEZNS1_14transform_implILb1ES3_S5_PfS7_NS0_8identityIfEEEE10hipError_tT2_T3_mT4_P12ihipStream_tbEUlT_E_NS1_11comp_targetILNS1_3genE4ELNS1_11target_archE910ELNS1_3gpuE8ELNS1_3repE0EEENS1_30default_config_static_selectorELNS0_4arch9wavefront6targetE1EEEvT1_
	.globl	_ZN7rocprim17ROCPRIM_400000_NS6detail17trampoline_kernelINS0_14default_configENS1_25transform_config_selectorIfLb1EEEZNS1_14transform_implILb1ES3_S5_PfS7_NS0_8identityIfEEEE10hipError_tT2_T3_mT4_P12ihipStream_tbEUlT_E_NS1_11comp_targetILNS1_3genE4ELNS1_11target_archE910ELNS1_3gpuE8ELNS1_3repE0EEENS1_30default_config_static_selectorELNS0_4arch9wavefront6targetE1EEEvT1_
	.p2align	8
	.type	_ZN7rocprim17ROCPRIM_400000_NS6detail17trampoline_kernelINS0_14default_configENS1_25transform_config_selectorIfLb1EEEZNS1_14transform_implILb1ES3_S5_PfS7_NS0_8identityIfEEEE10hipError_tT2_T3_mT4_P12ihipStream_tbEUlT_E_NS1_11comp_targetILNS1_3genE4ELNS1_11target_archE910ELNS1_3gpuE8ELNS1_3repE0EEENS1_30default_config_static_selectorELNS0_4arch9wavefront6targetE1EEEvT1_,@function
_ZN7rocprim17ROCPRIM_400000_NS6detail17trampoline_kernelINS0_14default_configENS1_25transform_config_selectorIfLb1EEEZNS1_14transform_implILb1ES3_S5_PfS7_NS0_8identityIfEEEE10hipError_tT2_T3_mT4_P12ihipStream_tbEUlT_E_NS1_11comp_targetILNS1_3genE4ELNS1_11target_archE910ELNS1_3gpuE8ELNS1_3repE0EEENS1_30default_config_static_selectorELNS0_4arch9wavefront6targetE1EEEvT1_: ; @_ZN7rocprim17ROCPRIM_400000_NS6detail17trampoline_kernelINS0_14default_configENS1_25transform_config_selectorIfLb1EEEZNS1_14transform_implILb1ES3_S5_PfS7_NS0_8identityIfEEEE10hipError_tT2_T3_mT4_P12ihipStream_tbEUlT_E_NS1_11comp_targetILNS1_3genE4ELNS1_11target_archE910ELNS1_3gpuE8ELNS1_3repE0EEENS1_30default_config_static_selectorELNS0_4arch9wavefront6targetE1EEEvT1_
; %bb.0:
	.section	.rodata,"a",@progbits
	.p2align	6, 0x0
	.amdhsa_kernel _ZN7rocprim17ROCPRIM_400000_NS6detail17trampoline_kernelINS0_14default_configENS1_25transform_config_selectorIfLb1EEEZNS1_14transform_implILb1ES3_S5_PfS7_NS0_8identityIfEEEE10hipError_tT2_T3_mT4_P12ihipStream_tbEUlT_E_NS1_11comp_targetILNS1_3genE4ELNS1_11target_archE910ELNS1_3gpuE8ELNS1_3repE0EEENS1_30default_config_static_selectorELNS0_4arch9wavefront6targetE1EEEvT1_
		.amdhsa_group_segment_fixed_size 0
		.amdhsa_private_segment_fixed_size 0
		.amdhsa_kernarg_size 40
		.amdhsa_user_sgpr_count 2
		.amdhsa_user_sgpr_dispatch_ptr 0
		.amdhsa_user_sgpr_queue_ptr 0
		.amdhsa_user_sgpr_kernarg_segment_ptr 1
		.amdhsa_user_sgpr_dispatch_id 0
		.amdhsa_user_sgpr_kernarg_preload_length 0
		.amdhsa_user_sgpr_kernarg_preload_offset 0
		.amdhsa_user_sgpr_private_segment_size 0
		.amdhsa_uses_dynamic_stack 0
		.amdhsa_enable_private_segment 0
		.amdhsa_system_sgpr_workgroup_id_x 1
		.amdhsa_system_sgpr_workgroup_id_y 0
		.amdhsa_system_sgpr_workgroup_id_z 0
		.amdhsa_system_sgpr_workgroup_info 0
		.amdhsa_system_vgpr_workitem_id 0
		.amdhsa_next_free_vgpr 1
		.amdhsa_next_free_sgpr 0
		.amdhsa_accum_offset 4
		.amdhsa_reserve_vcc 0
		.amdhsa_float_round_mode_32 0
		.amdhsa_float_round_mode_16_64 0
		.amdhsa_float_denorm_mode_32 3
		.amdhsa_float_denorm_mode_16_64 3
		.amdhsa_dx10_clamp 1
		.amdhsa_ieee_mode 1
		.amdhsa_fp16_overflow 0
		.amdhsa_tg_split 0
		.amdhsa_exception_fp_ieee_invalid_op 0
		.amdhsa_exception_fp_denorm_src 0
		.amdhsa_exception_fp_ieee_div_zero 0
		.amdhsa_exception_fp_ieee_overflow 0
		.amdhsa_exception_fp_ieee_underflow 0
		.amdhsa_exception_fp_ieee_inexact 0
		.amdhsa_exception_int_div_zero 0
	.end_amdhsa_kernel
	.section	.text._ZN7rocprim17ROCPRIM_400000_NS6detail17trampoline_kernelINS0_14default_configENS1_25transform_config_selectorIfLb1EEEZNS1_14transform_implILb1ES3_S5_PfS7_NS0_8identityIfEEEE10hipError_tT2_T3_mT4_P12ihipStream_tbEUlT_E_NS1_11comp_targetILNS1_3genE4ELNS1_11target_archE910ELNS1_3gpuE8ELNS1_3repE0EEENS1_30default_config_static_selectorELNS0_4arch9wavefront6targetE1EEEvT1_,"axG",@progbits,_ZN7rocprim17ROCPRIM_400000_NS6detail17trampoline_kernelINS0_14default_configENS1_25transform_config_selectorIfLb1EEEZNS1_14transform_implILb1ES3_S5_PfS7_NS0_8identityIfEEEE10hipError_tT2_T3_mT4_P12ihipStream_tbEUlT_E_NS1_11comp_targetILNS1_3genE4ELNS1_11target_archE910ELNS1_3gpuE8ELNS1_3repE0EEENS1_30default_config_static_selectorELNS0_4arch9wavefront6targetE1EEEvT1_,comdat
.Lfunc_end105:
	.size	_ZN7rocprim17ROCPRIM_400000_NS6detail17trampoline_kernelINS0_14default_configENS1_25transform_config_selectorIfLb1EEEZNS1_14transform_implILb1ES3_S5_PfS7_NS0_8identityIfEEEE10hipError_tT2_T3_mT4_P12ihipStream_tbEUlT_E_NS1_11comp_targetILNS1_3genE4ELNS1_11target_archE910ELNS1_3gpuE8ELNS1_3repE0EEENS1_30default_config_static_selectorELNS0_4arch9wavefront6targetE1EEEvT1_, .Lfunc_end105-_ZN7rocprim17ROCPRIM_400000_NS6detail17trampoline_kernelINS0_14default_configENS1_25transform_config_selectorIfLb1EEEZNS1_14transform_implILb1ES3_S5_PfS7_NS0_8identityIfEEEE10hipError_tT2_T3_mT4_P12ihipStream_tbEUlT_E_NS1_11comp_targetILNS1_3genE4ELNS1_11target_archE910ELNS1_3gpuE8ELNS1_3repE0EEENS1_30default_config_static_selectorELNS0_4arch9wavefront6targetE1EEEvT1_
                                        ; -- End function
	.section	.AMDGPU.csdata,"",@progbits
; Kernel info:
; codeLenInByte = 0
; NumSgprs: 6
; NumVgprs: 0
; NumAgprs: 0
; TotalNumVgprs: 0
; ScratchSize: 0
; MemoryBound: 0
; FloatMode: 240
; IeeeMode: 1
; LDSByteSize: 0 bytes/workgroup (compile time only)
; SGPRBlocks: 0
; VGPRBlocks: 0
; NumSGPRsForWavesPerEU: 6
; NumVGPRsForWavesPerEU: 1
; AccumOffset: 4
; Occupancy: 8
; WaveLimiterHint : 0
; COMPUTE_PGM_RSRC2:SCRATCH_EN: 0
; COMPUTE_PGM_RSRC2:USER_SGPR: 2
; COMPUTE_PGM_RSRC2:TRAP_HANDLER: 0
; COMPUTE_PGM_RSRC2:TGID_X_EN: 1
; COMPUTE_PGM_RSRC2:TGID_Y_EN: 0
; COMPUTE_PGM_RSRC2:TGID_Z_EN: 0
; COMPUTE_PGM_RSRC2:TIDIG_COMP_CNT: 0
; COMPUTE_PGM_RSRC3_GFX90A:ACCUM_OFFSET: 0
; COMPUTE_PGM_RSRC3_GFX90A:TG_SPLIT: 0
	.section	.text._ZN7rocprim17ROCPRIM_400000_NS6detail17trampoline_kernelINS0_14default_configENS1_25transform_config_selectorIfLb1EEEZNS1_14transform_implILb1ES3_S5_PfS7_NS0_8identityIfEEEE10hipError_tT2_T3_mT4_P12ihipStream_tbEUlT_E_NS1_11comp_targetILNS1_3genE3ELNS1_11target_archE908ELNS1_3gpuE7ELNS1_3repE0EEENS1_30default_config_static_selectorELNS0_4arch9wavefront6targetE1EEEvT1_,"axG",@progbits,_ZN7rocprim17ROCPRIM_400000_NS6detail17trampoline_kernelINS0_14default_configENS1_25transform_config_selectorIfLb1EEEZNS1_14transform_implILb1ES3_S5_PfS7_NS0_8identityIfEEEE10hipError_tT2_T3_mT4_P12ihipStream_tbEUlT_E_NS1_11comp_targetILNS1_3genE3ELNS1_11target_archE908ELNS1_3gpuE7ELNS1_3repE0EEENS1_30default_config_static_selectorELNS0_4arch9wavefront6targetE1EEEvT1_,comdat
	.protected	_ZN7rocprim17ROCPRIM_400000_NS6detail17trampoline_kernelINS0_14default_configENS1_25transform_config_selectorIfLb1EEEZNS1_14transform_implILb1ES3_S5_PfS7_NS0_8identityIfEEEE10hipError_tT2_T3_mT4_P12ihipStream_tbEUlT_E_NS1_11comp_targetILNS1_3genE3ELNS1_11target_archE908ELNS1_3gpuE7ELNS1_3repE0EEENS1_30default_config_static_selectorELNS0_4arch9wavefront6targetE1EEEvT1_ ; -- Begin function _ZN7rocprim17ROCPRIM_400000_NS6detail17trampoline_kernelINS0_14default_configENS1_25transform_config_selectorIfLb1EEEZNS1_14transform_implILb1ES3_S5_PfS7_NS0_8identityIfEEEE10hipError_tT2_T3_mT4_P12ihipStream_tbEUlT_E_NS1_11comp_targetILNS1_3genE3ELNS1_11target_archE908ELNS1_3gpuE7ELNS1_3repE0EEENS1_30default_config_static_selectorELNS0_4arch9wavefront6targetE1EEEvT1_
	.globl	_ZN7rocprim17ROCPRIM_400000_NS6detail17trampoline_kernelINS0_14default_configENS1_25transform_config_selectorIfLb1EEEZNS1_14transform_implILb1ES3_S5_PfS7_NS0_8identityIfEEEE10hipError_tT2_T3_mT4_P12ihipStream_tbEUlT_E_NS1_11comp_targetILNS1_3genE3ELNS1_11target_archE908ELNS1_3gpuE7ELNS1_3repE0EEENS1_30default_config_static_selectorELNS0_4arch9wavefront6targetE1EEEvT1_
	.p2align	8
	.type	_ZN7rocprim17ROCPRIM_400000_NS6detail17trampoline_kernelINS0_14default_configENS1_25transform_config_selectorIfLb1EEEZNS1_14transform_implILb1ES3_S5_PfS7_NS0_8identityIfEEEE10hipError_tT2_T3_mT4_P12ihipStream_tbEUlT_E_NS1_11comp_targetILNS1_3genE3ELNS1_11target_archE908ELNS1_3gpuE7ELNS1_3repE0EEENS1_30default_config_static_selectorELNS0_4arch9wavefront6targetE1EEEvT1_,@function
_ZN7rocprim17ROCPRIM_400000_NS6detail17trampoline_kernelINS0_14default_configENS1_25transform_config_selectorIfLb1EEEZNS1_14transform_implILb1ES3_S5_PfS7_NS0_8identityIfEEEE10hipError_tT2_T3_mT4_P12ihipStream_tbEUlT_E_NS1_11comp_targetILNS1_3genE3ELNS1_11target_archE908ELNS1_3gpuE7ELNS1_3repE0EEENS1_30default_config_static_selectorELNS0_4arch9wavefront6targetE1EEEvT1_: ; @_ZN7rocprim17ROCPRIM_400000_NS6detail17trampoline_kernelINS0_14default_configENS1_25transform_config_selectorIfLb1EEEZNS1_14transform_implILb1ES3_S5_PfS7_NS0_8identityIfEEEE10hipError_tT2_T3_mT4_P12ihipStream_tbEUlT_E_NS1_11comp_targetILNS1_3genE3ELNS1_11target_archE908ELNS1_3gpuE7ELNS1_3repE0EEENS1_30default_config_static_selectorELNS0_4arch9wavefront6targetE1EEEvT1_
; %bb.0:
	.section	.rodata,"a",@progbits
	.p2align	6, 0x0
	.amdhsa_kernel _ZN7rocprim17ROCPRIM_400000_NS6detail17trampoline_kernelINS0_14default_configENS1_25transform_config_selectorIfLb1EEEZNS1_14transform_implILb1ES3_S5_PfS7_NS0_8identityIfEEEE10hipError_tT2_T3_mT4_P12ihipStream_tbEUlT_E_NS1_11comp_targetILNS1_3genE3ELNS1_11target_archE908ELNS1_3gpuE7ELNS1_3repE0EEENS1_30default_config_static_selectorELNS0_4arch9wavefront6targetE1EEEvT1_
		.amdhsa_group_segment_fixed_size 0
		.amdhsa_private_segment_fixed_size 0
		.amdhsa_kernarg_size 40
		.amdhsa_user_sgpr_count 2
		.amdhsa_user_sgpr_dispatch_ptr 0
		.amdhsa_user_sgpr_queue_ptr 0
		.amdhsa_user_sgpr_kernarg_segment_ptr 1
		.amdhsa_user_sgpr_dispatch_id 0
		.amdhsa_user_sgpr_kernarg_preload_length 0
		.amdhsa_user_sgpr_kernarg_preload_offset 0
		.amdhsa_user_sgpr_private_segment_size 0
		.amdhsa_uses_dynamic_stack 0
		.amdhsa_enable_private_segment 0
		.amdhsa_system_sgpr_workgroup_id_x 1
		.amdhsa_system_sgpr_workgroup_id_y 0
		.amdhsa_system_sgpr_workgroup_id_z 0
		.amdhsa_system_sgpr_workgroup_info 0
		.amdhsa_system_vgpr_workitem_id 0
		.amdhsa_next_free_vgpr 1
		.amdhsa_next_free_sgpr 0
		.amdhsa_accum_offset 4
		.amdhsa_reserve_vcc 0
		.amdhsa_float_round_mode_32 0
		.amdhsa_float_round_mode_16_64 0
		.amdhsa_float_denorm_mode_32 3
		.amdhsa_float_denorm_mode_16_64 3
		.amdhsa_dx10_clamp 1
		.amdhsa_ieee_mode 1
		.amdhsa_fp16_overflow 0
		.amdhsa_tg_split 0
		.amdhsa_exception_fp_ieee_invalid_op 0
		.amdhsa_exception_fp_denorm_src 0
		.amdhsa_exception_fp_ieee_div_zero 0
		.amdhsa_exception_fp_ieee_overflow 0
		.amdhsa_exception_fp_ieee_underflow 0
		.amdhsa_exception_fp_ieee_inexact 0
		.amdhsa_exception_int_div_zero 0
	.end_amdhsa_kernel
	.section	.text._ZN7rocprim17ROCPRIM_400000_NS6detail17trampoline_kernelINS0_14default_configENS1_25transform_config_selectorIfLb1EEEZNS1_14transform_implILb1ES3_S5_PfS7_NS0_8identityIfEEEE10hipError_tT2_T3_mT4_P12ihipStream_tbEUlT_E_NS1_11comp_targetILNS1_3genE3ELNS1_11target_archE908ELNS1_3gpuE7ELNS1_3repE0EEENS1_30default_config_static_selectorELNS0_4arch9wavefront6targetE1EEEvT1_,"axG",@progbits,_ZN7rocprim17ROCPRIM_400000_NS6detail17trampoline_kernelINS0_14default_configENS1_25transform_config_selectorIfLb1EEEZNS1_14transform_implILb1ES3_S5_PfS7_NS0_8identityIfEEEE10hipError_tT2_T3_mT4_P12ihipStream_tbEUlT_E_NS1_11comp_targetILNS1_3genE3ELNS1_11target_archE908ELNS1_3gpuE7ELNS1_3repE0EEENS1_30default_config_static_selectorELNS0_4arch9wavefront6targetE1EEEvT1_,comdat
.Lfunc_end106:
	.size	_ZN7rocprim17ROCPRIM_400000_NS6detail17trampoline_kernelINS0_14default_configENS1_25transform_config_selectorIfLb1EEEZNS1_14transform_implILb1ES3_S5_PfS7_NS0_8identityIfEEEE10hipError_tT2_T3_mT4_P12ihipStream_tbEUlT_E_NS1_11comp_targetILNS1_3genE3ELNS1_11target_archE908ELNS1_3gpuE7ELNS1_3repE0EEENS1_30default_config_static_selectorELNS0_4arch9wavefront6targetE1EEEvT1_, .Lfunc_end106-_ZN7rocprim17ROCPRIM_400000_NS6detail17trampoline_kernelINS0_14default_configENS1_25transform_config_selectorIfLb1EEEZNS1_14transform_implILb1ES3_S5_PfS7_NS0_8identityIfEEEE10hipError_tT2_T3_mT4_P12ihipStream_tbEUlT_E_NS1_11comp_targetILNS1_3genE3ELNS1_11target_archE908ELNS1_3gpuE7ELNS1_3repE0EEENS1_30default_config_static_selectorELNS0_4arch9wavefront6targetE1EEEvT1_
                                        ; -- End function
	.section	.AMDGPU.csdata,"",@progbits
; Kernel info:
; codeLenInByte = 0
; NumSgprs: 6
; NumVgprs: 0
; NumAgprs: 0
; TotalNumVgprs: 0
; ScratchSize: 0
; MemoryBound: 0
; FloatMode: 240
; IeeeMode: 1
; LDSByteSize: 0 bytes/workgroup (compile time only)
; SGPRBlocks: 0
; VGPRBlocks: 0
; NumSGPRsForWavesPerEU: 6
; NumVGPRsForWavesPerEU: 1
; AccumOffset: 4
; Occupancy: 8
; WaveLimiterHint : 0
; COMPUTE_PGM_RSRC2:SCRATCH_EN: 0
; COMPUTE_PGM_RSRC2:USER_SGPR: 2
; COMPUTE_PGM_RSRC2:TRAP_HANDLER: 0
; COMPUTE_PGM_RSRC2:TGID_X_EN: 1
; COMPUTE_PGM_RSRC2:TGID_Y_EN: 0
; COMPUTE_PGM_RSRC2:TGID_Z_EN: 0
; COMPUTE_PGM_RSRC2:TIDIG_COMP_CNT: 0
; COMPUTE_PGM_RSRC3_GFX90A:ACCUM_OFFSET: 0
; COMPUTE_PGM_RSRC3_GFX90A:TG_SPLIT: 0
	.section	.text._ZN7rocprim17ROCPRIM_400000_NS6detail17trampoline_kernelINS0_14default_configENS1_25transform_config_selectorIfLb1EEEZNS1_14transform_implILb1ES3_S5_PfS7_NS0_8identityIfEEEE10hipError_tT2_T3_mT4_P12ihipStream_tbEUlT_E_NS1_11comp_targetILNS1_3genE2ELNS1_11target_archE906ELNS1_3gpuE6ELNS1_3repE0EEENS1_30default_config_static_selectorELNS0_4arch9wavefront6targetE1EEEvT1_,"axG",@progbits,_ZN7rocprim17ROCPRIM_400000_NS6detail17trampoline_kernelINS0_14default_configENS1_25transform_config_selectorIfLb1EEEZNS1_14transform_implILb1ES3_S5_PfS7_NS0_8identityIfEEEE10hipError_tT2_T3_mT4_P12ihipStream_tbEUlT_E_NS1_11comp_targetILNS1_3genE2ELNS1_11target_archE906ELNS1_3gpuE6ELNS1_3repE0EEENS1_30default_config_static_selectorELNS0_4arch9wavefront6targetE1EEEvT1_,comdat
	.protected	_ZN7rocprim17ROCPRIM_400000_NS6detail17trampoline_kernelINS0_14default_configENS1_25transform_config_selectorIfLb1EEEZNS1_14transform_implILb1ES3_S5_PfS7_NS0_8identityIfEEEE10hipError_tT2_T3_mT4_P12ihipStream_tbEUlT_E_NS1_11comp_targetILNS1_3genE2ELNS1_11target_archE906ELNS1_3gpuE6ELNS1_3repE0EEENS1_30default_config_static_selectorELNS0_4arch9wavefront6targetE1EEEvT1_ ; -- Begin function _ZN7rocprim17ROCPRIM_400000_NS6detail17trampoline_kernelINS0_14default_configENS1_25transform_config_selectorIfLb1EEEZNS1_14transform_implILb1ES3_S5_PfS7_NS0_8identityIfEEEE10hipError_tT2_T3_mT4_P12ihipStream_tbEUlT_E_NS1_11comp_targetILNS1_3genE2ELNS1_11target_archE906ELNS1_3gpuE6ELNS1_3repE0EEENS1_30default_config_static_selectorELNS0_4arch9wavefront6targetE1EEEvT1_
	.globl	_ZN7rocprim17ROCPRIM_400000_NS6detail17trampoline_kernelINS0_14default_configENS1_25transform_config_selectorIfLb1EEEZNS1_14transform_implILb1ES3_S5_PfS7_NS0_8identityIfEEEE10hipError_tT2_T3_mT4_P12ihipStream_tbEUlT_E_NS1_11comp_targetILNS1_3genE2ELNS1_11target_archE906ELNS1_3gpuE6ELNS1_3repE0EEENS1_30default_config_static_selectorELNS0_4arch9wavefront6targetE1EEEvT1_
	.p2align	8
	.type	_ZN7rocprim17ROCPRIM_400000_NS6detail17trampoline_kernelINS0_14default_configENS1_25transform_config_selectorIfLb1EEEZNS1_14transform_implILb1ES3_S5_PfS7_NS0_8identityIfEEEE10hipError_tT2_T3_mT4_P12ihipStream_tbEUlT_E_NS1_11comp_targetILNS1_3genE2ELNS1_11target_archE906ELNS1_3gpuE6ELNS1_3repE0EEENS1_30default_config_static_selectorELNS0_4arch9wavefront6targetE1EEEvT1_,@function
_ZN7rocprim17ROCPRIM_400000_NS6detail17trampoline_kernelINS0_14default_configENS1_25transform_config_selectorIfLb1EEEZNS1_14transform_implILb1ES3_S5_PfS7_NS0_8identityIfEEEE10hipError_tT2_T3_mT4_P12ihipStream_tbEUlT_E_NS1_11comp_targetILNS1_3genE2ELNS1_11target_archE906ELNS1_3gpuE6ELNS1_3repE0EEENS1_30default_config_static_selectorELNS0_4arch9wavefront6targetE1EEEvT1_: ; @_ZN7rocprim17ROCPRIM_400000_NS6detail17trampoline_kernelINS0_14default_configENS1_25transform_config_selectorIfLb1EEEZNS1_14transform_implILb1ES3_S5_PfS7_NS0_8identityIfEEEE10hipError_tT2_T3_mT4_P12ihipStream_tbEUlT_E_NS1_11comp_targetILNS1_3genE2ELNS1_11target_archE906ELNS1_3gpuE6ELNS1_3repE0EEENS1_30default_config_static_selectorELNS0_4arch9wavefront6targetE1EEEvT1_
; %bb.0:
	.section	.rodata,"a",@progbits
	.p2align	6, 0x0
	.amdhsa_kernel _ZN7rocprim17ROCPRIM_400000_NS6detail17trampoline_kernelINS0_14default_configENS1_25transform_config_selectorIfLb1EEEZNS1_14transform_implILb1ES3_S5_PfS7_NS0_8identityIfEEEE10hipError_tT2_T3_mT4_P12ihipStream_tbEUlT_E_NS1_11comp_targetILNS1_3genE2ELNS1_11target_archE906ELNS1_3gpuE6ELNS1_3repE0EEENS1_30default_config_static_selectorELNS0_4arch9wavefront6targetE1EEEvT1_
		.amdhsa_group_segment_fixed_size 0
		.amdhsa_private_segment_fixed_size 0
		.amdhsa_kernarg_size 40
		.amdhsa_user_sgpr_count 2
		.amdhsa_user_sgpr_dispatch_ptr 0
		.amdhsa_user_sgpr_queue_ptr 0
		.amdhsa_user_sgpr_kernarg_segment_ptr 1
		.amdhsa_user_sgpr_dispatch_id 0
		.amdhsa_user_sgpr_kernarg_preload_length 0
		.amdhsa_user_sgpr_kernarg_preload_offset 0
		.amdhsa_user_sgpr_private_segment_size 0
		.amdhsa_uses_dynamic_stack 0
		.amdhsa_enable_private_segment 0
		.amdhsa_system_sgpr_workgroup_id_x 1
		.amdhsa_system_sgpr_workgroup_id_y 0
		.amdhsa_system_sgpr_workgroup_id_z 0
		.amdhsa_system_sgpr_workgroup_info 0
		.amdhsa_system_vgpr_workitem_id 0
		.amdhsa_next_free_vgpr 1
		.amdhsa_next_free_sgpr 0
		.amdhsa_accum_offset 4
		.amdhsa_reserve_vcc 0
		.amdhsa_float_round_mode_32 0
		.amdhsa_float_round_mode_16_64 0
		.amdhsa_float_denorm_mode_32 3
		.amdhsa_float_denorm_mode_16_64 3
		.amdhsa_dx10_clamp 1
		.amdhsa_ieee_mode 1
		.amdhsa_fp16_overflow 0
		.amdhsa_tg_split 0
		.amdhsa_exception_fp_ieee_invalid_op 0
		.amdhsa_exception_fp_denorm_src 0
		.amdhsa_exception_fp_ieee_div_zero 0
		.amdhsa_exception_fp_ieee_overflow 0
		.amdhsa_exception_fp_ieee_underflow 0
		.amdhsa_exception_fp_ieee_inexact 0
		.amdhsa_exception_int_div_zero 0
	.end_amdhsa_kernel
	.section	.text._ZN7rocprim17ROCPRIM_400000_NS6detail17trampoline_kernelINS0_14default_configENS1_25transform_config_selectorIfLb1EEEZNS1_14transform_implILb1ES3_S5_PfS7_NS0_8identityIfEEEE10hipError_tT2_T3_mT4_P12ihipStream_tbEUlT_E_NS1_11comp_targetILNS1_3genE2ELNS1_11target_archE906ELNS1_3gpuE6ELNS1_3repE0EEENS1_30default_config_static_selectorELNS0_4arch9wavefront6targetE1EEEvT1_,"axG",@progbits,_ZN7rocprim17ROCPRIM_400000_NS6detail17trampoline_kernelINS0_14default_configENS1_25transform_config_selectorIfLb1EEEZNS1_14transform_implILb1ES3_S5_PfS7_NS0_8identityIfEEEE10hipError_tT2_T3_mT4_P12ihipStream_tbEUlT_E_NS1_11comp_targetILNS1_3genE2ELNS1_11target_archE906ELNS1_3gpuE6ELNS1_3repE0EEENS1_30default_config_static_selectorELNS0_4arch9wavefront6targetE1EEEvT1_,comdat
.Lfunc_end107:
	.size	_ZN7rocprim17ROCPRIM_400000_NS6detail17trampoline_kernelINS0_14default_configENS1_25transform_config_selectorIfLb1EEEZNS1_14transform_implILb1ES3_S5_PfS7_NS0_8identityIfEEEE10hipError_tT2_T3_mT4_P12ihipStream_tbEUlT_E_NS1_11comp_targetILNS1_3genE2ELNS1_11target_archE906ELNS1_3gpuE6ELNS1_3repE0EEENS1_30default_config_static_selectorELNS0_4arch9wavefront6targetE1EEEvT1_, .Lfunc_end107-_ZN7rocprim17ROCPRIM_400000_NS6detail17trampoline_kernelINS0_14default_configENS1_25transform_config_selectorIfLb1EEEZNS1_14transform_implILb1ES3_S5_PfS7_NS0_8identityIfEEEE10hipError_tT2_T3_mT4_P12ihipStream_tbEUlT_E_NS1_11comp_targetILNS1_3genE2ELNS1_11target_archE906ELNS1_3gpuE6ELNS1_3repE0EEENS1_30default_config_static_selectorELNS0_4arch9wavefront6targetE1EEEvT1_
                                        ; -- End function
	.section	.AMDGPU.csdata,"",@progbits
; Kernel info:
; codeLenInByte = 0
; NumSgprs: 6
; NumVgprs: 0
; NumAgprs: 0
; TotalNumVgprs: 0
; ScratchSize: 0
; MemoryBound: 0
; FloatMode: 240
; IeeeMode: 1
; LDSByteSize: 0 bytes/workgroup (compile time only)
; SGPRBlocks: 0
; VGPRBlocks: 0
; NumSGPRsForWavesPerEU: 6
; NumVGPRsForWavesPerEU: 1
; AccumOffset: 4
; Occupancy: 8
; WaveLimiterHint : 0
; COMPUTE_PGM_RSRC2:SCRATCH_EN: 0
; COMPUTE_PGM_RSRC2:USER_SGPR: 2
; COMPUTE_PGM_RSRC2:TRAP_HANDLER: 0
; COMPUTE_PGM_RSRC2:TGID_X_EN: 1
; COMPUTE_PGM_RSRC2:TGID_Y_EN: 0
; COMPUTE_PGM_RSRC2:TGID_Z_EN: 0
; COMPUTE_PGM_RSRC2:TIDIG_COMP_CNT: 0
; COMPUTE_PGM_RSRC3_GFX90A:ACCUM_OFFSET: 0
; COMPUTE_PGM_RSRC3_GFX90A:TG_SPLIT: 0
	.section	.text._ZN7rocprim17ROCPRIM_400000_NS6detail17trampoline_kernelINS0_14default_configENS1_25transform_config_selectorIfLb1EEEZNS1_14transform_implILb1ES3_S5_PfS7_NS0_8identityIfEEEE10hipError_tT2_T3_mT4_P12ihipStream_tbEUlT_E_NS1_11comp_targetILNS1_3genE9ELNS1_11target_archE1100ELNS1_3gpuE3ELNS1_3repE0EEENS1_30default_config_static_selectorELNS0_4arch9wavefront6targetE1EEEvT1_,"axG",@progbits,_ZN7rocprim17ROCPRIM_400000_NS6detail17trampoline_kernelINS0_14default_configENS1_25transform_config_selectorIfLb1EEEZNS1_14transform_implILb1ES3_S5_PfS7_NS0_8identityIfEEEE10hipError_tT2_T3_mT4_P12ihipStream_tbEUlT_E_NS1_11comp_targetILNS1_3genE9ELNS1_11target_archE1100ELNS1_3gpuE3ELNS1_3repE0EEENS1_30default_config_static_selectorELNS0_4arch9wavefront6targetE1EEEvT1_,comdat
	.protected	_ZN7rocprim17ROCPRIM_400000_NS6detail17trampoline_kernelINS0_14default_configENS1_25transform_config_selectorIfLb1EEEZNS1_14transform_implILb1ES3_S5_PfS7_NS0_8identityIfEEEE10hipError_tT2_T3_mT4_P12ihipStream_tbEUlT_E_NS1_11comp_targetILNS1_3genE9ELNS1_11target_archE1100ELNS1_3gpuE3ELNS1_3repE0EEENS1_30default_config_static_selectorELNS0_4arch9wavefront6targetE1EEEvT1_ ; -- Begin function _ZN7rocprim17ROCPRIM_400000_NS6detail17trampoline_kernelINS0_14default_configENS1_25transform_config_selectorIfLb1EEEZNS1_14transform_implILb1ES3_S5_PfS7_NS0_8identityIfEEEE10hipError_tT2_T3_mT4_P12ihipStream_tbEUlT_E_NS1_11comp_targetILNS1_3genE9ELNS1_11target_archE1100ELNS1_3gpuE3ELNS1_3repE0EEENS1_30default_config_static_selectorELNS0_4arch9wavefront6targetE1EEEvT1_
	.globl	_ZN7rocprim17ROCPRIM_400000_NS6detail17trampoline_kernelINS0_14default_configENS1_25transform_config_selectorIfLb1EEEZNS1_14transform_implILb1ES3_S5_PfS7_NS0_8identityIfEEEE10hipError_tT2_T3_mT4_P12ihipStream_tbEUlT_E_NS1_11comp_targetILNS1_3genE9ELNS1_11target_archE1100ELNS1_3gpuE3ELNS1_3repE0EEENS1_30default_config_static_selectorELNS0_4arch9wavefront6targetE1EEEvT1_
	.p2align	8
	.type	_ZN7rocprim17ROCPRIM_400000_NS6detail17trampoline_kernelINS0_14default_configENS1_25transform_config_selectorIfLb1EEEZNS1_14transform_implILb1ES3_S5_PfS7_NS0_8identityIfEEEE10hipError_tT2_T3_mT4_P12ihipStream_tbEUlT_E_NS1_11comp_targetILNS1_3genE9ELNS1_11target_archE1100ELNS1_3gpuE3ELNS1_3repE0EEENS1_30default_config_static_selectorELNS0_4arch9wavefront6targetE1EEEvT1_,@function
_ZN7rocprim17ROCPRIM_400000_NS6detail17trampoline_kernelINS0_14default_configENS1_25transform_config_selectorIfLb1EEEZNS1_14transform_implILb1ES3_S5_PfS7_NS0_8identityIfEEEE10hipError_tT2_T3_mT4_P12ihipStream_tbEUlT_E_NS1_11comp_targetILNS1_3genE9ELNS1_11target_archE1100ELNS1_3gpuE3ELNS1_3repE0EEENS1_30default_config_static_selectorELNS0_4arch9wavefront6targetE1EEEvT1_: ; @_ZN7rocprim17ROCPRIM_400000_NS6detail17trampoline_kernelINS0_14default_configENS1_25transform_config_selectorIfLb1EEEZNS1_14transform_implILb1ES3_S5_PfS7_NS0_8identityIfEEEE10hipError_tT2_T3_mT4_P12ihipStream_tbEUlT_E_NS1_11comp_targetILNS1_3genE9ELNS1_11target_archE1100ELNS1_3gpuE3ELNS1_3repE0EEENS1_30default_config_static_selectorELNS0_4arch9wavefront6targetE1EEEvT1_
; %bb.0:
	.section	.rodata,"a",@progbits
	.p2align	6, 0x0
	.amdhsa_kernel _ZN7rocprim17ROCPRIM_400000_NS6detail17trampoline_kernelINS0_14default_configENS1_25transform_config_selectorIfLb1EEEZNS1_14transform_implILb1ES3_S5_PfS7_NS0_8identityIfEEEE10hipError_tT2_T3_mT4_P12ihipStream_tbEUlT_E_NS1_11comp_targetILNS1_3genE9ELNS1_11target_archE1100ELNS1_3gpuE3ELNS1_3repE0EEENS1_30default_config_static_selectorELNS0_4arch9wavefront6targetE1EEEvT1_
		.amdhsa_group_segment_fixed_size 0
		.amdhsa_private_segment_fixed_size 0
		.amdhsa_kernarg_size 40
		.amdhsa_user_sgpr_count 2
		.amdhsa_user_sgpr_dispatch_ptr 0
		.amdhsa_user_sgpr_queue_ptr 0
		.amdhsa_user_sgpr_kernarg_segment_ptr 1
		.amdhsa_user_sgpr_dispatch_id 0
		.amdhsa_user_sgpr_kernarg_preload_length 0
		.amdhsa_user_sgpr_kernarg_preload_offset 0
		.amdhsa_user_sgpr_private_segment_size 0
		.amdhsa_uses_dynamic_stack 0
		.amdhsa_enable_private_segment 0
		.amdhsa_system_sgpr_workgroup_id_x 1
		.amdhsa_system_sgpr_workgroup_id_y 0
		.amdhsa_system_sgpr_workgroup_id_z 0
		.amdhsa_system_sgpr_workgroup_info 0
		.amdhsa_system_vgpr_workitem_id 0
		.amdhsa_next_free_vgpr 1
		.amdhsa_next_free_sgpr 0
		.amdhsa_accum_offset 4
		.amdhsa_reserve_vcc 0
		.amdhsa_float_round_mode_32 0
		.amdhsa_float_round_mode_16_64 0
		.amdhsa_float_denorm_mode_32 3
		.amdhsa_float_denorm_mode_16_64 3
		.amdhsa_dx10_clamp 1
		.amdhsa_ieee_mode 1
		.amdhsa_fp16_overflow 0
		.amdhsa_tg_split 0
		.amdhsa_exception_fp_ieee_invalid_op 0
		.amdhsa_exception_fp_denorm_src 0
		.amdhsa_exception_fp_ieee_div_zero 0
		.amdhsa_exception_fp_ieee_overflow 0
		.amdhsa_exception_fp_ieee_underflow 0
		.amdhsa_exception_fp_ieee_inexact 0
		.amdhsa_exception_int_div_zero 0
	.end_amdhsa_kernel
	.section	.text._ZN7rocprim17ROCPRIM_400000_NS6detail17trampoline_kernelINS0_14default_configENS1_25transform_config_selectorIfLb1EEEZNS1_14transform_implILb1ES3_S5_PfS7_NS0_8identityIfEEEE10hipError_tT2_T3_mT4_P12ihipStream_tbEUlT_E_NS1_11comp_targetILNS1_3genE9ELNS1_11target_archE1100ELNS1_3gpuE3ELNS1_3repE0EEENS1_30default_config_static_selectorELNS0_4arch9wavefront6targetE1EEEvT1_,"axG",@progbits,_ZN7rocprim17ROCPRIM_400000_NS6detail17trampoline_kernelINS0_14default_configENS1_25transform_config_selectorIfLb1EEEZNS1_14transform_implILb1ES3_S5_PfS7_NS0_8identityIfEEEE10hipError_tT2_T3_mT4_P12ihipStream_tbEUlT_E_NS1_11comp_targetILNS1_3genE9ELNS1_11target_archE1100ELNS1_3gpuE3ELNS1_3repE0EEENS1_30default_config_static_selectorELNS0_4arch9wavefront6targetE1EEEvT1_,comdat
.Lfunc_end108:
	.size	_ZN7rocprim17ROCPRIM_400000_NS6detail17trampoline_kernelINS0_14default_configENS1_25transform_config_selectorIfLb1EEEZNS1_14transform_implILb1ES3_S5_PfS7_NS0_8identityIfEEEE10hipError_tT2_T3_mT4_P12ihipStream_tbEUlT_E_NS1_11comp_targetILNS1_3genE9ELNS1_11target_archE1100ELNS1_3gpuE3ELNS1_3repE0EEENS1_30default_config_static_selectorELNS0_4arch9wavefront6targetE1EEEvT1_, .Lfunc_end108-_ZN7rocprim17ROCPRIM_400000_NS6detail17trampoline_kernelINS0_14default_configENS1_25transform_config_selectorIfLb1EEEZNS1_14transform_implILb1ES3_S5_PfS7_NS0_8identityIfEEEE10hipError_tT2_T3_mT4_P12ihipStream_tbEUlT_E_NS1_11comp_targetILNS1_3genE9ELNS1_11target_archE1100ELNS1_3gpuE3ELNS1_3repE0EEENS1_30default_config_static_selectorELNS0_4arch9wavefront6targetE1EEEvT1_
                                        ; -- End function
	.section	.AMDGPU.csdata,"",@progbits
; Kernel info:
; codeLenInByte = 0
; NumSgprs: 6
; NumVgprs: 0
; NumAgprs: 0
; TotalNumVgprs: 0
; ScratchSize: 0
; MemoryBound: 0
; FloatMode: 240
; IeeeMode: 1
; LDSByteSize: 0 bytes/workgroup (compile time only)
; SGPRBlocks: 0
; VGPRBlocks: 0
; NumSGPRsForWavesPerEU: 6
; NumVGPRsForWavesPerEU: 1
; AccumOffset: 4
; Occupancy: 8
; WaveLimiterHint : 0
; COMPUTE_PGM_RSRC2:SCRATCH_EN: 0
; COMPUTE_PGM_RSRC2:USER_SGPR: 2
; COMPUTE_PGM_RSRC2:TRAP_HANDLER: 0
; COMPUTE_PGM_RSRC2:TGID_X_EN: 1
; COMPUTE_PGM_RSRC2:TGID_Y_EN: 0
; COMPUTE_PGM_RSRC2:TGID_Z_EN: 0
; COMPUTE_PGM_RSRC2:TIDIG_COMP_CNT: 0
; COMPUTE_PGM_RSRC3_GFX90A:ACCUM_OFFSET: 0
; COMPUTE_PGM_RSRC3_GFX90A:TG_SPLIT: 0
	.section	.text._ZN7rocprim17ROCPRIM_400000_NS6detail17trampoline_kernelINS0_14default_configENS1_25transform_config_selectorIfLb1EEEZNS1_14transform_implILb1ES3_S5_PfS7_NS0_8identityIfEEEE10hipError_tT2_T3_mT4_P12ihipStream_tbEUlT_E_NS1_11comp_targetILNS1_3genE8ELNS1_11target_archE1030ELNS1_3gpuE2ELNS1_3repE0EEENS1_30default_config_static_selectorELNS0_4arch9wavefront6targetE1EEEvT1_,"axG",@progbits,_ZN7rocprim17ROCPRIM_400000_NS6detail17trampoline_kernelINS0_14default_configENS1_25transform_config_selectorIfLb1EEEZNS1_14transform_implILb1ES3_S5_PfS7_NS0_8identityIfEEEE10hipError_tT2_T3_mT4_P12ihipStream_tbEUlT_E_NS1_11comp_targetILNS1_3genE8ELNS1_11target_archE1030ELNS1_3gpuE2ELNS1_3repE0EEENS1_30default_config_static_selectorELNS0_4arch9wavefront6targetE1EEEvT1_,comdat
	.protected	_ZN7rocprim17ROCPRIM_400000_NS6detail17trampoline_kernelINS0_14default_configENS1_25transform_config_selectorIfLb1EEEZNS1_14transform_implILb1ES3_S5_PfS7_NS0_8identityIfEEEE10hipError_tT2_T3_mT4_P12ihipStream_tbEUlT_E_NS1_11comp_targetILNS1_3genE8ELNS1_11target_archE1030ELNS1_3gpuE2ELNS1_3repE0EEENS1_30default_config_static_selectorELNS0_4arch9wavefront6targetE1EEEvT1_ ; -- Begin function _ZN7rocprim17ROCPRIM_400000_NS6detail17trampoline_kernelINS0_14default_configENS1_25transform_config_selectorIfLb1EEEZNS1_14transform_implILb1ES3_S5_PfS7_NS0_8identityIfEEEE10hipError_tT2_T3_mT4_P12ihipStream_tbEUlT_E_NS1_11comp_targetILNS1_3genE8ELNS1_11target_archE1030ELNS1_3gpuE2ELNS1_3repE0EEENS1_30default_config_static_selectorELNS0_4arch9wavefront6targetE1EEEvT1_
	.globl	_ZN7rocprim17ROCPRIM_400000_NS6detail17trampoline_kernelINS0_14default_configENS1_25transform_config_selectorIfLb1EEEZNS1_14transform_implILb1ES3_S5_PfS7_NS0_8identityIfEEEE10hipError_tT2_T3_mT4_P12ihipStream_tbEUlT_E_NS1_11comp_targetILNS1_3genE8ELNS1_11target_archE1030ELNS1_3gpuE2ELNS1_3repE0EEENS1_30default_config_static_selectorELNS0_4arch9wavefront6targetE1EEEvT1_
	.p2align	8
	.type	_ZN7rocprim17ROCPRIM_400000_NS6detail17trampoline_kernelINS0_14default_configENS1_25transform_config_selectorIfLb1EEEZNS1_14transform_implILb1ES3_S5_PfS7_NS0_8identityIfEEEE10hipError_tT2_T3_mT4_P12ihipStream_tbEUlT_E_NS1_11comp_targetILNS1_3genE8ELNS1_11target_archE1030ELNS1_3gpuE2ELNS1_3repE0EEENS1_30default_config_static_selectorELNS0_4arch9wavefront6targetE1EEEvT1_,@function
_ZN7rocprim17ROCPRIM_400000_NS6detail17trampoline_kernelINS0_14default_configENS1_25transform_config_selectorIfLb1EEEZNS1_14transform_implILb1ES3_S5_PfS7_NS0_8identityIfEEEE10hipError_tT2_T3_mT4_P12ihipStream_tbEUlT_E_NS1_11comp_targetILNS1_3genE8ELNS1_11target_archE1030ELNS1_3gpuE2ELNS1_3repE0EEENS1_30default_config_static_selectorELNS0_4arch9wavefront6targetE1EEEvT1_: ; @_ZN7rocprim17ROCPRIM_400000_NS6detail17trampoline_kernelINS0_14default_configENS1_25transform_config_selectorIfLb1EEEZNS1_14transform_implILb1ES3_S5_PfS7_NS0_8identityIfEEEE10hipError_tT2_T3_mT4_P12ihipStream_tbEUlT_E_NS1_11comp_targetILNS1_3genE8ELNS1_11target_archE1030ELNS1_3gpuE2ELNS1_3repE0EEENS1_30default_config_static_selectorELNS0_4arch9wavefront6targetE1EEEvT1_
; %bb.0:
	.section	.rodata,"a",@progbits
	.p2align	6, 0x0
	.amdhsa_kernel _ZN7rocprim17ROCPRIM_400000_NS6detail17trampoline_kernelINS0_14default_configENS1_25transform_config_selectorIfLb1EEEZNS1_14transform_implILb1ES3_S5_PfS7_NS0_8identityIfEEEE10hipError_tT2_T3_mT4_P12ihipStream_tbEUlT_E_NS1_11comp_targetILNS1_3genE8ELNS1_11target_archE1030ELNS1_3gpuE2ELNS1_3repE0EEENS1_30default_config_static_selectorELNS0_4arch9wavefront6targetE1EEEvT1_
		.amdhsa_group_segment_fixed_size 0
		.amdhsa_private_segment_fixed_size 0
		.amdhsa_kernarg_size 40
		.amdhsa_user_sgpr_count 2
		.amdhsa_user_sgpr_dispatch_ptr 0
		.amdhsa_user_sgpr_queue_ptr 0
		.amdhsa_user_sgpr_kernarg_segment_ptr 1
		.amdhsa_user_sgpr_dispatch_id 0
		.amdhsa_user_sgpr_kernarg_preload_length 0
		.amdhsa_user_sgpr_kernarg_preload_offset 0
		.amdhsa_user_sgpr_private_segment_size 0
		.amdhsa_uses_dynamic_stack 0
		.amdhsa_enable_private_segment 0
		.amdhsa_system_sgpr_workgroup_id_x 1
		.amdhsa_system_sgpr_workgroup_id_y 0
		.amdhsa_system_sgpr_workgroup_id_z 0
		.amdhsa_system_sgpr_workgroup_info 0
		.amdhsa_system_vgpr_workitem_id 0
		.amdhsa_next_free_vgpr 1
		.amdhsa_next_free_sgpr 0
		.amdhsa_accum_offset 4
		.amdhsa_reserve_vcc 0
		.amdhsa_float_round_mode_32 0
		.amdhsa_float_round_mode_16_64 0
		.amdhsa_float_denorm_mode_32 3
		.amdhsa_float_denorm_mode_16_64 3
		.amdhsa_dx10_clamp 1
		.amdhsa_ieee_mode 1
		.amdhsa_fp16_overflow 0
		.amdhsa_tg_split 0
		.amdhsa_exception_fp_ieee_invalid_op 0
		.amdhsa_exception_fp_denorm_src 0
		.amdhsa_exception_fp_ieee_div_zero 0
		.amdhsa_exception_fp_ieee_overflow 0
		.amdhsa_exception_fp_ieee_underflow 0
		.amdhsa_exception_fp_ieee_inexact 0
		.amdhsa_exception_int_div_zero 0
	.end_amdhsa_kernel
	.section	.text._ZN7rocprim17ROCPRIM_400000_NS6detail17trampoline_kernelINS0_14default_configENS1_25transform_config_selectorIfLb1EEEZNS1_14transform_implILb1ES3_S5_PfS7_NS0_8identityIfEEEE10hipError_tT2_T3_mT4_P12ihipStream_tbEUlT_E_NS1_11comp_targetILNS1_3genE8ELNS1_11target_archE1030ELNS1_3gpuE2ELNS1_3repE0EEENS1_30default_config_static_selectorELNS0_4arch9wavefront6targetE1EEEvT1_,"axG",@progbits,_ZN7rocprim17ROCPRIM_400000_NS6detail17trampoline_kernelINS0_14default_configENS1_25transform_config_selectorIfLb1EEEZNS1_14transform_implILb1ES3_S5_PfS7_NS0_8identityIfEEEE10hipError_tT2_T3_mT4_P12ihipStream_tbEUlT_E_NS1_11comp_targetILNS1_3genE8ELNS1_11target_archE1030ELNS1_3gpuE2ELNS1_3repE0EEENS1_30default_config_static_selectorELNS0_4arch9wavefront6targetE1EEEvT1_,comdat
.Lfunc_end109:
	.size	_ZN7rocprim17ROCPRIM_400000_NS6detail17trampoline_kernelINS0_14default_configENS1_25transform_config_selectorIfLb1EEEZNS1_14transform_implILb1ES3_S5_PfS7_NS0_8identityIfEEEE10hipError_tT2_T3_mT4_P12ihipStream_tbEUlT_E_NS1_11comp_targetILNS1_3genE8ELNS1_11target_archE1030ELNS1_3gpuE2ELNS1_3repE0EEENS1_30default_config_static_selectorELNS0_4arch9wavefront6targetE1EEEvT1_, .Lfunc_end109-_ZN7rocprim17ROCPRIM_400000_NS6detail17trampoline_kernelINS0_14default_configENS1_25transform_config_selectorIfLb1EEEZNS1_14transform_implILb1ES3_S5_PfS7_NS0_8identityIfEEEE10hipError_tT2_T3_mT4_P12ihipStream_tbEUlT_E_NS1_11comp_targetILNS1_3genE8ELNS1_11target_archE1030ELNS1_3gpuE2ELNS1_3repE0EEENS1_30default_config_static_selectorELNS0_4arch9wavefront6targetE1EEEvT1_
                                        ; -- End function
	.section	.AMDGPU.csdata,"",@progbits
; Kernel info:
; codeLenInByte = 0
; NumSgprs: 6
; NumVgprs: 0
; NumAgprs: 0
; TotalNumVgprs: 0
; ScratchSize: 0
; MemoryBound: 0
; FloatMode: 240
; IeeeMode: 1
; LDSByteSize: 0 bytes/workgroup (compile time only)
; SGPRBlocks: 0
; VGPRBlocks: 0
; NumSGPRsForWavesPerEU: 6
; NumVGPRsForWavesPerEU: 1
; AccumOffset: 4
; Occupancy: 8
; WaveLimiterHint : 0
; COMPUTE_PGM_RSRC2:SCRATCH_EN: 0
; COMPUTE_PGM_RSRC2:USER_SGPR: 2
; COMPUTE_PGM_RSRC2:TRAP_HANDLER: 0
; COMPUTE_PGM_RSRC2:TGID_X_EN: 1
; COMPUTE_PGM_RSRC2:TGID_Y_EN: 0
; COMPUTE_PGM_RSRC2:TGID_Z_EN: 0
; COMPUTE_PGM_RSRC2:TIDIG_COMP_CNT: 0
; COMPUTE_PGM_RSRC3_GFX90A:ACCUM_OFFSET: 0
; COMPUTE_PGM_RSRC3_GFX90A:TG_SPLIT: 0
	.section	.text._ZN7rocprim17ROCPRIM_400000_NS6detail17trampoline_kernelINS0_14default_configENS1_20scan_config_selectorIfEEZZNS1_9scan_implILNS1_25lookback_scan_determinismE0ELb0ELb0ES3_PKfPffZZZN2at6native31launch_logcumsumexp_cuda_kernelERKNSB_10TensorBaseESF_lENKUlvE_clEvENKUlvE0_clEvEUlffE_fEEDaPvRmT3_T4_T5_mT6_P12ihipStream_tbENKUlT_T0_E_clISt17integral_constantIbLb0EESW_EEDaSR_SS_EUlSR_E0_NS1_11comp_targetILNS1_3genE0ELNS1_11target_archE4294967295ELNS1_3gpuE0ELNS1_3repE0EEENS1_30default_config_static_selectorELNS0_4arch9wavefront6targetE1EEEvT1_,"axG",@progbits,_ZN7rocprim17ROCPRIM_400000_NS6detail17trampoline_kernelINS0_14default_configENS1_20scan_config_selectorIfEEZZNS1_9scan_implILNS1_25lookback_scan_determinismE0ELb0ELb0ES3_PKfPffZZZN2at6native31launch_logcumsumexp_cuda_kernelERKNSB_10TensorBaseESF_lENKUlvE_clEvENKUlvE0_clEvEUlffE_fEEDaPvRmT3_T4_T5_mT6_P12ihipStream_tbENKUlT_T0_E_clISt17integral_constantIbLb0EESW_EEDaSR_SS_EUlSR_E0_NS1_11comp_targetILNS1_3genE0ELNS1_11target_archE4294967295ELNS1_3gpuE0ELNS1_3repE0EEENS1_30default_config_static_selectorELNS0_4arch9wavefront6targetE1EEEvT1_,comdat
	.globl	_ZN7rocprim17ROCPRIM_400000_NS6detail17trampoline_kernelINS0_14default_configENS1_20scan_config_selectorIfEEZZNS1_9scan_implILNS1_25lookback_scan_determinismE0ELb0ELb0ES3_PKfPffZZZN2at6native31launch_logcumsumexp_cuda_kernelERKNSB_10TensorBaseESF_lENKUlvE_clEvENKUlvE0_clEvEUlffE_fEEDaPvRmT3_T4_T5_mT6_P12ihipStream_tbENKUlT_T0_E_clISt17integral_constantIbLb0EESW_EEDaSR_SS_EUlSR_E0_NS1_11comp_targetILNS1_3genE0ELNS1_11target_archE4294967295ELNS1_3gpuE0ELNS1_3repE0EEENS1_30default_config_static_selectorELNS0_4arch9wavefront6targetE1EEEvT1_ ; -- Begin function _ZN7rocprim17ROCPRIM_400000_NS6detail17trampoline_kernelINS0_14default_configENS1_20scan_config_selectorIfEEZZNS1_9scan_implILNS1_25lookback_scan_determinismE0ELb0ELb0ES3_PKfPffZZZN2at6native31launch_logcumsumexp_cuda_kernelERKNSB_10TensorBaseESF_lENKUlvE_clEvENKUlvE0_clEvEUlffE_fEEDaPvRmT3_T4_T5_mT6_P12ihipStream_tbENKUlT_T0_E_clISt17integral_constantIbLb0EESW_EEDaSR_SS_EUlSR_E0_NS1_11comp_targetILNS1_3genE0ELNS1_11target_archE4294967295ELNS1_3gpuE0ELNS1_3repE0EEENS1_30default_config_static_selectorELNS0_4arch9wavefront6targetE1EEEvT1_
	.p2align	8
	.type	_ZN7rocprim17ROCPRIM_400000_NS6detail17trampoline_kernelINS0_14default_configENS1_20scan_config_selectorIfEEZZNS1_9scan_implILNS1_25lookback_scan_determinismE0ELb0ELb0ES3_PKfPffZZZN2at6native31launch_logcumsumexp_cuda_kernelERKNSB_10TensorBaseESF_lENKUlvE_clEvENKUlvE0_clEvEUlffE_fEEDaPvRmT3_T4_T5_mT6_P12ihipStream_tbENKUlT_T0_E_clISt17integral_constantIbLb0EESW_EEDaSR_SS_EUlSR_E0_NS1_11comp_targetILNS1_3genE0ELNS1_11target_archE4294967295ELNS1_3gpuE0ELNS1_3repE0EEENS1_30default_config_static_selectorELNS0_4arch9wavefront6targetE1EEEvT1_,@function
_ZN7rocprim17ROCPRIM_400000_NS6detail17trampoline_kernelINS0_14default_configENS1_20scan_config_selectorIfEEZZNS1_9scan_implILNS1_25lookback_scan_determinismE0ELb0ELb0ES3_PKfPffZZZN2at6native31launch_logcumsumexp_cuda_kernelERKNSB_10TensorBaseESF_lENKUlvE_clEvENKUlvE0_clEvEUlffE_fEEDaPvRmT3_T4_T5_mT6_P12ihipStream_tbENKUlT_T0_E_clISt17integral_constantIbLb0EESW_EEDaSR_SS_EUlSR_E0_NS1_11comp_targetILNS1_3genE0ELNS1_11target_archE4294967295ELNS1_3gpuE0ELNS1_3repE0EEENS1_30default_config_static_selectorELNS0_4arch9wavefront6targetE1EEEvT1_: ; @_ZN7rocprim17ROCPRIM_400000_NS6detail17trampoline_kernelINS0_14default_configENS1_20scan_config_selectorIfEEZZNS1_9scan_implILNS1_25lookback_scan_determinismE0ELb0ELb0ES3_PKfPffZZZN2at6native31launch_logcumsumexp_cuda_kernelERKNSB_10TensorBaseESF_lENKUlvE_clEvENKUlvE0_clEvEUlffE_fEEDaPvRmT3_T4_T5_mT6_P12ihipStream_tbENKUlT_T0_E_clISt17integral_constantIbLb0EESW_EEDaSR_SS_EUlSR_E0_NS1_11comp_targetILNS1_3genE0ELNS1_11target_archE4294967295ELNS1_3gpuE0ELNS1_3repE0EEENS1_30default_config_static_selectorELNS0_4arch9wavefront6targetE1EEEvT1_
; %bb.0:
	.section	.rodata,"a",@progbits
	.p2align	6, 0x0
	.amdhsa_kernel _ZN7rocprim17ROCPRIM_400000_NS6detail17trampoline_kernelINS0_14default_configENS1_20scan_config_selectorIfEEZZNS1_9scan_implILNS1_25lookback_scan_determinismE0ELb0ELb0ES3_PKfPffZZZN2at6native31launch_logcumsumexp_cuda_kernelERKNSB_10TensorBaseESF_lENKUlvE_clEvENKUlvE0_clEvEUlffE_fEEDaPvRmT3_T4_T5_mT6_P12ihipStream_tbENKUlT_T0_E_clISt17integral_constantIbLb0EESW_EEDaSR_SS_EUlSR_E0_NS1_11comp_targetILNS1_3genE0ELNS1_11target_archE4294967295ELNS1_3gpuE0ELNS1_3repE0EEENS1_30default_config_static_selectorELNS0_4arch9wavefront6targetE1EEEvT1_
		.amdhsa_group_segment_fixed_size 0
		.amdhsa_private_segment_fixed_size 0
		.amdhsa_kernarg_size 32
		.amdhsa_user_sgpr_count 2
		.amdhsa_user_sgpr_dispatch_ptr 0
		.amdhsa_user_sgpr_queue_ptr 0
		.amdhsa_user_sgpr_kernarg_segment_ptr 1
		.amdhsa_user_sgpr_dispatch_id 0
		.amdhsa_user_sgpr_kernarg_preload_length 0
		.amdhsa_user_sgpr_kernarg_preload_offset 0
		.amdhsa_user_sgpr_private_segment_size 0
		.amdhsa_uses_dynamic_stack 0
		.amdhsa_enable_private_segment 0
		.amdhsa_system_sgpr_workgroup_id_x 1
		.amdhsa_system_sgpr_workgroup_id_y 0
		.amdhsa_system_sgpr_workgroup_id_z 0
		.amdhsa_system_sgpr_workgroup_info 0
		.amdhsa_system_vgpr_workitem_id 0
		.amdhsa_next_free_vgpr 1
		.amdhsa_next_free_sgpr 0
		.amdhsa_accum_offset 4
		.amdhsa_reserve_vcc 0
		.amdhsa_float_round_mode_32 0
		.amdhsa_float_round_mode_16_64 0
		.amdhsa_float_denorm_mode_32 3
		.amdhsa_float_denorm_mode_16_64 3
		.amdhsa_dx10_clamp 1
		.amdhsa_ieee_mode 1
		.amdhsa_fp16_overflow 0
		.amdhsa_tg_split 0
		.amdhsa_exception_fp_ieee_invalid_op 0
		.amdhsa_exception_fp_denorm_src 0
		.amdhsa_exception_fp_ieee_div_zero 0
		.amdhsa_exception_fp_ieee_overflow 0
		.amdhsa_exception_fp_ieee_underflow 0
		.amdhsa_exception_fp_ieee_inexact 0
		.amdhsa_exception_int_div_zero 0
	.end_amdhsa_kernel
	.section	.text._ZN7rocprim17ROCPRIM_400000_NS6detail17trampoline_kernelINS0_14default_configENS1_20scan_config_selectorIfEEZZNS1_9scan_implILNS1_25lookback_scan_determinismE0ELb0ELb0ES3_PKfPffZZZN2at6native31launch_logcumsumexp_cuda_kernelERKNSB_10TensorBaseESF_lENKUlvE_clEvENKUlvE0_clEvEUlffE_fEEDaPvRmT3_T4_T5_mT6_P12ihipStream_tbENKUlT_T0_E_clISt17integral_constantIbLb0EESW_EEDaSR_SS_EUlSR_E0_NS1_11comp_targetILNS1_3genE0ELNS1_11target_archE4294967295ELNS1_3gpuE0ELNS1_3repE0EEENS1_30default_config_static_selectorELNS0_4arch9wavefront6targetE1EEEvT1_,"axG",@progbits,_ZN7rocprim17ROCPRIM_400000_NS6detail17trampoline_kernelINS0_14default_configENS1_20scan_config_selectorIfEEZZNS1_9scan_implILNS1_25lookback_scan_determinismE0ELb0ELb0ES3_PKfPffZZZN2at6native31launch_logcumsumexp_cuda_kernelERKNSB_10TensorBaseESF_lENKUlvE_clEvENKUlvE0_clEvEUlffE_fEEDaPvRmT3_T4_T5_mT6_P12ihipStream_tbENKUlT_T0_E_clISt17integral_constantIbLb0EESW_EEDaSR_SS_EUlSR_E0_NS1_11comp_targetILNS1_3genE0ELNS1_11target_archE4294967295ELNS1_3gpuE0ELNS1_3repE0EEENS1_30default_config_static_selectorELNS0_4arch9wavefront6targetE1EEEvT1_,comdat
.Lfunc_end110:
	.size	_ZN7rocprim17ROCPRIM_400000_NS6detail17trampoline_kernelINS0_14default_configENS1_20scan_config_selectorIfEEZZNS1_9scan_implILNS1_25lookback_scan_determinismE0ELb0ELb0ES3_PKfPffZZZN2at6native31launch_logcumsumexp_cuda_kernelERKNSB_10TensorBaseESF_lENKUlvE_clEvENKUlvE0_clEvEUlffE_fEEDaPvRmT3_T4_T5_mT6_P12ihipStream_tbENKUlT_T0_E_clISt17integral_constantIbLb0EESW_EEDaSR_SS_EUlSR_E0_NS1_11comp_targetILNS1_3genE0ELNS1_11target_archE4294967295ELNS1_3gpuE0ELNS1_3repE0EEENS1_30default_config_static_selectorELNS0_4arch9wavefront6targetE1EEEvT1_, .Lfunc_end110-_ZN7rocprim17ROCPRIM_400000_NS6detail17trampoline_kernelINS0_14default_configENS1_20scan_config_selectorIfEEZZNS1_9scan_implILNS1_25lookback_scan_determinismE0ELb0ELb0ES3_PKfPffZZZN2at6native31launch_logcumsumexp_cuda_kernelERKNSB_10TensorBaseESF_lENKUlvE_clEvENKUlvE0_clEvEUlffE_fEEDaPvRmT3_T4_T5_mT6_P12ihipStream_tbENKUlT_T0_E_clISt17integral_constantIbLb0EESW_EEDaSR_SS_EUlSR_E0_NS1_11comp_targetILNS1_3genE0ELNS1_11target_archE4294967295ELNS1_3gpuE0ELNS1_3repE0EEENS1_30default_config_static_selectorELNS0_4arch9wavefront6targetE1EEEvT1_
                                        ; -- End function
	.section	.AMDGPU.csdata,"",@progbits
; Kernel info:
; codeLenInByte = 0
; NumSgprs: 6
; NumVgprs: 0
; NumAgprs: 0
; TotalNumVgprs: 0
; ScratchSize: 0
; MemoryBound: 0
; FloatMode: 240
; IeeeMode: 1
; LDSByteSize: 0 bytes/workgroup (compile time only)
; SGPRBlocks: 0
; VGPRBlocks: 0
; NumSGPRsForWavesPerEU: 6
; NumVGPRsForWavesPerEU: 1
; AccumOffset: 4
; Occupancy: 8
; WaveLimiterHint : 0
; COMPUTE_PGM_RSRC2:SCRATCH_EN: 0
; COMPUTE_PGM_RSRC2:USER_SGPR: 2
; COMPUTE_PGM_RSRC2:TRAP_HANDLER: 0
; COMPUTE_PGM_RSRC2:TGID_X_EN: 1
; COMPUTE_PGM_RSRC2:TGID_Y_EN: 0
; COMPUTE_PGM_RSRC2:TGID_Z_EN: 0
; COMPUTE_PGM_RSRC2:TIDIG_COMP_CNT: 0
; COMPUTE_PGM_RSRC3_GFX90A:ACCUM_OFFSET: 0
; COMPUTE_PGM_RSRC3_GFX90A:TG_SPLIT: 0
	.section	.text._ZN7rocprim17ROCPRIM_400000_NS6detail17trampoline_kernelINS0_14default_configENS1_20scan_config_selectorIfEEZZNS1_9scan_implILNS1_25lookback_scan_determinismE0ELb0ELb0ES3_PKfPffZZZN2at6native31launch_logcumsumexp_cuda_kernelERKNSB_10TensorBaseESF_lENKUlvE_clEvENKUlvE0_clEvEUlffE_fEEDaPvRmT3_T4_T5_mT6_P12ihipStream_tbENKUlT_T0_E_clISt17integral_constantIbLb0EESW_EEDaSR_SS_EUlSR_E0_NS1_11comp_targetILNS1_3genE5ELNS1_11target_archE942ELNS1_3gpuE9ELNS1_3repE0EEENS1_30default_config_static_selectorELNS0_4arch9wavefront6targetE1EEEvT1_,"axG",@progbits,_ZN7rocprim17ROCPRIM_400000_NS6detail17trampoline_kernelINS0_14default_configENS1_20scan_config_selectorIfEEZZNS1_9scan_implILNS1_25lookback_scan_determinismE0ELb0ELb0ES3_PKfPffZZZN2at6native31launch_logcumsumexp_cuda_kernelERKNSB_10TensorBaseESF_lENKUlvE_clEvENKUlvE0_clEvEUlffE_fEEDaPvRmT3_T4_T5_mT6_P12ihipStream_tbENKUlT_T0_E_clISt17integral_constantIbLb0EESW_EEDaSR_SS_EUlSR_E0_NS1_11comp_targetILNS1_3genE5ELNS1_11target_archE942ELNS1_3gpuE9ELNS1_3repE0EEENS1_30default_config_static_selectorELNS0_4arch9wavefront6targetE1EEEvT1_,comdat
	.globl	_ZN7rocprim17ROCPRIM_400000_NS6detail17trampoline_kernelINS0_14default_configENS1_20scan_config_selectorIfEEZZNS1_9scan_implILNS1_25lookback_scan_determinismE0ELb0ELb0ES3_PKfPffZZZN2at6native31launch_logcumsumexp_cuda_kernelERKNSB_10TensorBaseESF_lENKUlvE_clEvENKUlvE0_clEvEUlffE_fEEDaPvRmT3_T4_T5_mT6_P12ihipStream_tbENKUlT_T0_E_clISt17integral_constantIbLb0EESW_EEDaSR_SS_EUlSR_E0_NS1_11comp_targetILNS1_3genE5ELNS1_11target_archE942ELNS1_3gpuE9ELNS1_3repE0EEENS1_30default_config_static_selectorELNS0_4arch9wavefront6targetE1EEEvT1_ ; -- Begin function _ZN7rocprim17ROCPRIM_400000_NS6detail17trampoline_kernelINS0_14default_configENS1_20scan_config_selectorIfEEZZNS1_9scan_implILNS1_25lookback_scan_determinismE0ELb0ELb0ES3_PKfPffZZZN2at6native31launch_logcumsumexp_cuda_kernelERKNSB_10TensorBaseESF_lENKUlvE_clEvENKUlvE0_clEvEUlffE_fEEDaPvRmT3_T4_T5_mT6_P12ihipStream_tbENKUlT_T0_E_clISt17integral_constantIbLb0EESW_EEDaSR_SS_EUlSR_E0_NS1_11comp_targetILNS1_3genE5ELNS1_11target_archE942ELNS1_3gpuE9ELNS1_3repE0EEENS1_30default_config_static_selectorELNS0_4arch9wavefront6targetE1EEEvT1_
	.p2align	8
	.type	_ZN7rocprim17ROCPRIM_400000_NS6detail17trampoline_kernelINS0_14default_configENS1_20scan_config_selectorIfEEZZNS1_9scan_implILNS1_25lookback_scan_determinismE0ELb0ELb0ES3_PKfPffZZZN2at6native31launch_logcumsumexp_cuda_kernelERKNSB_10TensorBaseESF_lENKUlvE_clEvENKUlvE0_clEvEUlffE_fEEDaPvRmT3_T4_T5_mT6_P12ihipStream_tbENKUlT_T0_E_clISt17integral_constantIbLb0EESW_EEDaSR_SS_EUlSR_E0_NS1_11comp_targetILNS1_3genE5ELNS1_11target_archE942ELNS1_3gpuE9ELNS1_3repE0EEENS1_30default_config_static_selectorELNS0_4arch9wavefront6targetE1EEEvT1_,@function
_ZN7rocprim17ROCPRIM_400000_NS6detail17trampoline_kernelINS0_14default_configENS1_20scan_config_selectorIfEEZZNS1_9scan_implILNS1_25lookback_scan_determinismE0ELb0ELb0ES3_PKfPffZZZN2at6native31launch_logcumsumexp_cuda_kernelERKNSB_10TensorBaseESF_lENKUlvE_clEvENKUlvE0_clEvEUlffE_fEEDaPvRmT3_T4_T5_mT6_P12ihipStream_tbENKUlT_T0_E_clISt17integral_constantIbLb0EESW_EEDaSR_SS_EUlSR_E0_NS1_11comp_targetILNS1_3genE5ELNS1_11target_archE942ELNS1_3gpuE9ELNS1_3repE0EEENS1_30default_config_static_selectorELNS0_4arch9wavefront6targetE1EEEvT1_: ; @_ZN7rocprim17ROCPRIM_400000_NS6detail17trampoline_kernelINS0_14default_configENS1_20scan_config_selectorIfEEZZNS1_9scan_implILNS1_25lookback_scan_determinismE0ELb0ELb0ES3_PKfPffZZZN2at6native31launch_logcumsumexp_cuda_kernelERKNSB_10TensorBaseESF_lENKUlvE_clEvENKUlvE0_clEvEUlffE_fEEDaPvRmT3_T4_T5_mT6_P12ihipStream_tbENKUlT_T0_E_clISt17integral_constantIbLb0EESW_EEDaSR_SS_EUlSR_E0_NS1_11comp_targetILNS1_3genE5ELNS1_11target_archE942ELNS1_3gpuE9ELNS1_3repE0EEENS1_30default_config_static_selectorELNS0_4arch9wavefront6targetE1EEEvT1_
; %bb.0:
	s_load_dwordx4 s[48:51], s[0:1], 0x0
	v_lshlrev_b32_e32 v26, 2, v0
	s_waitcnt lgkmcnt(0)
	s_load_dword s4, s[48:49], 0x0
	v_cmp_gt_u32_e64 s[6:7], s50, v0
	s_waitcnt lgkmcnt(0)
	v_mov_b32_e32 v1, s4
	s_mov_b64 s[2:3], exec
                                        ; implicit-def: $vgpr77 : SGPR spill to VGPR lane
	v_writelane_b32 v77, s6, 0
	s_nop 1
	v_writelane_b32 v77, s7, 1
	s_and_b64 s[6:7], s[2:3], s[6:7]
	s_mov_b64 exec, s[6:7]
	s_cbranch_execz .LBB111_2
; %bb.1:
	global_load_dword v1, v26, s[48:49]
.LBB111_2:
	s_or_b64 exec, exec, s[2:3]
	v_or_b32_e32 v2, 0x100, v0
	v_cmp_gt_u32_e64 s[6:7], s50, v2
	v_mov_b32_e32 v2, s4
	s_mov_b64 s[2:3], exec
	v_writelane_b32 v77, s6, 2
	s_nop 1
	v_writelane_b32 v77, s7, 3
	s_and_b64 s[6:7], s[2:3], s[6:7]
	s_mov_b64 exec, s[6:7]
	s_cbranch_execz .LBB111_4
; %bb.3:
	global_load_dword v2, v26, s[48:49] offset:1024
.LBB111_4:
	s_or_b64 exec, exec, s[2:3]
	v_or_b32_e32 v3, 0x200, v0
	v_cmp_gt_u32_e64 s[6:7], s50, v3
	v_mov_b32_e32 v3, s4
	s_mov_b64 s[2:3], exec
	v_writelane_b32 v77, s6, 4
	s_nop 1
	v_writelane_b32 v77, s7, 5
	s_and_b64 s[6:7], s[2:3], s[6:7]
	s_mov_b64 exec, s[6:7]
	s_cbranch_execz .LBB111_6
; %bb.5:
	global_load_dword v3, v26, s[48:49] offset:2048
.LBB111_6:
	;; [unrolled: 14-line block ×3, first 2 shown]
	s_or_b64 exec, exec, s[2:3]
	v_or_b32_e32 v6, 0x400, v0
	v_cmp_gt_u32_e64 s[6:7], s50, v6
	v_mov_b32_e32 v5, s4
	s_nop 0
	v_writelane_b32 v77, s6, 8
	s_nop 1
	v_writelane_b32 v77, s7, 9
	s_and_saveexec_b64 s[2:3], s[6:7]
	s_cbranch_execz .LBB111_10
; %bb.9:
	v_lshlrev_b32_e32 v5, 2, v6
	global_load_dword v5, v5, s[48:49]
.LBB111_10:
	s_or_b64 exec, exec, s[2:3]
	v_or_b32_e32 v7, 0x500, v0
	v_cmp_gt_u32_e64 s[8:9], s50, v7
	v_mov_b32_e32 v6, s4
	s_and_saveexec_b64 s[2:3], s[8:9]
	s_cbranch_execz .LBB111_12
; %bb.11:
	v_lshlrev_b32_e32 v6, 2, v7
	global_load_dword v6, v6, s[48:49]
.LBB111_12:
	s_or_b64 exec, exec, s[2:3]
	v_or_b32_e32 v8, 0x600, v0
	v_cmp_gt_u32_e64 s[10:11], s50, v8
	v_mov_b32_e32 v7, s4
	;; [unrolled: 10-line block ×19, first 2 shown]
	s_and_saveexec_b64 s[2:3], s[46:47]
	s_cbranch_execz .LBB111_48
; %bb.47:
	v_lshlrev_b32_e32 v24, 2, v25
	global_load_dword v24, v24, s[48:49]
.LBB111_48:
	s_or_b64 exec, exec, s[2:3]
	s_movk_i32 s2, 0x5c
	s_waitcnt vmcnt(0)
	ds_write2st64_b32 v26, v1, v2 offset1:4
	ds_write2st64_b32 v26, v3, v4 offset0:8 offset1:12
	ds_write2st64_b32 v26, v5, v6 offset0:16 offset1:20
	;; [unrolled: 1-line block ×11, first 2 shown]
	v_mad_u32_u24 v1, v0, s2, v26
	s_waitcnt lgkmcnt(0)
	s_barrier
	ds_read_b128 v[2:5], v1
	ds_read_b128 v[22:25], v1 offset:16
	ds_read_b128 v[18:21], v1 offset:32
	;; [unrolled: 1-line block ×5, first 2 shown]
	s_waitcnt lgkmcnt(5)
	v_max_f32_e32 v34, v3, v3
	v_max_f32_e32 v53, v2, v2
	v_min_f32_e32 v51, v53, v34
	v_cmp_u_f32_e64 s[96:97], v2, v2
	v_cmp_u_f32_e64 s[50:51], v3, v3
	v_max_f32_e32 v52, v53, v34
	v_cndmask_b32_e64 v1, v51, v2, s[96:97]
	v_cndmask_b32_e64 v27, v1, v3, s[50:51]
	;; [unrolled: 1-line block ×4, first 2 shown]
	s_movk_i32 s4, 0x1f8
	v_cmp_neq_f32_e64 s[52:53], v27, v1
	v_cmp_class_f32_e64 s[2:3], v27, s4
	s_or_b64 s[48:49], s[52:53], s[2:3]
	v_mov_b32_e32 v54, v2
	s_waitcnt lgkmcnt(0)
	s_barrier
	s_and_saveexec_b64 s[2:3], s[48:49]
	s_cbranch_execz .LBB111_50
; %bb.49:
	v_sub_f32_e32 v27, v27, v1
	s_mov_b32 s5, 0x3fb8aa3b
	v_mul_f32_e32 v28, 0x3fb8aa3b, v27
	v_fma_f32 v29, v27, s5, -v28
	v_rndne_f32_e32 v30, v28
	v_fmamk_f32 v29, v27, 0x32a5705f, v29
	v_sub_f32_e32 v28, v28, v30
	v_add_f32_e32 v28, v28, v29
	v_exp_f32_e32 v28, v28
	v_cvt_i32_f32_e32 v29, v30
	s_mov_b32 s5, 0xc2ce8ed0
	v_cmp_ngt_f32_e64 s[52:53], s5, v27
	s_mov_b32 s5, 0x42b17218
	v_ldexp_f32 v28, v28, v29
	v_cndmask_b32_e64 v28, 0, v28, s[52:53]
	v_mov_b32_e32 v29, 0x7f800000
	v_cmp_nlt_f32_e64 s[52:53], s5, v27
	s_mov_b32 s5, 0x3f2aaaab
	s_mov_b32 s6, 0x7f800000
	v_cndmask_b32_e64 v35, v29, v28, s[52:53]
	v_add_f32_e32 v27, 1.0, v35
	v_add_f32_e32 v28, -1.0, v27
	v_sub_f32_e32 v29, v28, v27
	v_add_f32_e32 v29, 1.0, v29
	v_sub_f32_e32 v28, v35, v28
	v_add_f32_e32 v30, v28, v29
	v_frexp_mant_f32_e32 v31, v27
	v_cvt_f64_f32_e32 v[28:29], v27
	v_frexp_exp_i32_f64_e32 v28, v[28:29]
	v_cmp_gt_f32_e64 s[52:53], s5, v31
	s_mov_b32 s5, 0x3f317218
	s_nop 0
	v_subbrev_co_u32_e64 v38, s[52:53], 0, v28, s[52:53]
	v_sub_u32_e32 v28, 0, v38
	v_ldexp_f32 v27, v27, v28
	v_ldexp_f32 v28, v30, v28
	v_add_f32_e32 v30, -1.0, v27
	v_add_f32_e32 v29, 1.0, v30
	v_sub_f32_e32 v29, v27, v29
	v_add_f32_e32 v31, v28, v29
	v_add_f32_e32 v29, 1.0, v27
	v_add_f32_e32 v32, -1.0, v29
	v_sub_f32_e32 v27, v27, v32
	v_add_f32_e32 v27, v28, v27
	v_add_f32_e32 v39, v29, v27
	v_rcp_f32_e32 v40, v39
	v_sub_f32_e32 v28, v29, v39
	v_add_f32_e32 v29, v30, v31
	v_add_f32_e32 v27, v27, v28
	v_mul_f32_e32 v42, v29, v40
	v_sub_f32_e32 v28, v30, v29
	v_mul_f32_e32 v30, v39, v42
	v_fma_f32 v32, v42, v39, -v30
	v_fmac_f32_e32 v32, v42, v27
	v_add_f32_e32 v41, v31, v28
	v_add_f32_e32 v28, v30, v32
	v_sub_f32_e32 v31, v29, v28
	v_pk_add_f32 v[36:37], v[28:29], v[30:31] neg_lo:[0,1] neg_hi:[0,1]
	v_mov_b32_e32 v33, v28
	v_pk_add_f32 v[28:29], v[36:37], v[32:33] neg_lo:[0,1] neg_hi:[0,1]
	v_cmp_eq_f32_e64 s[52:53], s6, v35
	v_add_f32_e32 v29, v41, v29
	v_add_f32_e32 v28, v28, v29
	;; [unrolled: 1-line block ×3, first 2 shown]
	v_mul_f32_e32 v41, v40, v29
	v_mul_f32_e32 v30, v39, v41
	v_fma_f32 v32, v41, v39, -v30
	v_fmac_f32_e32 v32, v41, v27
	v_sub_f32_e32 v27, v31, v29
	v_add_f32_e32 v27, v28, v27
	v_add_f32_e32 v28, v30, v32
	v_sub_f32_e32 v31, v29, v28
	v_pk_add_f32 v[36:37], v[28:29], v[30:31] neg_lo:[0,1] neg_hi:[0,1]
	v_mov_b32_e32 v33, v28
	v_pk_add_f32 v[28:29], v[36:37], v[32:33] neg_lo:[0,1] neg_hi:[0,1]
	v_cvt_f32_i32_e32 v30, v38
	v_add_f32_e32 v27, v27, v29
	v_add_f32_e32 v27, v28, v27
	;; [unrolled: 1-line block ×4, first 2 shown]
	v_sub_f32_e32 v29, v28, v42
	v_mul_f32_e32 v27, v40, v27
	v_sub_f32_e32 v29, v41, v29
	v_add_f32_e32 v27, v29, v27
	v_add_f32_e32 v31, v28, v27
	v_mul_f32_e32 v32, v31, v31
	v_mov_b32_e32 v29, 0x3ecc95a3
	v_fmac_f32_e32 v29, 0x3e9b6dac, v32
	v_sub_f32_e32 v28, v31, v28
	v_fmaak_f32 v29, v32, v29, 0x3f2aaada
	v_sub_f32_e32 v27, v27, v28
	v_ldexp_f32 v33, v31, 1
	v_mul_f32_e32 v31, v31, v32
	v_mov_b32_e32 v28, 0x3f317218
	v_pk_mul_f32 v[28:29], v[30:31], v[28:29]
	v_ldexp_f32 v27, v27, 1
	v_fma_f32 v31, v30, s5, -v28
	v_fmamk_f32 v32, v30, 0xb102e308, v31
	v_pk_add_f32 v[30:31], v[28:29], v[32:33]
	v_mov_b32_e32 v36, v28
	v_sub_f32_e32 v33, v31, v33
	v_sub_f32_e32 v33, v29, v33
	v_add_f32_e32 v37, v27, v33
	v_pk_add_f32 v[28:29], v[30:31], v[28:29] neg_lo:[0,1] neg_hi:[0,1]
	v_pk_add_f32 v[38:39], v[30:31], v[36:37]
	v_mov_b32_e32 v33, v30
	v_mov_b32_e32 v29, v39
	v_pk_add_f32 v[40:41], v[32:33], v[28:29] neg_lo:[0,1] neg_hi:[0,1]
	v_pk_add_f32 v[28:29], v[32:33], v[28:29]
	v_mov_b32_e32 v36, v37
	v_mov_b32_e32 v32, v29
	v_pk_add_f32 v[42:43], v[32:33], v[30:31] neg_lo:[0,1] neg_hi:[0,1]
	v_mov_b32_e32 v28, v39
	v_mov_b32_e32 v27, v42
	v_pk_add_f32 v[44:45], v[38:39], v[26:27] neg_lo:[0,1] neg_hi:[0,1]
	v_mov_b32_e32 v38, v31
	v_mov_b32_e32 v39, v42
	;; [unrolled: 1-line block ×3, first 2 shown]
	v_pk_add_f32 v[28:29], v[28:29], v[38:39] neg_lo:[0,1] neg_hi:[0,1]
	v_mov_b32_e32 v37, v30
	v_pk_add_f32 v[28:29], v[36:37], v[28:29] neg_lo:[0,1] neg_hi:[0,1]
	v_mov_b32_e32 v44, v40
	v_pk_add_f32 v[30:31], v[44:45], v[28:29]
	s_mov_b32 s5, 0x33800000
	v_mov_b32_e32 v36, v31
	v_pk_add_f32 v[36:37], v[30:31], v[36:37]
	v_cmp_lt_f32_e64 s[48:49], |v35|, s5
	v_pk_add_f32 v[32:33], v[32:33], v[36:37]
	v_mov_b32_e32 v29, v36
	v_mov_b32_e32 v31, v32
	v_pk_add_f32 v[38:39], v[30:31], v[40:41] neg_lo:[0,1] neg_hi:[0,1]
	s_or_b64 s[52:53], s[52:53], s[48:49]
	v_sub_f32_e32 v27, v30, v38
	v_pk_add_f32 v[28:29], v[28:29], v[38:39] neg_lo:[0,1] neg_hi:[0,1]
	v_sub_f32_e32 v27, v40, v27
	v_add_f32_e32 v27, v28, v27
	v_add_f32_e32 v27, v27, v29
	v_add_f32_e32 v27, v32, v27
	v_cndmask_b32_e64 v27, v27, v35, s[52:53]
	v_add_f32_e32 v54, v1, v27
.LBB111_50:
	s_or_b64 exec, exec, s[2:3]
	v_max_f32_e32 v27, v54, v54
	v_max_f32_e32 v1, v4, v4
	v_min_f32_e32 v28, v27, v1
	v_cmp_u_f32_e64 s[54:55], v54, v54
	v_max_f32_e32 v27, v27, v1
	v_cmp_u_f32_e64 s[52:53], v4, v4
	v_cndmask_b32_e64 v28, v28, v54, s[54:55]
	v_cndmask_b32_e64 v27, v27, v54, s[54:55]
	;; [unrolled: 1-line block ×4, first 2 shown]
	v_cmp_neq_f32_e64 s[54:55], v28, v27
	v_cmp_class_f32_e64 s[2:3], v28, s4
	s_or_b64 s[4:5], s[54:55], s[2:3]
	s_and_saveexec_b64 s[2:3], s[4:5]
	s_cbranch_execz .LBB111_52
; %bb.51:
	v_sub_f32_e32 v28, v28, v27
	s_mov_b32 s4, 0x3fb8aa3b
	v_mul_f32_e32 v29, 0x3fb8aa3b, v28
	v_fma_f32 v30, v28, s4, -v29
	v_rndne_f32_e32 v31, v29
	v_fmamk_f32 v30, v28, 0x32a5705f, v30
	v_sub_f32_e32 v29, v29, v31
	v_add_f32_e32 v29, v29, v30
	v_exp_f32_e32 v29, v29
	v_cvt_i32_f32_e32 v30, v31
	s_mov_b32 s4, 0xc2ce8ed0
	v_cmp_ngt_f32_e64 s[54:55], s4, v28
	s_mov_b32 s4, 0x42b17218
	v_ldexp_f32 v29, v29, v30
	v_cndmask_b32_e64 v29, 0, v29, s[54:55]
	v_mov_b32_e32 v30, 0x7f800000
	v_cmp_nlt_f32_e64 s[54:55], s4, v28
	s_mov_b32 s4, 0x3f2aaaab
	s_mov_b32 s5, 0x7f800000
	v_cndmask_b32_e64 v35, v30, v29, s[54:55]
	v_add_f32_e32 v30, 1.0, v35
	v_add_f32_e32 v28, -1.0, v30
	v_sub_f32_e32 v29, v28, v30
	v_add_f32_e32 v29, 1.0, v29
	v_sub_f32_e32 v28, v35, v28
	v_add_f32_e32 v31, v28, v29
	v_frexp_mant_f32_e32 v32, v30
	v_cvt_f64_f32_e32 v[28:29], v30
	v_frexp_exp_i32_f64_e32 v28, v[28:29]
	v_cmp_gt_f32_e64 s[54:55], s4, v32
	s_mov_b32 s4, 0x3f317218
	s_nop 0
	v_subbrev_co_u32_e64 v38, s[54:55], 0, v28, s[54:55]
	v_sub_u32_e32 v28, 0, v38
	v_ldexp_f32 v29, v30, v28
	v_add_f32_e32 v30, -1.0, v29
	v_add_f32_e32 v32, 1.0, v29
	v_ldexp_f32 v28, v31, v28
	v_add_f32_e32 v31, 1.0, v30
	v_add_f32_e32 v33, -1.0, v32
	v_sub_f32_e32 v31, v29, v31
	v_sub_f32_e32 v29, v29, v33
	v_add_f32_e32 v31, v28, v31
	v_add_f32_e32 v28, v28, v29
	;; [unrolled: 1-line block ×3, first 2 shown]
	v_rcp_f32_e32 v41, v39
	v_sub_f32_e32 v29, v32, v39
	v_add_f32_e32 v40, v28, v29
	v_add_f32_e32 v29, v30, v31
	v_mul_f32_e32 v43, v29, v41
	v_sub_f32_e32 v28, v30, v29
	v_mul_f32_e32 v30, v39, v43
	v_fma_f32 v32, v43, v39, -v30
	v_fmac_f32_e32 v32, v43, v40
	v_add_f32_e32 v42, v31, v28
	v_add_f32_e32 v28, v30, v32
	v_sub_f32_e32 v31, v29, v28
	v_pk_add_f32 v[36:37], v[28:29], v[30:31] neg_lo:[0,1] neg_hi:[0,1]
	v_mov_b32_e32 v33, v28
	v_pk_add_f32 v[28:29], v[36:37], v[32:33] neg_lo:[0,1] neg_hi:[0,1]
	v_cmp_eq_f32_e64 s[54:55], s5, v35
	v_add_f32_e32 v29, v42, v29
	v_add_f32_e32 v28, v28, v29
	;; [unrolled: 1-line block ×3, first 2 shown]
	v_mul_f32_e32 v42, v41, v29
	v_mul_f32_e32 v30, v39, v42
	v_fma_f32 v32, v42, v39, -v30
	v_fmac_f32_e32 v32, v42, v40
	v_sub_f32_e32 v31, v31, v29
	v_add_f32_e32 v39, v28, v31
	v_add_f32_e32 v28, v30, v32
	v_sub_f32_e32 v31, v29, v28
	v_pk_add_f32 v[36:37], v[28:29], v[30:31] neg_lo:[0,1] neg_hi:[0,1]
	v_mov_b32_e32 v33, v28
	v_pk_add_f32 v[28:29], v[36:37], v[32:33] neg_lo:[0,1] neg_hi:[0,1]
	v_cvt_f32_i32_e32 v30, v38
	v_add_f32_e32 v29, v39, v29
	v_add_f32_e32 v28, v28, v29
	;; [unrolled: 1-line block ×4, first 2 shown]
	v_sub_f32_e32 v29, v31, v43
	v_mul_f32_e32 v28, v41, v28
	v_sub_f32_e32 v29, v42, v29
	v_add_f32_e32 v28, v29, v28
	v_add_f32_e32 v32, v31, v28
	v_mul_f32_e32 v36, v32, v32
	v_mov_b32_e32 v29, 0x3ecc95a3
	v_sub_f32_e32 v31, v32, v31
	v_fmac_f32_e32 v29, 0x3e9b6dac, v36
	v_sub_f32_e32 v28, v28, v31
	v_fmaak_f32 v29, v36, v29, 0x3f2aaada
	v_ldexp_f32 v37, v28, 1
	v_mul_f32_e32 v31, v32, v36
	v_mov_b32_e32 v28, 0x3f317218
	v_pk_mul_f32 v[28:29], v[30:31], v[28:29]
	v_ldexp_f32 v33, v32, 1
	v_fma_f32 v31, v30, s4, -v28
	v_fmamk_f32 v32, v30, 0xb102e308, v31
	v_pk_add_f32 v[30:31], v[28:29], v[32:33]
	v_mov_b32_e32 v36, v28
	v_sub_f32_e32 v33, v31, v33
	v_sub_f32_e32 v33, v29, v33
	v_add_f32_e32 v37, v37, v33
	v_pk_add_f32 v[28:29], v[30:31], v[28:29] neg_lo:[0,1] neg_hi:[0,1]
	v_pk_add_f32 v[38:39], v[30:31], v[36:37]
	v_mov_b32_e32 v33, v30
	v_mov_b32_e32 v29, v39
	v_pk_add_f32 v[40:41], v[32:33], v[28:29] neg_lo:[0,1] neg_hi:[0,1]
	v_pk_add_f32 v[28:29], v[32:33], v[28:29]
	v_mov_b32_e32 v36, v37
	v_mov_b32_e32 v32, v29
	v_pk_add_f32 v[42:43], v[32:33], v[30:31] neg_lo:[0,1] neg_hi:[0,1]
	v_mov_b32_e32 v28, v39
	v_mov_b32_e32 v33, v42
	v_pk_add_f32 v[44:45], v[38:39], v[32:33] neg_lo:[0,1] neg_hi:[0,1]
	v_mov_b32_e32 v38, v31
	v_mov_b32_e32 v39, v42
	;; [unrolled: 1-line block ×3, first 2 shown]
	v_pk_add_f32 v[28:29], v[28:29], v[38:39] neg_lo:[0,1] neg_hi:[0,1]
	v_mov_b32_e32 v37, v30
	v_pk_add_f32 v[28:29], v[36:37], v[28:29] neg_lo:[0,1] neg_hi:[0,1]
	v_mov_b32_e32 v44, v40
	v_pk_add_f32 v[30:31], v[44:45], v[28:29]
	s_mov_b32 s4, 0x33800000
	v_mov_b32_e32 v36, v31
	v_pk_add_f32 v[36:37], v[30:31], v[36:37]
	v_cmp_lt_f32_e64 s[4:5], |v35|, s4
	v_pk_add_f32 v[32:33], v[32:33], v[36:37]
	v_mov_b32_e32 v29, v36
	v_mov_b32_e32 v31, v32
	v_pk_add_f32 v[38:39], v[30:31], v[40:41] neg_lo:[0,1] neg_hi:[0,1]
	s_or_b64 s[54:55], s[54:55], s[4:5]
	v_sub_f32_e32 v30, v30, v38
	v_pk_add_f32 v[28:29], v[28:29], v[38:39] neg_lo:[0,1] neg_hi:[0,1]
	v_sub_f32_e32 v30, v40, v30
	v_add_f32_e32 v28, v28, v30
	v_add_f32_e32 v28, v28, v29
	;; [unrolled: 1-line block ×3, first 2 shown]
	v_cndmask_b32_e64 v28, v28, v35, s[54:55]
	v_add_f32_e32 v54, v27, v28
.LBB111_52:
	s_or_b64 exec, exec, s[2:3]
	v_max_f32_e32 v28, v54, v54
	v_max_f32_e32 v27, v5, v5
	v_min_f32_e32 v29, v28, v27
	v_cmp_u_f32_e64 s[56:57], v54, v54
	v_max_f32_e32 v28, v28, v27
	v_cmp_u_f32_e64 s[54:55], v5, v5
	v_cndmask_b32_e64 v29, v29, v54, s[56:57]
	v_cndmask_b32_e64 v28, v28, v54, s[56:57]
	;; [unrolled: 1-line block ×4, first 2 shown]
	s_movk_i32 s4, 0x1f8
	v_cmp_neq_f32_e64 s[56:57], v29, v28
	v_cmp_class_f32_e64 s[2:3], v29, s4
	s_or_b64 s[48:49], s[56:57], s[2:3]
	s_and_saveexec_b64 s[2:3], s[48:49]
	s_cbranch_execz .LBB111_54
; %bb.53:
	v_sub_f32_e32 v29, v29, v28
	s_mov_b32 s5, 0x3fb8aa3b
	v_mul_f32_e32 v30, 0x3fb8aa3b, v29
	v_fma_f32 v31, v29, s5, -v30
	v_rndne_f32_e32 v32, v30
	v_fmamk_f32 v31, v29, 0x32a5705f, v31
	v_sub_f32_e32 v30, v30, v32
	v_add_f32_e32 v30, v30, v31
	v_exp_f32_e32 v30, v30
	v_cvt_i32_f32_e32 v31, v32
	s_mov_b32 s5, 0xc2ce8ed0
	v_cmp_ngt_f32_e64 s[56:57], s5, v29
	s_mov_b32 s5, 0x42b17218
	v_ldexp_f32 v30, v30, v31
	v_cndmask_b32_e64 v30, 0, v30, s[56:57]
	v_mov_b32_e32 v31, 0x7f800000
	v_cmp_nlt_f32_e64 s[56:57], s5, v29
	s_mov_b32 s5, 0x3f2aaaab
	s_mov_b32 s6, 0x7f800000
	v_cndmask_b32_e64 v35, v31, v30, s[56:57]
	v_add_f32_e32 v29, 1.0, v35
	v_add_f32_e32 v30, -1.0, v29
	v_sub_f32_e32 v31, v30, v29
	v_add_f32_e32 v31, 1.0, v31
	v_sub_f32_e32 v30, v35, v30
	v_add_f32_e32 v32, v30, v31
	v_frexp_mant_f32_e32 v33, v29
	v_cvt_f64_f32_e32 v[30:31], v29
	v_frexp_exp_i32_f64_e32 v30, v[30:31]
	v_cmp_gt_f32_e64 s[56:57], s5, v33
	s_mov_b32 s5, 0x3f317218
	s_nop 0
	v_subbrev_co_u32_e64 v40, s[56:57], 0, v30, s[56:57]
	v_sub_u32_e32 v30, 0, v40
	v_ldexp_f32 v29, v29, v30
	v_ldexp_f32 v30, v32, v30
	v_add_f32_e32 v32, -1.0, v29
	v_add_f32_e32 v31, 1.0, v32
	v_sub_f32_e32 v31, v29, v31
	v_add_f32_e32 v33, v30, v31
	v_add_f32_e32 v31, 1.0, v29
	v_add_f32_e32 v36, -1.0, v31
	v_sub_f32_e32 v29, v29, v36
	v_add_f32_e32 v29, v30, v29
	v_add_f32_e32 v41, v31, v29
	v_rcp_f32_e32 v42, v41
	v_sub_f32_e32 v30, v31, v41
	v_add_f32_e32 v31, v32, v33
	v_add_f32_e32 v29, v29, v30
	v_mul_f32_e32 v44, v31, v42
	v_sub_f32_e32 v30, v32, v31
	v_mul_f32_e32 v32, v41, v44
	v_fma_f32 v36, v44, v41, -v32
	v_fmac_f32_e32 v36, v44, v29
	v_add_f32_e32 v43, v33, v30
	v_add_f32_e32 v30, v32, v36
	v_sub_f32_e32 v33, v31, v30
	v_pk_add_f32 v[38:39], v[30:31], v[32:33] neg_lo:[0,1] neg_hi:[0,1]
	v_mov_b32_e32 v37, v30
	v_pk_add_f32 v[30:31], v[38:39], v[36:37] neg_lo:[0,1] neg_hi:[0,1]
	v_cmp_eq_f32_e64 s[56:57], s6, v35
	v_add_f32_e32 v31, v43, v31
	v_add_f32_e32 v30, v30, v31
	;; [unrolled: 1-line block ×3, first 2 shown]
	v_mul_f32_e32 v43, v42, v31
	v_mul_f32_e32 v32, v41, v43
	v_fma_f32 v36, v43, v41, -v32
	v_fmac_f32_e32 v36, v43, v29
	v_sub_f32_e32 v29, v33, v31
	v_add_f32_e32 v29, v30, v29
	v_add_f32_e32 v30, v32, v36
	v_sub_f32_e32 v33, v31, v30
	v_pk_add_f32 v[38:39], v[30:31], v[32:33] neg_lo:[0,1] neg_hi:[0,1]
	v_mov_b32_e32 v37, v30
	v_pk_add_f32 v[30:31], v[38:39], v[36:37] neg_lo:[0,1] neg_hi:[0,1]
	v_cvt_f32_i32_e32 v32, v40
	v_add_f32_e32 v29, v29, v31
	v_add_f32_e32 v29, v30, v29
	;; [unrolled: 1-line block ×4, first 2 shown]
	v_sub_f32_e32 v31, v30, v44
	v_mul_f32_e32 v29, v42, v29
	v_sub_f32_e32 v31, v43, v31
	v_add_f32_e32 v29, v31, v29
	v_add_f32_e32 v33, v30, v29
	v_mul_f32_e32 v36, v33, v33
	v_mov_b32_e32 v31, 0x3ecc95a3
	v_fmac_f32_e32 v31, 0x3e9b6dac, v36
	v_sub_f32_e32 v30, v33, v30
	v_fmaak_f32 v31, v36, v31, 0x3f2aaada
	v_sub_f32_e32 v29, v29, v30
	v_ldexp_f32 v37, v33, 1
	v_mul_f32_e32 v33, v33, v36
	v_mov_b32_e32 v30, 0x3f317218
	v_pk_mul_f32 v[30:31], v[32:33], v[30:31]
	v_ldexp_f32 v29, v29, 1
	v_fma_f32 v33, v32, s5, -v30
	v_fmamk_f32 v36, v32, 0xb102e308, v33
	v_pk_add_f32 v[32:33], v[30:31], v[36:37]
	v_mov_b32_e32 v38, v30
	v_sub_f32_e32 v37, v33, v37
	v_sub_f32_e32 v37, v31, v37
	v_add_f32_e32 v39, v29, v37
	v_pk_add_f32 v[30:31], v[32:33], v[30:31] neg_lo:[0,1] neg_hi:[0,1]
	v_pk_add_f32 v[40:41], v[32:33], v[38:39]
	v_mov_b32_e32 v37, v32
	v_mov_b32_e32 v31, v41
	v_pk_add_f32 v[42:43], v[36:37], v[30:31] neg_lo:[0,1] neg_hi:[0,1]
	v_pk_add_f32 v[30:31], v[36:37], v[30:31]
	v_mov_b32_e32 v38, v39
	v_mov_b32_e32 v36, v31
	v_pk_add_f32 v[44:45], v[36:37], v[32:33] neg_lo:[0,1] neg_hi:[0,1]
	v_mov_b32_e32 v30, v41
	v_mov_b32_e32 v29, v44
	v_pk_add_f32 v[46:47], v[40:41], v[28:29] neg_lo:[0,1] neg_hi:[0,1]
	v_mov_b32_e32 v40, v33
	v_mov_b32_e32 v41, v44
	;; [unrolled: 1-line block ×3, first 2 shown]
	v_pk_add_f32 v[30:31], v[30:31], v[40:41] neg_lo:[0,1] neg_hi:[0,1]
	v_mov_b32_e32 v39, v32
	v_pk_add_f32 v[30:31], v[38:39], v[30:31] neg_lo:[0,1] neg_hi:[0,1]
	v_mov_b32_e32 v46, v42
	v_pk_add_f32 v[32:33], v[46:47], v[30:31]
	s_mov_b32 s5, 0x33800000
	v_mov_b32_e32 v38, v33
	v_pk_add_f32 v[38:39], v[32:33], v[38:39]
	v_cmp_lt_f32_e64 s[48:49], |v35|, s5
	v_pk_add_f32 v[36:37], v[36:37], v[38:39]
	v_mov_b32_e32 v31, v38
	v_mov_b32_e32 v33, v36
	v_pk_add_f32 v[40:41], v[32:33], v[42:43] neg_lo:[0,1] neg_hi:[0,1]
	s_or_b64 s[56:57], s[56:57], s[48:49]
	v_sub_f32_e32 v29, v32, v40
	v_pk_add_f32 v[30:31], v[30:31], v[40:41] neg_lo:[0,1] neg_hi:[0,1]
	v_sub_f32_e32 v29, v42, v29
	v_add_f32_e32 v29, v30, v29
	v_add_f32_e32 v29, v29, v31
	;; [unrolled: 1-line block ×3, first 2 shown]
	v_cndmask_b32_e64 v29, v29, v35, s[56:57]
	v_add_f32_e32 v54, v28, v29
.LBB111_54:
	s_or_b64 exec, exec, s[2:3]
	v_max_f32_e32 v28, v54, v54
	v_max_f32_e32 v30, v22, v22
	v_min_f32_e32 v29, v28, v30
	v_cmp_u_f32_e64 s[58:59], v54, v54
	v_max_f32_e32 v28, v28, v30
	v_cmp_u_f32_e64 s[56:57], v22, v22
	v_cndmask_b32_e64 v29, v29, v54, s[58:59]
	v_cndmask_b32_e64 v28, v28, v54, s[58:59]
	;; [unrolled: 1-line block ×4, first 2 shown]
	v_cmp_neq_f32_e64 s[58:59], v29, v28
	v_cmp_class_f32_e64 s[2:3], v29, s4
	s_or_b64 s[4:5], s[58:59], s[2:3]
	s_and_saveexec_b64 s[2:3], s[4:5]
	s_cbranch_execz .LBB111_56
; %bb.55:
	v_sub_f32_e32 v29, v29, v28
	s_mov_b32 s4, 0x3fb8aa3b
	v_mul_f32_e32 v31, 0x3fb8aa3b, v29
	v_fma_f32 v32, v29, s4, -v31
	v_rndne_f32_e32 v33, v31
	v_fmamk_f32 v32, v29, 0x32a5705f, v32
	v_sub_f32_e32 v31, v31, v33
	v_add_f32_e32 v31, v31, v32
	v_exp_f32_e32 v31, v31
	v_cvt_i32_f32_e32 v32, v33
	s_mov_b32 s4, 0xc2ce8ed0
	v_cmp_ngt_f32_e64 s[58:59], s4, v29
	s_mov_b32 s4, 0x42b17218
	v_ldexp_f32 v31, v31, v32
	v_cndmask_b32_e64 v31, 0, v31, s[58:59]
	v_mov_b32_e32 v32, 0x7f800000
	v_cmp_nlt_f32_e64 s[58:59], s4, v29
	s_mov_b32 s4, 0x3f2aaaab
	s_mov_b32 s5, 0x7f800000
	v_cndmask_b32_e64 v31, v32, v31, s[58:59]
	v_add_f32_e32 v29, 1.0, v31
	v_add_f32_e32 v32, -1.0, v29
	v_sub_f32_e32 v33, v32, v29
	v_add_f32_e32 v33, 1.0, v33
	v_sub_f32_e32 v32, v31, v32
	v_add_f32_e32 v35, v32, v33
	v_frexp_mant_f32_e32 v36, v29
	v_cvt_f64_f32_e32 v[32:33], v29
	v_frexp_exp_i32_f64_e32 v32, v[32:33]
	v_cmp_gt_f32_e64 s[58:59], s4, v36
	s_mov_b32 s4, 0x3f317218
	s_nop 0
	v_subbrev_co_u32_e64 v42, s[58:59], 0, v32, s[58:59]
	v_sub_u32_e32 v32, 0, v42
	v_ldexp_f32 v29, v29, v32
	v_ldexp_f32 v32, v35, v32
	v_add_f32_e32 v35, -1.0, v29
	v_add_f32_e32 v33, 1.0, v35
	v_sub_f32_e32 v33, v29, v33
	v_add_f32_e32 v36, v32, v33
	v_add_f32_e32 v33, 1.0, v29
	v_add_f32_e32 v37, -1.0, v33
	v_sub_f32_e32 v29, v29, v37
	v_add_f32_e32 v29, v32, v29
	v_add_f32_e32 v43, v33, v29
	v_rcp_f32_e32 v44, v43
	v_sub_f32_e32 v32, v33, v43
	v_add_f32_e32 v33, v35, v36
	v_add_f32_e32 v29, v29, v32
	v_sub_f32_e32 v32, v35, v33
	v_mul_f32_e32 v45, v33, v44
	v_add_f32_e32 v35, v36, v32
	v_mul_f32_e32 v36, v43, v45
	v_fma_f32 v38, v45, v43, -v36
	v_fmac_f32_e32 v38, v45, v29
	v_add_f32_e32 v32, v36, v38
	v_sub_f32_e32 v37, v33, v32
	v_pk_add_f32 v[40:41], v[32:33], v[36:37] neg_lo:[0,1] neg_hi:[0,1]
	v_mov_b32_e32 v39, v32
	v_pk_add_f32 v[32:33], v[40:41], v[38:39] neg_lo:[0,1] neg_hi:[0,1]
	v_cmp_eq_f32_e64 s[58:59], s5, v31
	v_add_f32_e32 v33, v35, v33
	v_add_f32_e32 v32, v32, v33
	;; [unrolled: 1-line block ×3, first 2 shown]
	v_mul_f32_e32 v35, v44, v33
	v_mul_f32_e32 v36, v43, v35
	v_fma_f32 v38, v35, v43, -v36
	v_fmac_f32_e32 v38, v35, v29
	v_sub_f32_e32 v29, v37, v33
	v_add_f32_e32 v29, v32, v29
	v_add_f32_e32 v32, v36, v38
	v_sub_f32_e32 v37, v33, v32
	v_pk_add_f32 v[40:41], v[32:33], v[36:37] neg_lo:[0,1] neg_hi:[0,1]
	v_mov_b32_e32 v39, v32
	v_pk_add_f32 v[32:33], v[40:41], v[38:39] neg_lo:[0,1] neg_hi:[0,1]
	v_cvt_f32_i32_e32 v36, v42
	v_add_f32_e32 v29, v29, v33
	v_add_f32_e32 v29, v32, v29
	;; [unrolled: 1-line block ×4, first 2 shown]
	v_sub_f32_e32 v33, v32, v45
	v_mul_f32_e32 v29, v44, v29
	v_sub_f32_e32 v33, v35, v33
	v_add_f32_e32 v29, v33, v29
	v_add_f32_e32 v35, v32, v29
	v_mul_f32_e32 v37, v35, v35
	v_mov_b32_e32 v33, 0x3ecc95a3
	v_fmac_f32_e32 v33, 0x3e9b6dac, v37
	v_sub_f32_e32 v32, v35, v32
	v_fmaak_f32 v33, v37, v33, 0x3f2aaada
	v_sub_f32_e32 v29, v29, v32
	v_mul_f32_e32 v37, v35, v37
	v_mov_b32_e32 v32, 0x3f317218
	v_pk_mul_f32 v[32:33], v[36:37], v[32:33]
	v_ldexp_f32 v39, v35, 1
	v_fma_f32 v35, v36, s4, -v32
	v_fmamk_f32 v38, v36, 0xb102e308, v35
	v_pk_add_f32 v[36:37], v[32:33], v[38:39]
	v_ldexp_f32 v29, v29, 1
	v_sub_f32_e32 v35, v37, v39
	v_sub_f32_e32 v35, v33, v35
	v_add_f32_e32 v41, v29, v35
	v_mov_b32_e32 v40, v32
	v_pk_add_f32 v[32:33], v[36:37], v[32:33] neg_lo:[0,1] neg_hi:[0,1]
	v_pk_add_f32 v[42:43], v[36:37], v[40:41]
	v_mov_b32_e32 v39, v36
	v_mov_b32_e32 v33, v43
	v_pk_add_f32 v[44:45], v[38:39], v[32:33] neg_lo:[0,1] neg_hi:[0,1]
	v_pk_add_f32 v[32:33], v[38:39], v[32:33]
	v_mov_b32_e32 v40, v41
	v_mov_b32_e32 v38, v33
	v_pk_add_f32 v[46:47], v[38:39], v[36:37] neg_lo:[0,1] neg_hi:[0,1]
	v_mov_b32_e32 v32, v43
	v_mov_b32_e32 v29, v46
	v_pk_add_f32 v[48:49], v[42:43], v[28:29] neg_lo:[0,1] neg_hi:[0,1]
	v_mov_b32_e32 v42, v37
	v_mov_b32_e32 v43, v46
	;; [unrolled: 1-line block ×3, first 2 shown]
	v_pk_add_f32 v[32:33], v[32:33], v[42:43] neg_lo:[0,1] neg_hi:[0,1]
	v_mov_b32_e32 v41, v36
	v_pk_add_f32 v[32:33], v[40:41], v[32:33] neg_lo:[0,1] neg_hi:[0,1]
	v_mov_b32_e32 v48, v44
	v_pk_add_f32 v[36:37], v[48:49], v[32:33]
	s_mov_b32 s4, 0x33800000
	v_mov_b32_e32 v40, v37
	v_pk_add_f32 v[40:41], v[36:37], v[40:41]
	v_cmp_lt_f32_e64 s[4:5], |v31|, s4
	v_pk_add_f32 v[38:39], v[38:39], v[40:41]
	v_mov_b32_e32 v33, v40
	v_mov_b32_e32 v37, v38
	v_pk_add_f32 v[42:43], v[36:37], v[44:45] neg_lo:[0,1] neg_hi:[0,1]
	s_or_b64 s[58:59], s[58:59], s[4:5]
	v_sub_f32_e32 v29, v36, v42
	v_pk_add_f32 v[32:33], v[32:33], v[42:43] neg_lo:[0,1] neg_hi:[0,1]
	v_sub_f32_e32 v29, v44, v29
	v_add_f32_e32 v29, v32, v29
	v_add_f32_e32 v29, v29, v33
	;; [unrolled: 1-line block ×3, first 2 shown]
	v_cndmask_b32_e64 v29, v29, v31, s[58:59]
	v_add_f32_e32 v54, v28, v29
.LBB111_56:
	s_or_b64 exec, exec, s[2:3]
	v_max_f32_e32 v28, v54, v54
	v_max_f32_e32 v31, v23, v23
	v_min_f32_e32 v29, v28, v31
	v_cmp_u_f32_e64 s[60:61], v54, v54
	v_max_f32_e32 v28, v28, v31
	v_cmp_u_f32_e64 s[58:59], v23, v23
	v_cndmask_b32_e64 v29, v29, v54, s[60:61]
	v_cndmask_b32_e64 v28, v28, v54, s[60:61]
	;; [unrolled: 1-line block ×4, first 2 shown]
	s_movk_i32 s4, 0x1f8
	v_cmp_neq_f32_e64 s[60:61], v29, v28
	v_cmp_class_f32_e64 s[2:3], v29, s4
	s_or_b64 s[48:49], s[60:61], s[2:3]
	s_and_saveexec_b64 s[2:3], s[48:49]
	s_cbranch_execz .LBB111_58
; %bb.57:
	v_sub_f32_e32 v29, v29, v28
	s_mov_b32 s5, 0x3fb8aa3b
	v_mul_f32_e32 v32, 0x3fb8aa3b, v29
	v_fma_f32 v33, v29, s5, -v32
	v_rndne_f32_e32 v35, v32
	v_fmamk_f32 v33, v29, 0x32a5705f, v33
	v_sub_f32_e32 v32, v32, v35
	v_add_f32_e32 v32, v32, v33
	v_exp_f32_e32 v32, v32
	v_cvt_i32_f32_e32 v33, v35
	s_mov_b32 s5, 0xc2ce8ed0
	v_cmp_ngt_f32_e64 s[60:61], s5, v29
	s_mov_b32 s5, 0x42b17218
	v_ldexp_f32 v32, v32, v33
	v_cndmask_b32_e64 v32, 0, v32, s[60:61]
	v_mov_b32_e32 v33, 0x7f800000
	v_cmp_nlt_f32_e64 s[60:61], s5, v29
	s_mov_b32 s5, 0x3f2aaaab
	s_mov_b32 s6, 0x7f800000
	v_cndmask_b32_e64 v35, v33, v32, s[60:61]
	v_add_f32_e32 v29, 1.0, v35
	v_add_f32_e32 v32, -1.0, v29
	v_sub_f32_e32 v33, v32, v29
	v_add_f32_e32 v33, 1.0, v33
	v_sub_f32_e32 v32, v35, v32
	v_add_f32_e32 v36, v32, v33
	v_frexp_mant_f32_e32 v37, v29
	v_cvt_f64_f32_e32 v[32:33], v29
	v_frexp_exp_i32_f64_e32 v32, v[32:33]
	v_cmp_gt_f32_e64 s[60:61], s5, v37
	s_mov_b32 s5, 0x3f317218
	s_nop 0
	v_subbrev_co_u32_e64 v42, s[60:61], 0, v32, s[60:61]
	v_sub_u32_e32 v32, 0, v42
	v_ldexp_f32 v29, v29, v32
	v_ldexp_f32 v32, v36, v32
	v_add_f32_e32 v36, -1.0, v29
	v_add_f32_e32 v33, 1.0, v36
	v_sub_f32_e32 v33, v29, v33
	v_add_f32_e32 v37, v32, v33
	v_add_f32_e32 v33, 1.0, v29
	v_add_f32_e32 v38, -1.0, v33
	v_sub_f32_e32 v29, v29, v38
	v_add_f32_e32 v29, v32, v29
	v_add_f32_e32 v43, v33, v29
	v_rcp_f32_e32 v44, v43
	v_sub_f32_e32 v32, v33, v43
	v_add_f32_e32 v33, v36, v37
	v_add_f32_e32 v29, v29, v32
	v_mul_f32_e32 v46, v33, v44
	v_sub_f32_e32 v32, v36, v33
	v_mul_f32_e32 v36, v43, v46
	v_fma_f32 v38, v46, v43, -v36
	v_fmac_f32_e32 v38, v46, v29
	v_add_f32_e32 v45, v37, v32
	v_add_f32_e32 v32, v36, v38
	v_sub_f32_e32 v37, v33, v32
	v_pk_add_f32 v[40:41], v[32:33], v[36:37] neg_lo:[0,1] neg_hi:[0,1]
	v_mov_b32_e32 v39, v32
	v_pk_add_f32 v[32:33], v[40:41], v[38:39] neg_lo:[0,1] neg_hi:[0,1]
	v_cmp_eq_f32_e64 s[60:61], s6, v35
	v_add_f32_e32 v33, v45, v33
	v_add_f32_e32 v32, v32, v33
	;; [unrolled: 1-line block ×3, first 2 shown]
	v_mul_f32_e32 v45, v44, v33
	v_mul_f32_e32 v36, v43, v45
	v_fma_f32 v38, v45, v43, -v36
	v_fmac_f32_e32 v38, v45, v29
	v_sub_f32_e32 v29, v37, v33
	v_add_f32_e32 v29, v32, v29
	v_add_f32_e32 v32, v36, v38
	v_sub_f32_e32 v37, v33, v32
	v_pk_add_f32 v[40:41], v[32:33], v[36:37] neg_lo:[0,1] neg_hi:[0,1]
	v_mov_b32_e32 v39, v32
	v_pk_add_f32 v[32:33], v[40:41], v[38:39] neg_lo:[0,1] neg_hi:[0,1]
	v_cvt_f32_i32_e32 v36, v42
	v_add_f32_e32 v29, v29, v33
	v_add_f32_e32 v29, v32, v29
	;; [unrolled: 1-line block ×4, first 2 shown]
	v_sub_f32_e32 v33, v32, v46
	v_mul_f32_e32 v29, v44, v29
	v_sub_f32_e32 v33, v45, v33
	v_add_f32_e32 v29, v33, v29
	v_add_f32_e32 v37, v32, v29
	v_mul_f32_e32 v38, v37, v37
	v_mov_b32_e32 v33, 0x3ecc95a3
	v_fmac_f32_e32 v33, 0x3e9b6dac, v38
	v_sub_f32_e32 v32, v37, v32
	v_fmaak_f32 v33, v38, v33, 0x3f2aaada
	v_sub_f32_e32 v29, v29, v32
	v_ldexp_f32 v39, v37, 1
	v_mul_f32_e32 v37, v37, v38
	v_mov_b32_e32 v32, 0x3f317218
	v_pk_mul_f32 v[32:33], v[36:37], v[32:33]
	v_ldexp_f32 v29, v29, 1
	v_fma_f32 v37, v36, s5, -v32
	v_fmamk_f32 v38, v36, 0xb102e308, v37
	v_pk_add_f32 v[36:37], v[32:33], v[38:39]
	v_mov_b32_e32 v40, v32
	v_sub_f32_e32 v39, v37, v39
	v_sub_f32_e32 v39, v33, v39
	v_add_f32_e32 v41, v29, v39
	v_pk_add_f32 v[32:33], v[36:37], v[32:33] neg_lo:[0,1] neg_hi:[0,1]
	v_pk_add_f32 v[42:43], v[36:37], v[40:41]
	v_mov_b32_e32 v39, v36
	v_mov_b32_e32 v33, v43
	v_pk_add_f32 v[44:45], v[38:39], v[32:33] neg_lo:[0,1] neg_hi:[0,1]
	v_pk_add_f32 v[32:33], v[38:39], v[32:33]
	v_mov_b32_e32 v40, v41
	v_mov_b32_e32 v38, v33
	v_pk_add_f32 v[46:47], v[38:39], v[36:37] neg_lo:[0,1] neg_hi:[0,1]
	v_mov_b32_e32 v32, v43
	v_mov_b32_e32 v29, v46
	v_pk_add_f32 v[48:49], v[42:43], v[28:29] neg_lo:[0,1] neg_hi:[0,1]
	v_mov_b32_e32 v42, v37
	v_mov_b32_e32 v43, v46
	v_mov_b32_e32 v45, v33
	v_pk_add_f32 v[32:33], v[32:33], v[42:43] neg_lo:[0,1] neg_hi:[0,1]
	v_mov_b32_e32 v41, v36
	v_pk_add_f32 v[32:33], v[40:41], v[32:33] neg_lo:[0,1] neg_hi:[0,1]
	v_mov_b32_e32 v48, v44
	v_pk_add_f32 v[36:37], v[48:49], v[32:33]
	s_mov_b32 s5, 0x33800000
	v_mov_b32_e32 v40, v37
	v_pk_add_f32 v[40:41], v[36:37], v[40:41]
	v_cmp_lt_f32_e64 s[48:49], |v35|, s5
	v_pk_add_f32 v[38:39], v[38:39], v[40:41]
	v_mov_b32_e32 v33, v40
	v_mov_b32_e32 v37, v38
	v_pk_add_f32 v[42:43], v[36:37], v[44:45] neg_lo:[0,1] neg_hi:[0,1]
	s_or_b64 s[60:61], s[60:61], s[48:49]
	v_sub_f32_e32 v29, v36, v42
	v_pk_add_f32 v[32:33], v[32:33], v[42:43] neg_lo:[0,1] neg_hi:[0,1]
	v_sub_f32_e32 v29, v44, v29
	v_add_f32_e32 v29, v32, v29
	v_add_f32_e32 v29, v29, v33
	;; [unrolled: 1-line block ×3, first 2 shown]
	v_cndmask_b32_e64 v29, v29, v35, s[60:61]
	v_add_f32_e32 v54, v28, v29
.LBB111_58:
	s_or_b64 exec, exec, s[2:3]
	v_max_f32_e32 v28, v54, v54
	v_max_f32_e32 v32, v24, v24
	v_min_f32_e32 v29, v28, v32
	v_cmp_u_f32_e64 s[62:63], v54, v54
	v_max_f32_e32 v28, v28, v32
	v_cmp_u_f32_e64 s[60:61], v24, v24
	v_cndmask_b32_e64 v29, v29, v54, s[62:63]
	v_cndmask_b32_e64 v28, v28, v54, s[62:63]
	;; [unrolled: 1-line block ×4, first 2 shown]
	v_cmp_neq_f32_e64 s[62:63], v29, v28
	v_cmp_class_f32_e64 s[2:3], v29, s4
	s_or_b64 s[4:5], s[62:63], s[2:3]
	s_and_saveexec_b64 s[2:3], s[4:5]
	s_cbranch_execz .LBB111_60
; %bb.59:
	v_sub_f32_e32 v29, v29, v28
	s_mov_b32 s4, 0x3fb8aa3b
	v_mul_f32_e32 v33, 0x3fb8aa3b, v29
	v_fma_f32 v35, v29, s4, -v33
	v_rndne_f32_e32 v36, v33
	v_fmamk_f32 v35, v29, 0x32a5705f, v35
	v_sub_f32_e32 v33, v33, v36
	v_add_f32_e32 v33, v33, v35
	v_exp_f32_e32 v33, v33
	v_cvt_i32_f32_e32 v35, v36
	s_mov_b32 s4, 0xc2ce8ed0
	v_cmp_ngt_f32_e64 s[62:63], s4, v29
	s_mov_b32 s4, 0x42b17218
	v_ldexp_f32 v33, v33, v35
	v_cndmask_b32_e64 v33, 0, v33, s[62:63]
	v_mov_b32_e32 v35, 0x7f800000
	v_cmp_nlt_f32_e64 s[62:63], s4, v29
	s_mov_b32 s4, 0x3f2aaaab
	s_mov_b32 s5, 0x7f800000
	v_cndmask_b32_e64 v33, v35, v33, s[62:63]
	v_add_f32_e32 v29, 1.0, v33
	v_add_f32_e32 v35, -1.0, v29
	v_sub_f32_e32 v36, v35, v29
	v_add_f32_e32 v36, 1.0, v36
	v_sub_f32_e32 v35, v33, v35
	v_add_f32_e32 v35, v35, v36
	v_frexp_mant_f32_e32 v38, v29
	v_cvt_f64_f32_e32 v[36:37], v29
	v_frexp_exp_i32_f64_e32 v36, v[36:37]
	v_cmp_gt_f32_e64 s[62:63], s4, v38
	s_mov_b32 s4, 0x3f317218
	s_nop 0
	v_subbrev_co_u32_e64 v44, s[62:63], 0, v36, s[62:63]
	v_sub_u32_e32 v36, 0, v44
	v_ldexp_f32 v29, v29, v36
	v_ldexp_f32 v35, v35, v36
	v_add_f32_e32 v36, -1.0, v29
	v_add_f32_e32 v37, 1.0, v36
	v_sub_f32_e32 v37, v29, v37
	v_add_f32_e32 v38, v35, v37
	v_add_f32_e32 v37, 1.0, v29
	v_add_f32_e32 v39, -1.0, v37
	v_sub_f32_e32 v29, v29, v39
	v_add_f32_e32 v29, v35, v29
	v_add_f32_e32 v35, v37, v29
	v_rcp_f32_e32 v45, v35
	v_sub_f32_e32 v37, v37, v35
	v_add_f32_e32 v29, v29, v37
	v_add_f32_e32 v37, v36, v38
	v_sub_f32_e32 v36, v36, v37
	v_mul_f32_e32 v47, v37, v45
	v_add_f32_e32 v46, v38, v36
	v_mul_f32_e32 v38, v35, v47
	v_fma_f32 v40, v47, v35, -v38
	v_fmac_f32_e32 v40, v47, v29
	v_add_f32_e32 v36, v38, v40
	v_sub_f32_e32 v39, v37, v36
	v_pk_add_f32 v[42:43], v[36:37], v[38:39] neg_lo:[0,1] neg_hi:[0,1]
	v_mov_b32_e32 v41, v36
	v_pk_add_f32 v[36:37], v[42:43], v[40:41] neg_lo:[0,1] neg_hi:[0,1]
	v_cmp_eq_f32_e64 s[62:63], s5, v33
	v_add_f32_e32 v37, v46, v37
	v_add_f32_e32 v36, v36, v37
	;; [unrolled: 1-line block ×3, first 2 shown]
	v_mul_f32_e32 v46, v45, v37
	v_mul_f32_e32 v38, v35, v46
	v_fma_f32 v40, v46, v35, -v38
	v_fmac_f32_e32 v40, v46, v29
	v_sub_f32_e32 v29, v39, v37
	v_add_f32_e32 v29, v36, v29
	v_add_f32_e32 v36, v38, v40
	v_sub_f32_e32 v39, v37, v36
	v_pk_add_f32 v[42:43], v[36:37], v[38:39] neg_lo:[0,1] neg_hi:[0,1]
	v_mov_b32_e32 v41, v36
	v_pk_add_f32 v[36:37], v[42:43], v[40:41] neg_lo:[0,1] neg_hi:[0,1]
	v_add_f32_e32 v35, v47, v46
	v_add_f32_e32 v29, v29, v37
	;; [unrolled: 1-line block ×4, first 2 shown]
	v_sub_f32_e32 v36, v35, v47
	v_mul_f32_e32 v29, v45, v29
	v_sub_f32_e32 v36, v46, v36
	v_add_f32_e32 v29, v36, v29
	v_add_f32_e32 v36, v35, v29
	v_cvt_f32_i32_e32 v38, v44
	v_mul_f32_e32 v39, v36, v36
	v_mov_b32_e32 v37, 0x3ecc95a3
	v_fmac_f32_e32 v37, 0x3e9b6dac, v39
	v_fmaak_f32 v37, v39, v37, 0x3f2aaada
	v_sub_f32_e32 v35, v36, v35
	v_ldexp_f32 v41, v36, 1
	v_mul_f32_e32 v39, v36, v39
	v_mov_b32_e32 v36, 0x3f317218
	v_pk_mul_f32 v[36:37], v[38:39], v[36:37]
	v_sub_f32_e32 v29, v29, v35
	v_fma_f32 v35, v38, s4, -v36
	v_fmamk_f32 v40, v38, 0xb102e308, v35
	v_pk_add_f32 v[38:39], v[36:37], v[40:41]
	v_ldexp_f32 v29, v29, 1
	v_sub_f32_e32 v35, v39, v41
	v_sub_f32_e32 v35, v37, v35
	v_add_f32_e32 v43, v29, v35
	v_mov_b32_e32 v42, v36
	v_pk_add_f32 v[36:37], v[38:39], v[36:37] neg_lo:[0,1] neg_hi:[0,1]
	v_pk_add_f32 v[44:45], v[38:39], v[42:43]
	v_mov_b32_e32 v41, v38
	v_mov_b32_e32 v37, v45
	v_pk_add_f32 v[46:47], v[40:41], v[36:37] neg_lo:[0,1] neg_hi:[0,1]
	v_pk_add_f32 v[36:37], v[40:41], v[36:37]
	v_mov_b32_e32 v42, v43
	v_mov_b32_e32 v40, v37
	v_pk_add_f32 v[48:49], v[40:41], v[38:39] neg_lo:[0,1] neg_hi:[0,1]
	v_mov_b32_e32 v36, v45
	v_mov_b32_e32 v29, v48
	v_pk_add_f32 v[54:55], v[44:45], v[28:29] neg_lo:[0,1] neg_hi:[0,1]
	v_mov_b32_e32 v44, v39
	v_mov_b32_e32 v45, v48
	;; [unrolled: 1-line block ×3, first 2 shown]
	v_pk_add_f32 v[36:37], v[36:37], v[44:45] neg_lo:[0,1] neg_hi:[0,1]
	v_mov_b32_e32 v43, v38
	v_pk_add_f32 v[36:37], v[42:43], v[36:37] neg_lo:[0,1] neg_hi:[0,1]
	v_mov_b32_e32 v54, v46
	v_pk_add_f32 v[38:39], v[54:55], v[36:37]
	s_mov_b32 s4, 0x33800000
	v_mov_b32_e32 v42, v39
	v_pk_add_f32 v[42:43], v[38:39], v[42:43]
	v_cmp_lt_f32_e64 s[4:5], |v33|, s4
	v_pk_add_f32 v[40:41], v[40:41], v[42:43]
	v_mov_b32_e32 v37, v42
	v_mov_b32_e32 v39, v40
	v_pk_add_f32 v[44:45], v[38:39], v[46:47] neg_lo:[0,1] neg_hi:[0,1]
	s_or_b64 s[62:63], s[62:63], s[4:5]
	v_sub_f32_e32 v29, v38, v44
	v_pk_add_f32 v[36:37], v[36:37], v[44:45] neg_lo:[0,1] neg_hi:[0,1]
	v_sub_f32_e32 v29, v46, v29
	v_add_f32_e32 v29, v36, v29
	v_add_f32_e32 v29, v29, v37
	;; [unrolled: 1-line block ×3, first 2 shown]
	v_cndmask_b32_e64 v29, v29, v33, s[62:63]
	v_add_f32_e32 v54, v28, v29
.LBB111_60:
	s_or_b64 exec, exec, s[2:3]
	v_max_f32_e32 v28, v54, v54
	v_max_f32_e32 v33, v25, v25
	v_min_f32_e32 v29, v28, v33
	v_cmp_u_f32_e64 s[64:65], v54, v54
	v_max_f32_e32 v28, v28, v33
	v_cmp_u_f32_e64 s[62:63], v25, v25
	v_cndmask_b32_e64 v29, v29, v54, s[64:65]
	v_cndmask_b32_e64 v28, v28, v54, s[64:65]
	;; [unrolled: 1-line block ×4, first 2 shown]
	s_movk_i32 s4, 0x1f8
	v_cmp_neq_f32_e64 s[64:65], v29, v28
	v_cmp_class_f32_e64 s[2:3], v29, s4
	s_or_b64 s[48:49], s[64:65], s[2:3]
	s_and_saveexec_b64 s[2:3], s[48:49]
	s_cbranch_execz .LBB111_62
; %bb.61:
	v_sub_f32_e32 v29, v29, v28
	s_mov_b32 s5, 0x3fb8aa3b
	v_mul_f32_e32 v35, 0x3fb8aa3b, v29
	v_fma_f32 v36, v29, s5, -v35
	v_rndne_f32_e32 v37, v35
	v_fmamk_f32 v36, v29, 0x32a5705f, v36
	v_sub_f32_e32 v35, v35, v37
	v_add_f32_e32 v35, v35, v36
	v_exp_f32_e32 v35, v35
	v_cvt_i32_f32_e32 v36, v37
	s_mov_b32 s5, 0xc2ce8ed0
	v_cmp_ngt_f32_e64 s[64:65], s5, v29
	s_mov_b32 s5, 0x42b17218
	v_ldexp_f32 v35, v35, v36
	v_cndmask_b32_e64 v35, 0, v35, s[64:65]
	v_mov_b32_e32 v36, 0x7f800000
	v_cmp_nlt_f32_e64 s[64:65], s5, v29
	s_mov_b32 s5, 0x3f2aaaab
	s_mov_b32 s6, 0x7f800000
	v_cndmask_b32_e64 v35, v36, v35, s[64:65]
	v_add_f32_e32 v29, 1.0, v35
	v_add_f32_e32 v36, -1.0, v29
	v_sub_f32_e32 v37, v36, v29
	v_add_f32_e32 v37, 1.0, v37
	v_sub_f32_e32 v36, v35, v36
	v_add_f32_e32 v38, v36, v37
	v_frexp_mant_f32_e32 v39, v29
	v_cvt_f64_f32_e32 v[36:37], v29
	v_frexp_exp_i32_f64_e32 v36, v[36:37]
	v_cmp_gt_f32_e64 s[64:65], s5, v39
	s_mov_b32 s5, 0x3f317218
	s_nop 0
	v_subbrev_co_u32_e64 v44, s[64:65], 0, v36, s[64:65]
	v_sub_u32_e32 v36, 0, v44
	v_ldexp_f32 v29, v29, v36
	v_ldexp_f32 v36, v38, v36
	v_add_f32_e32 v38, -1.0, v29
	v_add_f32_e32 v37, 1.0, v38
	v_sub_f32_e32 v37, v29, v37
	v_add_f32_e32 v39, v36, v37
	v_add_f32_e32 v37, 1.0, v29
	v_add_f32_e32 v40, -1.0, v37
	v_sub_f32_e32 v29, v29, v40
	v_add_f32_e32 v29, v36, v29
	v_add_f32_e32 v45, v37, v29
	v_rcp_f32_e32 v46, v45
	v_sub_f32_e32 v36, v37, v45
	v_add_f32_e32 v37, v38, v39
	v_add_f32_e32 v29, v29, v36
	v_mul_f32_e32 v48, v37, v46
	v_sub_f32_e32 v36, v38, v37
	v_mul_f32_e32 v38, v45, v48
	v_fma_f32 v40, v48, v45, -v38
	v_fmac_f32_e32 v40, v48, v29
	v_add_f32_e32 v47, v39, v36
	v_add_f32_e32 v36, v38, v40
	v_sub_f32_e32 v39, v37, v36
	v_pk_add_f32 v[42:43], v[36:37], v[38:39] neg_lo:[0,1] neg_hi:[0,1]
	v_mov_b32_e32 v41, v36
	v_pk_add_f32 v[36:37], v[42:43], v[40:41] neg_lo:[0,1] neg_hi:[0,1]
	v_cmp_eq_f32_e64 s[64:65], s6, v35
	v_add_f32_e32 v37, v47, v37
	v_add_f32_e32 v36, v36, v37
	;; [unrolled: 1-line block ×3, first 2 shown]
	v_mul_f32_e32 v47, v46, v37
	v_mul_f32_e32 v38, v45, v47
	v_fma_f32 v40, v47, v45, -v38
	v_fmac_f32_e32 v40, v47, v29
	v_sub_f32_e32 v29, v39, v37
	v_add_f32_e32 v29, v36, v29
	v_add_f32_e32 v36, v38, v40
	v_sub_f32_e32 v39, v37, v36
	v_pk_add_f32 v[42:43], v[36:37], v[38:39] neg_lo:[0,1] neg_hi:[0,1]
	v_mov_b32_e32 v41, v36
	v_pk_add_f32 v[36:37], v[42:43], v[40:41] neg_lo:[0,1] neg_hi:[0,1]
	v_cvt_f32_i32_e32 v38, v44
	v_add_f32_e32 v29, v29, v37
	v_add_f32_e32 v29, v36, v29
	v_add_f32_e32 v36, v48, v47
	v_add_f32_e32 v29, v39, v29
	v_sub_f32_e32 v37, v36, v48
	v_mul_f32_e32 v29, v46, v29
	v_sub_f32_e32 v37, v47, v37
	v_add_f32_e32 v29, v37, v29
	v_add_f32_e32 v39, v36, v29
	v_mul_f32_e32 v40, v39, v39
	v_mov_b32_e32 v37, 0x3ecc95a3
	v_fmac_f32_e32 v37, 0x3e9b6dac, v40
	v_sub_f32_e32 v36, v39, v36
	v_fmaak_f32 v37, v40, v37, 0x3f2aaada
	v_sub_f32_e32 v29, v29, v36
	v_ldexp_f32 v41, v39, 1
	v_mul_f32_e32 v39, v39, v40
	v_mov_b32_e32 v36, 0x3f317218
	v_pk_mul_f32 v[36:37], v[38:39], v[36:37]
	v_ldexp_f32 v29, v29, 1
	v_fma_f32 v39, v38, s5, -v36
	v_fmamk_f32 v40, v38, 0xb102e308, v39
	v_pk_add_f32 v[38:39], v[36:37], v[40:41]
	v_mov_b32_e32 v42, v36
	v_sub_f32_e32 v41, v39, v41
	v_sub_f32_e32 v41, v37, v41
	v_add_f32_e32 v43, v29, v41
	v_pk_add_f32 v[36:37], v[38:39], v[36:37] neg_lo:[0,1] neg_hi:[0,1]
	v_pk_add_f32 v[44:45], v[38:39], v[42:43]
	v_mov_b32_e32 v41, v38
	v_mov_b32_e32 v37, v45
	v_pk_add_f32 v[46:47], v[40:41], v[36:37] neg_lo:[0,1] neg_hi:[0,1]
	v_pk_add_f32 v[36:37], v[40:41], v[36:37]
	v_mov_b32_e32 v42, v43
	v_mov_b32_e32 v40, v37
	v_pk_add_f32 v[48:49], v[40:41], v[38:39] neg_lo:[0,1] neg_hi:[0,1]
	v_mov_b32_e32 v36, v45
	v_mov_b32_e32 v29, v48
	v_pk_add_f32 v[54:55], v[44:45], v[28:29] neg_lo:[0,1] neg_hi:[0,1]
	v_mov_b32_e32 v44, v39
	v_mov_b32_e32 v45, v48
	;; [unrolled: 1-line block ×3, first 2 shown]
	v_pk_add_f32 v[36:37], v[36:37], v[44:45] neg_lo:[0,1] neg_hi:[0,1]
	v_mov_b32_e32 v43, v38
	v_pk_add_f32 v[36:37], v[42:43], v[36:37] neg_lo:[0,1] neg_hi:[0,1]
	v_mov_b32_e32 v54, v46
	v_pk_add_f32 v[38:39], v[54:55], v[36:37]
	s_mov_b32 s5, 0x33800000
	v_mov_b32_e32 v42, v39
	v_pk_add_f32 v[42:43], v[38:39], v[42:43]
	v_cmp_lt_f32_e64 s[48:49], |v35|, s5
	v_pk_add_f32 v[40:41], v[40:41], v[42:43]
	v_mov_b32_e32 v37, v42
	v_mov_b32_e32 v39, v40
	v_pk_add_f32 v[44:45], v[38:39], v[46:47] neg_lo:[0,1] neg_hi:[0,1]
	s_or_b64 s[64:65], s[64:65], s[48:49]
	v_sub_f32_e32 v29, v38, v44
	v_pk_add_f32 v[36:37], v[36:37], v[44:45] neg_lo:[0,1] neg_hi:[0,1]
	v_sub_f32_e32 v29, v46, v29
	v_add_f32_e32 v29, v36, v29
	v_add_f32_e32 v29, v29, v37
	;; [unrolled: 1-line block ×3, first 2 shown]
	v_cndmask_b32_e64 v29, v29, v35, s[64:65]
	v_add_f32_e32 v54, v28, v29
.LBB111_62:
	s_or_b64 exec, exec, s[2:3]
	v_max_f32_e32 v28, v54, v54
	v_max_f32_e32 v35, v18, v18
	v_min_f32_e32 v29, v28, v35
	v_cmp_u_f32_e64 s[66:67], v54, v54
	v_max_f32_e32 v28, v28, v35
	v_cmp_u_f32_e64 s[64:65], v18, v18
	v_cndmask_b32_e64 v29, v29, v54, s[66:67]
	v_cndmask_b32_e64 v28, v28, v54, s[66:67]
	;; [unrolled: 1-line block ×4, first 2 shown]
	v_cmp_neq_f32_e64 s[66:67], v29, v28
	v_cmp_class_f32_e64 s[2:3], v29, s4
	s_or_b64 s[4:5], s[66:67], s[2:3]
	s_and_saveexec_b64 s[2:3], s[4:5]
	s_cbranch_execz .LBB111_64
; %bb.63:
	v_sub_f32_e32 v29, v29, v28
	s_mov_b32 s4, 0x3fb8aa3b
	v_mul_f32_e32 v36, 0x3fb8aa3b, v29
	v_fma_f32 v37, v29, s4, -v36
	v_rndne_f32_e32 v38, v36
	v_fmamk_f32 v37, v29, 0x32a5705f, v37
	v_sub_f32_e32 v36, v36, v38
	v_add_f32_e32 v36, v36, v37
	v_exp_f32_e32 v36, v36
	v_cvt_i32_f32_e32 v37, v38
	s_mov_b32 s4, 0xc2ce8ed0
	v_cmp_ngt_f32_e64 s[66:67], s4, v29
	s_mov_b32 s4, 0x42b17218
	v_ldexp_f32 v36, v36, v37
	v_cndmask_b32_e64 v36, 0, v36, s[66:67]
	v_mov_b32_e32 v37, 0x7f800000
	v_cmp_nlt_f32_e64 s[66:67], s4, v29
	s_mov_b32 s4, 0x3f2aaaab
	s_mov_b32 s5, 0x7f800000
	v_cndmask_b32_e64 v50, v37, v36, s[66:67]
	v_add_f32_e32 v29, 1.0, v50
	v_add_f32_e32 v36, -1.0, v29
	v_sub_f32_e32 v37, v36, v29
	v_add_f32_e32 v37, 1.0, v37
	v_sub_f32_e32 v36, v50, v36
	v_add_f32_e32 v38, v36, v37
	v_frexp_mant_f32_e32 v39, v29
	v_cvt_f64_f32_e32 v[36:37], v29
	v_frexp_exp_i32_f64_e32 v36, v[36:37]
	v_cmp_gt_f32_e64 s[66:67], s4, v39
	s_mov_b32 s4, 0x3f317218
	s_nop 0
	v_subbrev_co_u32_e64 v44, s[66:67], 0, v36, s[66:67]
	v_sub_u32_e32 v36, 0, v44
	v_ldexp_f32 v29, v29, v36
	v_ldexp_f32 v36, v38, v36
	v_add_f32_e32 v38, -1.0, v29
	v_add_f32_e32 v37, 1.0, v38
	v_sub_f32_e32 v37, v29, v37
	v_add_f32_e32 v39, v36, v37
	v_add_f32_e32 v37, 1.0, v29
	v_add_f32_e32 v40, -1.0, v37
	v_sub_f32_e32 v29, v29, v40
	v_add_f32_e32 v29, v36, v29
	v_add_f32_e32 v45, v37, v29
	v_rcp_f32_e32 v46, v45
	v_sub_f32_e32 v36, v37, v45
	v_add_f32_e32 v37, v38, v39
	v_add_f32_e32 v29, v29, v36
	v_mul_f32_e32 v48, v37, v46
	v_sub_f32_e32 v36, v38, v37
	v_mul_f32_e32 v38, v45, v48
	v_fma_f32 v40, v48, v45, -v38
	v_fmac_f32_e32 v40, v48, v29
	v_add_f32_e32 v47, v39, v36
	v_add_f32_e32 v36, v38, v40
	v_sub_f32_e32 v39, v37, v36
	v_pk_add_f32 v[42:43], v[36:37], v[38:39] neg_lo:[0,1] neg_hi:[0,1]
	v_mov_b32_e32 v41, v36
	v_pk_add_f32 v[36:37], v[42:43], v[40:41] neg_lo:[0,1] neg_hi:[0,1]
	v_cmp_eq_f32_e64 s[66:67], s5, v50
	v_add_f32_e32 v37, v47, v37
	v_add_f32_e32 v36, v36, v37
	;; [unrolled: 1-line block ×3, first 2 shown]
	v_mul_f32_e32 v47, v46, v37
	v_mul_f32_e32 v38, v45, v47
	v_fma_f32 v40, v47, v45, -v38
	v_fmac_f32_e32 v40, v47, v29
	v_sub_f32_e32 v29, v39, v37
	v_add_f32_e32 v29, v36, v29
	v_add_f32_e32 v36, v38, v40
	v_sub_f32_e32 v39, v37, v36
	v_pk_add_f32 v[42:43], v[36:37], v[38:39] neg_lo:[0,1] neg_hi:[0,1]
	v_mov_b32_e32 v41, v36
	v_pk_add_f32 v[36:37], v[42:43], v[40:41] neg_lo:[0,1] neg_hi:[0,1]
	v_cvt_f32_i32_e32 v38, v44
	v_add_f32_e32 v29, v29, v37
	v_add_f32_e32 v29, v36, v29
	;; [unrolled: 1-line block ×4, first 2 shown]
	v_sub_f32_e32 v37, v36, v48
	v_mul_f32_e32 v29, v46, v29
	v_sub_f32_e32 v37, v47, v37
	v_add_f32_e32 v29, v37, v29
	v_add_f32_e32 v39, v36, v29
	v_mul_f32_e32 v40, v39, v39
	v_mov_b32_e32 v37, 0x3ecc95a3
	v_fmac_f32_e32 v37, 0x3e9b6dac, v40
	v_sub_f32_e32 v36, v39, v36
	v_fmaak_f32 v37, v40, v37, 0x3f2aaada
	v_sub_f32_e32 v29, v29, v36
	v_ldexp_f32 v41, v39, 1
	v_mul_f32_e32 v39, v39, v40
	v_mov_b32_e32 v36, 0x3f317218
	v_pk_mul_f32 v[36:37], v[38:39], v[36:37]
	v_ldexp_f32 v29, v29, 1
	v_fma_f32 v39, v38, s4, -v36
	v_fmamk_f32 v40, v38, 0xb102e308, v39
	v_pk_add_f32 v[38:39], v[36:37], v[40:41]
	v_mov_b32_e32 v42, v36
	v_sub_f32_e32 v41, v39, v41
	v_sub_f32_e32 v41, v37, v41
	v_add_f32_e32 v43, v29, v41
	v_pk_add_f32 v[36:37], v[38:39], v[36:37] neg_lo:[0,1] neg_hi:[0,1]
	v_pk_add_f32 v[44:45], v[38:39], v[42:43]
	v_mov_b32_e32 v41, v38
	v_mov_b32_e32 v37, v45
	v_pk_add_f32 v[46:47], v[40:41], v[36:37] neg_lo:[0,1] neg_hi:[0,1]
	v_pk_add_f32 v[36:37], v[40:41], v[36:37]
	v_mov_b32_e32 v42, v43
	v_mov_b32_e32 v40, v37
	v_pk_add_f32 v[48:49], v[40:41], v[38:39] neg_lo:[0,1] neg_hi:[0,1]
	v_mov_b32_e32 v36, v45
	v_mov_b32_e32 v29, v48
	v_pk_add_f32 v[54:55], v[44:45], v[28:29] neg_lo:[0,1] neg_hi:[0,1]
	v_mov_b32_e32 v44, v39
	v_mov_b32_e32 v45, v48
	v_mov_b32_e32 v47, v37
	v_pk_add_f32 v[36:37], v[36:37], v[44:45] neg_lo:[0,1] neg_hi:[0,1]
	v_mov_b32_e32 v43, v38
	v_pk_add_f32 v[36:37], v[42:43], v[36:37] neg_lo:[0,1] neg_hi:[0,1]
	v_mov_b32_e32 v54, v46
	v_pk_add_f32 v[38:39], v[54:55], v[36:37]
	s_mov_b32 s4, 0x33800000
	v_mov_b32_e32 v42, v39
	v_pk_add_f32 v[42:43], v[38:39], v[42:43]
	v_cmp_lt_f32_e64 s[4:5], |v50|, s4
	v_pk_add_f32 v[40:41], v[40:41], v[42:43]
	v_mov_b32_e32 v37, v42
	v_mov_b32_e32 v39, v40
	v_pk_add_f32 v[44:45], v[38:39], v[46:47] neg_lo:[0,1] neg_hi:[0,1]
	s_or_b64 s[66:67], s[66:67], s[4:5]
	v_sub_f32_e32 v29, v38, v44
	v_pk_add_f32 v[36:37], v[36:37], v[44:45] neg_lo:[0,1] neg_hi:[0,1]
	v_sub_f32_e32 v29, v46, v29
	v_add_f32_e32 v29, v36, v29
	v_add_f32_e32 v29, v29, v37
	;; [unrolled: 1-line block ×3, first 2 shown]
	v_cndmask_b32_e64 v29, v29, v50, s[66:67]
	v_add_f32_e32 v54, v28, v29
.LBB111_64:
	s_or_b64 exec, exec, s[2:3]
	v_max_f32_e32 v28, v54, v54
	v_max_f32_e32 v36, v19, v19
	v_min_f32_e32 v29, v28, v36
	v_cmp_u_f32_e64 s[68:69], v54, v54
	v_max_f32_e32 v28, v28, v36
	v_cmp_u_f32_e64 s[66:67], v19, v19
	v_cndmask_b32_e64 v29, v29, v54, s[68:69]
	v_cndmask_b32_e64 v28, v28, v54, s[68:69]
	;; [unrolled: 1-line block ×4, first 2 shown]
	s_movk_i32 s4, 0x1f8
	v_cmp_neq_f32_e64 s[68:69], v29, v28
	v_cmp_class_f32_e64 s[2:3], v29, s4
	s_or_b64 s[48:49], s[68:69], s[2:3]
	s_and_saveexec_b64 s[2:3], s[48:49]
	s_cbranch_execz .LBB111_66
; %bb.65:
	v_sub_f32_e32 v29, v29, v28
	s_mov_b32 s5, 0x3fb8aa3b
	v_mul_f32_e32 v37, 0x3fb8aa3b, v29
	v_fma_f32 v38, v29, s5, -v37
	v_rndne_f32_e32 v39, v37
	v_fmamk_f32 v38, v29, 0x32a5705f, v38
	v_sub_f32_e32 v37, v37, v39
	v_add_f32_e32 v37, v37, v38
	v_exp_f32_e32 v37, v37
	v_cvt_i32_f32_e32 v38, v39
	s_mov_b32 s5, 0xc2ce8ed0
	v_cmp_ngt_f32_e64 s[68:69], s5, v29
	s_mov_b32 s5, 0x42b17218
	v_ldexp_f32 v37, v37, v38
	v_cndmask_b32_e64 v37, 0, v37, s[68:69]
	v_mov_b32_e32 v38, 0x7f800000
	v_cmp_nlt_f32_e64 s[68:69], s5, v29
	s_mov_b32 s5, 0x3f2aaaab
	s_mov_b32 s6, 0x7f800000
	v_cndmask_b32_e64 v37, v38, v37, s[68:69]
	v_add_f32_e32 v29, 1.0, v37
	v_add_f32_e32 v38, -1.0, v29
	v_sub_f32_e32 v39, v38, v29
	v_add_f32_e32 v39, 1.0, v39
	v_sub_f32_e32 v38, v37, v38
	v_add_f32_e32 v40, v38, v39
	v_frexp_mant_f32_e32 v41, v29
	v_cvt_f64_f32_e32 v[38:39], v29
	v_frexp_exp_i32_f64_e32 v38, v[38:39]
	v_cmp_gt_f32_e64 s[68:69], s5, v41
	s_mov_b32 s5, 0x3f317218
	s_nop 0
	v_subbrev_co_u32_e64 v46, s[68:69], 0, v38, s[68:69]
	v_sub_u32_e32 v38, 0, v46
	v_ldexp_f32 v29, v29, v38
	v_ldexp_f32 v38, v40, v38
	v_add_f32_e32 v40, -1.0, v29
	v_add_f32_e32 v39, 1.0, v40
	v_sub_f32_e32 v39, v29, v39
	v_add_f32_e32 v41, v38, v39
	v_add_f32_e32 v39, 1.0, v29
	v_add_f32_e32 v42, -1.0, v39
	v_sub_f32_e32 v29, v29, v42
	v_add_f32_e32 v29, v38, v29
	v_add_f32_e32 v47, v39, v29
	v_rcp_f32_e32 v48, v47
	v_sub_f32_e32 v38, v39, v47
	v_add_f32_e32 v39, v40, v41
	v_add_f32_e32 v29, v29, v38
	v_mul_f32_e32 v50, v39, v48
	v_sub_f32_e32 v38, v40, v39
	v_mul_f32_e32 v40, v47, v50
	v_fma_f32 v42, v50, v47, -v40
	v_fmac_f32_e32 v42, v50, v29
	v_add_f32_e32 v49, v41, v38
	v_add_f32_e32 v38, v40, v42
	v_sub_f32_e32 v41, v39, v38
	v_pk_add_f32 v[44:45], v[38:39], v[40:41] neg_lo:[0,1] neg_hi:[0,1]
	v_mov_b32_e32 v43, v38
	v_pk_add_f32 v[38:39], v[44:45], v[42:43] neg_lo:[0,1] neg_hi:[0,1]
	v_cmp_eq_f32_e64 s[68:69], s6, v37
	v_add_f32_e32 v39, v49, v39
	v_add_f32_e32 v38, v38, v39
	;; [unrolled: 1-line block ×3, first 2 shown]
	v_mul_f32_e32 v49, v48, v39
	v_mul_f32_e32 v40, v47, v49
	v_fma_f32 v42, v49, v47, -v40
	v_fmac_f32_e32 v42, v49, v29
	v_sub_f32_e32 v29, v41, v39
	v_add_f32_e32 v29, v38, v29
	v_add_f32_e32 v38, v40, v42
	v_sub_f32_e32 v41, v39, v38
	v_pk_add_f32 v[44:45], v[38:39], v[40:41] neg_lo:[0,1] neg_hi:[0,1]
	v_mov_b32_e32 v43, v38
	v_pk_add_f32 v[38:39], v[44:45], v[42:43] neg_lo:[0,1] neg_hi:[0,1]
	v_cvt_f32_i32_e32 v40, v46
	v_add_f32_e32 v29, v29, v39
	v_add_f32_e32 v29, v38, v29
	;; [unrolled: 1-line block ×4, first 2 shown]
	v_sub_f32_e32 v39, v38, v50
	v_mul_f32_e32 v29, v48, v29
	v_sub_f32_e32 v39, v49, v39
	v_add_f32_e32 v29, v39, v29
	v_add_f32_e32 v41, v38, v29
	v_mul_f32_e32 v42, v41, v41
	v_mov_b32_e32 v39, 0x3ecc95a3
	v_fmac_f32_e32 v39, 0x3e9b6dac, v42
	v_sub_f32_e32 v38, v41, v38
	v_fmaak_f32 v39, v42, v39, 0x3f2aaada
	v_sub_f32_e32 v29, v29, v38
	v_ldexp_f32 v43, v41, 1
	v_mul_f32_e32 v41, v41, v42
	v_mov_b32_e32 v38, 0x3f317218
	v_pk_mul_f32 v[38:39], v[40:41], v[38:39]
	v_ldexp_f32 v29, v29, 1
	v_fma_f32 v41, v40, s5, -v38
	v_fmamk_f32 v42, v40, 0xb102e308, v41
	v_pk_add_f32 v[40:41], v[38:39], v[42:43]
	v_mov_b32_e32 v44, v38
	v_sub_f32_e32 v43, v41, v43
	v_sub_f32_e32 v43, v39, v43
	v_add_f32_e32 v45, v29, v43
	v_pk_add_f32 v[38:39], v[40:41], v[38:39] neg_lo:[0,1] neg_hi:[0,1]
	v_pk_add_f32 v[46:47], v[40:41], v[44:45]
	v_mov_b32_e32 v43, v40
	v_mov_b32_e32 v39, v47
	v_pk_add_f32 v[48:49], v[42:43], v[38:39] neg_lo:[0,1] neg_hi:[0,1]
	v_pk_add_f32 v[38:39], v[42:43], v[38:39]
	v_mov_b32_e32 v44, v45
	v_mov_b32_e32 v42, v39
	v_pk_add_f32 v[54:55], v[42:43], v[40:41] neg_lo:[0,1] neg_hi:[0,1]
	v_mov_b32_e32 v38, v47
	v_mov_b32_e32 v29, v54
	v_pk_add_f32 v[56:57], v[46:47], v[28:29] neg_lo:[0,1] neg_hi:[0,1]
	v_mov_b32_e32 v46, v41
	v_mov_b32_e32 v47, v54
	;; [unrolled: 1-line block ×3, first 2 shown]
	v_pk_add_f32 v[38:39], v[38:39], v[46:47] neg_lo:[0,1] neg_hi:[0,1]
	v_mov_b32_e32 v45, v40
	v_pk_add_f32 v[38:39], v[44:45], v[38:39] neg_lo:[0,1] neg_hi:[0,1]
	v_mov_b32_e32 v56, v48
	v_pk_add_f32 v[40:41], v[56:57], v[38:39]
	s_mov_b32 s5, 0x33800000
	v_mov_b32_e32 v44, v41
	v_pk_add_f32 v[44:45], v[40:41], v[44:45]
	v_cmp_lt_f32_e64 s[48:49], |v37|, s5
	v_pk_add_f32 v[42:43], v[42:43], v[44:45]
	v_mov_b32_e32 v39, v44
	v_mov_b32_e32 v41, v42
	v_pk_add_f32 v[46:47], v[40:41], v[48:49] neg_lo:[0,1] neg_hi:[0,1]
	s_or_b64 s[68:69], s[68:69], s[48:49]
	v_sub_f32_e32 v29, v40, v46
	v_pk_add_f32 v[38:39], v[38:39], v[46:47] neg_lo:[0,1] neg_hi:[0,1]
	v_sub_f32_e32 v29, v48, v29
	v_add_f32_e32 v29, v38, v29
	v_add_f32_e32 v29, v29, v39
	;; [unrolled: 1-line block ×3, first 2 shown]
	v_cndmask_b32_e64 v29, v29, v37, s[68:69]
	v_add_f32_e32 v54, v28, v29
.LBB111_66:
	s_or_b64 exec, exec, s[2:3]
	v_max_f32_e32 v28, v54, v54
	v_max_f32_e32 v37, v20, v20
	v_min_f32_e32 v29, v28, v37
	v_cmp_u_f32_e64 s[70:71], v54, v54
	v_max_f32_e32 v28, v28, v37
	v_cmp_u_f32_e64 s[68:69], v20, v20
	v_cndmask_b32_e64 v29, v29, v54, s[70:71]
	v_cndmask_b32_e64 v28, v28, v54, s[70:71]
	;; [unrolled: 1-line block ×4, first 2 shown]
	v_cmp_neq_f32_e64 s[70:71], v29, v28
	v_cmp_class_f32_e64 s[2:3], v29, s4
	s_or_b64 s[4:5], s[70:71], s[2:3]
	s_and_saveexec_b64 s[2:3], s[4:5]
	s_cbranch_execz .LBB111_68
; %bb.67:
	v_sub_f32_e32 v29, v29, v28
	s_mov_b32 s4, 0x3fb8aa3b
	v_mul_f32_e32 v38, 0x3fb8aa3b, v29
	v_fma_f32 v39, v29, s4, -v38
	v_rndne_f32_e32 v40, v38
	v_fmamk_f32 v39, v29, 0x32a5705f, v39
	v_sub_f32_e32 v38, v38, v40
	v_add_f32_e32 v38, v38, v39
	v_exp_f32_e32 v38, v38
	v_cvt_i32_f32_e32 v39, v40
	s_mov_b32 s4, 0xc2ce8ed0
	v_cmp_ngt_f32_e64 s[70:71], s4, v29
	s_mov_b32 s4, 0x42b17218
	v_ldexp_f32 v38, v38, v39
	v_cndmask_b32_e64 v38, 0, v38, s[70:71]
	v_mov_b32_e32 v39, 0x7f800000
	v_cmp_nlt_f32_e64 s[70:71], s4, v29
	s_mov_b32 s4, 0x3f2aaaab
	s_mov_b32 s5, 0x7f800000
	v_cndmask_b32_e64 v50, v39, v38, s[70:71]
	v_add_f32_e32 v29, 1.0, v50
	v_add_f32_e32 v38, -1.0, v29
	v_sub_f32_e32 v39, v38, v29
	v_add_f32_e32 v39, 1.0, v39
	v_sub_f32_e32 v38, v50, v38
	v_add_f32_e32 v40, v38, v39
	v_frexp_mant_f32_e32 v41, v29
	v_cvt_f64_f32_e32 v[38:39], v29
	v_frexp_exp_i32_f64_e32 v38, v[38:39]
	v_cmp_gt_f32_e64 s[70:71], s4, v41
	s_mov_b32 s4, 0x3f317218
	s_nop 0
	v_subbrev_co_u32_e64 v46, s[70:71], 0, v38, s[70:71]
	v_sub_u32_e32 v38, 0, v46
	v_ldexp_f32 v29, v29, v38
	v_ldexp_f32 v38, v40, v38
	v_add_f32_e32 v40, -1.0, v29
	v_add_f32_e32 v39, 1.0, v40
	v_sub_f32_e32 v39, v29, v39
	v_add_f32_e32 v41, v38, v39
	v_add_f32_e32 v39, 1.0, v29
	v_add_f32_e32 v42, -1.0, v39
	v_sub_f32_e32 v29, v29, v42
	v_add_f32_e32 v29, v38, v29
	v_add_f32_e32 v47, v39, v29
	v_rcp_f32_e32 v48, v47
	v_sub_f32_e32 v38, v39, v47
	v_add_f32_e32 v39, v40, v41
	v_add_f32_e32 v29, v29, v38
	v_mul_f32_e32 v54, v39, v48
	v_sub_f32_e32 v38, v40, v39
	v_mul_f32_e32 v40, v47, v54
	v_fma_f32 v42, v54, v47, -v40
	v_fmac_f32_e32 v42, v54, v29
	v_add_f32_e32 v49, v41, v38
	v_add_f32_e32 v38, v40, v42
	v_sub_f32_e32 v41, v39, v38
	v_pk_add_f32 v[44:45], v[38:39], v[40:41] neg_lo:[0,1] neg_hi:[0,1]
	v_mov_b32_e32 v43, v38
	v_pk_add_f32 v[38:39], v[44:45], v[42:43] neg_lo:[0,1] neg_hi:[0,1]
	v_cmp_eq_f32_e64 s[70:71], s5, v50
	v_add_f32_e32 v39, v49, v39
	v_add_f32_e32 v38, v38, v39
	;; [unrolled: 1-line block ×3, first 2 shown]
	v_mul_f32_e32 v49, v48, v39
	v_mul_f32_e32 v40, v47, v49
	v_fma_f32 v42, v49, v47, -v40
	v_fmac_f32_e32 v42, v49, v29
	v_sub_f32_e32 v29, v41, v39
	v_add_f32_e32 v29, v38, v29
	v_add_f32_e32 v38, v40, v42
	v_sub_f32_e32 v41, v39, v38
	v_pk_add_f32 v[44:45], v[38:39], v[40:41] neg_lo:[0,1] neg_hi:[0,1]
	v_mov_b32_e32 v43, v38
	v_pk_add_f32 v[38:39], v[44:45], v[42:43] neg_lo:[0,1] neg_hi:[0,1]
	v_cvt_f32_i32_e32 v40, v46
	v_add_f32_e32 v29, v29, v39
	v_add_f32_e32 v29, v38, v29
	;; [unrolled: 1-line block ×4, first 2 shown]
	v_sub_f32_e32 v39, v38, v54
	v_mul_f32_e32 v29, v48, v29
	v_sub_f32_e32 v39, v49, v39
	v_add_f32_e32 v29, v39, v29
	v_add_f32_e32 v41, v38, v29
	v_mul_f32_e32 v42, v41, v41
	v_mov_b32_e32 v39, 0x3ecc95a3
	v_fmac_f32_e32 v39, 0x3e9b6dac, v42
	v_sub_f32_e32 v38, v41, v38
	v_fmaak_f32 v39, v42, v39, 0x3f2aaada
	v_sub_f32_e32 v29, v29, v38
	v_ldexp_f32 v43, v41, 1
	v_mul_f32_e32 v41, v41, v42
	v_mov_b32_e32 v38, 0x3f317218
	v_pk_mul_f32 v[38:39], v[40:41], v[38:39]
	v_ldexp_f32 v29, v29, 1
	v_fma_f32 v41, v40, s4, -v38
	v_fmamk_f32 v42, v40, 0xb102e308, v41
	v_pk_add_f32 v[40:41], v[38:39], v[42:43]
	v_mov_b32_e32 v44, v38
	v_sub_f32_e32 v43, v41, v43
	v_sub_f32_e32 v43, v39, v43
	v_add_f32_e32 v45, v29, v43
	v_pk_add_f32 v[38:39], v[40:41], v[38:39] neg_lo:[0,1] neg_hi:[0,1]
	v_pk_add_f32 v[46:47], v[40:41], v[44:45]
	v_mov_b32_e32 v43, v40
	v_mov_b32_e32 v39, v47
	v_pk_add_f32 v[48:49], v[42:43], v[38:39] neg_lo:[0,1] neg_hi:[0,1]
	v_pk_add_f32 v[38:39], v[42:43], v[38:39]
	v_mov_b32_e32 v44, v45
	v_mov_b32_e32 v42, v39
	v_pk_add_f32 v[54:55], v[42:43], v[40:41] neg_lo:[0,1] neg_hi:[0,1]
	v_mov_b32_e32 v38, v47
	v_mov_b32_e32 v29, v54
	v_pk_add_f32 v[56:57], v[46:47], v[28:29] neg_lo:[0,1] neg_hi:[0,1]
	v_mov_b32_e32 v46, v41
	v_mov_b32_e32 v47, v54
	;; [unrolled: 1-line block ×3, first 2 shown]
	v_pk_add_f32 v[38:39], v[38:39], v[46:47] neg_lo:[0,1] neg_hi:[0,1]
	v_mov_b32_e32 v45, v40
	v_pk_add_f32 v[38:39], v[44:45], v[38:39] neg_lo:[0,1] neg_hi:[0,1]
	v_mov_b32_e32 v56, v48
	v_pk_add_f32 v[40:41], v[56:57], v[38:39]
	s_mov_b32 s4, 0x33800000
	v_mov_b32_e32 v44, v41
	v_pk_add_f32 v[44:45], v[40:41], v[44:45]
	v_cmp_lt_f32_e64 s[4:5], |v50|, s4
	v_pk_add_f32 v[42:43], v[42:43], v[44:45]
	v_mov_b32_e32 v39, v44
	v_mov_b32_e32 v41, v42
	v_pk_add_f32 v[46:47], v[40:41], v[48:49] neg_lo:[0,1] neg_hi:[0,1]
	s_or_b64 s[70:71], s[70:71], s[4:5]
	v_sub_f32_e32 v29, v40, v46
	v_pk_add_f32 v[38:39], v[38:39], v[46:47] neg_lo:[0,1] neg_hi:[0,1]
	v_sub_f32_e32 v29, v48, v29
	v_add_f32_e32 v29, v38, v29
	v_add_f32_e32 v29, v29, v39
	;; [unrolled: 1-line block ×3, first 2 shown]
	v_cndmask_b32_e64 v29, v29, v50, s[70:71]
	v_add_f32_e32 v54, v28, v29
.LBB111_68:
	s_or_b64 exec, exec, s[2:3]
	v_max_f32_e32 v28, v54, v54
	v_max_f32_e32 v38, v21, v21
	v_min_f32_e32 v29, v28, v38
	v_cmp_u_f32_e64 s[72:73], v54, v54
	v_max_f32_e32 v28, v28, v38
	v_cmp_u_f32_e64 s[70:71], v21, v21
	v_cndmask_b32_e64 v29, v29, v54, s[72:73]
	v_cndmask_b32_e64 v28, v28, v54, s[72:73]
	;; [unrolled: 1-line block ×4, first 2 shown]
	s_movk_i32 s4, 0x1f8
	v_cmp_neq_f32_e64 s[72:73], v29, v28
	v_cmp_class_f32_e64 s[2:3], v29, s4
	s_or_b64 s[48:49], s[72:73], s[2:3]
	s_and_saveexec_b64 s[2:3], s[48:49]
	s_cbranch_execz .LBB111_70
; %bb.69:
	v_sub_f32_e32 v29, v29, v28
	s_mov_b32 s5, 0x3fb8aa3b
	v_mul_f32_e32 v39, 0x3fb8aa3b, v29
	v_fma_f32 v40, v29, s5, -v39
	v_rndne_f32_e32 v41, v39
	v_fmamk_f32 v40, v29, 0x32a5705f, v40
	v_sub_f32_e32 v39, v39, v41
	v_add_f32_e32 v39, v39, v40
	v_exp_f32_e32 v39, v39
	v_cvt_i32_f32_e32 v40, v41
	s_mov_b32 s5, 0xc2ce8ed0
	v_cmp_ngt_f32_e64 s[72:73], s5, v29
	s_mov_b32 s5, 0x42b17218
	v_ldexp_f32 v39, v39, v40
	v_cndmask_b32_e64 v39, 0, v39, s[72:73]
	v_mov_b32_e32 v40, 0x7f800000
	v_cmp_nlt_f32_e64 s[72:73], s5, v29
	s_mov_b32 s5, 0x3f2aaaab
	s_mov_b32 s6, 0x7f800000
	v_cndmask_b32_e64 v39, v40, v39, s[72:73]
	v_add_f32_e32 v29, 1.0, v39
	v_add_f32_e32 v40, -1.0, v29
	v_sub_f32_e32 v41, v40, v29
	v_add_f32_e32 v41, 1.0, v41
	v_sub_f32_e32 v40, v39, v40
	v_add_f32_e32 v42, v40, v41
	v_frexp_mant_f32_e32 v43, v29
	v_cvt_f64_f32_e32 v[40:41], v29
	v_frexp_exp_i32_f64_e32 v40, v[40:41]
	v_cmp_gt_f32_e64 s[72:73], s5, v43
	s_mov_b32 s5, 0x3f317218
	s_nop 0
	v_subbrev_co_u32_e64 v48, s[72:73], 0, v40, s[72:73]
	v_sub_u32_e32 v40, 0, v48
	v_ldexp_f32 v29, v29, v40
	v_ldexp_f32 v40, v42, v40
	v_add_f32_e32 v42, -1.0, v29
	v_add_f32_e32 v41, 1.0, v42
	v_sub_f32_e32 v41, v29, v41
	v_add_f32_e32 v43, v40, v41
	v_add_f32_e32 v41, 1.0, v29
	v_add_f32_e32 v44, -1.0, v41
	v_sub_f32_e32 v29, v29, v44
	v_add_f32_e32 v29, v40, v29
	v_add_f32_e32 v49, v41, v29
	v_rcp_f32_e32 v50, v49
	v_sub_f32_e32 v40, v41, v49
	v_add_f32_e32 v41, v42, v43
	v_add_f32_e32 v29, v29, v40
	v_mul_f32_e32 v55, v41, v50
	v_sub_f32_e32 v40, v42, v41
	v_mul_f32_e32 v42, v49, v55
	v_fma_f32 v44, v55, v49, -v42
	v_fmac_f32_e32 v44, v55, v29
	v_add_f32_e32 v54, v43, v40
	v_add_f32_e32 v40, v42, v44
	v_sub_f32_e32 v43, v41, v40
	v_pk_add_f32 v[46:47], v[40:41], v[42:43] neg_lo:[0,1] neg_hi:[0,1]
	v_mov_b32_e32 v45, v40
	v_pk_add_f32 v[40:41], v[46:47], v[44:45] neg_lo:[0,1] neg_hi:[0,1]
	v_cmp_eq_f32_e64 s[72:73], s6, v39
	v_add_f32_e32 v41, v54, v41
	v_add_f32_e32 v40, v40, v41
	;; [unrolled: 1-line block ×3, first 2 shown]
	v_mul_f32_e32 v54, v50, v41
	v_mul_f32_e32 v42, v49, v54
	v_fma_f32 v44, v54, v49, -v42
	v_fmac_f32_e32 v44, v54, v29
	v_sub_f32_e32 v29, v43, v41
	v_add_f32_e32 v29, v40, v29
	v_add_f32_e32 v40, v42, v44
	v_sub_f32_e32 v43, v41, v40
	v_pk_add_f32 v[46:47], v[40:41], v[42:43] neg_lo:[0,1] neg_hi:[0,1]
	v_mov_b32_e32 v45, v40
	v_pk_add_f32 v[40:41], v[46:47], v[44:45] neg_lo:[0,1] neg_hi:[0,1]
	v_cvt_f32_i32_e32 v42, v48
	v_add_f32_e32 v29, v29, v41
	v_add_f32_e32 v29, v40, v29
	;; [unrolled: 1-line block ×4, first 2 shown]
	v_sub_f32_e32 v41, v40, v55
	v_mul_f32_e32 v29, v50, v29
	v_sub_f32_e32 v41, v54, v41
	v_add_f32_e32 v29, v41, v29
	v_add_f32_e32 v43, v40, v29
	v_mul_f32_e32 v44, v43, v43
	v_mov_b32_e32 v41, 0x3ecc95a3
	v_fmac_f32_e32 v41, 0x3e9b6dac, v44
	v_sub_f32_e32 v40, v43, v40
	v_fmaak_f32 v41, v44, v41, 0x3f2aaada
	v_sub_f32_e32 v29, v29, v40
	v_ldexp_f32 v45, v43, 1
	v_mul_f32_e32 v43, v43, v44
	v_mov_b32_e32 v40, 0x3f317218
	v_pk_mul_f32 v[40:41], v[42:43], v[40:41]
	v_ldexp_f32 v29, v29, 1
	v_fma_f32 v43, v42, s5, -v40
	v_fmamk_f32 v44, v42, 0xb102e308, v43
	v_pk_add_f32 v[42:43], v[40:41], v[44:45]
	v_mov_b32_e32 v46, v40
	v_sub_f32_e32 v45, v43, v45
	v_sub_f32_e32 v45, v41, v45
	v_add_f32_e32 v47, v29, v45
	v_pk_add_f32 v[40:41], v[42:43], v[40:41] neg_lo:[0,1] neg_hi:[0,1]
	v_pk_add_f32 v[48:49], v[42:43], v[46:47]
	v_mov_b32_e32 v45, v42
	v_mov_b32_e32 v41, v49
	v_pk_add_f32 v[54:55], v[44:45], v[40:41] neg_lo:[0,1] neg_hi:[0,1]
	v_pk_add_f32 v[40:41], v[44:45], v[40:41]
	v_mov_b32_e32 v46, v47
	v_mov_b32_e32 v44, v41
	v_pk_add_f32 v[56:57], v[44:45], v[42:43] neg_lo:[0,1] neg_hi:[0,1]
	v_mov_b32_e32 v40, v49
	v_mov_b32_e32 v29, v56
	v_pk_add_f32 v[58:59], v[48:49], v[28:29] neg_lo:[0,1] neg_hi:[0,1]
	v_mov_b32_e32 v48, v43
	v_mov_b32_e32 v49, v56
	;; [unrolled: 1-line block ×3, first 2 shown]
	v_pk_add_f32 v[40:41], v[40:41], v[48:49] neg_lo:[0,1] neg_hi:[0,1]
	v_mov_b32_e32 v47, v42
	v_pk_add_f32 v[40:41], v[46:47], v[40:41] neg_lo:[0,1] neg_hi:[0,1]
	v_mov_b32_e32 v58, v54
	v_pk_add_f32 v[42:43], v[58:59], v[40:41]
	s_mov_b32 s5, 0x33800000
	v_mov_b32_e32 v46, v43
	v_pk_add_f32 v[46:47], v[42:43], v[46:47]
	v_cmp_lt_f32_e64 s[48:49], |v39|, s5
	v_pk_add_f32 v[44:45], v[44:45], v[46:47]
	v_mov_b32_e32 v41, v46
	v_mov_b32_e32 v43, v44
	v_pk_add_f32 v[48:49], v[42:43], v[54:55] neg_lo:[0,1] neg_hi:[0,1]
	s_or_b64 s[72:73], s[72:73], s[48:49]
	v_sub_f32_e32 v29, v42, v48
	v_pk_add_f32 v[40:41], v[40:41], v[48:49] neg_lo:[0,1] neg_hi:[0,1]
	v_sub_f32_e32 v29, v54, v29
	v_add_f32_e32 v29, v40, v29
	v_add_f32_e32 v29, v29, v41
	;; [unrolled: 1-line block ×3, first 2 shown]
	v_cndmask_b32_e64 v29, v29, v39, s[72:73]
	v_add_f32_e32 v54, v28, v29
.LBB111_70:
	s_or_b64 exec, exec, s[2:3]
	v_max_f32_e32 v28, v54, v54
	v_max_f32_e32 v39, v14, v14
	v_min_f32_e32 v29, v28, v39
	v_cmp_u_f32_e64 s[74:75], v54, v54
	v_max_f32_e32 v28, v28, v39
	v_cmp_u_f32_e64 s[72:73], v14, v14
	v_cndmask_b32_e64 v29, v29, v54, s[74:75]
	v_cndmask_b32_e64 v28, v28, v54, s[74:75]
	;; [unrolled: 1-line block ×4, first 2 shown]
	v_cmp_neq_f32_e64 s[74:75], v29, v28
	v_cmp_class_f32_e64 s[2:3], v29, s4
	s_or_b64 s[4:5], s[74:75], s[2:3]
	s_and_saveexec_b64 s[2:3], s[4:5]
	s_cbranch_execz .LBB111_72
; %bb.71:
	v_sub_f32_e32 v29, v29, v28
	s_mov_b32 s4, 0x3fb8aa3b
	v_mul_f32_e32 v40, 0x3fb8aa3b, v29
	v_fma_f32 v41, v29, s4, -v40
	v_rndne_f32_e32 v42, v40
	v_fmamk_f32 v41, v29, 0x32a5705f, v41
	v_sub_f32_e32 v40, v40, v42
	v_add_f32_e32 v40, v40, v41
	v_exp_f32_e32 v40, v40
	v_cvt_i32_f32_e32 v41, v42
	s_mov_b32 s4, 0xc2ce8ed0
	v_cmp_ngt_f32_e64 s[74:75], s4, v29
	s_mov_b32 s4, 0x42b17218
	v_ldexp_f32 v40, v40, v41
	v_cndmask_b32_e64 v40, 0, v40, s[74:75]
	v_mov_b32_e32 v41, 0x7f800000
	v_cmp_nlt_f32_e64 s[74:75], s4, v29
	s_mov_b32 s4, 0x3f2aaaab
	s_mov_b32 s5, 0x7f800000
	v_cndmask_b32_e64 v50, v41, v40, s[74:75]
	v_add_f32_e32 v29, 1.0, v50
	v_add_f32_e32 v40, -1.0, v29
	v_sub_f32_e32 v41, v40, v29
	v_add_f32_e32 v41, 1.0, v41
	v_sub_f32_e32 v40, v50, v40
	v_add_f32_e32 v42, v40, v41
	v_frexp_mant_f32_e32 v43, v29
	v_cvt_f64_f32_e32 v[40:41], v29
	v_frexp_exp_i32_f64_e32 v40, v[40:41]
	v_cmp_gt_f32_e64 s[74:75], s4, v43
	s_mov_b32 s4, 0x3f317218
	s_nop 0
	v_subbrev_co_u32_e64 v48, s[74:75], 0, v40, s[74:75]
	v_sub_u32_e32 v40, 0, v48
	v_ldexp_f32 v29, v29, v40
	v_ldexp_f32 v40, v42, v40
	v_add_f32_e32 v42, -1.0, v29
	v_add_f32_e32 v41, 1.0, v42
	v_sub_f32_e32 v41, v29, v41
	v_add_f32_e32 v43, v40, v41
	v_add_f32_e32 v41, 1.0, v29
	v_add_f32_e32 v44, -1.0, v41
	v_sub_f32_e32 v29, v29, v44
	v_add_f32_e32 v29, v40, v29
	v_add_f32_e32 v49, v41, v29
	v_rcp_f32_e32 v54, v49
	v_sub_f32_e32 v40, v41, v49
	v_add_f32_e32 v41, v42, v43
	v_add_f32_e32 v29, v29, v40
	v_mul_f32_e32 v56, v41, v54
	v_sub_f32_e32 v40, v42, v41
	v_mul_f32_e32 v42, v49, v56
	v_fma_f32 v44, v56, v49, -v42
	v_fmac_f32_e32 v44, v56, v29
	v_add_f32_e32 v55, v43, v40
	v_add_f32_e32 v40, v42, v44
	v_sub_f32_e32 v43, v41, v40
	v_pk_add_f32 v[46:47], v[40:41], v[42:43] neg_lo:[0,1] neg_hi:[0,1]
	v_mov_b32_e32 v45, v40
	v_pk_add_f32 v[40:41], v[46:47], v[44:45] neg_lo:[0,1] neg_hi:[0,1]
	v_cmp_eq_f32_e64 s[74:75], s5, v50
	v_add_f32_e32 v41, v55, v41
	v_add_f32_e32 v40, v40, v41
	;; [unrolled: 1-line block ×3, first 2 shown]
	v_mul_f32_e32 v55, v54, v41
	v_mul_f32_e32 v42, v49, v55
	v_fma_f32 v44, v55, v49, -v42
	v_fmac_f32_e32 v44, v55, v29
	v_sub_f32_e32 v29, v43, v41
	v_add_f32_e32 v29, v40, v29
	v_add_f32_e32 v40, v42, v44
	v_sub_f32_e32 v43, v41, v40
	v_pk_add_f32 v[46:47], v[40:41], v[42:43] neg_lo:[0,1] neg_hi:[0,1]
	v_mov_b32_e32 v45, v40
	v_pk_add_f32 v[40:41], v[46:47], v[44:45] neg_lo:[0,1] neg_hi:[0,1]
	v_cvt_f32_i32_e32 v42, v48
	v_add_f32_e32 v29, v29, v41
	v_add_f32_e32 v29, v40, v29
	;; [unrolled: 1-line block ×4, first 2 shown]
	v_sub_f32_e32 v41, v40, v56
	v_mul_f32_e32 v29, v54, v29
	v_sub_f32_e32 v41, v55, v41
	v_add_f32_e32 v29, v41, v29
	v_add_f32_e32 v43, v40, v29
	v_mul_f32_e32 v44, v43, v43
	v_mov_b32_e32 v41, 0x3ecc95a3
	v_fmac_f32_e32 v41, 0x3e9b6dac, v44
	v_sub_f32_e32 v40, v43, v40
	v_fmaak_f32 v41, v44, v41, 0x3f2aaada
	v_sub_f32_e32 v29, v29, v40
	v_ldexp_f32 v45, v43, 1
	v_mul_f32_e32 v43, v43, v44
	v_mov_b32_e32 v40, 0x3f317218
	v_pk_mul_f32 v[40:41], v[42:43], v[40:41]
	v_ldexp_f32 v29, v29, 1
	v_fma_f32 v43, v42, s4, -v40
	v_fmamk_f32 v44, v42, 0xb102e308, v43
	v_pk_add_f32 v[42:43], v[40:41], v[44:45]
	v_mov_b32_e32 v46, v40
	v_sub_f32_e32 v45, v43, v45
	v_sub_f32_e32 v45, v41, v45
	v_add_f32_e32 v47, v29, v45
	v_pk_add_f32 v[40:41], v[42:43], v[40:41] neg_lo:[0,1] neg_hi:[0,1]
	v_pk_add_f32 v[48:49], v[42:43], v[46:47]
	v_mov_b32_e32 v45, v42
	v_mov_b32_e32 v41, v49
	v_pk_add_f32 v[54:55], v[44:45], v[40:41] neg_lo:[0,1] neg_hi:[0,1]
	v_pk_add_f32 v[40:41], v[44:45], v[40:41]
	v_mov_b32_e32 v46, v47
	v_mov_b32_e32 v44, v41
	v_pk_add_f32 v[56:57], v[44:45], v[42:43] neg_lo:[0,1] neg_hi:[0,1]
	v_mov_b32_e32 v40, v49
	v_mov_b32_e32 v29, v56
	v_pk_add_f32 v[58:59], v[48:49], v[28:29] neg_lo:[0,1] neg_hi:[0,1]
	v_mov_b32_e32 v48, v43
	v_mov_b32_e32 v49, v56
	;; [unrolled: 1-line block ×3, first 2 shown]
	v_pk_add_f32 v[40:41], v[40:41], v[48:49] neg_lo:[0,1] neg_hi:[0,1]
	v_mov_b32_e32 v47, v42
	v_pk_add_f32 v[40:41], v[46:47], v[40:41] neg_lo:[0,1] neg_hi:[0,1]
	v_mov_b32_e32 v58, v54
	v_pk_add_f32 v[42:43], v[58:59], v[40:41]
	s_mov_b32 s4, 0x33800000
	v_mov_b32_e32 v46, v43
	v_pk_add_f32 v[46:47], v[42:43], v[46:47]
	v_cmp_lt_f32_e64 s[4:5], |v50|, s4
	v_pk_add_f32 v[44:45], v[44:45], v[46:47]
	v_mov_b32_e32 v41, v46
	v_mov_b32_e32 v43, v44
	v_pk_add_f32 v[48:49], v[42:43], v[54:55] neg_lo:[0,1] neg_hi:[0,1]
	s_or_b64 s[74:75], s[74:75], s[4:5]
	v_sub_f32_e32 v29, v42, v48
	v_pk_add_f32 v[40:41], v[40:41], v[48:49] neg_lo:[0,1] neg_hi:[0,1]
	v_sub_f32_e32 v29, v54, v29
	v_add_f32_e32 v29, v40, v29
	v_add_f32_e32 v29, v29, v41
	;; [unrolled: 1-line block ×3, first 2 shown]
	v_cndmask_b32_e64 v29, v29, v50, s[74:75]
	v_add_f32_e32 v54, v28, v29
.LBB111_72:
	s_or_b64 exec, exec, s[2:3]
	v_max_f32_e32 v28, v54, v54
	v_max_f32_e32 v40, v15, v15
	v_min_f32_e32 v29, v28, v40
	v_cmp_u_f32_e64 s[76:77], v54, v54
	v_max_f32_e32 v28, v28, v40
	v_cmp_u_f32_e64 s[74:75], v15, v15
	v_cndmask_b32_e64 v29, v29, v54, s[76:77]
	v_cndmask_b32_e64 v28, v28, v54, s[76:77]
	;; [unrolled: 1-line block ×4, first 2 shown]
	s_movk_i32 s4, 0x1f8
	v_cmp_neq_f32_e64 s[76:77], v29, v28
	v_cmp_class_f32_e64 s[2:3], v29, s4
	s_or_b64 s[48:49], s[76:77], s[2:3]
	s_and_saveexec_b64 s[2:3], s[48:49]
	s_cbranch_execz .LBB111_74
; %bb.73:
	v_sub_f32_e32 v29, v29, v28
	s_mov_b32 s5, 0x3fb8aa3b
	v_mul_f32_e32 v41, 0x3fb8aa3b, v29
	v_fma_f32 v42, v29, s5, -v41
	v_rndne_f32_e32 v43, v41
	v_fmamk_f32 v42, v29, 0x32a5705f, v42
	v_sub_f32_e32 v41, v41, v43
	v_add_f32_e32 v41, v41, v42
	v_exp_f32_e32 v41, v41
	v_cvt_i32_f32_e32 v42, v43
	s_mov_b32 s5, 0xc2ce8ed0
	v_cmp_ngt_f32_e64 s[76:77], s5, v29
	s_mov_b32 s5, 0x42b17218
	v_ldexp_f32 v41, v41, v42
	v_cndmask_b32_e64 v41, 0, v41, s[76:77]
	v_mov_b32_e32 v42, 0x7f800000
	v_cmp_nlt_f32_e64 s[76:77], s5, v29
	s_mov_b32 s5, 0x3f2aaaab
	s_mov_b32 s6, 0x7f800000
	v_cndmask_b32_e64 v41, v42, v41, s[76:77]
	v_add_f32_e32 v29, 1.0, v41
	v_add_f32_e32 v42, -1.0, v29
	v_sub_f32_e32 v43, v42, v29
	v_add_f32_e32 v43, 1.0, v43
	v_sub_f32_e32 v42, v41, v42
	v_add_f32_e32 v44, v42, v43
	v_frexp_mant_f32_e32 v45, v29
	v_cvt_f64_f32_e32 v[42:43], v29
	v_frexp_exp_i32_f64_e32 v42, v[42:43]
	v_cmp_gt_f32_e64 s[76:77], s5, v45
	s_mov_b32 s5, 0x3f317218
	s_nop 0
	v_subbrev_co_u32_e64 v50, s[76:77], 0, v42, s[76:77]
	v_sub_u32_e32 v42, 0, v50
	v_ldexp_f32 v29, v29, v42
	v_ldexp_f32 v42, v44, v42
	v_add_f32_e32 v44, -1.0, v29
	v_add_f32_e32 v43, 1.0, v44
	v_sub_f32_e32 v43, v29, v43
	v_add_f32_e32 v45, v42, v43
	v_add_f32_e32 v43, 1.0, v29
	v_add_f32_e32 v46, -1.0, v43
	v_sub_f32_e32 v29, v29, v46
	v_add_f32_e32 v29, v42, v29
	v_add_f32_e32 v54, v43, v29
	v_rcp_f32_e32 v55, v54
	v_sub_f32_e32 v42, v43, v54
	v_add_f32_e32 v43, v44, v45
	v_add_f32_e32 v29, v29, v42
	v_mul_f32_e32 v57, v43, v55
	v_sub_f32_e32 v42, v44, v43
	v_mul_f32_e32 v44, v54, v57
	v_fma_f32 v46, v57, v54, -v44
	v_fmac_f32_e32 v46, v57, v29
	v_add_f32_e32 v56, v45, v42
	v_add_f32_e32 v42, v44, v46
	v_sub_f32_e32 v45, v43, v42
	v_pk_add_f32 v[48:49], v[42:43], v[44:45] neg_lo:[0,1] neg_hi:[0,1]
	v_mov_b32_e32 v47, v42
	v_pk_add_f32 v[42:43], v[48:49], v[46:47] neg_lo:[0,1] neg_hi:[0,1]
	v_cmp_eq_f32_e64 s[76:77], s6, v41
	v_add_f32_e32 v43, v56, v43
	v_add_f32_e32 v42, v42, v43
	;; [unrolled: 1-line block ×3, first 2 shown]
	v_mul_f32_e32 v56, v55, v43
	v_mul_f32_e32 v44, v54, v56
	v_fma_f32 v46, v56, v54, -v44
	v_fmac_f32_e32 v46, v56, v29
	v_sub_f32_e32 v29, v45, v43
	v_add_f32_e32 v29, v42, v29
	v_add_f32_e32 v42, v44, v46
	v_sub_f32_e32 v45, v43, v42
	v_pk_add_f32 v[48:49], v[42:43], v[44:45] neg_lo:[0,1] neg_hi:[0,1]
	v_mov_b32_e32 v47, v42
	v_pk_add_f32 v[42:43], v[48:49], v[46:47] neg_lo:[0,1] neg_hi:[0,1]
	v_cvt_f32_i32_e32 v44, v50
	v_add_f32_e32 v29, v29, v43
	v_add_f32_e32 v29, v42, v29
	;; [unrolled: 1-line block ×4, first 2 shown]
	v_sub_f32_e32 v43, v42, v57
	v_mul_f32_e32 v29, v55, v29
	v_sub_f32_e32 v43, v56, v43
	v_add_f32_e32 v29, v43, v29
	v_add_f32_e32 v45, v42, v29
	v_mul_f32_e32 v46, v45, v45
	v_mov_b32_e32 v43, 0x3ecc95a3
	v_fmac_f32_e32 v43, 0x3e9b6dac, v46
	v_sub_f32_e32 v42, v45, v42
	v_fmaak_f32 v43, v46, v43, 0x3f2aaada
	v_sub_f32_e32 v29, v29, v42
	v_ldexp_f32 v47, v45, 1
	v_mul_f32_e32 v45, v45, v46
	v_mov_b32_e32 v42, 0x3f317218
	v_pk_mul_f32 v[42:43], v[44:45], v[42:43]
	v_ldexp_f32 v29, v29, 1
	v_fma_f32 v45, v44, s5, -v42
	v_fmamk_f32 v46, v44, 0xb102e308, v45
	v_pk_add_f32 v[44:45], v[42:43], v[46:47]
	v_mov_b32_e32 v48, v42
	v_sub_f32_e32 v47, v45, v47
	v_sub_f32_e32 v47, v43, v47
	v_add_f32_e32 v49, v29, v47
	v_pk_add_f32 v[42:43], v[44:45], v[42:43] neg_lo:[0,1] neg_hi:[0,1]
	v_pk_add_f32 v[54:55], v[44:45], v[48:49]
	v_mov_b32_e32 v47, v44
	v_mov_b32_e32 v43, v55
	v_pk_add_f32 v[56:57], v[46:47], v[42:43] neg_lo:[0,1] neg_hi:[0,1]
	v_pk_add_f32 v[42:43], v[46:47], v[42:43]
	v_mov_b32_e32 v48, v49
	v_mov_b32_e32 v46, v43
	v_pk_add_f32 v[58:59], v[46:47], v[44:45] neg_lo:[0,1] neg_hi:[0,1]
	v_mov_b32_e32 v42, v55
	v_mov_b32_e32 v29, v58
	v_pk_add_f32 v[60:61], v[54:55], v[28:29] neg_lo:[0,1] neg_hi:[0,1]
	v_mov_b32_e32 v54, v45
	v_mov_b32_e32 v55, v58
	;; [unrolled: 1-line block ×3, first 2 shown]
	v_pk_add_f32 v[42:43], v[42:43], v[54:55] neg_lo:[0,1] neg_hi:[0,1]
	v_mov_b32_e32 v49, v44
	v_pk_add_f32 v[42:43], v[48:49], v[42:43] neg_lo:[0,1] neg_hi:[0,1]
	v_mov_b32_e32 v60, v56
	v_pk_add_f32 v[44:45], v[60:61], v[42:43]
	s_mov_b32 s5, 0x33800000
	v_mov_b32_e32 v48, v45
	v_pk_add_f32 v[48:49], v[44:45], v[48:49]
	v_cmp_lt_f32_e64 s[48:49], |v41|, s5
	v_pk_add_f32 v[46:47], v[46:47], v[48:49]
	v_mov_b32_e32 v43, v48
	v_mov_b32_e32 v45, v46
	v_pk_add_f32 v[54:55], v[44:45], v[56:57] neg_lo:[0,1] neg_hi:[0,1]
	s_or_b64 s[76:77], s[76:77], s[48:49]
	v_sub_f32_e32 v29, v44, v54
	v_pk_add_f32 v[42:43], v[42:43], v[54:55] neg_lo:[0,1] neg_hi:[0,1]
	v_sub_f32_e32 v29, v56, v29
	v_add_f32_e32 v29, v42, v29
	v_add_f32_e32 v29, v29, v43
	;; [unrolled: 1-line block ×3, first 2 shown]
	v_cndmask_b32_e64 v29, v29, v41, s[76:77]
	v_add_f32_e32 v54, v28, v29
.LBB111_74:
	s_or_b64 exec, exec, s[2:3]
	v_max_f32_e32 v28, v54, v54
	v_max_f32_e32 v41, v16, v16
	v_min_f32_e32 v29, v28, v41
	v_cmp_u_f32_e64 s[78:79], v54, v54
	v_max_f32_e32 v28, v28, v41
	v_cmp_u_f32_e64 s[76:77], v16, v16
	v_cndmask_b32_e64 v29, v29, v54, s[78:79]
	v_cndmask_b32_e64 v28, v28, v54, s[78:79]
	;; [unrolled: 1-line block ×4, first 2 shown]
	v_cmp_neq_f32_e64 s[78:79], v29, v28
	v_cmp_class_f32_e64 s[2:3], v29, s4
	s_or_b64 s[4:5], s[78:79], s[2:3]
	s_and_saveexec_b64 s[2:3], s[4:5]
	s_cbranch_execz .LBB111_76
; %bb.75:
	v_sub_f32_e32 v29, v29, v28
	s_mov_b32 s4, 0x3fb8aa3b
	v_mul_f32_e32 v42, 0x3fb8aa3b, v29
	v_fma_f32 v43, v29, s4, -v42
	v_rndne_f32_e32 v44, v42
	v_fmamk_f32 v43, v29, 0x32a5705f, v43
	v_sub_f32_e32 v42, v42, v44
	v_add_f32_e32 v42, v42, v43
	v_exp_f32_e32 v42, v42
	v_cvt_i32_f32_e32 v43, v44
	s_mov_b32 s4, 0xc2ce8ed0
	v_cmp_ngt_f32_e64 s[78:79], s4, v29
	s_mov_b32 s4, 0x42b17218
	v_ldexp_f32 v42, v42, v43
	v_cndmask_b32_e64 v42, 0, v42, s[78:79]
	v_mov_b32_e32 v43, 0x7f800000
	v_cmp_nlt_f32_e64 s[78:79], s4, v29
	s_mov_b32 s4, 0x3f2aaaab
	s_mov_b32 s5, 0x7f800000
	v_cndmask_b32_e64 v50, v43, v42, s[78:79]
	v_add_f32_e32 v29, 1.0, v50
	v_add_f32_e32 v42, -1.0, v29
	v_sub_f32_e32 v43, v42, v29
	v_add_f32_e32 v43, 1.0, v43
	v_sub_f32_e32 v42, v50, v42
	v_add_f32_e32 v44, v42, v43
	v_frexp_mant_f32_e32 v45, v29
	v_cvt_f64_f32_e32 v[42:43], v29
	v_frexp_exp_i32_f64_e32 v42, v[42:43]
	v_cmp_gt_f32_e64 s[78:79], s4, v45
	s_mov_b32 s4, 0x3f317218
	s_nop 0
	v_subbrev_co_u32_e64 v54, s[78:79], 0, v42, s[78:79]
	v_sub_u32_e32 v42, 0, v54
	v_ldexp_f32 v29, v29, v42
	v_ldexp_f32 v42, v44, v42
	v_add_f32_e32 v44, -1.0, v29
	v_add_f32_e32 v43, 1.0, v44
	v_sub_f32_e32 v43, v29, v43
	v_add_f32_e32 v45, v42, v43
	v_add_f32_e32 v43, 1.0, v29
	v_add_f32_e32 v46, -1.0, v43
	v_sub_f32_e32 v29, v29, v46
	v_add_f32_e32 v29, v42, v29
	v_add_f32_e32 v55, v43, v29
	v_rcp_f32_e32 v56, v55
	v_sub_f32_e32 v42, v43, v55
	v_add_f32_e32 v43, v44, v45
	v_add_f32_e32 v29, v29, v42
	v_mul_f32_e32 v58, v43, v56
	v_sub_f32_e32 v42, v44, v43
	v_mul_f32_e32 v44, v55, v58
	v_fma_f32 v46, v58, v55, -v44
	v_fmac_f32_e32 v46, v58, v29
	v_add_f32_e32 v57, v45, v42
	v_add_f32_e32 v42, v44, v46
	v_sub_f32_e32 v45, v43, v42
	v_pk_add_f32 v[48:49], v[42:43], v[44:45] neg_lo:[0,1] neg_hi:[0,1]
	v_mov_b32_e32 v47, v42
	v_pk_add_f32 v[42:43], v[48:49], v[46:47] neg_lo:[0,1] neg_hi:[0,1]
	v_cmp_eq_f32_e64 s[78:79], s5, v50
	v_add_f32_e32 v43, v57, v43
	v_add_f32_e32 v42, v42, v43
	;; [unrolled: 1-line block ×3, first 2 shown]
	v_mul_f32_e32 v57, v56, v43
	v_mul_f32_e32 v44, v55, v57
	v_fma_f32 v46, v57, v55, -v44
	v_fmac_f32_e32 v46, v57, v29
	v_sub_f32_e32 v29, v45, v43
	v_add_f32_e32 v29, v42, v29
	v_add_f32_e32 v42, v44, v46
	v_sub_f32_e32 v45, v43, v42
	v_pk_add_f32 v[48:49], v[42:43], v[44:45] neg_lo:[0,1] neg_hi:[0,1]
	v_mov_b32_e32 v47, v42
	v_pk_add_f32 v[42:43], v[48:49], v[46:47] neg_lo:[0,1] neg_hi:[0,1]
	v_cvt_f32_i32_e32 v44, v54
	v_add_f32_e32 v29, v29, v43
	v_add_f32_e32 v29, v42, v29
	;; [unrolled: 1-line block ×4, first 2 shown]
	v_sub_f32_e32 v43, v42, v58
	v_mul_f32_e32 v29, v56, v29
	v_sub_f32_e32 v43, v57, v43
	v_add_f32_e32 v29, v43, v29
	v_add_f32_e32 v45, v42, v29
	v_mul_f32_e32 v46, v45, v45
	v_mov_b32_e32 v43, 0x3ecc95a3
	v_fmac_f32_e32 v43, 0x3e9b6dac, v46
	v_sub_f32_e32 v42, v45, v42
	v_fmaak_f32 v43, v46, v43, 0x3f2aaada
	v_sub_f32_e32 v29, v29, v42
	v_ldexp_f32 v47, v45, 1
	v_mul_f32_e32 v45, v45, v46
	v_mov_b32_e32 v42, 0x3f317218
	v_pk_mul_f32 v[42:43], v[44:45], v[42:43]
	v_ldexp_f32 v29, v29, 1
	v_fma_f32 v45, v44, s4, -v42
	v_fmamk_f32 v46, v44, 0xb102e308, v45
	v_pk_add_f32 v[44:45], v[42:43], v[46:47]
	v_mov_b32_e32 v48, v42
	v_sub_f32_e32 v47, v45, v47
	v_sub_f32_e32 v47, v43, v47
	v_add_f32_e32 v49, v29, v47
	v_pk_add_f32 v[42:43], v[44:45], v[42:43] neg_lo:[0,1] neg_hi:[0,1]
	v_pk_add_f32 v[54:55], v[44:45], v[48:49]
	v_mov_b32_e32 v47, v44
	v_mov_b32_e32 v43, v55
	v_pk_add_f32 v[56:57], v[46:47], v[42:43] neg_lo:[0,1] neg_hi:[0,1]
	v_pk_add_f32 v[42:43], v[46:47], v[42:43]
	v_mov_b32_e32 v48, v49
	v_mov_b32_e32 v46, v43
	v_pk_add_f32 v[58:59], v[46:47], v[44:45] neg_lo:[0,1] neg_hi:[0,1]
	v_mov_b32_e32 v42, v55
	v_mov_b32_e32 v29, v58
	v_pk_add_f32 v[60:61], v[54:55], v[28:29] neg_lo:[0,1] neg_hi:[0,1]
	v_mov_b32_e32 v54, v45
	v_mov_b32_e32 v55, v58
	;; [unrolled: 1-line block ×3, first 2 shown]
	v_pk_add_f32 v[42:43], v[42:43], v[54:55] neg_lo:[0,1] neg_hi:[0,1]
	v_mov_b32_e32 v49, v44
	v_pk_add_f32 v[42:43], v[48:49], v[42:43] neg_lo:[0,1] neg_hi:[0,1]
	v_mov_b32_e32 v60, v56
	v_pk_add_f32 v[44:45], v[60:61], v[42:43]
	s_mov_b32 s4, 0x33800000
	v_mov_b32_e32 v48, v45
	v_pk_add_f32 v[48:49], v[44:45], v[48:49]
	v_cmp_lt_f32_e64 s[4:5], |v50|, s4
	v_pk_add_f32 v[46:47], v[46:47], v[48:49]
	v_mov_b32_e32 v43, v48
	v_mov_b32_e32 v45, v46
	v_pk_add_f32 v[54:55], v[44:45], v[56:57] neg_lo:[0,1] neg_hi:[0,1]
	s_or_b64 s[78:79], s[78:79], s[4:5]
	v_sub_f32_e32 v29, v44, v54
	v_pk_add_f32 v[42:43], v[42:43], v[54:55] neg_lo:[0,1] neg_hi:[0,1]
	v_sub_f32_e32 v29, v56, v29
	v_add_f32_e32 v29, v42, v29
	v_add_f32_e32 v29, v29, v43
	;; [unrolled: 1-line block ×3, first 2 shown]
	v_cndmask_b32_e64 v29, v29, v50, s[78:79]
	v_add_f32_e32 v54, v28, v29
.LBB111_76:
	s_or_b64 exec, exec, s[2:3]
	v_max_f32_e32 v28, v54, v54
	v_max_f32_e32 v42, v17, v17
	v_min_f32_e32 v29, v28, v42
	v_cmp_u_f32_e64 s[80:81], v54, v54
	v_max_f32_e32 v28, v28, v42
	v_cmp_u_f32_e64 s[78:79], v17, v17
	v_cndmask_b32_e64 v29, v29, v54, s[80:81]
	v_cndmask_b32_e64 v28, v28, v54, s[80:81]
	;; [unrolled: 1-line block ×4, first 2 shown]
	s_movk_i32 s4, 0x1f8
	v_cmp_neq_f32_e64 s[80:81], v29, v28
	v_cmp_class_f32_e64 s[2:3], v29, s4
	s_or_b64 s[48:49], s[80:81], s[2:3]
	s_and_saveexec_b64 s[2:3], s[48:49]
	s_cbranch_execz .LBB111_78
; %bb.77:
	v_sub_f32_e32 v29, v29, v28
	s_mov_b32 s5, 0x3fb8aa3b
	v_mul_f32_e32 v43, 0x3fb8aa3b, v29
	v_fma_f32 v44, v29, s5, -v43
	v_rndne_f32_e32 v45, v43
	v_fmamk_f32 v44, v29, 0x32a5705f, v44
	v_sub_f32_e32 v43, v43, v45
	v_add_f32_e32 v43, v43, v44
	v_exp_f32_e32 v43, v43
	v_cvt_i32_f32_e32 v44, v45
	s_mov_b32 s5, 0xc2ce8ed0
	v_cmp_ngt_f32_e64 s[80:81], s5, v29
	s_mov_b32 s5, 0x42b17218
	v_ldexp_f32 v43, v43, v44
	v_cndmask_b32_e64 v43, 0, v43, s[80:81]
	v_mov_b32_e32 v44, 0x7f800000
	v_cmp_nlt_f32_e64 s[80:81], s5, v29
	s_mov_b32 s5, 0x3f2aaaab
	s_mov_b32 s6, 0x7f800000
	v_cndmask_b32_e64 v43, v44, v43, s[80:81]
	v_add_f32_e32 v29, 1.0, v43
	v_add_f32_e32 v44, -1.0, v29
	v_sub_f32_e32 v45, v44, v29
	v_add_f32_e32 v45, 1.0, v45
	v_sub_f32_e32 v44, v43, v44
	v_add_f32_e32 v46, v44, v45
	v_frexp_mant_f32_e32 v47, v29
	v_cvt_f64_f32_e32 v[44:45], v29
	v_frexp_exp_i32_f64_e32 v44, v[44:45]
	v_cmp_gt_f32_e64 s[80:81], s5, v47
	s_mov_b32 s5, 0x3f317218
	s_nop 0
	v_subbrev_co_u32_e64 v50, s[80:81], 0, v44, s[80:81]
	v_sub_u32_e32 v44, 0, v50
	v_ldexp_f32 v29, v29, v44
	v_ldexp_f32 v44, v46, v44
	v_add_f32_e32 v46, -1.0, v29
	v_add_f32_e32 v45, 1.0, v46
	v_sub_f32_e32 v45, v29, v45
	v_add_f32_e32 v47, v44, v45
	v_add_f32_e32 v45, 1.0, v29
	v_add_f32_e32 v48, -1.0, v45
	v_sub_f32_e32 v29, v29, v48
	v_add_f32_e32 v29, v44, v29
	v_add_f32_e32 v56, v45, v29
	v_rcp_f32_e32 v57, v56
	v_sub_f32_e32 v44, v45, v56
	v_add_f32_e32 v45, v46, v47
	v_add_f32_e32 v29, v29, v44
	v_mul_f32_e32 v59, v45, v57
	v_sub_f32_e32 v44, v46, v45
	v_mul_f32_e32 v46, v56, v59
	v_fma_f32 v48, v59, v56, -v46
	v_fmac_f32_e32 v48, v59, v29
	v_add_f32_e32 v58, v47, v44
	v_add_f32_e32 v44, v46, v48
	v_sub_f32_e32 v47, v45, v44
	v_pk_add_f32 v[54:55], v[44:45], v[46:47] neg_lo:[0,1] neg_hi:[0,1]
	v_mov_b32_e32 v49, v44
	v_pk_add_f32 v[44:45], v[54:55], v[48:49] neg_lo:[0,1] neg_hi:[0,1]
	v_cmp_eq_f32_e64 s[80:81], s6, v43
	v_add_f32_e32 v45, v58, v45
	v_add_f32_e32 v44, v44, v45
	;; [unrolled: 1-line block ×3, first 2 shown]
	v_mul_f32_e32 v58, v57, v45
	v_mul_f32_e32 v46, v56, v58
	v_fma_f32 v48, v58, v56, -v46
	v_fmac_f32_e32 v48, v58, v29
	v_sub_f32_e32 v29, v47, v45
	v_add_f32_e32 v29, v44, v29
	v_add_f32_e32 v44, v46, v48
	v_sub_f32_e32 v47, v45, v44
	v_pk_add_f32 v[54:55], v[44:45], v[46:47] neg_lo:[0,1] neg_hi:[0,1]
	v_mov_b32_e32 v49, v44
	v_pk_add_f32 v[44:45], v[54:55], v[48:49] neg_lo:[0,1] neg_hi:[0,1]
	v_cvt_f32_i32_e32 v46, v50
	v_add_f32_e32 v29, v29, v45
	v_add_f32_e32 v29, v44, v29
	;; [unrolled: 1-line block ×4, first 2 shown]
	v_sub_f32_e32 v45, v44, v59
	v_mul_f32_e32 v29, v57, v29
	v_sub_f32_e32 v45, v58, v45
	v_add_f32_e32 v29, v45, v29
	v_add_f32_e32 v47, v44, v29
	v_mul_f32_e32 v48, v47, v47
	v_mov_b32_e32 v45, 0x3ecc95a3
	v_fmac_f32_e32 v45, 0x3e9b6dac, v48
	v_sub_f32_e32 v44, v47, v44
	v_fmaak_f32 v45, v48, v45, 0x3f2aaada
	v_sub_f32_e32 v29, v29, v44
	v_ldexp_f32 v49, v47, 1
	v_mul_f32_e32 v47, v47, v48
	v_mov_b32_e32 v44, 0x3f317218
	v_pk_mul_f32 v[44:45], v[46:47], v[44:45]
	v_ldexp_f32 v29, v29, 1
	v_fma_f32 v47, v46, s5, -v44
	v_fmamk_f32 v48, v46, 0xb102e308, v47
	v_pk_add_f32 v[46:47], v[44:45], v[48:49]
	v_mov_b32_e32 v54, v44
	v_sub_f32_e32 v49, v47, v49
	v_sub_f32_e32 v49, v45, v49
	v_add_f32_e32 v55, v29, v49
	v_pk_add_f32 v[44:45], v[46:47], v[44:45] neg_lo:[0,1] neg_hi:[0,1]
	v_pk_add_f32 v[56:57], v[46:47], v[54:55]
	v_mov_b32_e32 v49, v46
	v_mov_b32_e32 v45, v57
	v_pk_add_f32 v[58:59], v[48:49], v[44:45] neg_lo:[0,1] neg_hi:[0,1]
	v_pk_add_f32 v[44:45], v[48:49], v[44:45]
	v_mov_b32_e32 v54, v55
	v_mov_b32_e32 v48, v45
	v_pk_add_f32 v[60:61], v[48:49], v[46:47] neg_lo:[0,1] neg_hi:[0,1]
	v_mov_b32_e32 v44, v57
	v_mov_b32_e32 v29, v60
	v_pk_add_f32 v[62:63], v[56:57], v[28:29] neg_lo:[0,1] neg_hi:[0,1]
	v_mov_b32_e32 v56, v47
	v_mov_b32_e32 v57, v60
	;; [unrolled: 1-line block ×3, first 2 shown]
	v_pk_add_f32 v[44:45], v[44:45], v[56:57] neg_lo:[0,1] neg_hi:[0,1]
	v_mov_b32_e32 v55, v46
	v_pk_add_f32 v[44:45], v[54:55], v[44:45] neg_lo:[0,1] neg_hi:[0,1]
	v_mov_b32_e32 v62, v58
	v_pk_add_f32 v[46:47], v[62:63], v[44:45]
	s_mov_b32 s5, 0x33800000
	v_mov_b32_e32 v50, v47
	v_pk_add_f32 v[54:55], v[46:47], v[50:51]
	v_cmp_lt_f32_e64 s[48:49], |v43|, s5
	v_pk_add_f32 v[48:49], v[48:49], v[54:55]
	v_mov_b32_e32 v45, v54
	v_mov_b32_e32 v47, v48
	v_pk_add_f32 v[56:57], v[46:47], v[58:59] neg_lo:[0,1] neg_hi:[0,1]
	s_or_b64 s[80:81], s[80:81], s[48:49]
	v_sub_f32_e32 v29, v46, v56
	v_pk_add_f32 v[44:45], v[44:45], v[56:57] neg_lo:[0,1] neg_hi:[0,1]
	v_sub_f32_e32 v29, v58, v29
	v_add_f32_e32 v29, v44, v29
	v_add_f32_e32 v29, v29, v45
	;; [unrolled: 1-line block ×3, first 2 shown]
	v_cndmask_b32_e64 v29, v29, v43, s[80:81]
	v_add_f32_e32 v54, v28, v29
.LBB111_78:
	s_or_b64 exec, exec, s[2:3]
	v_max_f32_e32 v28, v54, v54
	v_max_f32_e32 v43, v10, v10
	v_min_f32_e32 v29, v28, v43
	v_cmp_u_f32_e64 s[82:83], v54, v54
	v_max_f32_e32 v28, v28, v43
	v_cmp_u_f32_e64 s[80:81], v10, v10
	v_cndmask_b32_e64 v29, v29, v54, s[82:83]
	v_cndmask_b32_e64 v28, v28, v54, s[82:83]
	;; [unrolled: 1-line block ×4, first 2 shown]
	v_cmp_neq_f32_e64 s[82:83], v29, v28
	v_cmp_class_f32_e64 s[2:3], v29, s4
	s_or_b64 s[4:5], s[82:83], s[2:3]
	s_and_saveexec_b64 s[2:3], s[4:5]
	s_cbranch_execz .LBB111_80
; %bb.79:
	v_sub_f32_e32 v29, v29, v28
	s_mov_b32 s4, 0x3fb8aa3b
	v_mul_f32_e32 v44, 0x3fb8aa3b, v29
	v_fma_f32 v45, v29, s4, -v44
	v_rndne_f32_e32 v46, v44
	v_fmamk_f32 v45, v29, 0x32a5705f, v45
	v_sub_f32_e32 v44, v44, v46
	v_add_f32_e32 v44, v44, v45
	v_exp_f32_e32 v44, v44
	v_cvt_i32_f32_e32 v45, v46
	s_mov_b32 s4, 0xc2ce8ed0
	v_cmp_ngt_f32_e64 s[82:83], s4, v29
	s_mov_b32 s4, 0x42b17218
	v_ldexp_f32 v44, v44, v45
	v_cndmask_b32_e64 v44, 0, v44, s[82:83]
	v_mov_b32_e32 v45, 0x7f800000
	v_cmp_nlt_f32_e64 s[82:83], s4, v29
	s_mov_b32 s4, 0x3f2aaaab
	s_mov_b32 s5, 0x7f800000
	v_cndmask_b32_e64 v64, v45, v44, s[82:83]
	v_add_f32_e32 v29, 1.0, v64
	v_add_f32_e32 v44, -1.0, v29
	v_sub_f32_e32 v45, v44, v29
	v_add_f32_e32 v45, 1.0, v45
	v_sub_f32_e32 v44, v64, v44
	v_add_f32_e32 v46, v44, v45
	v_frexp_mant_f32_e32 v47, v29
	v_cvt_f64_f32_e32 v[44:45], v29
	v_frexp_exp_i32_f64_e32 v44, v[44:45]
	v_cmp_gt_f32_e64 s[82:83], s4, v47
	s_mov_b32 s4, 0x3f317218
	s_nop 0
	v_subbrev_co_u32_e64 v50, s[82:83], 0, v44, s[82:83]
	v_sub_u32_e32 v44, 0, v50
	v_ldexp_f32 v29, v29, v44
	v_ldexp_f32 v44, v46, v44
	v_add_f32_e32 v46, -1.0, v29
	v_add_f32_e32 v45, 1.0, v46
	v_sub_f32_e32 v45, v29, v45
	v_add_f32_e32 v47, v44, v45
	v_add_f32_e32 v45, 1.0, v29
	v_add_f32_e32 v48, -1.0, v45
	v_sub_f32_e32 v29, v29, v48
	v_add_f32_e32 v29, v44, v29
	v_add_f32_e32 v56, v45, v29
	v_rcp_f32_e32 v57, v56
	v_sub_f32_e32 v44, v45, v56
	v_add_f32_e32 v45, v46, v47
	v_add_f32_e32 v29, v29, v44
	v_mul_f32_e32 v59, v45, v57
	v_sub_f32_e32 v44, v46, v45
	v_mul_f32_e32 v46, v56, v59
	v_fma_f32 v48, v59, v56, -v46
	v_fmac_f32_e32 v48, v59, v29
	v_add_f32_e32 v58, v47, v44
	v_add_f32_e32 v44, v46, v48
	v_sub_f32_e32 v47, v45, v44
	v_pk_add_f32 v[54:55], v[44:45], v[46:47] neg_lo:[0,1] neg_hi:[0,1]
	v_mov_b32_e32 v49, v44
	v_pk_add_f32 v[44:45], v[54:55], v[48:49] neg_lo:[0,1] neg_hi:[0,1]
	v_cmp_eq_f32_e64 s[82:83], s5, v64
	v_add_f32_e32 v45, v58, v45
	v_add_f32_e32 v44, v44, v45
	;; [unrolled: 1-line block ×3, first 2 shown]
	v_mul_f32_e32 v58, v57, v45
	v_mul_f32_e32 v46, v56, v58
	v_fma_f32 v48, v58, v56, -v46
	v_fmac_f32_e32 v48, v58, v29
	v_sub_f32_e32 v29, v47, v45
	v_add_f32_e32 v29, v44, v29
	v_add_f32_e32 v44, v46, v48
	v_sub_f32_e32 v47, v45, v44
	v_pk_add_f32 v[54:55], v[44:45], v[46:47] neg_lo:[0,1] neg_hi:[0,1]
	v_mov_b32_e32 v49, v44
	v_pk_add_f32 v[44:45], v[54:55], v[48:49] neg_lo:[0,1] neg_hi:[0,1]
	v_cvt_f32_i32_e32 v46, v50
	v_add_f32_e32 v29, v29, v45
	v_add_f32_e32 v29, v44, v29
	;; [unrolled: 1-line block ×4, first 2 shown]
	v_sub_f32_e32 v45, v44, v59
	v_mul_f32_e32 v29, v57, v29
	v_sub_f32_e32 v45, v58, v45
	v_add_f32_e32 v29, v45, v29
	v_add_f32_e32 v47, v44, v29
	v_mul_f32_e32 v48, v47, v47
	v_mov_b32_e32 v45, 0x3ecc95a3
	v_fmac_f32_e32 v45, 0x3e9b6dac, v48
	v_sub_f32_e32 v44, v47, v44
	v_fmaak_f32 v45, v48, v45, 0x3f2aaada
	v_sub_f32_e32 v29, v29, v44
	v_ldexp_f32 v49, v47, 1
	v_mul_f32_e32 v47, v47, v48
	v_mov_b32_e32 v44, 0x3f317218
	v_pk_mul_f32 v[44:45], v[46:47], v[44:45]
	v_ldexp_f32 v29, v29, 1
	v_fma_f32 v47, v46, s4, -v44
	v_fmamk_f32 v48, v46, 0xb102e308, v47
	v_pk_add_f32 v[46:47], v[44:45], v[48:49]
	v_mov_b32_e32 v54, v44
	v_sub_f32_e32 v49, v47, v49
	v_sub_f32_e32 v49, v45, v49
	v_add_f32_e32 v55, v29, v49
	v_pk_add_f32 v[44:45], v[46:47], v[44:45] neg_lo:[0,1] neg_hi:[0,1]
	v_pk_add_f32 v[56:57], v[46:47], v[54:55]
	v_mov_b32_e32 v49, v46
	v_mov_b32_e32 v45, v57
	v_pk_add_f32 v[58:59], v[48:49], v[44:45] neg_lo:[0,1] neg_hi:[0,1]
	v_pk_add_f32 v[44:45], v[48:49], v[44:45]
	v_mov_b32_e32 v54, v55
	v_mov_b32_e32 v48, v45
	v_pk_add_f32 v[60:61], v[48:49], v[46:47] neg_lo:[0,1] neg_hi:[0,1]
	v_mov_b32_e32 v44, v57
	v_mov_b32_e32 v29, v60
	v_pk_add_f32 v[62:63], v[56:57], v[28:29] neg_lo:[0,1] neg_hi:[0,1]
	v_mov_b32_e32 v56, v47
	v_mov_b32_e32 v57, v60
	;; [unrolled: 1-line block ×3, first 2 shown]
	v_pk_add_f32 v[44:45], v[44:45], v[56:57] neg_lo:[0,1] neg_hi:[0,1]
	v_mov_b32_e32 v55, v46
	v_pk_add_f32 v[44:45], v[54:55], v[44:45] neg_lo:[0,1] neg_hi:[0,1]
	v_mov_b32_e32 v62, v58
	v_pk_add_f32 v[46:47], v[62:63], v[44:45]
	s_mov_b32 s4, 0x33800000
	v_mov_b32_e32 v50, v47
	v_pk_add_f32 v[54:55], v[46:47], v[50:51]
	v_cmp_lt_f32_e64 s[4:5], |v64|, s4
	v_pk_add_f32 v[48:49], v[48:49], v[54:55]
	v_mov_b32_e32 v45, v54
	v_mov_b32_e32 v47, v48
	v_pk_add_f32 v[56:57], v[46:47], v[58:59] neg_lo:[0,1] neg_hi:[0,1]
	s_or_b64 s[82:83], s[82:83], s[4:5]
	v_sub_f32_e32 v29, v46, v56
	v_pk_add_f32 v[44:45], v[44:45], v[56:57] neg_lo:[0,1] neg_hi:[0,1]
	v_sub_f32_e32 v29, v58, v29
	v_add_f32_e32 v29, v44, v29
	v_add_f32_e32 v29, v29, v45
	;; [unrolled: 1-line block ×3, first 2 shown]
	v_cndmask_b32_e64 v29, v29, v64, s[82:83]
	v_add_f32_e32 v54, v28, v29
.LBB111_80:
	s_or_b64 exec, exec, s[2:3]
	v_max_f32_e32 v28, v54, v54
	v_max_f32_e32 v44, v11, v11
	v_min_f32_e32 v29, v28, v44
	v_cmp_u_f32_e64 s[84:85], v54, v54
	v_max_f32_e32 v28, v28, v44
	v_cmp_u_f32_e64 s[82:83], v11, v11
	v_cndmask_b32_e64 v29, v29, v54, s[84:85]
	v_cndmask_b32_e64 v28, v28, v54, s[84:85]
	;; [unrolled: 1-line block ×4, first 2 shown]
	s_movk_i32 s4, 0x1f8
	v_cmp_neq_f32_e64 s[84:85], v29, v28
	v_cmp_class_f32_e64 s[2:3], v29, s4
	s_or_b64 s[48:49], s[84:85], s[2:3]
	s_and_saveexec_b64 s[2:3], s[48:49]
	s_cbranch_execz .LBB111_82
; %bb.81:
	v_sub_f32_e32 v29, v29, v28
	s_mov_b32 s5, 0x3fb8aa3b
	v_mul_f32_e32 v45, 0x3fb8aa3b, v29
	v_fma_f32 v46, v29, s5, -v45
	v_rndne_f32_e32 v47, v45
	v_fmamk_f32 v46, v29, 0x32a5705f, v46
	v_sub_f32_e32 v45, v45, v47
	v_add_f32_e32 v45, v45, v46
	v_exp_f32_e32 v45, v45
	v_cvt_i32_f32_e32 v46, v47
	s_mov_b32 s5, 0xc2ce8ed0
	v_cmp_ngt_f32_e64 s[84:85], s5, v29
	s_mov_b32 s5, 0x42b17218
	v_ldexp_f32 v45, v45, v46
	v_cndmask_b32_e64 v45, 0, v45, s[84:85]
	v_mov_b32_e32 v46, 0x7f800000
	v_cmp_nlt_f32_e64 s[84:85], s5, v29
	s_mov_b32 s5, 0x3f2aaaab
	s_mov_b32 s6, 0x7f800000
	v_cndmask_b32_e64 v45, v46, v45, s[84:85]
	v_add_f32_e32 v29, 1.0, v45
	v_add_f32_e32 v46, -1.0, v29
	v_sub_f32_e32 v47, v46, v29
	v_add_f32_e32 v47, 1.0, v47
	v_sub_f32_e32 v46, v45, v46
	v_add_f32_e32 v48, v46, v47
	v_frexp_mant_f32_e32 v49, v29
	v_cvt_f64_f32_e32 v[46:47], v29
	v_frexp_exp_i32_f64_e32 v46, v[46:47]
	v_cmp_gt_f32_e64 s[84:85], s5, v49
	s_mov_b32 s5, 0x3f317218
	s_nop 0
	v_subbrev_co_u32_e64 v50, s[84:85], 0, v46, s[84:85]
	v_sub_u32_e32 v46, 0, v50
	v_ldexp_f32 v29, v29, v46
	v_ldexp_f32 v46, v48, v46
	v_add_f32_e32 v48, -1.0, v29
	v_add_f32_e32 v47, 1.0, v48
	v_sub_f32_e32 v47, v29, v47
	v_add_f32_e32 v49, v46, v47
	v_add_f32_e32 v47, 1.0, v29
	v_add_f32_e32 v54, -1.0, v47
	v_sub_f32_e32 v29, v29, v54
	v_add_f32_e32 v29, v46, v29
	v_add_f32_e32 v58, v47, v29
	v_rcp_f32_e32 v59, v58
	v_sub_f32_e32 v46, v47, v58
	v_add_f32_e32 v47, v48, v49
	v_add_f32_e32 v29, v29, v46
	v_mul_f32_e32 v61, v47, v59
	v_sub_f32_e32 v46, v48, v47
	v_mul_f32_e32 v48, v58, v61
	v_fma_f32 v54, v61, v58, -v48
	v_fmac_f32_e32 v54, v61, v29
	v_add_f32_e32 v60, v49, v46
	v_add_f32_e32 v46, v48, v54
	v_sub_f32_e32 v49, v47, v46
	v_pk_add_f32 v[56:57], v[46:47], v[48:49] neg_lo:[0,1] neg_hi:[0,1]
	v_mov_b32_e32 v55, v46
	v_pk_add_f32 v[46:47], v[56:57], v[54:55] neg_lo:[0,1] neg_hi:[0,1]
	v_cmp_eq_f32_e64 s[84:85], s6, v45
	v_add_f32_e32 v47, v60, v47
	v_add_f32_e32 v46, v46, v47
	;; [unrolled: 1-line block ×3, first 2 shown]
	v_mul_f32_e32 v60, v59, v47
	v_mul_f32_e32 v48, v58, v60
	v_fma_f32 v54, v60, v58, -v48
	v_fmac_f32_e32 v54, v60, v29
	v_sub_f32_e32 v29, v49, v47
	v_add_f32_e32 v29, v46, v29
	v_add_f32_e32 v46, v48, v54
	v_sub_f32_e32 v49, v47, v46
	v_pk_add_f32 v[56:57], v[46:47], v[48:49] neg_lo:[0,1] neg_hi:[0,1]
	v_mov_b32_e32 v55, v46
	v_pk_add_f32 v[46:47], v[56:57], v[54:55] neg_lo:[0,1] neg_hi:[0,1]
	v_cvt_f32_i32_e32 v48, v50
	v_add_f32_e32 v29, v29, v47
	v_add_f32_e32 v29, v46, v29
	;; [unrolled: 1-line block ×4, first 2 shown]
	v_sub_f32_e32 v47, v46, v61
	v_mul_f32_e32 v29, v59, v29
	v_sub_f32_e32 v47, v60, v47
	v_add_f32_e32 v29, v47, v29
	v_add_f32_e32 v49, v46, v29
	v_mul_f32_e32 v54, v49, v49
	v_mov_b32_e32 v47, 0x3ecc95a3
	v_fmac_f32_e32 v47, 0x3e9b6dac, v54
	v_sub_f32_e32 v46, v49, v46
	v_fmaak_f32 v47, v54, v47, 0x3f2aaada
	v_sub_f32_e32 v29, v29, v46
	v_ldexp_f32 v55, v49, 1
	v_mul_f32_e32 v49, v49, v54
	v_mov_b32_e32 v46, 0x3f317218
	v_pk_mul_f32 v[46:47], v[48:49], v[46:47]
	v_ldexp_f32 v29, v29, 1
	v_fma_f32 v49, v48, s5, -v46
	v_fmamk_f32 v54, v48, 0xb102e308, v49
	v_pk_add_f32 v[48:49], v[46:47], v[54:55]
	v_mov_b32_e32 v56, v46
	v_sub_f32_e32 v50, v49, v55
	v_sub_f32_e32 v50, v47, v50
	v_add_f32_e32 v57, v29, v50
	v_pk_add_f32 v[46:47], v[48:49], v[46:47] neg_lo:[0,1] neg_hi:[0,1]
	v_pk_add_f32 v[58:59], v[48:49], v[56:57]
	v_mov_b32_e32 v55, v48
	v_mov_b32_e32 v47, v59
	v_pk_add_f32 v[60:61], v[54:55], v[46:47] neg_lo:[0,1] neg_hi:[0,1]
	v_pk_add_f32 v[46:47], v[54:55], v[46:47]
	s_mov_b32 s5, 0x33800000
	v_mov_b32_e32 v50, v47
	v_pk_add_f32 v[54:55], v[50:51], v[48:49] neg_lo:[0,1] neg_hi:[0,1]
	v_mov_b32_e32 v46, v59
	v_mov_b32_e32 v29, v54
	v_pk_add_f32 v[62:63], v[58:59], v[28:29] neg_lo:[0,1] neg_hi:[0,1]
	v_mov_b32_e32 v58, v49
	v_mov_b32_e32 v59, v54
	;; [unrolled: 1-line block ×3, first 2 shown]
	v_pk_add_f32 v[46:47], v[46:47], v[58:59] neg_lo:[0,1] neg_hi:[0,1]
	v_mov_b32_e32 v54, v57
	v_mov_b32_e32 v55, v48
	v_pk_add_f32 v[46:47], v[54:55], v[46:47] neg_lo:[0,1] neg_hi:[0,1]
	v_mov_b32_e32 v62, v60
	v_pk_add_f32 v[48:49], v[62:63], v[46:47]
	v_cmp_lt_f32_e64 s[48:49], |v45|, s5
	v_mov_b32_e32 v54, v49
	v_pk_add_f32 v[54:55], v[48:49], v[54:55]
	s_or_b64 s[84:85], s[84:85], s[48:49]
	v_pk_add_f32 v[56:57], v[50:51], v[54:55]
	v_mov_b32_e32 v47, v54
	v_mov_b32_e32 v49, v56
	v_pk_add_f32 v[58:59], v[48:49], v[60:61] neg_lo:[0,1] neg_hi:[0,1]
	s_nop 0
	v_sub_f32_e32 v29, v48, v58
	v_pk_add_f32 v[46:47], v[46:47], v[58:59] neg_lo:[0,1] neg_hi:[0,1]
	v_sub_f32_e32 v29, v60, v29
	v_add_f32_e32 v29, v46, v29
	v_add_f32_e32 v29, v29, v47
	;; [unrolled: 1-line block ×3, first 2 shown]
	v_cndmask_b32_e64 v29, v29, v45, s[84:85]
	v_add_f32_e32 v54, v28, v29
.LBB111_82:
	s_or_b64 exec, exec, s[2:3]
	v_max_f32_e32 v28, v54, v54
	v_max_f32_e32 v45, v12, v12
	v_min_f32_e32 v29, v28, v45
	v_cmp_u_f32_e64 s[86:87], v54, v54
	v_max_f32_e32 v28, v28, v45
	v_cmp_u_f32_e64 s[84:85], v12, v12
	v_cndmask_b32_e64 v29, v29, v54, s[86:87]
	v_cndmask_b32_e64 v28, v28, v54, s[86:87]
	;; [unrolled: 1-line block ×4, first 2 shown]
	v_cmp_neq_f32_e64 s[86:87], v29, v28
	v_cmp_class_f32_e64 s[2:3], v29, s4
	s_or_b64 s[4:5], s[86:87], s[2:3]
	s_and_saveexec_b64 s[2:3], s[4:5]
	s_cbranch_execz .LBB111_84
; %bb.83:
	v_sub_f32_e32 v29, v29, v28
	s_mov_b32 s4, 0x3fb8aa3b
	v_mul_f32_e32 v46, 0x3fb8aa3b, v29
	v_fma_f32 v47, v29, s4, -v46
	v_rndne_f32_e32 v48, v46
	v_fmamk_f32 v47, v29, 0x32a5705f, v47
	v_sub_f32_e32 v46, v46, v48
	v_add_f32_e32 v46, v46, v47
	v_exp_f32_e32 v46, v46
	v_cvt_i32_f32_e32 v47, v48
	s_mov_b32 s4, 0xc2ce8ed0
	v_cmp_ngt_f32_e64 s[86:87], s4, v29
	s_mov_b32 s4, 0x42b17218
	v_ldexp_f32 v46, v46, v47
	v_cndmask_b32_e64 v46, 0, v46, s[86:87]
	v_mov_b32_e32 v47, 0x7f800000
	v_cmp_nlt_f32_e64 s[86:87], s4, v29
	s_mov_b32 s4, 0x3f2aaaab
	s_mov_b32 s5, 0x7f800000
	v_cndmask_b32_e64 v64, v47, v46, s[86:87]
	v_add_f32_e32 v29, 1.0, v64
	v_add_f32_e32 v46, -1.0, v29
	v_sub_f32_e32 v47, v46, v29
	v_add_f32_e32 v47, 1.0, v47
	v_sub_f32_e32 v46, v64, v46
	v_add_f32_e32 v48, v46, v47
	v_frexp_mant_f32_e32 v49, v29
	v_cvt_f64_f32_e32 v[46:47], v29
	v_frexp_exp_i32_f64_e32 v46, v[46:47]
	v_cmp_gt_f32_e64 s[86:87], s4, v49
	s_mov_b32 s4, 0x3f317218
	s_nop 0
	v_subbrev_co_u32_e64 v50, s[86:87], 0, v46, s[86:87]
	v_sub_u32_e32 v46, 0, v50
	v_ldexp_f32 v29, v29, v46
	v_ldexp_f32 v46, v48, v46
	v_add_f32_e32 v48, -1.0, v29
	v_add_f32_e32 v47, 1.0, v48
	v_sub_f32_e32 v47, v29, v47
	v_add_f32_e32 v49, v46, v47
	v_add_f32_e32 v47, 1.0, v29
	v_add_f32_e32 v54, -1.0, v47
	v_sub_f32_e32 v29, v29, v54
	v_add_f32_e32 v29, v46, v29
	v_add_f32_e32 v58, v47, v29
	v_rcp_f32_e32 v59, v58
	v_sub_f32_e32 v46, v47, v58
	v_add_f32_e32 v47, v48, v49
	v_add_f32_e32 v29, v29, v46
	v_mul_f32_e32 v61, v47, v59
	v_sub_f32_e32 v46, v48, v47
	v_mul_f32_e32 v48, v58, v61
	v_fma_f32 v54, v61, v58, -v48
	v_fmac_f32_e32 v54, v61, v29
	v_add_f32_e32 v60, v49, v46
	v_add_f32_e32 v46, v48, v54
	v_sub_f32_e32 v49, v47, v46
	v_pk_add_f32 v[56:57], v[46:47], v[48:49] neg_lo:[0,1] neg_hi:[0,1]
	v_mov_b32_e32 v55, v46
	v_pk_add_f32 v[46:47], v[56:57], v[54:55] neg_lo:[0,1] neg_hi:[0,1]
	v_cmp_eq_f32_e64 s[86:87], s5, v64
	v_add_f32_e32 v47, v60, v47
	v_add_f32_e32 v46, v46, v47
	;; [unrolled: 1-line block ×3, first 2 shown]
	v_mul_f32_e32 v60, v59, v47
	v_mul_f32_e32 v48, v58, v60
	v_fma_f32 v54, v60, v58, -v48
	v_fmac_f32_e32 v54, v60, v29
	v_sub_f32_e32 v29, v49, v47
	v_add_f32_e32 v29, v46, v29
	v_add_f32_e32 v46, v48, v54
	v_sub_f32_e32 v49, v47, v46
	v_pk_add_f32 v[56:57], v[46:47], v[48:49] neg_lo:[0,1] neg_hi:[0,1]
	v_mov_b32_e32 v55, v46
	v_pk_add_f32 v[46:47], v[56:57], v[54:55] neg_lo:[0,1] neg_hi:[0,1]
	v_cvt_f32_i32_e32 v48, v50
	v_add_f32_e32 v29, v29, v47
	v_add_f32_e32 v29, v46, v29
	;; [unrolled: 1-line block ×4, first 2 shown]
	v_sub_f32_e32 v47, v46, v61
	v_mul_f32_e32 v29, v59, v29
	v_sub_f32_e32 v47, v60, v47
	v_add_f32_e32 v29, v47, v29
	v_add_f32_e32 v49, v46, v29
	v_mul_f32_e32 v54, v49, v49
	v_mov_b32_e32 v47, 0x3ecc95a3
	v_fmac_f32_e32 v47, 0x3e9b6dac, v54
	v_sub_f32_e32 v46, v49, v46
	v_fmaak_f32 v47, v54, v47, 0x3f2aaada
	v_sub_f32_e32 v29, v29, v46
	v_ldexp_f32 v55, v49, 1
	v_mul_f32_e32 v49, v49, v54
	v_mov_b32_e32 v46, 0x3f317218
	v_pk_mul_f32 v[46:47], v[48:49], v[46:47]
	v_ldexp_f32 v29, v29, 1
	v_fma_f32 v49, v48, s4, -v46
	v_fmamk_f32 v54, v48, 0xb102e308, v49
	v_pk_add_f32 v[48:49], v[46:47], v[54:55]
	v_mov_b32_e32 v56, v46
	v_sub_f32_e32 v50, v49, v55
	v_sub_f32_e32 v50, v47, v50
	v_add_f32_e32 v57, v29, v50
	v_pk_add_f32 v[46:47], v[48:49], v[46:47] neg_lo:[0,1] neg_hi:[0,1]
	v_pk_add_f32 v[58:59], v[48:49], v[56:57]
	v_mov_b32_e32 v55, v48
	v_mov_b32_e32 v47, v59
	v_pk_add_f32 v[60:61], v[54:55], v[46:47] neg_lo:[0,1] neg_hi:[0,1]
	v_pk_add_f32 v[46:47], v[54:55], v[46:47]
	s_mov_b32 s4, 0x33800000
	v_mov_b32_e32 v50, v47
	v_pk_add_f32 v[54:55], v[50:51], v[48:49] neg_lo:[0,1] neg_hi:[0,1]
	v_mov_b32_e32 v46, v59
	v_mov_b32_e32 v29, v54
	v_pk_add_f32 v[62:63], v[58:59], v[28:29] neg_lo:[0,1] neg_hi:[0,1]
	v_mov_b32_e32 v58, v49
	v_mov_b32_e32 v59, v54
	;; [unrolled: 1-line block ×3, first 2 shown]
	v_pk_add_f32 v[46:47], v[46:47], v[58:59] neg_lo:[0,1] neg_hi:[0,1]
	v_mov_b32_e32 v54, v57
	v_mov_b32_e32 v55, v48
	v_pk_add_f32 v[46:47], v[54:55], v[46:47] neg_lo:[0,1] neg_hi:[0,1]
	v_mov_b32_e32 v62, v60
	v_pk_add_f32 v[48:49], v[62:63], v[46:47]
	v_cmp_lt_f32_e64 s[4:5], |v64|, s4
	v_mov_b32_e32 v54, v49
	v_pk_add_f32 v[54:55], v[48:49], v[54:55]
	s_or_b64 s[86:87], s[86:87], s[4:5]
	v_pk_add_f32 v[56:57], v[50:51], v[54:55]
	v_mov_b32_e32 v47, v54
	v_mov_b32_e32 v49, v56
	v_pk_add_f32 v[58:59], v[48:49], v[60:61] neg_lo:[0,1] neg_hi:[0,1]
	s_nop 0
	v_sub_f32_e32 v29, v48, v58
	v_pk_add_f32 v[46:47], v[46:47], v[58:59] neg_lo:[0,1] neg_hi:[0,1]
	v_sub_f32_e32 v29, v60, v29
	v_add_f32_e32 v29, v46, v29
	v_add_f32_e32 v29, v29, v47
	;; [unrolled: 1-line block ×3, first 2 shown]
	v_cndmask_b32_e64 v29, v29, v64, s[86:87]
	v_add_f32_e32 v54, v28, v29
.LBB111_84:
	s_or_b64 exec, exec, s[2:3]
	v_max_f32_e32 v28, v54, v54
	v_max_f32_e32 v46, v13, v13
	v_min_f32_e32 v29, v28, v46
	v_cmp_u_f32_e64 s[88:89], v54, v54
	v_max_f32_e32 v28, v28, v46
	v_cmp_u_f32_e64 s[86:87], v13, v13
	v_cndmask_b32_e64 v29, v29, v54, s[88:89]
	v_cndmask_b32_e64 v28, v28, v54, s[88:89]
	;; [unrolled: 1-line block ×4, first 2 shown]
	s_movk_i32 s4, 0x1f8
	v_cmp_neq_f32_e64 s[88:89], v29, v28
	v_cmp_class_f32_e64 s[2:3], v29, s4
	s_or_b64 s[48:49], s[88:89], s[2:3]
	s_and_saveexec_b64 s[2:3], s[48:49]
	s_cbranch_execz .LBB111_86
; %bb.85:
	v_sub_f32_e32 v29, v29, v28
	s_mov_b32 s5, 0x3fb8aa3b
	v_mul_f32_e32 v47, 0x3fb8aa3b, v29
	v_fma_f32 v48, v29, s5, -v47
	v_rndne_f32_e32 v49, v47
	v_fmamk_f32 v48, v29, 0x32a5705f, v48
	v_sub_f32_e32 v47, v47, v49
	v_add_f32_e32 v47, v47, v48
	v_exp_f32_e32 v47, v47
	v_cvt_i32_f32_e32 v48, v49
	s_mov_b32 s5, 0xc2ce8ed0
	v_cmp_ngt_f32_e64 s[88:89], s5, v29
	s_mov_b32 s5, 0x42b17218
	v_ldexp_f32 v47, v47, v48
	v_cndmask_b32_e64 v47, 0, v47, s[88:89]
	v_mov_b32_e32 v48, 0x7f800000
	v_cmp_nlt_f32_e64 s[88:89], s5, v29
	s_mov_b32 s5, 0x3f2aaaab
	s_mov_b32 s6, 0x7f800000
	v_cndmask_b32_e64 v47, v48, v47, s[88:89]
	v_add_f32_e32 v29, 1.0, v47
	v_add_f32_e32 v48, -1.0, v29
	v_sub_f32_e32 v49, v48, v29
	v_add_f32_e32 v49, 1.0, v49
	v_sub_f32_e32 v48, v47, v48
	v_add_f32_e32 v50, v48, v49
	v_frexp_mant_f32_e32 v54, v29
	v_cvt_f64_f32_e32 v[48:49], v29
	v_frexp_exp_i32_f64_e32 v48, v[48:49]
	v_cmp_gt_f32_e64 s[88:89], s5, v54
	s_mov_b32 s5, 0x3f317218
	s_nop 0
	v_subbrev_co_u32_e64 v60, s[88:89], 0, v48, s[88:89]
	v_sub_u32_e32 v48, 0, v60
	v_ldexp_f32 v29, v29, v48
	v_ldexp_f32 v48, v50, v48
	v_add_f32_e32 v50, -1.0, v29
	v_add_f32_e32 v49, 1.0, v50
	v_sub_f32_e32 v49, v29, v49
	v_add_f32_e32 v54, v48, v49
	v_add_f32_e32 v49, 1.0, v29
	v_add_f32_e32 v55, -1.0, v49
	v_sub_f32_e32 v29, v29, v55
	v_add_f32_e32 v29, v48, v29
	v_add_f32_e32 v61, v49, v29
	v_rcp_f32_e32 v62, v61
	v_sub_f32_e32 v48, v49, v61
	v_add_f32_e32 v49, v50, v54
	v_add_f32_e32 v29, v29, v48
	v_sub_f32_e32 v48, v50, v49
	v_mul_f32_e32 v63, v49, v62
	v_add_f32_e32 v50, v54, v48
	v_mul_f32_e32 v54, v61, v63
	v_fma_f32 v56, v63, v61, -v54
	v_fmac_f32_e32 v56, v63, v29
	v_add_f32_e32 v48, v54, v56
	v_sub_f32_e32 v55, v49, v48
	v_pk_add_f32 v[58:59], v[48:49], v[54:55] neg_lo:[0,1] neg_hi:[0,1]
	v_mov_b32_e32 v57, v48
	v_pk_add_f32 v[48:49], v[58:59], v[56:57] neg_lo:[0,1] neg_hi:[0,1]
	v_cmp_eq_f32_e64 s[88:89], s6, v47
	v_add_f32_e32 v49, v50, v49
	v_add_f32_e32 v48, v48, v49
	v_add_f32_e32 v49, v55, v48
	v_mul_f32_e32 v50, v62, v49
	v_mul_f32_e32 v54, v61, v50
	v_fma_f32 v56, v50, v61, -v54
	v_fmac_f32_e32 v56, v50, v29
	v_sub_f32_e32 v29, v55, v49
	v_add_f32_e32 v29, v48, v29
	v_add_f32_e32 v48, v54, v56
	v_sub_f32_e32 v55, v49, v48
	v_pk_add_f32 v[58:59], v[48:49], v[54:55] neg_lo:[0,1] neg_hi:[0,1]
	v_mov_b32_e32 v57, v48
	v_pk_add_f32 v[48:49], v[58:59], v[56:57] neg_lo:[0,1] neg_hi:[0,1]
	v_cvt_f32_i32_e32 v54, v60
	v_add_f32_e32 v29, v29, v49
	v_add_f32_e32 v29, v48, v29
	;; [unrolled: 1-line block ×4, first 2 shown]
	v_sub_f32_e32 v49, v48, v63
	v_mul_f32_e32 v29, v62, v29
	v_sub_f32_e32 v49, v50, v49
	v_add_f32_e32 v29, v49, v29
	v_add_f32_e32 v50, v48, v29
	v_mul_f32_e32 v55, v50, v50
	v_mov_b32_e32 v49, 0x3ecc95a3
	v_fmac_f32_e32 v49, 0x3e9b6dac, v55
	v_sub_f32_e32 v48, v50, v48
	v_fmaak_f32 v49, v55, v49, 0x3f2aaada
	v_sub_f32_e32 v29, v29, v48
	v_mul_f32_e32 v55, v50, v55
	v_mov_b32_e32 v48, 0x3f317218
	v_pk_mul_f32 v[48:49], v[54:55], v[48:49]
	v_ldexp_f32 v57, v50, 1
	v_fma_f32 v50, v54, s5, -v48
	v_fmamk_f32 v56, v54, 0xb102e308, v50
	v_pk_add_f32 v[54:55], v[48:49], v[56:57]
	v_ldexp_f32 v29, v29, 1
	v_sub_f32_e32 v50, v55, v57
	v_sub_f32_e32 v50, v49, v50
	v_add_f32_e32 v59, v29, v50
	v_mov_b32_e32 v58, v48
	v_pk_add_f32 v[48:49], v[54:55], v[48:49] neg_lo:[0,1] neg_hi:[0,1]
	v_pk_add_f32 v[60:61], v[54:55], v[58:59]
	v_mov_b32_e32 v57, v54
	v_mov_b32_e32 v49, v61
	v_pk_add_f32 v[62:63], v[56:57], v[48:49] neg_lo:[0,1] neg_hi:[0,1]
	v_pk_add_f32 v[48:49], v[56:57], v[48:49]
	s_mov_b32 s5, 0x33800000
	v_mov_b32_e32 v50, v49
	v_pk_add_f32 v[56:57], v[50:51], v[54:55] neg_lo:[0,1] neg_hi:[0,1]
	v_mov_b32_e32 v48, v61
	v_mov_b32_e32 v29, v56
	v_pk_add_f32 v[64:65], v[60:61], v[28:29] neg_lo:[0,1] neg_hi:[0,1]
	v_mov_b32_e32 v60, v55
	v_mov_b32_e32 v61, v56
	;; [unrolled: 1-line block ×3, first 2 shown]
	v_pk_add_f32 v[48:49], v[48:49], v[60:61] neg_lo:[0,1] neg_hi:[0,1]
	v_mov_b32_e32 v56, v59
	v_mov_b32_e32 v57, v54
	v_pk_add_f32 v[48:49], v[56:57], v[48:49] neg_lo:[0,1] neg_hi:[0,1]
	v_mov_b32_e32 v64, v62
	v_pk_add_f32 v[54:55], v[64:65], v[48:49]
	v_cmp_lt_f32_e64 s[48:49], |v47|, s5
	v_mov_b32_e32 v56, v55
	v_pk_add_f32 v[56:57], v[54:55], v[56:57]
	s_or_b64 s[88:89], s[88:89], s[48:49]
	v_pk_add_f32 v[58:59], v[50:51], v[56:57]
	v_mov_b32_e32 v49, v56
	v_mov_b32_e32 v55, v58
	v_pk_add_f32 v[60:61], v[54:55], v[62:63] neg_lo:[0,1] neg_hi:[0,1]
	s_nop 0
	v_sub_f32_e32 v29, v54, v60
	v_pk_add_f32 v[48:49], v[48:49], v[60:61] neg_lo:[0,1] neg_hi:[0,1]
	v_sub_f32_e32 v29, v62, v29
	v_add_f32_e32 v29, v48, v29
	v_add_f32_e32 v29, v29, v49
	;; [unrolled: 1-line block ×3, first 2 shown]
	v_cndmask_b32_e64 v29, v29, v47, s[88:89]
	v_add_f32_e32 v54, v28, v29
.LBB111_86:
	s_or_b64 exec, exec, s[2:3]
	v_max_f32_e32 v28, v54, v54
	v_max_f32_e32 v47, v6, v6
	v_min_f32_e32 v29, v28, v47
	v_cmp_u_f32_e64 s[90:91], v54, v54
	v_max_f32_e32 v28, v28, v47
	v_cmp_u_f32_e64 s[88:89], v6, v6
	v_cndmask_b32_e64 v29, v29, v54, s[90:91]
	v_cndmask_b32_e64 v28, v28, v54, s[90:91]
	;; [unrolled: 1-line block ×4, first 2 shown]
	v_cmp_neq_f32_e64 s[90:91], v29, v28
	v_cmp_class_f32_e64 s[2:3], v29, s4
	s_or_b64 s[4:5], s[90:91], s[2:3]
	s_and_saveexec_b64 s[2:3], s[4:5]
	s_cbranch_execz .LBB111_88
; %bb.87:
	v_sub_f32_e32 v29, v29, v28
	s_mov_b32 s4, 0x3fb8aa3b
	v_mul_f32_e32 v48, 0x3fb8aa3b, v29
	v_fma_f32 v49, v29, s4, -v48
	v_rndne_f32_e32 v50, v48
	v_fmamk_f32 v49, v29, 0x32a5705f, v49
	v_sub_f32_e32 v48, v48, v50
	v_add_f32_e32 v48, v48, v49
	v_exp_f32_e32 v48, v48
	v_cvt_i32_f32_e32 v49, v50
	s_mov_b32 s4, 0xc2ce8ed0
	v_cmp_ngt_f32_e64 s[90:91], s4, v29
	s_mov_b32 s4, 0x42b17218
	v_ldexp_f32 v48, v48, v49
	v_cndmask_b32_e64 v48, 0, v48, s[90:91]
	v_mov_b32_e32 v49, 0x7f800000
	v_cmp_nlt_f32_e64 s[90:91], s4, v29
	s_mov_b32 s4, 0x3f2aaaab
	s_mov_b32 s5, 0x7f800000
	v_cndmask_b32_e64 v66, v49, v48, s[90:91]
	v_add_f32_e32 v29, 1.0, v66
	v_add_f32_e32 v48, -1.0, v29
	v_sub_f32_e32 v49, v48, v29
	v_add_f32_e32 v49, 1.0, v49
	v_sub_f32_e32 v48, v66, v48
	v_add_f32_e32 v50, v48, v49
	v_frexp_mant_f32_e32 v54, v29
	v_cvt_f64_f32_e32 v[48:49], v29
	v_frexp_exp_i32_f64_e32 v48, v[48:49]
	v_cmp_gt_f32_e64 s[90:91], s4, v54
	s_mov_b32 s4, 0x3f317218
	s_nop 0
	v_subbrev_co_u32_e64 v60, s[90:91], 0, v48, s[90:91]
	v_sub_u32_e32 v48, 0, v60
	v_ldexp_f32 v29, v29, v48
	v_ldexp_f32 v48, v50, v48
	v_add_f32_e32 v50, -1.0, v29
	v_add_f32_e32 v49, 1.0, v50
	v_sub_f32_e32 v49, v29, v49
	v_add_f32_e32 v54, v48, v49
	v_add_f32_e32 v49, 1.0, v29
	v_add_f32_e32 v55, -1.0, v49
	v_sub_f32_e32 v29, v29, v55
	v_add_f32_e32 v29, v48, v29
	v_add_f32_e32 v61, v49, v29
	v_rcp_f32_e32 v62, v61
	v_sub_f32_e32 v48, v49, v61
	v_add_f32_e32 v49, v50, v54
	v_add_f32_e32 v29, v29, v48
	v_sub_f32_e32 v48, v50, v49
	v_mul_f32_e32 v63, v49, v62
	v_add_f32_e32 v50, v54, v48
	v_mul_f32_e32 v54, v61, v63
	v_fma_f32 v56, v63, v61, -v54
	v_fmac_f32_e32 v56, v63, v29
	v_add_f32_e32 v48, v54, v56
	v_sub_f32_e32 v55, v49, v48
	v_pk_add_f32 v[58:59], v[48:49], v[54:55] neg_lo:[0,1] neg_hi:[0,1]
	v_mov_b32_e32 v57, v48
	v_pk_add_f32 v[48:49], v[58:59], v[56:57] neg_lo:[0,1] neg_hi:[0,1]
	v_cmp_eq_f32_e64 s[90:91], s5, v66
	v_add_f32_e32 v49, v50, v49
	v_add_f32_e32 v48, v48, v49
	;; [unrolled: 1-line block ×3, first 2 shown]
	v_mul_f32_e32 v50, v62, v49
	v_mul_f32_e32 v54, v61, v50
	v_fma_f32 v56, v50, v61, -v54
	v_fmac_f32_e32 v56, v50, v29
	v_sub_f32_e32 v29, v55, v49
	v_add_f32_e32 v29, v48, v29
	v_add_f32_e32 v48, v54, v56
	v_sub_f32_e32 v55, v49, v48
	v_pk_add_f32 v[58:59], v[48:49], v[54:55] neg_lo:[0,1] neg_hi:[0,1]
	v_mov_b32_e32 v57, v48
	v_pk_add_f32 v[48:49], v[58:59], v[56:57] neg_lo:[0,1] neg_hi:[0,1]
	v_cvt_f32_i32_e32 v54, v60
	v_add_f32_e32 v29, v29, v49
	v_add_f32_e32 v29, v48, v29
	;; [unrolled: 1-line block ×4, first 2 shown]
	v_sub_f32_e32 v49, v48, v63
	v_mul_f32_e32 v29, v62, v29
	v_sub_f32_e32 v49, v50, v49
	v_add_f32_e32 v29, v49, v29
	v_add_f32_e32 v50, v48, v29
	v_mul_f32_e32 v55, v50, v50
	v_mov_b32_e32 v49, 0x3ecc95a3
	v_fmac_f32_e32 v49, 0x3e9b6dac, v55
	v_sub_f32_e32 v48, v50, v48
	v_fmaak_f32 v49, v55, v49, 0x3f2aaada
	v_sub_f32_e32 v29, v29, v48
	v_mul_f32_e32 v55, v50, v55
	v_mov_b32_e32 v48, 0x3f317218
	v_pk_mul_f32 v[48:49], v[54:55], v[48:49]
	v_ldexp_f32 v57, v50, 1
	v_fma_f32 v50, v54, s4, -v48
	v_fmamk_f32 v56, v54, 0xb102e308, v50
	v_pk_add_f32 v[54:55], v[48:49], v[56:57]
	v_ldexp_f32 v29, v29, 1
	v_sub_f32_e32 v50, v55, v57
	v_sub_f32_e32 v50, v49, v50
	v_add_f32_e32 v59, v29, v50
	v_mov_b32_e32 v58, v48
	v_pk_add_f32 v[48:49], v[54:55], v[48:49] neg_lo:[0,1] neg_hi:[0,1]
	v_pk_add_f32 v[60:61], v[54:55], v[58:59]
	v_mov_b32_e32 v57, v54
	v_mov_b32_e32 v49, v61
	v_pk_add_f32 v[62:63], v[56:57], v[48:49] neg_lo:[0,1] neg_hi:[0,1]
	v_pk_add_f32 v[48:49], v[56:57], v[48:49]
	s_mov_b32 s4, 0x33800000
	v_mov_b32_e32 v50, v49
	v_pk_add_f32 v[56:57], v[50:51], v[54:55] neg_lo:[0,1] neg_hi:[0,1]
	v_mov_b32_e32 v48, v61
	v_mov_b32_e32 v29, v56
	v_pk_add_f32 v[64:65], v[60:61], v[28:29] neg_lo:[0,1] neg_hi:[0,1]
	v_mov_b32_e32 v60, v55
	v_mov_b32_e32 v61, v56
	v_mov_b32_e32 v63, v49
	v_pk_add_f32 v[48:49], v[48:49], v[60:61] neg_lo:[0,1] neg_hi:[0,1]
	v_mov_b32_e32 v56, v59
	v_mov_b32_e32 v57, v54
	v_pk_add_f32 v[48:49], v[56:57], v[48:49] neg_lo:[0,1] neg_hi:[0,1]
	v_mov_b32_e32 v64, v62
	v_pk_add_f32 v[54:55], v[64:65], v[48:49]
	v_cmp_lt_f32_e64 s[4:5], |v66|, s4
	v_mov_b32_e32 v56, v55
	v_pk_add_f32 v[56:57], v[54:55], v[56:57]
	s_or_b64 s[90:91], s[90:91], s[4:5]
	v_pk_add_f32 v[58:59], v[50:51], v[56:57]
	v_mov_b32_e32 v49, v56
	v_mov_b32_e32 v55, v58
	v_pk_add_f32 v[60:61], v[54:55], v[62:63] neg_lo:[0,1] neg_hi:[0,1]
	s_nop 0
	v_sub_f32_e32 v29, v54, v60
	v_pk_add_f32 v[48:49], v[48:49], v[60:61] neg_lo:[0,1] neg_hi:[0,1]
	v_sub_f32_e32 v29, v62, v29
	v_add_f32_e32 v29, v48, v29
	v_add_f32_e32 v29, v29, v49
	v_add_f32_e32 v29, v58, v29
	v_cndmask_b32_e64 v29, v29, v66, s[90:91]
	v_add_f32_e32 v54, v28, v29
.LBB111_88:
	s_or_b64 exec, exec, s[2:3]
	v_max_f32_e32 v28, v54, v54
	v_max_f32_e32 v48, v7, v7
	v_min_f32_e32 v29, v28, v48
	v_cmp_u_f32_e64 s[92:93], v54, v54
	v_max_f32_e32 v28, v28, v48
	v_cmp_u_f32_e64 s[90:91], v7, v7
	v_cndmask_b32_e64 v29, v29, v54, s[92:93]
	v_cndmask_b32_e64 v28, v28, v54, s[92:93]
	;; [unrolled: 1-line block ×4, first 2 shown]
	s_movk_i32 s4, 0x1f8
	v_cmp_neq_f32_e64 s[92:93], v29, v28
	v_cmp_class_f32_e64 s[2:3], v29, s4
	s_or_b64 s[48:49], s[92:93], s[2:3]
	s_and_saveexec_b64 s[2:3], s[48:49]
	s_cbranch_execz .LBB111_90
; %bb.89:
	v_sub_f32_e32 v29, v29, v28
	s_mov_b32 s5, 0x3fb8aa3b
	v_mul_f32_e32 v49, 0x3fb8aa3b, v29
	v_fma_f32 v50, v29, s5, -v49
	v_rndne_f32_e32 v54, v49
	v_fmamk_f32 v50, v29, 0x32a5705f, v50
	v_sub_f32_e32 v49, v49, v54
	v_add_f32_e32 v49, v49, v50
	v_exp_f32_e32 v49, v49
	v_cvt_i32_f32_e32 v50, v54
	s_mov_b32 s5, 0xc2ce8ed0
	v_cmp_ngt_f32_e64 s[92:93], s5, v29
	s_mov_b32 s5, 0x42b17218
	v_ldexp_f32 v49, v49, v50
	v_cndmask_b32_e64 v49, 0, v49, s[92:93]
	v_mov_b32_e32 v50, 0x7f800000
	v_cmp_nlt_f32_e64 s[92:93], s5, v29
	s_mov_b32 s5, 0x3f2aaaab
	s_mov_b32 s6, 0x7f800000
	v_cndmask_b32_e64 v49, v50, v49, s[92:93]
	v_add_f32_e32 v29, 1.0, v49
	v_add_f32_e32 v50, -1.0, v29
	v_sub_f32_e32 v54, v50, v29
	v_add_f32_e32 v54, 1.0, v54
	v_sub_f32_e32 v50, v49, v50
	v_add_f32_e32 v50, v50, v54
	v_frexp_mant_f32_e32 v56, v29
	v_cvt_f64_f32_e32 v[54:55], v29
	v_frexp_exp_i32_f64_e32 v54, v[54:55]
	v_cmp_gt_f32_e64 s[92:93], s5, v56
	s_mov_b32 s5, 0x3f317218
	s_nop 0
	v_subbrev_co_u32_e64 v62, s[92:93], 0, v54, s[92:93]
	v_sub_u32_e32 v54, 0, v62
	v_ldexp_f32 v29, v29, v54
	v_ldexp_f32 v50, v50, v54
	v_add_f32_e32 v54, -1.0, v29
	v_add_f32_e32 v55, 1.0, v54
	v_sub_f32_e32 v55, v29, v55
	v_add_f32_e32 v56, v50, v55
	v_add_f32_e32 v55, 1.0, v29
	v_add_f32_e32 v57, -1.0, v55
	v_sub_f32_e32 v29, v29, v57
	v_add_f32_e32 v29, v50, v29
	v_add_f32_e32 v50, v55, v29
	v_rcp_f32_e32 v63, v50
	v_sub_f32_e32 v55, v55, v50
	v_add_f32_e32 v29, v29, v55
	v_add_f32_e32 v55, v54, v56
	v_sub_f32_e32 v54, v54, v55
	v_mul_f32_e32 v65, v55, v63
	v_add_f32_e32 v64, v56, v54
	v_mul_f32_e32 v56, v50, v65
	v_fma_f32 v58, v65, v50, -v56
	v_fmac_f32_e32 v58, v65, v29
	v_add_f32_e32 v54, v56, v58
	v_sub_f32_e32 v57, v55, v54
	v_pk_add_f32 v[60:61], v[54:55], v[56:57] neg_lo:[0,1] neg_hi:[0,1]
	v_mov_b32_e32 v59, v54
	v_pk_add_f32 v[54:55], v[60:61], v[58:59] neg_lo:[0,1] neg_hi:[0,1]
	v_cmp_eq_f32_e64 s[92:93], s6, v49
	v_add_f32_e32 v55, v64, v55
	v_add_f32_e32 v54, v54, v55
	;; [unrolled: 1-line block ×3, first 2 shown]
	v_mul_f32_e32 v64, v63, v55
	v_mul_f32_e32 v56, v50, v64
	v_fma_f32 v58, v64, v50, -v56
	v_fmac_f32_e32 v58, v64, v29
	v_sub_f32_e32 v29, v57, v55
	v_add_f32_e32 v29, v54, v29
	v_add_f32_e32 v54, v56, v58
	v_sub_f32_e32 v57, v55, v54
	v_pk_add_f32 v[60:61], v[54:55], v[56:57] neg_lo:[0,1] neg_hi:[0,1]
	v_mov_b32_e32 v59, v54
	v_pk_add_f32 v[54:55], v[60:61], v[58:59] neg_lo:[0,1] neg_hi:[0,1]
	v_add_f32_e32 v50, v65, v64
	v_add_f32_e32 v29, v29, v55
	;; [unrolled: 1-line block ×4, first 2 shown]
	v_sub_f32_e32 v54, v50, v65
	v_mul_f32_e32 v29, v63, v29
	v_sub_f32_e32 v54, v64, v54
	v_add_f32_e32 v29, v54, v29
	v_add_f32_e32 v54, v50, v29
	v_cvt_f32_i32_e32 v56, v62
	v_mul_f32_e32 v57, v54, v54
	v_mov_b32_e32 v55, 0x3ecc95a3
	v_fmac_f32_e32 v55, 0x3e9b6dac, v57
	v_fmaak_f32 v55, v57, v55, 0x3f2aaada
	v_sub_f32_e32 v50, v54, v50
	v_ldexp_f32 v59, v54, 1
	v_mul_f32_e32 v57, v54, v57
	v_mov_b32_e32 v54, 0x3f317218
	v_pk_mul_f32 v[54:55], v[56:57], v[54:55]
	v_sub_f32_e32 v29, v29, v50
	v_fma_f32 v50, v56, s5, -v54
	v_fmamk_f32 v58, v56, 0xb102e308, v50
	v_pk_add_f32 v[56:57], v[54:55], v[58:59]
	v_ldexp_f32 v29, v29, 1
	v_sub_f32_e32 v50, v57, v59
	v_sub_f32_e32 v50, v55, v50
	v_add_f32_e32 v61, v29, v50
	v_mov_b32_e32 v60, v54
	v_pk_add_f32 v[54:55], v[56:57], v[54:55] neg_lo:[0,1] neg_hi:[0,1]
	v_pk_add_f32 v[62:63], v[56:57], v[60:61]
	v_mov_b32_e32 v59, v56
	v_mov_b32_e32 v55, v63
	v_pk_add_f32 v[64:65], v[58:59], v[54:55] neg_lo:[0,1] neg_hi:[0,1]
	v_pk_add_f32 v[54:55], v[58:59], v[54:55]
	s_mov_b32 s5, 0x33800000
	v_mov_b32_e32 v50, v55
	v_pk_add_f32 v[58:59], v[50:51], v[56:57] neg_lo:[0,1] neg_hi:[0,1]
	v_mov_b32_e32 v54, v63
	v_mov_b32_e32 v29, v58
	v_pk_add_f32 v[66:67], v[62:63], v[28:29] neg_lo:[0,1] neg_hi:[0,1]
	v_mov_b32_e32 v62, v57
	v_mov_b32_e32 v63, v58
	;; [unrolled: 1-line block ×3, first 2 shown]
	v_pk_add_f32 v[54:55], v[54:55], v[62:63] neg_lo:[0,1] neg_hi:[0,1]
	v_mov_b32_e32 v58, v61
	v_mov_b32_e32 v59, v56
	v_pk_add_f32 v[54:55], v[58:59], v[54:55] neg_lo:[0,1] neg_hi:[0,1]
	v_mov_b32_e32 v66, v64
	v_pk_add_f32 v[56:57], v[66:67], v[54:55]
	v_cmp_lt_f32_e64 s[48:49], |v49|, s5
	v_mov_b32_e32 v58, v57
	v_pk_add_f32 v[58:59], v[56:57], v[58:59]
	s_or_b64 s[92:93], s[92:93], s[48:49]
	v_pk_add_f32 v[60:61], v[50:51], v[58:59]
	v_mov_b32_e32 v55, v58
	v_mov_b32_e32 v57, v60
	v_pk_add_f32 v[62:63], v[56:57], v[64:65] neg_lo:[0,1] neg_hi:[0,1]
	s_nop 0
	v_sub_f32_e32 v29, v56, v62
	v_pk_add_f32 v[54:55], v[54:55], v[62:63] neg_lo:[0,1] neg_hi:[0,1]
	v_sub_f32_e32 v29, v64, v29
	v_add_f32_e32 v29, v54, v29
	v_add_f32_e32 v29, v29, v55
	;; [unrolled: 1-line block ×3, first 2 shown]
	v_cndmask_b32_e64 v29, v29, v49, s[92:93]
	v_add_f32_e32 v54, v28, v29
.LBB111_90:
	s_or_b64 exec, exec, s[2:3]
	v_max_f32_e32 v28, v54, v54
	v_max_f32_e32 v49, v8, v8
	v_min_f32_e32 v29, v28, v49
	v_cmp_u_f32_e64 s[94:95], v54, v54
	v_max_f32_e32 v28, v28, v49
	v_cmp_u_f32_e64 s[92:93], v8, v8
	v_cndmask_b32_e64 v29, v29, v54, s[94:95]
	v_cndmask_b32_e64 v28, v28, v54, s[94:95]
	;; [unrolled: 1-line block ×4, first 2 shown]
	v_cmp_neq_f32_e64 s[94:95], v29, v28
	v_cmp_class_f32_e64 s[2:3], v29, s4
	s_or_b64 s[4:5], s[94:95], s[2:3]
	s_and_saveexec_b64 s[2:3], s[4:5]
	s_cbranch_execz .LBB111_92
; %bb.91:
	v_sub_f32_e32 v29, v29, v28
	s_mov_b32 s4, 0x3fb8aa3b
	v_mul_f32_e32 v50, 0x3fb8aa3b, v29
	v_fma_f32 v54, v29, s4, -v50
	v_rndne_f32_e32 v55, v50
	v_fmamk_f32 v54, v29, 0x32a5705f, v54
	v_sub_f32_e32 v50, v50, v55
	v_add_f32_e32 v50, v50, v54
	v_exp_f32_e32 v50, v50
	v_cvt_i32_f32_e32 v54, v55
	s_mov_b32 s4, 0xc2ce8ed0
	v_cmp_ngt_f32_e64 s[94:95], s4, v29
	s_mov_b32 s4, 0x42b17218
	v_ldexp_f32 v50, v50, v54
	v_cndmask_b32_e64 v50, 0, v50, s[94:95]
	v_mov_b32_e32 v54, 0x7f800000
	v_cmp_nlt_f32_e64 s[94:95], s4, v29
	s_mov_b32 s4, 0x3f2aaaab
	s_mov_b32 s5, 0x7f800000
	v_cndmask_b32_e64 v68, v54, v50, s[94:95]
	v_add_f32_e32 v29, 1.0, v68
	v_add_f32_e32 v50, -1.0, v29
	v_sub_f32_e32 v54, v50, v29
	v_add_f32_e32 v54, 1.0, v54
	v_sub_f32_e32 v50, v68, v50
	v_add_f32_e32 v50, v50, v54
	v_frexp_mant_f32_e32 v56, v29
	v_cvt_f64_f32_e32 v[54:55], v29
	v_frexp_exp_i32_f64_e32 v54, v[54:55]
	v_cmp_gt_f32_e64 s[94:95], s4, v56
	s_mov_b32 s4, 0x3f317218
	s_nop 0
	v_subbrev_co_u32_e64 v62, s[94:95], 0, v54, s[94:95]
	v_sub_u32_e32 v54, 0, v62
	v_ldexp_f32 v29, v29, v54
	v_ldexp_f32 v50, v50, v54
	v_add_f32_e32 v54, -1.0, v29
	v_add_f32_e32 v55, 1.0, v54
	v_sub_f32_e32 v55, v29, v55
	v_add_f32_e32 v56, v50, v55
	v_add_f32_e32 v55, 1.0, v29
	v_add_f32_e32 v57, -1.0, v55
	v_sub_f32_e32 v29, v29, v57
	v_add_f32_e32 v29, v50, v29
	v_add_f32_e32 v50, v55, v29
	v_rcp_f32_e32 v63, v50
	v_sub_f32_e32 v55, v55, v50
	v_add_f32_e32 v29, v29, v55
	v_add_f32_e32 v55, v54, v56
	v_sub_f32_e32 v54, v54, v55
	v_mul_f32_e32 v65, v55, v63
	v_add_f32_e32 v64, v56, v54
	v_mul_f32_e32 v56, v50, v65
	v_fma_f32 v58, v65, v50, -v56
	v_fmac_f32_e32 v58, v65, v29
	v_add_f32_e32 v54, v56, v58
	v_sub_f32_e32 v57, v55, v54
	v_pk_add_f32 v[60:61], v[54:55], v[56:57] neg_lo:[0,1] neg_hi:[0,1]
	v_mov_b32_e32 v59, v54
	v_pk_add_f32 v[54:55], v[60:61], v[58:59] neg_lo:[0,1] neg_hi:[0,1]
	v_cmp_eq_f32_e64 s[94:95], s5, v68
	v_add_f32_e32 v55, v64, v55
	v_add_f32_e32 v54, v54, v55
	;; [unrolled: 1-line block ×3, first 2 shown]
	v_mul_f32_e32 v64, v63, v55
	v_mul_f32_e32 v56, v50, v64
	v_fma_f32 v58, v64, v50, -v56
	v_fmac_f32_e32 v58, v64, v29
	v_sub_f32_e32 v29, v57, v55
	v_add_f32_e32 v29, v54, v29
	v_add_f32_e32 v54, v56, v58
	v_sub_f32_e32 v57, v55, v54
	v_pk_add_f32 v[60:61], v[54:55], v[56:57] neg_lo:[0,1] neg_hi:[0,1]
	v_mov_b32_e32 v59, v54
	v_pk_add_f32 v[54:55], v[60:61], v[58:59] neg_lo:[0,1] neg_hi:[0,1]
	v_add_f32_e32 v50, v65, v64
	v_add_f32_e32 v29, v29, v55
	;; [unrolled: 1-line block ×4, first 2 shown]
	v_sub_f32_e32 v54, v50, v65
	v_mul_f32_e32 v29, v63, v29
	v_sub_f32_e32 v54, v64, v54
	v_add_f32_e32 v29, v54, v29
	v_add_f32_e32 v54, v50, v29
	v_cvt_f32_i32_e32 v56, v62
	v_mul_f32_e32 v57, v54, v54
	v_mov_b32_e32 v55, 0x3ecc95a3
	v_fmac_f32_e32 v55, 0x3e9b6dac, v57
	v_fmaak_f32 v55, v57, v55, 0x3f2aaada
	v_sub_f32_e32 v50, v54, v50
	v_ldexp_f32 v59, v54, 1
	v_mul_f32_e32 v57, v54, v57
	v_mov_b32_e32 v54, 0x3f317218
	v_pk_mul_f32 v[54:55], v[56:57], v[54:55]
	v_sub_f32_e32 v29, v29, v50
	v_fma_f32 v50, v56, s4, -v54
	v_fmamk_f32 v58, v56, 0xb102e308, v50
	v_pk_add_f32 v[56:57], v[54:55], v[58:59]
	v_ldexp_f32 v29, v29, 1
	v_sub_f32_e32 v50, v57, v59
	v_sub_f32_e32 v50, v55, v50
	v_add_f32_e32 v61, v29, v50
	v_mov_b32_e32 v60, v54
	v_pk_add_f32 v[54:55], v[56:57], v[54:55] neg_lo:[0,1] neg_hi:[0,1]
	v_pk_add_f32 v[62:63], v[56:57], v[60:61]
	v_mov_b32_e32 v59, v56
	v_mov_b32_e32 v55, v63
	v_pk_add_f32 v[64:65], v[58:59], v[54:55] neg_lo:[0,1] neg_hi:[0,1]
	v_pk_add_f32 v[54:55], v[58:59], v[54:55]
	s_mov_b32 s4, 0x33800000
	v_mov_b32_e32 v50, v55
	v_pk_add_f32 v[58:59], v[50:51], v[56:57] neg_lo:[0,1] neg_hi:[0,1]
	v_mov_b32_e32 v54, v63
	v_mov_b32_e32 v29, v58
	v_pk_add_f32 v[66:67], v[62:63], v[28:29] neg_lo:[0,1] neg_hi:[0,1]
	v_mov_b32_e32 v62, v57
	v_mov_b32_e32 v63, v58
	;; [unrolled: 1-line block ×3, first 2 shown]
	v_pk_add_f32 v[54:55], v[54:55], v[62:63] neg_lo:[0,1] neg_hi:[0,1]
	v_mov_b32_e32 v58, v61
	v_mov_b32_e32 v59, v56
	v_pk_add_f32 v[54:55], v[58:59], v[54:55] neg_lo:[0,1] neg_hi:[0,1]
	v_mov_b32_e32 v66, v64
	v_pk_add_f32 v[56:57], v[66:67], v[54:55]
	v_cmp_lt_f32_e64 s[4:5], |v68|, s4
	v_mov_b32_e32 v58, v57
	v_pk_add_f32 v[58:59], v[56:57], v[58:59]
	s_or_b64 s[94:95], s[94:95], s[4:5]
	v_pk_add_f32 v[60:61], v[50:51], v[58:59]
	v_mov_b32_e32 v55, v58
	v_mov_b32_e32 v57, v60
	v_pk_add_f32 v[62:63], v[56:57], v[64:65] neg_lo:[0,1] neg_hi:[0,1]
	s_nop 0
	v_sub_f32_e32 v29, v56, v62
	v_pk_add_f32 v[54:55], v[54:55], v[62:63] neg_lo:[0,1] neg_hi:[0,1]
	v_sub_f32_e32 v29, v64, v29
	v_add_f32_e32 v29, v54, v29
	v_add_f32_e32 v29, v29, v55
	;; [unrolled: 1-line block ×3, first 2 shown]
	v_cndmask_b32_e64 v29, v29, v68, s[94:95]
	v_add_f32_e32 v54, v28, v29
.LBB111_92:
	s_or_b64 exec, exec, s[2:3]
	v_max_f32_e32 v28, v54, v54
	v_max_f32_e32 v50, v9, v9
	v_min_f32_e32 v29, v28, v50
	v_cmp_u_f32_e64 s[98:99], v54, v54
	v_max_f32_e32 v28, v28, v50
	v_cmp_u_f32_e64 s[94:95], v9, v9
	v_cndmask_b32_e64 v29, v29, v54, s[98:99]
	v_cndmask_b32_e64 v28, v28, v54, s[98:99]
	;; [unrolled: 1-line block ×4, first 2 shown]
	s_movk_i32 s2, 0x1f8
	v_cmp_neq_f32_e64 s[98:99], v29, v28
	v_cmp_class_f32_e64 s[2:3], v29, s2
	s_or_b64 s[4:5], s[98:99], s[2:3]
	s_and_saveexec_b64 s[2:3], s[4:5]
	s_cbranch_execz .LBB111_94
; %bb.93:
	v_sub_f32_e32 v29, v29, v28
	s_mov_b32 s4, 0x3fb8aa3b
	v_mul_f32_e32 v54, 0x3fb8aa3b, v29
	v_fma_f32 v55, v29, s4, -v54
	v_rndne_f32_e32 v56, v54
	v_fmamk_f32 v55, v29, 0x32a5705f, v55
	v_sub_f32_e32 v54, v54, v56
	v_add_f32_e32 v54, v54, v55
	v_exp_f32_e32 v54, v54
	v_cvt_i32_f32_e32 v55, v56
	s_mov_b32 s4, 0xc2ce8ed0
	v_cmp_ngt_f32_e64 s[98:99], s4, v29
	s_mov_b32 s4, 0x42b17218
	v_ldexp_f32 v54, v54, v55
	v_cndmask_b32_e64 v54, 0, v54, s[98:99]
	v_mov_b32_e32 v55, 0x7f800000
	v_cmp_nlt_f32_e64 s[98:99], s4, v29
	s_mov_b32 s4, 0x3f2aaaab
	s_mov_b32 s5, 0x7f800000
	v_cndmask_b32_e64 v70, v55, v54, s[98:99]
	v_add_f32_e32 v29, 1.0, v70
	v_add_f32_e32 v54, -1.0, v29
	v_sub_f32_e32 v55, v54, v29
	v_add_f32_e32 v55, 1.0, v55
	v_sub_f32_e32 v54, v70, v54
	v_add_f32_e32 v56, v54, v55
	v_frexp_mant_f32_e32 v57, v29
	v_cvt_f64_f32_e32 v[54:55], v29
	v_frexp_exp_i32_f64_e32 v54, v[54:55]
	v_cmp_gt_f32_e64 s[98:99], s4, v57
	s_mov_b32 s4, 0x3f317218
	s_nop 0
	v_subbrev_co_u32_e64 v62, s[98:99], 0, v54, s[98:99]
	v_sub_u32_e32 v54, 0, v62
	v_ldexp_f32 v29, v29, v54
	v_ldexp_f32 v54, v56, v54
	v_add_f32_e32 v56, -1.0, v29
	v_add_f32_e32 v55, 1.0, v56
	v_sub_f32_e32 v55, v29, v55
	v_add_f32_e32 v57, v54, v55
	v_add_f32_e32 v55, 1.0, v29
	v_add_f32_e32 v58, -1.0, v55
	v_sub_f32_e32 v29, v29, v58
	v_add_f32_e32 v29, v54, v29
	v_add_f32_e32 v63, v55, v29
	v_rcp_f32_e32 v64, v63
	v_sub_f32_e32 v54, v55, v63
	v_add_f32_e32 v55, v56, v57
	v_add_f32_e32 v29, v29, v54
	v_mul_f32_e32 v66, v55, v64
	v_sub_f32_e32 v54, v56, v55
	v_mul_f32_e32 v56, v63, v66
	v_fma_f32 v58, v66, v63, -v56
	v_fmac_f32_e32 v58, v66, v29
	v_add_f32_e32 v65, v57, v54
	v_add_f32_e32 v54, v56, v58
	v_sub_f32_e32 v57, v55, v54
	v_pk_add_f32 v[60:61], v[54:55], v[56:57] neg_lo:[0,1] neg_hi:[0,1]
	v_mov_b32_e32 v59, v54
	v_pk_add_f32 v[54:55], v[60:61], v[58:59] neg_lo:[0,1] neg_hi:[0,1]
	v_cmp_eq_f32_e64 s[98:99], s5, v70
	v_add_f32_e32 v55, v65, v55
	v_add_f32_e32 v54, v54, v55
	;; [unrolled: 1-line block ×3, first 2 shown]
	v_mul_f32_e32 v65, v64, v55
	v_mul_f32_e32 v56, v63, v65
	v_fma_f32 v58, v65, v63, -v56
	v_fmac_f32_e32 v58, v65, v29
	v_sub_f32_e32 v29, v57, v55
	v_add_f32_e32 v29, v54, v29
	v_add_f32_e32 v54, v56, v58
	v_sub_f32_e32 v57, v55, v54
	v_pk_add_f32 v[60:61], v[54:55], v[56:57] neg_lo:[0,1] neg_hi:[0,1]
	v_mov_b32_e32 v59, v54
	v_pk_add_f32 v[54:55], v[60:61], v[58:59] neg_lo:[0,1] neg_hi:[0,1]
	v_cvt_f32_i32_e32 v56, v62
	v_add_f32_e32 v29, v29, v55
	v_add_f32_e32 v29, v54, v29
	;; [unrolled: 1-line block ×4, first 2 shown]
	v_sub_f32_e32 v55, v54, v66
	v_mul_f32_e32 v29, v64, v29
	v_sub_f32_e32 v55, v65, v55
	v_add_f32_e32 v29, v55, v29
	v_add_f32_e32 v57, v54, v29
	v_mul_f32_e32 v58, v57, v57
	v_mov_b32_e32 v55, 0x3ecc95a3
	v_fmac_f32_e32 v55, 0x3e9b6dac, v58
	v_sub_f32_e32 v54, v57, v54
	v_fmaak_f32 v55, v58, v55, 0x3f2aaada
	v_sub_f32_e32 v29, v29, v54
	v_ldexp_f32 v59, v57, 1
	v_mul_f32_e32 v57, v57, v58
	v_mov_b32_e32 v54, 0x3f317218
	v_pk_mul_f32 v[54:55], v[56:57], v[54:55]
	v_ldexp_f32 v29, v29, 1
	v_fma_f32 v57, v56, s4, -v54
	v_fmamk_f32 v58, v56, 0xb102e308, v57
	v_pk_add_f32 v[56:57], v[54:55], v[58:59]
	v_mov_b32_e32 v60, v54
	v_sub_f32_e32 v59, v57, v59
	v_sub_f32_e32 v59, v55, v59
	v_add_f32_e32 v61, v29, v59
	v_pk_add_f32 v[54:55], v[56:57], v[54:55] neg_lo:[0,1] neg_hi:[0,1]
	v_pk_add_f32 v[62:63], v[56:57], v[60:61]
	v_mov_b32_e32 v59, v56
	v_mov_b32_e32 v55, v63
	v_pk_add_f32 v[64:65], v[58:59], v[54:55] neg_lo:[0,1] neg_hi:[0,1]
	v_pk_add_f32 v[54:55], v[58:59], v[54:55]
	v_mov_b32_e32 v60, v61
	v_mov_b32_e32 v58, v55
	v_pk_add_f32 v[66:67], v[58:59], v[56:57] neg_lo:[0,1] neg_hi:[0,1]
	v_mov_b32_e32 v54, v63
	v_mov_b32_e32 v29, v66
	v_pk_add_f32 v[68:69], v[62:63], v[28:29] neg_lo:[0,1] neg_hi:[0,1]
	v_mov_b32_e32 v62, v57
	v_mov_b32_e32 v63, v66
	v_mov_b32_e32 v65, v55
	v_pk_add_f32 v[54:55], v[54:55], v[62:63] neg_lo:[0,1] neg_hi:[0,1]
	v_mov_b32_e32 v61, v56
	v_pk_add_f32 v[54:55], v[60:61], v[54:55] neg_lo:[0,1] neg_hi:[0,1]
	v_mov_b32_e32 v68, v64
	v_pk_add_f32 v[56:57], v[68:69], v[54:55]
	s_mov_b32 s4, 0x33800000
	v_mov_b32_e32 v60, v57
	v_pk_add_f32 v[60:61], v[56:57], v[60:61]
	v_cmp_lt_f32_e64 s[4:5], |v70|, s4
	v_pk_add_f32 v[58:59], v[58:59], v[60:61]
	v_mov_b32_e32 v55, v60
	v_mov_b32_e32 v57, v58
	v_pk_add_f32 v[62:63], v[56:57], v[64:65] neg_lo:[0,1] neg_hi:[0,1]
	s_or_b64 s[98:99], s[98:99], s[4:5]
	v_sub_f32_e32 v29, v56, v62
	v_pk_add_f32 v[54:55], v[54:55], v[62:63] neg_lo:[0,1] neg_hi:[0,1]
	v_sub_f32_e32 v29, v64, v29
	v_add_f32_e32 v29, v54, v29
	v_add_f32_e32 v29, v29, v55
	;; [unrolled: 1-line block ×3, first 2 shown]
	v_cndmask_b32_e64 v29, v29, v70, s[98:99]
	v_add_f32_e32 v54, v28, v29
.LBB111_94:
	s_or_b64 exec, exec, s[2:3]
	v_lshrrev_b32_e32 v28, 3, v0
	v_and_b32_e32 v29, 28, v28
	v_add_u32_e32 v29, v26, v29
	v_cmp_gt_u32_e64 s[98:99], 64, v0
	ds_write_b32 v29, v54
	s_waitcnt lgkmcnt(0)
	s_barrier
	s_and_saveexec_b64 s[2:3], s[98:99]
	s_cbranch_execz .LBB111_134
; %bb.95:
	v_add_lshl_u32 v55, v28, v26, 2
	ds_read2_b32 v[28:29], v55 offset1:1
	s_movk_i32 s33, 0x1f8
	s_waitcnt lgkmcnt(0)
	v_max_f32_e32 v57, v29, v29
	v_max_f32_e32 v56, v28, v28
	v_cmp_u_f32_e64 s[98:99], v28, v28
	v_min_f32_e32 v58, v56, v57
	v_max_f32_e32 v59, v56, v57
	v_cmp_u_f32_e32 vcc, v29, v29
	v_cndmask_b32_e64 v57, v58, v28, s[98:99]
	v_cndmask_b32_e64 v58, v59, v28, s[98:99]
	v_cndmask_b32_e32 v57, v57, v29, vcc
	v_cndmask_b32_e32 v29, v58, v29, vcc
	v_cmp_neq_f32_e32 vcc, v57, v29
	v_cmp_class_f32_e64 s[4:5], v57, s33
	s_or_b64 s[48:49], vcc, s[4:5]
	v_mov_b32_e32 v58, v28
	s_and_saveexec_b64 s[4:5], s[48:49]
	s_cbranch_execz .LBB111_97
; %bb.96:
	v_sub_f32_e32 v57, v57, v29
	s_mov_b32 s6, 0x3fb8aa3b
	v_mul_f32_e32 v58, 0x3fb8aa3b, v57
	v_fma_f32 v59, v57, s6, -v58
	v_rndne_f32_e32 v60, v58
	v_fmamk_f32 v59, v57, 0x32a5705f, v59
	v_sub_f32_e32 v58, v58, v60
	v_add_f32_e32 v58, v58, v59
	v_exp_f32_e32 v58, v58
	v_cvt_i32_f32_e32 v59, v60
	s_mov_b32 s6, 0xc2ce8ed0
	v_cmp_ngt_f32_e32 vcc, s6, v57
	s_mov_b32 s6, 0x42b17218
	v_ldexp_f32 v58, v58, v59
	v_cndmask_b32_e32 v58, 0, v58, vcc
	v_mov_b32_e32 v59, 0x7f800000
	v_cmp_nlt_f32_e32 vcc, s6, v57
	s_mov_b32 s6, 0x3f2aaaab
	s_mov_b32 s7, 0x7f800000
	v_cndmask_b32_e32 v74, v59, v58, vcc
	v_add_f32_e32 v57, 1.0, v74
	v_add_f32_e32 v58, -1.0, v57
	v_sub_f32_e32 v59, v58, v57
	v_add_f32_e32 v59, 1.0, v59
	v_sub_f32_e32 v58, v74, v58
	v_add_f32_e32 v60, v58, v59
	v_frexp_mant_f32_e32 v61, v57
	v_cvt_f64_f32_e32 v[58:59], v57
	v_frexp_exp_i32_f64_e32 v58, v[58:59]
	v_cmp_gt_f32_e32 vcc, s6, v61
	s_mov_b32 s6, 0x3f317218
	s_nop 0
	v_subbrev_co_u32_e32 v66, vcc, 0, v58, vcc
	v_sub_u32_e32 v58, 0, v66
	v_ldexp_f32 v57, v57, v58
	v_ldexp_f32 v58, v60, v58
	v_add_f32_e32 v60, -1.0, v57
	v_add_f32_e32 v59, 1.0, v60
	v_sub_f32_e32 v59, v57, v59
	v_add_f32_e32 v61, v58, v59
	v_add_f32_e32 v59, 1.0, v57
	v_add_f32_e32 v62, -1.0, v59
	v_sub_f32_e32 v57, v57, v62
	v_add_f32_e32 v57, v58, v57
	v_add_f32_e32 v67, v59, v57
	v_rcp_f32_e32 v68, v67
	v_sub_f32_e32 v58, v59, v67
	v_add_f32_e32 v59, v60, v61
	v_add_f32_e32 v57, v57, v58
	v_mul_f32_e32 v70, v59, v68
	v_sub_f32_e32 v58, v60, v59
	v_mul_f32_e32 v60, v67, v70
	v_fma_f32 v62, v70, v67, -v60
	v_fmac_f32_e32 v62, v70, v57
	v_add_f32_e32 v69, v61, v58
	v_add_f32_e32 v58, v60, v62
	v_sub_f32_e32 v61, v59, v58
	v_pk_add_f32 v[64:65], v[58:59], v[60:61] neg_lo:[0,1] neg_hi:[0,1]
	v_mov_b32_e32 v63, v58
	v_pk_add_f32 v[58:59], v[64:65], v[62:63] neg_lo:[0,1] neg_hi:[0,1]
	v_cmp_eq_f32_e32 vcc, s7, v74
	v_add_f32_e32 v59, v69, v59
	v_add_f32_e32 v58, v58, v59
	;; [unrolled: 1-line block ×3, first 2 shown]
	v_mul_f32_e32 v69, v68, v59
	v_mul_f32_e32 v60, v67, v69
	v_fma_f32 v62, v69, v67, -v60
	v_fmac_f32_e32 v62, v69, v57
	v_sub_f32_e32 v57, v61, v59
	v_add_f32_e32 v57, v58, v57
	v_add_f32_e32 v58, v60, v62
	v_sub_f32_e32 v61, v59, v58
	v_pk_add_f32 v[64:65], v[58:59], v[60:61] neg_lo:[0,1] neg_hi:[0,1]
	v_mov_b32_e32 v63, v58
	v_pk_add_f32 v[58:59], v[64:65], v[62:63] neg_lo:[0,1] neg_hi:[0,1]
	v_cvt_f32_i32_e32 v60, v66
	v_add_f32_e32 v57, v57, v59
	v_add_f32_e32 v57, v58, v57
	v_add_f32_e32 v58, v70, v69
	v_add_f32_e32 v57, v61, v57
	v_sub_f32_e32 v59, v58, v70
	v_mul_f32_e32 v57, v68, v57
	v_sub_f32_e32 v59, v69, v59
	v_add_f32_e32 v57, v59, v57
	v_add_f32_e32 v61, v58, v57
	v_mul_f32_e32 v62, v61, v61
	v_mov_b32_e32 v59, 0x3ecc95a3
	v_fmac_f32_e32 v59, 0x3e9b6dac, v62
	v_sub_f32_e32 v58, v61, v58
	v_fmaak_f32 v59, v62, v59, 0x3f2aaada
	v_sub_f32_e32 v57, v57, v58
	v_ldexp_f32 v63, v61, 1
	v_mul_f32_e32 v61, v61, v62
	v_mov_b32_e32 v58, 0x3f317218
	v_pk_mul_f32 v[58:59], v[60:61], v[58:59]
	v_ldexp_f32 v57, v57, 1
	v_fma_f32 v61, v60, s6, -v58
	v_fmamk_f32 v62, v60, 0xb102e308, v61
	v_pk_add_f32 v[60:61], v[58:59], v[62:63]
	v_mov_b32_e32 v64, v58
	v_sub_f32_e32 v63, v61, v63
	v_sub_f32_e32 v63, v59, v63
	v_add_f32_e32 v65, v57, v63
	v_pk_add_f32 v[58:59], v[60:61], v[58:59] neg_lo:[0,1] neg_hi:[0,1]
	v_pk_add_f32 v[66:67], v[60:61], v[64:65]
	v_mov_b32_e32 v63, v60
	v_mov_b32_e32 v59, v67
	v_pk_add_f32 v[68:69], v[62:63], v[58:59] neg_lo:[0,1] neg_hi:[0,1]
	v_pk_add_f32 v[58:59], v[62:63], v[58:59]
	v_mov_b32_e32 v64, v65
	v_mov_b32_e32 v62, v59
	v_pk_add_f32 v[70:71], v[62:63], v[60:61] neg_lo:[0,1] neg_hi:[0,1]
	v_mov_b32_e32 v58, v67
	v_mov_b32_e32 v57, v70
	v_pk_add_f32 v[72:73], v[66:67], v[56:57] neg_lo:[0,1] neg_hi:[0,1]
	v_mov_b32_e32 v66, v61
	v_mov_b32_e32 v67, v70
	;; [unrolled: 1-line block ×3, first 2 shown]
	v_pk_add_f32 v[58:59], v[58:59], v[66:67] neg_lo:[0,1] neg_hi:[0,1]
	v_mov_b32_e32 v65, v60
	v_pk_add_f32 v[58:59], v[64:65], v[58:59] neg_lo:[0,1] neg_hi:[0,1]
	v_mov_b32_e32 v72, v68
	v_pk_add_f32 v[60:61], v[72:73], v[58:59]
	s_mov_b32 s6, 0x33800000
	v_mov_b32_e32 v64, v61
	v_pk_add_f32 v[64:65], v[60:61], v[64:65]
	v_cmp_lt_f32_e64 s[6:7], |v74|, s6
	v_pk_add_f32 v[62:63], v[62:63], v[64:65]
	v_mov_b32_e32 v59, v64
	v_mov_b32_e32 v61, v62
	v_pk_add_f32 v[66:67], v[60:61], v[68:69] neg_lo:[0,1] neg_hi:[0,1]
	s_or_b64 vcc, vcc, s[6:7]
	v_sub_f32_e32 v57, v60, v66
	v_pk_add_f32 v[58:59], v[58:59], v[66:67] neg_lo:[0,1] neg_hi:[0,1]
	v_sub_f32_e32 v57, v68, v57
	v_add_f32_e32 v57, v58, v57
	v_add_f32_e32 v57, v57, v59
	;; [unrolled: 1-line block ×3, first 2 shown]
	v_cndmask_b32_e32 v57, v57, v74, vcc
	v_add_f32_e32 v58, v29, v57
.LBB111_97:
	s_or_b64 exec, exec, s[4:5]
	ds_read_b32 v29, v55 offset:8
	v_max_f32_e32 v57, v58, v58
	v_cmp_u_f32_e32 vcc, v58, v58
	s_waitcnt lgkmcnt(0)
	v_max_f32_e32 v59, v29, v29
	v_min_f32_e32 v60, v57, v59
	v_max_f32_e32 v59, v57, v59
	v_cmp_u_f32_e64 s[48:49], v29, v29
	v_cndmask_b32_e32 v57, v60, v58, vcc
	v_cndmask_b32_e32 v59, v59, v58, vcc
	v_cndmask_b32_e64 v57, v57, v29, s[48:49]
	v_cndmask_b32_e64 v29, v59, v29, s[48:49]
	v_cmp_neq_f32_e32 vcc, v57, v29
	v_cmp_class_f32_e64 s[4:5], v57, s33
	s_or_b64 s[6:7], vcc, s[4:5]
	s_and_saveexec_b64 s[4:5], s[6:7]
	s_cbranch_execz .LBB111_99
; %bb.98:
	v_sub_f32_e32 v57, v57, v29
	s_mov_b32 s6, 0x3fb8aa3b
	v_mul_f32_e32 v58, 0x3fb8aa3b, v57
	v_fma_f32 v59, v57, s6, -v58
	v_rndne_f32_e32 v60, v58
	v_fmamk_f32 v59, v57, 0x32a5705f, v59
	v_sub_f32_e32 v58, v58, v60
	v_add_f32_e32 v58, v58, v59
	v_exp_f32_e32 v58, v58
	v_cvt_i32_f32_e32 v59, v60
	s_mov_b32 s6, 0xc2ce8ed0
	v_cmp_ngt_f32_e32 vcc, s6, v57
	s_mov_b32 s6, 0x42b17218
	v_ldexp_f32 v58, v58, v59
	v_cndmask_b32_e32 v58, 0, v58, vcc
	v_mov_b32_e32 v59, 0x7f800000
	v_cmp_nlt_f32_e32 vcc, s6, v57
	s_mov_b32 s6, 0x3f2aaaab
	s_mov_b32 s7, 0x7f800000
	v_cndmask_b32_e32 v74, v59, v58, vcc
	v_add_f32_e32 v57, 1.0, v74
	v_add_f32_e32 v58, -1.0, v57
	v_sub_f32_e32 v59, v58, v57
	v_add_f32_e32 v59, 1.0, v59
	v_sub_f32_e32 v58, v74, v58
	v_add_f32_e32 v60, v58, v59
	v_frexp_mant_f32_e32 v61, v57
	v_cvt_f64_f32_e32 v[58:59], v57
	v_frexp_exp_i32_f64_e32 v58, v[58:59]
	v_cmp_gt_f32_e32 vcc, s6, v61
	s_mov_b32 s6, 0x3f317218
	s_nop 0
	v_subbrev_co_u32_e32 v66, vcc, 0, v58, vcc
	v_sub_u32_e32 v58, 0, v66
	v_ldexp_f32 v57, v57, v58
	v_ldexp_f32 v58, v60, v58
	v_add_f32_e32 v60, -1.0, v57
	v_add_f32_e32 v59, 1.0, v60
	v_sub_f32_e32 v59, v57, v59
	v_add_f32_e32 v61, v58, v59
	v_add_f32_e32 v59, 1.0, v57
	v_add_f32_e32 v62, -1.0, v59
	v_sub_f32_e32 v57, v57, v62
	v_add_f32_e32 v57, v58, v57
	v_add_f32_e32 v67, v59, v57
	v_rcp_f32_e32 v68, v67
	v_sub_f32_e32 v58, v59, v67
	v_add_f32_e32 v59, v60, v61
	v_add_f32_e32 v57, v57, v58
	v_mul_f32_e32 v70, v59, v68
	v_sub_f32_e32 v58, v60, v59
	v_mul_f32_e32 v60, v67, v70
	v_fma_f32 v62, v70, v67, -v60
	v_fmac_f32_e32 v62, v70, v57
	v_add_f32_e32 v69, v61, v58
	v_add_f32_e32 v58, v60, v62
	v_sub_f32_e32 v61, v59, v58
	v_pk_add_f32 v[64:65], v[58:59], v[60:61] neg_lo:[0,1] neg_hi:[0,1]
	v_mov_b32_e32 v63, v58
	v_pk_add_f32 v[58:59], v[64:65], v[62:63] neg_lo:[0,1] neg_hi:[0,1]
	v_cmp_eq_f32_e32 vcc, s7, v74
	v_add_f32_e32 v59, v69, v59
	v_add_f32_e32 v58, v58, v59
	;; [unrolled: 1-line block ×3, first 2 shown]
	v_mul_f32_e32 v69, v68, v59
	v_mul_f32_e32 v60, v67, v69
	v_fma_f32 v62, v69, v67, -v60
	v_fmac_f32_e32 v62, v69, v57
	v_sub_f32_e32 v57, v61, v59
	v_add_f32_e32 v57, v58, v57
	v_add_f32_e32 v58, v60, v62
	v_sub_f32_e32 v61, v59, v58
	v_pk_add_f32 v[64:65], v[58:59], v[60:61] neg_lo:[0,1] neg_hi:[0,1]
	v_mov_b32_e32 v63, v58
	v_pk_add_f32 v[58:59], v[64:65], v[62:63] neg_lo:[0,1] neg_hi:[0,1]
	v_cvt_f32_i32_e32 v60, v66
	v_add_f32_e32 v57, v57, v59
	v_add_f32_e32 v57, v58, v57
	;; [unrolled: 1-line block ×4, first 2 shown]
	v_sub_f32_e32 v59, v58, v70
	v_mul_f32_e32 v57, v68, v57
	v_sub_f32_e32 v59, v69, v59
	v_add_f32_e32 v57, v59, v57
	v_add_f32_e32 v61, v58, v57
	v_mul_f32_e32 v62, v61, v61
	v_mov_b32_e32 v59, 0x3ecc95a3
	v_fmac_f32_e32 v59, 0x3e9b6dac, v62
	v_sub_f32_e32 v58, v61, v58
	v_fmaak_f32 v59, v62, v59, 0x3f2aaada
	v_sub_f32_e32 v57, v57, v58
	v_ldexp_f32 v63, v61, 1
	v_mul_f32_e32 v61, v61, v62
	v_mov_b32_e32 v58, 0x3f317218
	v_pk_mul_f32 v[58:59], v[60:61], v[58:59]
	v_ldexp_f32 v57, v57, 1
	v_fma_f32 v61, v60, s6, -v58
	v_fmamk_f32 v62, v60, 0xb102e308, v61
	v_pk_add_f32 v[60:61], v[58:59], v[62:63]
	v_mov_b32_e32 v64, v58
	v_sub_f32_e32 v63, v61, v63
	v_sub_f32_e32 v63, v59, v63
	v_add_f32_e32 v65, v57, v63
	v_pk_add_f32 v[58:59], v[60:61], v[58:59] neg_lo:[0,1] neg_hi:[0,1]
	v_pk_add_f32 v[66:67], v[60:61], v[64:65]
	v_mov_b32_e32 v63, v60
	v_mov_b32_e32 v59, v67
	v_pk_add_f32 v[68:69], v[62:63], v[58:59] neg_lo:[0,1] neg_hi:[0,1]
	v_pk_add_f32 v[58:59], v[62:63], v[58:59]
	v_mov_b32_e32 v64, v65
	v_mov_b32_e32 v62, v59
	v_pk_add_f32 v[70:71], v[62:63], v[60:61] neg_lo:[0,1] neg_hi:[0,1]
	v_mov_b32_e32 v58, v67
	v_mov_b32_e32 v57, v70
	v_pk_add_f32 v[72:73], v[66:67], v[56:57] neg_lo:[0,1] neg_hi:[0,1]
	v_mov_b32_e32 v66, v61
	v_mov_b32_e32 v67, v70
	v_mov_b32_e32 v69, v59
	v_pk_add_f32 v[58:59], v[58:59], v[66:67] neg_lo:[0,1] neg_hi:[0,1]
	v_mov_b32_e32 v65, v60
	v_pk_add_f32 v[58:59], v[64:65], v[58:59] neg_lo:[0,1] neg_hi:[0,1]
	v_mov_b32_e32 v72, v68
	v_pk_add_f32 v[60:61], v[72:73], v[58:59]
	s_mov_b32 s6, 0x33800000
	v_mov_b32_e32 v64, v61
	v_pk_add_f32 v[64:65], v[60:61], v[64:65]
	v_cmp_lt_f32_e64 s[6:7], |v74|, s6
	v_pk_add_f32 v[62:63], v[62:63], v[64:65]
	v_mov_b32_e32 v59, v64
	v_mov_b32_e32 v61, v62
	v_pk_add_f32 v[66:67], v[60:61], v[68:69] neg_lo:[0,1] neg_hi:[0,1]
	s_or_b64 vcc, vcc, s[6:7]
	v_sub_f32_e32 v57, v60, v66
	v_pk_add_f32 v[58:59], v[58:59], v[66:67] neg_lo:[0,1] neg_hi:[0,1]
	v_sub_f32_e32 v57, v68, v57
	v_add_f32_e32 v57, v58, v57
	v_add_f32_e32 v57, v57, v59
	;; [unrolled: 1-line block ×3, first 2 shown]
	v_cndmask_b32_e32 v57, v57, v74, vcc
	v_add_f32_e32 v58, v29, v57
.LBB111_99:
	s_or_b64 exec, exec, s[4:5]
	ds_read_b32 v29, v55 offset:12
	v_max_f32_e32 v57, v58, v58
	v_cmp_u_f32_e32 vcc, v58, v58
	s_movk_i32 s4, 0x1f8
	s_waitcnt lgkmcnt(0)
	v_max_f32_e32 v59, v29, v29
	v_min_f32_e32 v60, v57, v59
	v_max_f32_e32 v59, v57, v59
	v_cmp_u_f32_e64 s[48:49], v29, v29
	v_cndmask_b32_e32 v57, v60, v58, vcc
	v_cndmask_b32_e32 v59, v59, v58, vcc
	v_cndmask_b32_e64 v57, v57, v29, s[48:49]
	v_cndmask_b32_e64 v29, v59, v29, s[48:49]
	v_cmp_neq_f32_e32 vcc, v57, v29
	v_cmp_class_f32_e64 s[4:5], v57, s4
	s_or_b64 s[6:7], vcc, s[4:5]
	s_and_saveexec_b64 s[4:5], s[6:7]
	s_cbranch_execz .LBB111_101
; %bb.100:
	v_sub_f32_e32 v57, v57, v29
	s_mov_b32 s6, 0x3fb8aa3b
	v_mul_f32_e32 v58, 0x3fb8aa3b, v57
	v_fma_f32 v59, v57, s6, -v58
	v_rndne_f32_e32 v60, v58
	v_fmamk_f32 v59, v57, 0x32a5705f, v59
	v_sub_f32_e32 v58, v58, v60
	v_add_f32_e32 v58, v58, v59
	v_exp_f32_e32 v58, v58
	v_cvt_i32_f32_e32 v59, v60
	s_mov_b32 s6, 0xc2ce8ed0
	v_cmp_ngt_f32_e32 vcc, s6, v57
	s_mov_b32 s6, 0x42b17218
	v_ldexp_f32 v58, v58, v59
	v_cndmask_b32_e32 v58, 0, v58, vcc
	v_mov_b32_e32 v59, 0x7f800000
	v_cmp_nlt_f32_e32 vcc, s6, v57
	s_mov_b32 s6, 0x3f2aaaab
	s_mov_b32 s7, 0x7f800000
	v_cndmask_b32_e32 v74, v59, v58, vcc
	v_add_f32_e32 v57, 1.0, v74
	v_add_f32_e32 v58, -1.0, v57
	v_sub_f32_e32 v59, v58, v57
	v_add_f32_e32 v59, 1.0, v59
	v_sub_f32_e32 v58, v74, v58
	v_add_f32_e32 v60, v58, v59
	v_frexp_mant_f32_e32 v61, v57
	v_cvt_f64_f32_e32 v[58:59], v57
	v_frexp_exp_i32_f64_e32 v58, v[58:59]
	v_cmp_gt_f32_e32 vcc, s6, v61
	s_mov_b32 s6, 0x3f317218
	s_nop 0
	v_subbrev_co_u32_e32 v66, vcc, 0, v58, vcc
	v_sub_u32_e32 v58, 0, v66
	v_ldexp_f32 v57, v57, v58
	v_ldexp_f32 v58, v60, v58
	v_add_f32_e32 v60, -1.0, v57
	v_add_f32_e32 v59, 1.0, v60
	v_sub_f32_e32 v59, v57, v59
	v_add_f32_e32 v61, v58, v59
	v_add_f32_e32 v59, 1.0, v57
	v_add_f32_e32 v62, -1.0, v59
	v_sub_f32_e32 v57, v57, v62
	v_add_f32_e32 v57, v58, v57
	v_add_f32_e32 v67, v59, v57
	v_rcp_f32_e32 v68, v67
	v_sub_f32_e32 v58, v59, v67
	v_add_f32_e32 v59, v60, v61
	v_add_f32_e32 v57, v57, v58
	v_mul_f32_e32 v70, v59, v68
	v_sub_f32_e32 v58, v60, v59
	v_mul_f32_e32 v60, v67, v70
	v_fma_f32 v62, v70, v67, -v60
	v_fmac_f32_e32 v62, v70, v57
	v_add_f32_e32 v69, v61, v58
	v_add_f32_e32 v58, v60, v62
	v_sub_f32_e32 v61, v59, v58
	v_pk_add_f32 v[64:65], v[58:59], v[60:61] neg_lo:[0,1] neg_hi:[0,1]
	v_mov_b32_e32 v63, v58
	v_pk_add_f32 v[58:59], v[64:65], v[62:63] neg_lo:[0,1] neg_hi:[0,1]
	v_cmp_eq_f32_e32 vcc, s7, v74
	v_add_f32_e32 v59, v69, v59
	v_add_f32_e32 v58, v58, v59
	;; [unrolled: 1-line block ×3, first 2 shown]
	v_mul_f32_e32 v69, v68, v59
	v_mul_f32_e32 v60, v67, v69
	v_fma_f32 v62, v69, v67, -v60
	v_fmac_f32_e32 v62, v69, v57
	v_sub_f32_e32 v57, v61, v59
	v_add_f32_e32 v57, v58, v57
	v_add_f32_e32 v58, v60, v62
	v_sub_f32_e32 v61, v59, v58
	v_pk_add_f32 v[64:65], v[58:59], v[60:61] neg_lo:[0,1] neg_hi:[0,1]
	v_mov_b32_e32 v63, v58
	v_pk_add_f32 v[58:59], v[64:65], v[62:63] neg_lo:[0,1] neg_hi:[0,1]
	v_cvt_f32_i32_e32 v60, v66
	v_add_f32_e32 v57, v57, v59
	v_add_f32_e32 v57, v58, v57
	;; [unrolled: 1-line block ×4, first 2 shown]
	v_sub_f32_e32 v59, v58, v70
	v_mul_f32_e32 v57, v68, v57
	v_sub_f32_e32 v59, v69, v59
	v_add_f32_e32 v57, v59, v57
	v_add_f32_e32 v61, v58, v57
	v_mul_f32_e32 v62, v61, v61
	v_mov_b32_e32 v59, 0x3ecc95a3
	v_fmac_f32_e32 v59, 0x3e9b6dac, v62
	v_sub_f32_e32 v58, v61, v58
	v_fmaak_f32 v59, v62, v59, 0x3f2aaada
	v_sub_f32_e32 v57, v57, v58
	v_ldexp_f32 v63, v61, 1
	v_mul_f32_e32 v61, v61, v62
	v_mov_b32_e32 v58, 0x3f317218
	v_pk_mul_f32 v[58:59], v[60:61], v[58:59]
	v_ldexp_f32 v57, v57, 1
	v_fma_f32 v61, v60, s6, -v58
	v_fmamk_f32 v62, v60, 0xb102e308, v61
	v_pk_add_f32 v[60:61], v[58:59], v[62:63]
	v_mov_b32_e32 v64, v58
	v_sub_f32_e32 v63, v61, v63
	v_sub_f32_e32 v63, v59, v63
	v_add_f32_e32 v65, v57, v63
	v_pk_add_f32 v[58:59], v[60:61], v[58:59] neg_lo:[0,1] neg_hi:[0,1]
	v_pk_add_f32 v[66:67], v[60:61], v[64:65]
	v_mov_b32_e32 v63, v60
	v_mov_b32_e32 v59, v67
	v_pk_add_f32 v[68:69], v[62:63], v[58:59] neg_lo:[0,1] neg_hi:[0,1]
	v_pk_add_f32 v[58:59], v[62:63], v[58:59]
	v_mov_b32_e32 v64, v65
	v_mov_b32_e32 v62, v59
	v_pk_add_f32 v[70:71], v[62:63], v[60:61] neg_lo:[0,1] neg_hi:[0,1]
	v_mov_b32_e32 v58, v67
	v_mov_b32_e32 v57, v70
	v_pk_add_f32 v[72:73], v[66:67], v[56:57] neg_lo:[0,1] neg_hi:[0,1]
	v_mov_b32_e32 v66, v61
	v_mov_b32_e32 v67, v70
	;; [unrolled: 1-line block ×3, first 2 shown]
	v_pk_add_f32 v[58:59], v[58:59], v[66:67] neg_lo:[0,1] neg_hi:[0,1]
	v_mov_b32_e32 v65, v60
	v_pk_add_f32 v[58:59], v[64:65], v[58:59] neg_lo:[0,1] neg_hi:[0,1]
	v_mov_b32_e32 v72, v68
	v_pk_add_f32 v[60:61], v[72:73], v[58:59]
	s_mov_b32 s6, 0x33800000
	v_mov_b32_e32 v64, v61
	v_pk_add_f32 v[64:65], v[60:61], v[64:65]
	v_cmp_lt_f32_e64 s[6:7], |v74|, s6
	v_pk_add_f32 v[62:63], v[62:63], v[64:65]
	v_mov_b32_e32 v59, v64
	v_mov_b32_e32 v61, v62
	v_pk_add_f32 v[66:67], v[60:61], v[68:69] neg_lo:[0,1] neg_hi:[0,1]
	s_or_b64 vcc, vcc, s[6:7]
	v_sub_f32_e32 v57, v60, v66
	v_pk_add_f32 v[58:59], v[58:59], v[66:67] neg_lo:[0,1] neg_hi:[0,1]
	v_sub_f32_e32 v57, v68, v57
	v_add_f32_e32 v57, v58, v57
	v_add_f32_e32 v57, v57, v59
	;; [unrolled: 1-line block ×3, first 2 shown]
	v_cndmask_b32_e32 v57, v57, v74, vcc
	v_add_f32_e32 v58, v29, v57
.LBB111_101:
	s_or_b64 exec, exec, s[4:5]
	v_mbcnt_lo_u32_b32 v29, -1, 0
	v_mbcnt_hi_u32_b32 v29, -1, v29
	v_and_b32_e32 v57, 15, v29
	v_mov_b32_dpp v59, v58 row_shr:1 row_mask:0xf bank_mask:0xf
	v_cmp_ne_u32_e32 vcc, 0, v57
	s_and_saveexec_b64 s[4:5], vcc
	s_xor_b64 s[4:5], exec, s[4:5]
	s_cbranch_execz .LBB111_105
; %bb.102:
	v_max_f32_e32 v61, v58, v58
	v_max_f32_e32 v62, v59, v59
	v_min_f32_e32 v60, v62, v61
	v_cmp_u_f32_e64 s[48:49], v59, v59
	v_max_f32_e32 v61, v62, v61
	v_cmp_u_f32_e32 vcc, v58, v58
	v_cndmask_b32_e64 v60, v60, v59, s[48:49]
	v_cndmask_b32_e64 v61, v61, v59, s[48:49]
	v_cndmask_b32_e32 v60, v60, v58, vcc
	v_cndmask_b32_e32 v58, v61, v58, vcc
	s_movk_i32 s6, 0x1f8
	v_cmp_neq_f32_e32 vcc, v60, v58
	v_cmp_class_f32_e64 s[48:49], v60, s6
	s_or_b64 vcc, vcc, s[48:49]
	s_and_saveexec_b64 s[48:49], vcc
	s_cbranch_execz .LBB111_104
; %bb.103:
	v_sub_f32_e32 v59, v60, v58
	s_mov_b32 s6, 0x3fb8aa3b
	v_mul_f32_e32 v60, 0x3fb8aa3b, v59
	v_fma_f32 v61, v59, s6, -v60
	v_rndne_f32_e32 v62, v60
	v_fmamk_f32 v61, v59, 0x32a5705f, v61
	v_sub_f32_e32 v60, v60, v62
	v_add_f32_e32 v60, v60, v61
	v_exp_f32_e32 v60, v60
	v_cvt_i32_f32_e32 v61, v62
	s_mov_b32 s6, 0xc2ce8ed0
	v_cmp_ngt_f32_e32 vcc, s6, v59
	s_mov_b32 s6, 0x42b17218
	v_ldexp_f32 v60, v60, v61
	v_cndmask_b32_e32 v60, 0, v60, vcc
	v_mov_b32_e32 v61, 0x7f800000
	v_cmp_nlt_f32_e32 vcc, s6, v59
	s_mov_b32 s6, 0x3f2aaaab
	s_mov_b32 s7, 0x7f800000
	v_cndmask_b32_e32 v76, v61, v60, vcc
	v_add_f32_e32 v59, 1.0, v76
	v_add_f32_e32 v60, -1.0, v59
	v_sub_f32_e32 v61, v60, v59
	v_add_f32_e32 v61, 1.0, v61
	v_sub_f32_e32 v60, v76, v60
	v_add_f32_e32 v62, v60, v61
	v_frexp_mant_f32_e32 v63, v59
	v_cvt_f64_f32_e32 v[60:61], v59
	v_frexp_exp_i32_f64_e32 v60, v[60:61]
	v_cmp_gt_f32_e32 vcc, s6, v63
	s_mov_b32 s6, 0x3f317218
	s_nop 0
	v_subbrev_co_u32_e32 v68, vcc, 0, v60, vcc
	v_sub_u32_e32 v60, 0, v68
	v_ldexp_f32 v59, v59, v60
	v_ldexp_f32 v60, v62, v60
	v_add_f32_e32 v62, -1.0, v59
	v_add_f32_e32 v61, 1.0, v62
	v_sub_f32_e32 v61, v59, v61
	v_add_f32_e32 v63, v60, v61
	v_add_f32_e32 v61, 1.0, v59
	v_add_f32_e32 v64, -1.0, v61
	v_sub_f32_e32 v59, v59, v64
	v_add_f32_e32 v59, v60, v59
	v_add_f32_e32 v69, v61, v59
	v_rcp_f32_e32 v70, v69
	v_sub_f32_e32 v60, v61, v69
	v_add_f32_e32 v61, v62, v63
	v_add_f32_e32 v59, v59, v60
	v_mul_f32_e32 v72, v61, v70
	v_sub_f32_e32 v60, v62, v61
	v_mul_f32_e32 v62, v69, v72
	v_fma_f32 v64, v72, v69, -v62
	v_fmac_f32_e32 v64, v72, v59
	v_add_f32_e32 v71, v63, v60
	v_add_f32_e32 v60, v62, v64
	v_sub_f32_e32 v63, v61, v60
	v_pk_add_f32 v[66:67], v[60:61], v[62:63] neg_lo:[0,1] neg_hi:[0,1]
	v_mov_b32_e32 v65, v60
	v_pk_add_f32 v[60:61], v[66:67], v[64:65] neg_lo:[0,1] neg_hi:[0,1]
	v_cmp_eq_f32_e32 vcc, s7, v76
	v_add_f32_e32 v61, v71, v61
	v_add_f32_e32 v60, v60, v61
	;; [unrolled: 1-line block ×3, first 2 shown]
	v_mul_f32_e32 v71, v70, v61
	v_mul_f32_e32 v62, v69, v71
	v_fma_f32 v64, v71, v69, -v62
	v_fmac_f32_e32 v64, v71, v59
	v_sub_f32_e32 v59, v63, v61
	v_add_f32_e32 v59, v60, v59
	v_add_f32_e32 v60, v62, v64
	v_sub_f32_e32 v63, v61, v60
	v_pk_add_f32 v[66:67], v[60:61], v[62:63] neg_lo:[0,1] neg_hi:[0,1]
	v_mov_b32_e32 v65, v60
	v_pk_add_f32 v[60:61], v[66:67], v[64:65] neg_lo:[0,1] neg_hi:[0,1]
	v_cvt_f32_i32_e32 v62, v68
	v_add_f32_e32 v59, v59, v61
	v_add_f32_e32 v59, v60, v59
	v_add_f32_e32 v60, v72, v71
	v_add_f32_e32 v59, v63, v59
	v_sub_f32_e32 v61, v60, v72
	v_mul_f32_e32 v59, v70, v59
	v_sub_f32_e32 v61, v71, v61
	v_add_f32_e32 v59, v61, v59
	v_add_f32_e32 v63, v60, v59
	v_mul_f32_e32 v64, v63, v63
	v_mov_b32_e32 v61, 0x3ecc95a3
	v_fmac_f32_e32 v61, 0x3e9b6dac, v64
	v_sub_f32_e32 v60, v63, v60
	v_fmaak_f32 v61, v64, v61, 0x3f2aaada
	v_sub_f32_e32 v59, v59, v60
	v_ldexp_f32 v65, v63, 1
	v_mul_f32_e32 v63, v63, v64
	v_mov_b32_e32 v60, 0x3f317218
	v_pk_mul_f32 v[60:61], v[62:63], v[60:61]
	v_ldexp_f32 v59, v59, 1
	v_fma_f32 v63, v62, s6, -v60
	v_fmamk_f32 v64, v62, 0xb102e308, v63
	v_pk_add_f32 v[62:63], v[60:61], v[64:65]
	v_mov_b32_e32 v66, v60
	v_sub_f32_e32 v65, v63, v65
	v_sub_f32_e32 v65, v61, v65
	v_add_f32_e32 v67, v59, v65
	v_pk_add_f32 v[60:61], v[62:63], v[60:61] neg_lo:[0,1] neg_hi:[0,1]
	v_pk_add_f32 v[68:69], v[62:63], v[66:67]
	v_mov_b32_e32 v65, v62
	v_mov_b32_e32 v61, v69
	v_pk_add_f32 v[70:71], v[64:65], v[60:61] neg_lo:[0,1] neg_hi:[0,1]
	v_pk_add_f32 v[60:61], v[64:65], v[60:61]
	v_mov_b32_e32 v66, v67
	v_mov_b32_e32 v64, v61
	v_pk_add_f32 v[72:73], v[64:65], v[62:63] neg_lo:[0,1] neg_hi:[0,1]
	v_mov_b32_e32 v60, v69
	v_mov_b32_e32 v59, v72
	v_pk_add_f32 v[74:75], v[68:69], v[58:59] neg_lo:[0,1] neg_hi:[0,1]
	v_mov_b32_e32 v68, v63
	v_mov_b32_e32 v69, v72
	v_mov_b32_e32 v71, v61
	v_pk_add_f32 v[60:61], v[60:61], v[68:69] neg_lo:[0,1] neg_hi:[0,1]
	v_mov_b32_e32 v67, v62
	v_pk_add_f32 v[60:61], v[66:67], v[60:61] neg_lo:[0,1] neg_hi:[0,1]
	v_mov_b32_e32 v74, v70
	v_pk_add_f32 v[62:63], v[74:75], v[60:61]
	s_mov_b32 s6, 0x33800000
	v_mov_b32_e32 v66, v63
	v_pk_add_f32 v[66:67], v[62:63], v[66:67]
	v_cmp_lt_f32_e64 s[6:7], |v76|, s6
	v_pk_add_f32 v[64:65], v[64:65], v[66:67]
	v_mov_b32_e32 v61, v66
	v_mov_b32_e32 v63, v64
	v_pk_add_f32 v[68:69], v[62:63], v[70:71] neg_lo:[0,1] neg_hi:[0,1]
	s_or_b64 vcc, vcc, s[6:7]
	v_sub_f32_e32 v59, v62, v68
	v_pk_add_f32 v[60:61], v[60:61], v[68:69] neg_lo:[0,1] neg_hi:[0,1]
	v_sub_f32_e32 v59, v70, v59
	v_add_f32_e32 v59, v60, v59
	v_add_f32_e32 v59, v59, v61
	;; [unrolled: 1-line block ×3, first 2 shown]
	v_cndmask_b32_e32 v59, v59, v76, vcc
	v_add_f32_e32 v59, v58, v59
.LBB111_104:
	s_or_b64 exec, exec, s[48:49]
	v_mov_b32_e32 v58, v59
.LBB111_105:
	s_or_b64 exec, exec, s[4:5]
	s_nop 0
	v_mov_b32_dpp v59, v58 row_shr:2 row_mask:0xf bank_mask:0xf
	v_cmp_lt_u32_e32 vcc, 1, v57
	s_and_saveexec_b64 s[4:5], vcc
	s_cbranch_execz .LBB111_109
; %bb.106:
	v_max_f32_e32 v61, v58, v58
	v_max_f32_e32 v62, v59, v59
	v_min_f32_e32 v60, v62, v61
	v_cmp_u_f32_e32 vcc, v59, v59
	v_max_f32_e32 v61, v62, v61
	v_cmp_u_f32_e64 s[48:49], v58, v58
	v_cndmask_b32_e32 v60, v60, v59, vcc
	v_cndmask_b32_e32 v61, v61, v59, vcc
	v_cndmask_b32_e64 v60, v60, v58, s[48:49]
	v_cndmask_b32_e64 v58, v61, v58, s[48:49]
	s_movk_i32 s6, 0x1f8
	v_cmp_neq_f32_e32 vcc, v60, v58
	v_cmp_class_f32_e64 s[6:7], v60, s6
	s_or_b64 s[6:7], vcc, s[6:7]
	s_and_saveexec_b64 s[48:49], s[6:7]
	s_cbranch_execz .LBB111_108
; %bb.107:
	v_sub_f32_e32 v59, v60, v58
	s_mov_b32 s6, 0x3fb8aa3b
	v_mul_f32_e32 v60, 0x3fb8aa3b, v59
	v_fma_f32 v61, v59, s6, -v60
	v_rndne_f32_e32 v62, v60
	v_fmamk_f32 v61, v59, 0x32a5705f, v61
	v_sub_f32_e32 v60, v60, v62
	v_add_f32_e32 v60, v60, v61
	v_exp_f32_e32 v60, v60
	v_cvt_i32_f32_e32 v61, v62
	s_mov_b32 s6, 0xc2ce8ed0
	v_cmp_ngt_f32_e32 vcc, s6, v59
	s_mov_b32 s6, 0x42b17218
	v_ldexp_f32 v60, v60, v61
	v_cndmask_b32_e32 v60, 0, v60, vcc
	v_mov_b32_e32 v61, 0x7f800000
	v_cmp_nlt_f32_e32 vcc, s6, v59
	s_mov_b32 s6, 0x3f2aaaab
	s_mov_b32 s7, 0x7f800000
	v_cndmask_b32_e32 v76, v61, v60, vcc
	v_add_f32_e32 v59, 1.0, v76
	v_add_f32_e32 v60, -1.0, v59
	v_sub_f32_e32 v61, v60, v59
	v_add_f32_e32 v61, 1.0, v61
	v_sub_f32_e32 v60, v76, v60
	v_add_f32_e32 v62, v60, v61
	v_frexp_mant_f32_e32 v63, v59
	v_cvt_f64_f32_e32 v[60:61], v59
	v_frexp_exp_i32_f64_e32 v60, v[60:61]
	v_cmp_gt_f32_e32 vcc, s6, v63
	s_mov_b32 s6, 0x3f317218
	s_nop 0
	v_subbrev_co_u32_e32 v68, vcc, 0, v60, vcc
	v_sub_u32_e32 v60, 0, v68
	v_ldexp_f32 v59, v59, v60
	v_ldexp_f32 v60, v62, v60
	v_add_f32_e32 v62, -1.0, v59
	v_add_f32_e32 v61, 1.0, v62
	v_sub_f32_e32 v61, v59, v61
	v_add_f32_e32 v63, v60, v61
	v_add_f32_e32 v61, 1.0, v59
	v_add_f32_e32 v64, -1.0, v61
	v_sub_f32_e32 v59, v59, v64
	v_add_f32_e32 v59, v60, v59
	v_add_f32_e32 v69, v61, v59
	v_rcp_f32_e32 v70, v69
	v_sub_f32_e32 v60, v61, v69
	v_add_f32_e32 v61, v62, v63
	v_add_f32_e32 v59, v59, v60
	v_mul_f32_e32 v72, v61, v70
	v_sub_f32_e32 v60, v62, v61
	v_mul_f32_e32 v62, v69, v72
	v_fma_f32 v64, v72, v69, -v62
	v_fmac_f32_e32 v64, v72, v59
	v_add_f32_e32 v71, v63, v60
	v_add_f32_e32 v60, v62, v64
	v_sub_f32_e32 v63, v61, v60
	v_pk_add_f32 v[66:67], v[60:61], v[62:63] neg_lo:[0,1] neg_hi:[0,1]
	v_mov_b32_e32 v65, v60
	v_pk_add_f32 v[60:61], v[66:67], v[64:65] neg_lo:[0,1] neg_hi:[0,1]
	v_cmp_eq_f32_e32 vcc, s7, v76
	v_add_f32_e32 v61, v71, v61
	v_add_f32_e32 v60, v60, v61
	;; [unrolled: 1-line block ×3, first 2 shown]
	v_mul_f32_e32 v71, v70, v61
	v_mul_f32_e32 v62, v69, v71
	v_fma_f32 v64, v71, v69, -v62
	v_fmac_f32_e32 v64, v71, v59
	v_sub_f32_e32 v59, v63, v61
	v_add_f32_e32 v59, v60, v59
	v_add_f32_e32 v60, v62, v64
	v_sub_f32_e32 v63, v61, v60
	v_pk_add_f32 v[66:67], v[60:61], v[62:63] neg_lo:[0,1] neg_hi:[0,1]
	v_mov_b32_e32 v65, v60
	v_pk_add_f32 v[60:61], v[66:67], v[64:65] neg_lo:[0,1] neg_hi:[0,1]
	v_cvt_f32_i32_e32 v62, v68
	v_add_f32_e32 v59, v59, v61
	v_add_f32_e32 v59, v60, v59
	v_add_f32_e32 v60, v72, v71
	v_add_f32_e32 v59, v63, v59
	v_sub_f32_e32 v61, v60, v72
	v_mul_f32_e32 v59, v70, v59
	v_sub_f32_e32 v61, v71, v61
	v_add_f32_e32 v59, v61, v59
	v_add_f32_e32 v63, v60, v59
	v_mul_f32_e32 v64, v63, v63
	v_mov_b32_e32 v61, 0x3ecc95a3
	v_fmac_f32_e32 v61, 0x3e9b6dac, v64
	v_sub_f32_e32 v60, v63, v60
	v_fmaak_f32 v61, v64, v61, 0x3f2aaada
	v_sub_f32_e32 v59, v59, v60
	v_ldexp_f32 v65, v63, 1
	v_mul_f32_e32 v63, v63, v64
	v_mov_b32_e32 v60, 0x3f317218
	v_pk_mul_f32 v[60:61], v[62:63], v[60:61]
	v_ldexp_f32 v59, v59, 1
	v_fma_f32 v63, v62, s6, -v60
	v_fmamk_f32 v64, v62, 0xb102e308, v63
	v_pk_add_f32 v[62:63], v[60:61], v[64:65]
	v_mov_b32_e32 v66, v60
	v_sub_f32_e32 v65, v63, v65
	v_sub_f32_e32 v65, v61, v65
	v_add_f32_e32 v67, v59, v65
	v_pk_add_f32 v[60:61], v[62:63], v[60:61] neg_lo:[0,1] neg_hi:[0,1]
	v_pk_add_f32 v[68:69], v[62:63], v[66:67]
	v_mov_b32_e32 v65, v62
	v_mov_b32_e32 v61, v69
	v_pk_add_f32 v[70:71], v[64:65], v[60:61] neg_lo:[0,1] neg_hi:[0,1]
	v_pk_add_f32 v[60:61], v[64:65], v[60:61]
	v_mov_b32_e32 v66, v67
	v_mov_b32_e32 v64, v61
	v_pk_add_f32 v[72:73], v[64:65], v[62:63] neg_lo:[0,1] neg_hi:[0,1]
	v_mov_b32_e32 v60, v69
	v_mov_b32_e32 v59, v72
	v_pk_add_f32 v[74:75], v[68:69], v[58:59] neg_lo:[0,1] neg_hi:[0,1]
	v_mov_b32_e32 v68, v63
	v_mov_b32_e32 v69, v72
	;; [unrolled: 1-line block ×3, first 2 shown]
	v_pk_add_f32 v[60:61], v[60:61], v[68:69] neg_lo:[0,1] neg_hi:[0,1]
	v_mov_b32_e32 v67, v62
	v_pk_add_f32 v[60:61], v[66:67], v[60:61] neg_lo:[0,1] neg_hi:[0,1]
	v_mov_b32_e32 v74, v70
	v_pk_add_f32 v[62:63], v[74:75], v[60:61]
	s_mov_b32 s6, 0x33800000
	v_mov_b32_e32 v66, v63
	v_pk_add_f32 v[66:67], v[62:63], v[66:67]
	v_cmp_lt_f32_e64 s[6:7], |v76|, s6
	v_pk_add_f32 v[64:65], v[64:65], v[66:67]
	v_mov_b32_e32 v61, v66
	v_mov_b32_e32 v63, v64
	v_pk_add_f32 v[68:69], v[62:63], v[70:71] neg_lo:[0,1] neg_hi:[0,1]
	s_or_b64 vcc, vcc, s[6:7]
	v_sub_f32_e32 v59, v62, v68
	v_pk_add_f32 v[60:61], v[60:61], v[68:69] neg_lo:[0,1] neg_hi:[0,1]
	v_sub_f32_e32 v59, v70, v59
	v_add_f32_e32 v59, v60, v59
	v_add_f32_e32 v59, v59, v61
	;; [unrolled: 1-line block ×3, first 2 shown]
	v_cndmask_b32_e32 v59, v59, v76, vcc
	v_add_f32_e32 v59, v58, v59
.LBB111_108:
	s_or_b64 exec, exec, s[48:49]
	v_mov_b32_e32 v58, v59
.LBB111_109:
	s_or_b64 exec, exec, s[4:5]
	s_nop 0
	v_mov_b32_dpp v59, v58 row_shr:4 row_mask:0xf bank_mask:0xf
	v_cmp_lt_u32_e32 vcc, 3, v57
	s_and_saveexec_b64 s[4:5], vcc
	s_cbranch_execz .LBB111_113
; %bb.110:
	v_max_f32_e32 v61, v58, v58
	v_max_f32_e32 v62, v59, v59
	v_min_f32_e32 v60, v62, v61
	v_cmp_u_f32_e32 vcc, v59, v59
	v_max_f32_e32 v61, v62, v61
	v_cmp_u_f32_e64 s[48:49], v58, v58
	v_cndmask_b32_e32 v60, v60, v59, vcc
	v_cndmask_b32_e32 v61, v61, v59, vcc
	v_cndmask_b32_e64 v60, v60, v58, s[48:49]
	v_cndmask_b32_e64 v58, v61, v58, s[48:49]
	s_movk_i32 s6, 0x1f8
	v_cmp_neq_f32_e32 vcc, v60, v58
	v_cmp_class_f32_e64 s[6:7], v60, s6
	s_or_b64 s[6:7], vcc, s[6:7]
	s_and_saveexec_b64 s[48:49], s[6:7]
	s_cbranch_execz .LBB111_112
; %bb.111:
	v_sub_f32_e32 v59, v60, v58
	s_mov_b32 s6, 0x3fb8aa3b
	v_mul_f32_e32 v60, 0x3fb8aa3b, v59
	v_fma_f32 v61, v59, s6, -v60
	v_rndne_f32_e32 v62, v60
	v_fmamk_f32 v61, v59, 0x32a5705f, v61
	v_sub_f32_e32 v60, v60, v62
	v_add_f32_e32 v60, v60, v61
	v_exp_f32_e32 v60, v60
	v_cvt_i32_f32_e32 v61, v62
	s_mov_b32 s6, 0xc2ce8ed0
	v_cmp_ngt_f32_e32 vcc, s6, v59
	s_mov_b32 s6, 0x42b17218
	v_ldexp_f32 v60, v60, v61
	v_cndmask_b32_e32 v60, 0, v60, vcc
	v_mov_b32_e32 v61, 0x7f800000
	v_cmp_nlt_f32_e32 vcc, s6, v59
	s_mov_b32 s6, 0x3f2aaaab
	s_mov_b32 s7, 0x7f800000
	v_cndmask_b32_e32 v76, v61, v60, vcc
	v_add_f32_e32 v59, 1.0, v76
	v_add_f32_e32 v60, -1.0, v59
	v_sub_f32_e32 v61, v60, v59
	v_add_f32_e32 v61, 1.0, v61
	v_sub_f32_e32 v60, v76, v60
	v_add_f32_e32 v62, v60, v61
	v_frexp_mant_f32_e32 v63, v59
	v_cvt_f64_f32_e32 v[60:61], v59
	v_frexp_exp_i32_f64_e32 v60, v[60:61]
	v_cmp_gt_f32_e32 vcc, s6, v63
	s_mov_b32 s6, 0x3f317218
	s_nop 0
	v_subbrev_co_u32_e32 v68, vcc, 0, v60, vcc
	v_sub_u32_e32 v60, 0, v68
	v_ldexp_f32 v59, v59, v60
	v_ldexp_f32 v60, v62, v60
	v_add_f32_e32 v62, -1.0, v59
	v_add_f32_e32 v61, 1.0, v62
	v_sub_f32_e32 v61, v59, v61
	v_add_f32_e32 v63, v60, v61
	v_add_f32_e32 v61, 1.0, v59
	v_add_f32_e32 v64, -1.0, v61
	v_sub_f32_e32 v59, v59, v64
	v_add_f32_e32 v59, v60, v59
	v_add_f32_e32 v69, v61, v59
	v_rcp_f32_e32 v70, v69
	v_sub_f32_e32 v60, v61, v69
	v_add_f32_e32 v61, v62, v63
	v_add_f32_e32 v59, v59, v60
	v_mul_f32_e32 v72, v61, v70
	v_sub_f32_e32 v60, v62, v61
	v_mul_f32_e32 v62, v69, v72
	v_fma_f32 v64, v72, v69, -v62
	v_fmac_f32_e32 v64, v72, v59
	v_add_f32_e32 v71, v63, v60
	v_add_f32_e32 v60, v62, v64
	v_sub_f32_e32 v63, v61, v60
	v_pk_add_f32 v[66:67], v[60:61], v[62:63] neg_lo:[0,1] neg_hi:[0,1]
	v_mov_b32_e32 v65, v60
	v_pk_add_f32 v[60:61], v[66:67], v[64:65] neg_lo:[0,1] neg_hi:[0,1]
	v_cmp_eq_f32_e32 vcc, s7, v76
	v_add_f32_e32 v61, v71, v61
	v_add_f32_e32 v60, v60, v61
	;; [unrolled: 1-line block ×3, first 2 shown]
	v_mul_f32_e32 v71, v70, v61
	v_mul_f32_e32 v62, v69, v71
	v_fma_f32 v64, v71, v69, -v62
	v_fmac_f32_e32 v64, v71, v59
	v_sub_f32_e32 v59, v63, v61
	v_add_f32_e32 v59, v60, v59
	v_add_f32_e32 v60, v62, v64
	v_sub_f32_e32 v63, v61, v60
	v_pk_add_f32 v[66:67], v[60:61], v[62:63] neg_lo:[0,1] neg_hi:[0,1]
	v_mov_b32_e32 v65, v60
	v_pk_add_f32 v[60:61], v[66:67], v[64:65] neg_lo:[0,1] neg_hi:[0,1]
	v_cvt_f32_i32_e32 v62, v68
	v_add_f32_e32 v59, v59, v61
	v_add_f32_e32 v59, v60, v59
	;; [unrolled: 1-line block ×4, first 2 shown]
	v_sub_f32_e32 v61, v60, v72
	v_mul_f32_e32 v59, v70, v59
	v_sub_f32_e32 v61, v71, v61
	v_add_f32_e32 v59, v61, v59
	v_add_f32_e32 v63, v60, v59
	v_mul_f32_e32 v64, v63, v63
	v_mov_b32_e32 v61, 0x3ecc95a3
	v_fmac_f32_e32 v61, 0x3e9b6dac, v64
	v_sub_f32_e32 v60, v63, v60
	v_fmaak_f32 v61, v64, v61, 0x3f2aaada
	v_sub_f32_e32 v59, v59, v60
	v_ldexp_f32 v65, v63, 1
	v_mul_f32_e32 v63, v63, v64
	v_mov_b32_e32 v60, 0x3f317218
	v_pk_mul_f32 v[60:61], v[62:63], v[60:61]
	v_ldexp_f32 v59, v59, 1
	v_fma_f32 v63, v62, s6, -v60
	v_fmamk_f32 v64, v62, 0xb102e308, v63
	v_pk_add_f32 v[62:63], v[60:61], v[64:65]
	v_mov_b32_e32 v66, v60
	v_sub_f32_e32 v65, v63, v65
	v_sub_f32_e32 v65, v61, v65
	v_add_f32_e32 v67, v59, v65
	v_pk_add_f32 v[60:61], v[62:63], v[60:61] neg_lo:[0,1] neg_hi:[0,1]
	v_pk_add_f32 v[68:69], v[62:63], v[66:67]
	v_mov_b32_e32 v65, v62
	v_mov_b32_e32 v61, v69
	v_pk_add_f32 v[70:71], v[64:65], v[60:61] neg_lo:[0,1] neg_hi:[0,1]
	v_pk_add_f32 v[60:61], v[64:65], v[60:61]
	v_mov_b32_e32 v66, v67
	v_mov_b32_e32 v64, v61
	v_pk_add_f32 v[72:73], v[64:65], v[62:63] neg_lo:[0,1] neg_hi:[0,1]
	v_mov_b32_e32 v60, v69
	v_mov_b32_e32 v59, v72
	v_pk_add_f32 v[74:75], v[68:69], v[58:59] neg_lo:[0,1] neg_hi:[0,1]
	v_mov_b32_e32 v68, v63
	v_mov_b32_e32 v69, v72
	;; [unrolled: 1-line block ×3, first 2 shown]
	v_pk_add_f32 v[60:61], v[60:61], v[68:69] neg_lo:[0,1] neg_hi:[0,1]
	v_mov_b32_e32 v67, v62
	v_pk_add_f32 v[60:61], v[66:67], v[60:61] neg_lo:[0,1] neg_hi:[0,1]
	v_mov_b32_e32 v74, v70
	v_pk_add_f32 v[62:63], v[74:75], v[60:61]
	s_mov_b32 s6, 0x33800000
	v_mov_b32_e32 v66, v63
	v_pk_add_f32 v[66:67], v[62:63], v[66:67]
	v_cmp_lt_f32_e64 s[6:7], |v76|, s6
	v_pk_add_f32 v[64:65], v[64:65], v[66:67]
	v_mov_b32_e32 v61, v66
	v_mov_b32_e32 v63, v64
	v_pk_add_f32 v[68:69], v[62:63], v[70:71] neg_lo:[0,1] neg_hi:[0,1]
	s_or_b64 vcc, vcc, s[6:7]
	v_sub_f32_e32 v59, v62, v68
	v_pk_add_f32 v[60:61], v[60:61], v[68:69] neg_lo:[0,1] neg_hi:[0,1]
	v_sub_f32_e32 v59, v70, v59
	v_add_f32_e32 v59, v60, v59
	v_add_f32_e32 v59, v59, v61
	;; [unrolled: 1-line block ×3, first 2 shown]
	v_cndmask_b32_e32 v59, v59, v76, vcc
	v_add_f32_e32 v59, v58, v59
.LBB111_112:
	s_or_b64 exec, exec, s[48:49]
	v_mov_b32_e32 v58, v59
.LBB111_113:
	s_or_b64 exec, exec, s[4:5]
	s_nop 0
	v_mov_b32_dpp v59, v58 row_shr:8 row_mask:0xf bank_mask:0xf
	v_cmp_lt_u32_e32 vcc, 7, v57
	s_and_saveexec_b64 s[4:5], vcc
	s_cbranch_execz .LBB111_117
; %bb.114:
	v_max_f32_e32 v57, v58, v58
	v_max_f32_e32 v61, v59, v59
	v_min_f32_e32 v60, v61, v57
	v_cmp_u_f32_e32 vcc, v59, v59
	v_max_f32_e32 v57, v61, v57
	v_cmp_u_f32_e64 s[48:49], v58, v58
	v_cndmask_b32_e32 v60, v60, v59, vcc
	v_cndmask_b32_e32 v57, v57, v59, vcc
	v_cndmask_b32_e64 v60, v60, v58, s[48:49]
	v_cndmask_b32_e64 v57, v57, v58, s[48:49]
	s_movk_i32 s6, 0x1f8
	v_cmp_neq_f32_e32 vcc, v60, v57
	v_cmp_class_f32_e64 s[6:7], v60, s6
	s_or_b64 s[6:7], vcc, s[6:7]
	s_and_saveexec_b64 s[48:49], s[6:7]
	s_cbranch_execz .LBB111_116
; %bb.115:
	v_sub_f32_e32 v58, v60, v57
	s_mov_b32 s6, 0x3fb8aa3b
	v_mul_f32_e32 v59, 0x3fb8aa3b, v58
	v_fma_f32 v60, v58, s6, -v59
	v_rndne_f32_e32 v61, v59
	v_fmamk_f32 v60, v58, 0x32a5705f, v60
	v_sub_f32_e32 v59, v59, v61
	v_add_f32_e32 v59, v59, v60
	v_exp_f32_e32 v59, v59
	v_cvt_i32_f32_e32 v60, v61
	s_mov_b32 s6, 0xc2ce8ed0
	v_cmp_ngt_f32_e32 vcc, s6, v58
	s_mov_b32 s6, 0x42b17218
	v_ldexp_f32 v59, v59, v60
	v_cndmask_b32_e32 v59, 0, v59, vcc
	v_mov_b32_e32 v60, 0x7f800000
	v_cmp_nlt_f32_e32 vcc, s6, v58
	s_mov_b32 s6, 0x3f2aaaab
	s_mov_b32 s7, 0x7f800000
	v_cndmask_b32_e32 v74, v60, v59, vcc
	v_add_f32_e32 v60, 1.0, v74
	v_add_f32_e32 v58, -1.0, v60
	v_sub_f32_e32 v59, v58, v60
	v_add_f32_e32 v59, 1.0, v59
	v_sub_f32_e32 v58, v74, v58
	v_add_f32_e32 v61, v58, v59
	v_frexp_mant_f32_e32 v62, v60
	v_cvt_f64_f32_e32 v[58:59], v60
	v_frexp_exp_i32_f64_e32 v58, v[58:59]
	v_cmp_gt_f32_e32 vcc, s6, v62
	s_mov_b32 s6, 0x3f317218
	s_nop 0
	v_subbrev_co_u32_e32 v66, vcc, 0, v58, vcc
	v_sub_u32_e32 v58, 0, v66
	v_ldexp_f32 v59, v60, v58
	v_add_f32_e32 v60, -1.0, v59
	v_add_f32_e32 v62, 1.0, v59
	v_ldexp_f32 v58, v61, v58
	v_add_f32_e32 v61, 1.0, v60
	v_add_f32_e32 v63, -1.0, v62
	v_sub_f32_e32 v61, v59, v61
	v_sub_f32_e32 v59, v59, v63
	v_add_f32_e32 v61, v58, v61
	v_add_f32_e32 v58, v58, v59
	;; [unrolled: 1-line block ×3, first 2 shown]
	v_rcp_f32_e32 v69, v67
	v_sub_f32_e32 v59, v62, v67
	v_add_f32_e32 v68, v58, v59
	v_add_f32_e32 v59, v60, v61
	v_mul_f32_e32 v71, v59, v69
	v_sub_f32_e32 v58, v60, v59
	v_mul_f32_e32 v60, v67, v71
	v_fma_f32 v62, v71, v67, -v60
	v_fmac_f32_e32 v62, v71, v68
	v_add_f32_e32 v70, v61, v58
	v_add_f32_e32 v58, v60, v62
	v_sub_f32_e32 v61, v59, v58
	v_pk_add_f32 v[64:65], v[58:59], v[60:61] neg_lo:[0,1] neg_hi:[0,1]
	v_mov_b32_e32 v63, v58
	v_pk_add_f32 v[58:59], v[64:65], v[62:63] neg_lo:[0,1] neg_hi:[0,1]
	v_cmp_eq_f32_e32 vcc, s7, v74
	v_add_f32_e32 v59, v70, v59
	v_add_f32_e32 v58, v58, v59
	;; [unrolled: 1-line block ×3, first 2 shown]
	v_mul_f32_e32 v70, v69, v59
	v_mul_f32_e32 v60, v67, v70
	v_fma_f32 v62, v70, v67, -v60
	v_fmac_f32_e32 v62, v70, v68
	v_sub_f32_e32 v61, v61, v59
	v_add_f32_e32 v67, v58, v61
	v_add_f32_e32 v58, v60, v62
	v_sub_f32_e32 v61, v59, v58
	v_pk_add_f32 v[64:65], v[58:59], v[60:61] neg_lo:[0,1] neg_hi:[0,1]
	v_mov_b32_e32 v63, v58
	v_pk_add_f32 v[58:59], v[64:65], v[62:63] neg_lo:[0,1] neg_hi:[0,1]
	v_cvt_f32_i32_e32 v60, v66
	v_add_f32_e32 v59, v67, v59
	v_add_f32_e32 v58, v58, v59
	;; [unrolled: 1-line block ×4, first 2 shown]
	v_sub_f32_e32 v59, v61, v71
	v_mul_f32_e32 v58, v69, v58
	v_sub_f32_e32 v59, v70, v59
	v_add_f32_e32 v58, v59, v58
	v_add_f32_e32 v62, v61, v58
	v_mul_f32_e32 v64, v62, v62
	v_mov_b32_e32 v59, 0x3ecc95a3
	v_sub_f32_e32 v61, v62, v61
	v_fmac_f32_e32 v59, 0x3e9b6dac, v64
	v_sub_f32_e32 v58, v58, v61
	v_fmaak_f32 v59, v64, v59, 0x3f2aaada
	v_ldexp_f32 v65, v58, 1
	v_mul_f32_e32 v61, v62, v64
	v_mov_b32_e32 v58, 0x3f317218
	v_pk_mul_f32 v[58:59], v[60:61], v[58:59]
	v_ldexp_f32 v63, v62, 1
	v_fma_f32 v61, v60, s6, -v58
	v_fmamk_f32 v62, v60, 0xb102e308, v61
	v_pk_add_f32 v[60:61], v[58:59], v[62:63]
	v_mov_b32_e32 v64, v58
	v_sub_f32_e32 v63, v61, v63
	v_sub_f32_e32 v63, v59, v63
	v_add_f32_e32 v65, v65, v63
	v_pk_add_f32 v[58:59], v[60:61], v[58:59] neg_lo:[0,1] neg_hi:[0,1]
	v_pk_add_f32 v[66:67], v[60:61], v[64:65]
	v_mov_b32_e32 v63, v60
	v_mov_b32_e32 v59, v67
	v_pk_add_f32 v[68:69], v[62:63], v[58:59] neg_lo:[0,1] neg_hi:[0,1]
	v_pk_add_f32 v[58:59], v[62:63], v[58:59]
	v_mov_b32_e32 v64, v65
	v_mov_b32_e32 v62, v59
	v_pk_add_f32 v[70:71], v[62:63], v[60:61] neg_lo:[0,1] neg_hi:[0,1]
	v_mov_b32_e32 v58, v67
	v_mov_b32_e32 v63, v70
	v_pk_add_f32 v[72:73], v[66:67], v[62:63] neg_lo:[0,1] neg_hi:[0,1]
	v_mov_b32_e32 v66, v61
	v_mov_b32_e32 v67, v70
	;; [unrolled: 1-line block ×3, first 2 shown]
	v_pk_add_f32 v[58:59], v[58:59], v[66:67] neg_lo:[0,1] neg_hi:[0,1]
	v_mov_b32_e32 v65, v60
	v_pk_add_f32 v[58:59], v[64:65], v[58:59] neg_lo:[0,1] neg_hi:[0,1]
	v_mov_b32_e32 v72, v68
	v_pk_add_f32 v[60:61], v[72:73], v[58:59]
	s_mov_b32 s6, 0x33800000
	v_mov_b32_e32 v64, v61
	v_pk_add_f32 v[64:65], v[60:61], v[64:65]
	v_cmp_lt_f32_e64 s[6:7], |v74|, s6
	v_pk_add_f32 v[62:63], v[62:63], v[64:65]
	v_mov_b32_e32 v59, v64
	v_mov_b32_e32 v61, v62
	v_pk_add_f32 v[66:67], v[60:61], v[68:69] neg_lo:[0,1] neg_hi:[0,1]
	s_or_b64 vcc, vcc, s[6:7]
	v_sub_f32_e32 v60, v60, v66
	v_pk_add_f32 v[58:59], v[58:59], v[66:67] neg_lo:[0,1] neg_hi:[0,1]
	v_sub_f32_e32 v60, v68, v60
	v_add_f32_e32 v58, v58, v60
	v_add_f32_e32 v58, v58, v59
	;; [unrolled: 1-line block ×3, first 2 shown]
	v_cndmask_b32_e32 v58, v58, v74, vcc
	v_add_f32_e32 v59, v57, v58
.LBB111_116:
	s_or_b64 exec, exec, s[48:49]
	v_mov_b32_e32 v58, v59
.LBB111_117:
	s_or_b64 exec, exec, s[4:5]
	v_and_b32_e32 v57, 16, v29
	v_mov_b32_dpp v59, v58 row_bcast:15 row_mask:0xf bank_mask:0xf
	v_cmp_ne_u32_e32 vcc, 0, v57
	s_and_saveexec_b64 s[4:5], vcc
	s_cbranch_execz .LBB111_121
; %bb.118:
	v_max_f32_e32 v57, v58, v58
	v_max_f32_e32 v61, v59, v59
	v_min_f32_e32 v60, v61, v57
	v_cmp_u_f32_e32 vcc, v59, v59
	v_max_f32_e32 v57, v61, v57
	v_cmp_u_f32_e64 s[48:49], v58, v58
	v_cndmask_b32_e32 v60, v60, v59, vcc
	v_cndmask_b32_e32 v57, v57, v59, vcc
	v_cndmask_b32_e64 v60, v60, v58, s[48:49]
	v_cndmask_b32_e64 v57, v57, v58, s[48:49]
	s_movk_i32 s6, 0x1f8
	v_cmp_neq_f32_e32 vcc, v60, v57
	v_cmp_class_f32_e64 s[6:7], v60, s6
	s_or_b64 s[6:7], vcc, s[6:7]
	s_and_saveexec_b64 s[48:49], s[6:7]
	s_cbranch_execz .LBB111_120
; %bb.119:
	v_sub_f32_e32 v58, v60, v57
	s_mov_b32 s6, 0x3fb8aa3b
	v_mul_f32_e32 v59, 0x3fb8aa3b, v58
	v_fma_f32 v60, v58, s6, -v59
	v_rndne_f32_e32 v61, v59
	v_fmamk_f32 v60, v58, 0x32a5705f, v60
	v_sub_f32_e32 v59, v59, v61
	v_add_f32_e32 v59, v59, v60
	v_exp_f32_e32 v59, v59
	v_cvt_i32_f32_e32 v60, v61
	s_mov_b32 s6, 0xc2ce8ed0
	v_cmp_ngt_f32_e32 vcc, s6, v58
	s_mov_b32 s6, 0x42b17218
	v_ldexp_f32 v59, v59, v60
	v_cndmask_b32_e32 v59, 0, v59, vcc
	v_mov_b32_e32 v60, 0x7f800000
	v_cmp_nlt_f32_e32 vcc, s6, v58
	s_mov_b32 s6, 0x3f2aaaab
	s_mov_b32 s7, 0x7f800000
	v_cndmask_b32_e32 v74, v60, v59, vcc
	v_add_f32_e32 v60, 1.0, v74
	v_add_f32_e32 v58, -1.0, v60
	v_sub_f32_e32 v59, v58, v60
	v_add_f32_e32 v59, 1.0, v59
	v_sub_f32_e32 v58, v74, v58
	v_add_f32_e32 v61, v58, v59
	v_frexp_mant_f32_e32 v62, v60
	v_cvt_f64_f32_e32 v[58:59], v60
	v_frexp_exp_i32_f64_e32 v58, v[58:59]
	v_cmp_gt_f32_e32 vcc, s6, v62
	s_mov_b32 s6, 0x3f317218
	s_nop 0
	v_subbrev_co_u32_e32 v66, vcc, 0, v58, vcc
	v_sub_u32_e32 v58, 0, v66
	v_ldexp_f32 v59, v60, v58
	v_add_f32_e32 v60, -1.0, v59
	v_add_f32_e32 v62, 1.0, v59
	v_ldexp_f32 v58, v61, v58
	v_add_f32_e32 v61, 1.0, v60
	v_add_f32_e32 v63, -1.0, v62
	v_sub_f32_e32 v61, v59, v61
	v_sub_f32_e32 v59, v59, v63
	v_add_f32_e32 v61, v58, v61
	v_add_f32_e32 v58, v58, v59
	;; [unrolled: 1-line block ×3, first 2 shown]
	v_rcp_f32_e32 v69, v67
	v_sub_f32_e32 v59, v62, v67
	v_add_f32_e32 v68, v58, v59
	v_add_f32_e32 v59, v60, v61
	v_mul_f32_e32 v71, v59, v69
	v_sub_f32_e32 v58, v60, v59
	v_mul_f32_e32 v60, v67, v71
	v_fma_f32 v62, v71, v67, -v60
	v_fmac_f32_e32 v62, v71, v68
	v_add_f32_e32 v70, v61, v58
	v_add_f32_e32 v58, v60, v62
	v_sub_f32_e32 v61, v59, v58
	v_pk_add_f32 v[64:65], v[58:59], v[60:61] neg_lo:[0,1] neg_hi:[0,1]
	v_mov_b32_e32 v63, v58
	v_pk_add_f32 v[58:59], v[64:65], v[62:63] neg_lo:[0,1] neg_hi:[0,1]
	v_cmp_eq_f32_e32 vcc, s7, v74
	v_add_f32_e32 v59, v70, v59
	v_add_f32_e32 v58, v58, v59
	;; [unrolled: 1-line block ×3, first 2 shown]
	v_mul_f32_e32 v70, v69, v59
	v_mul_f32_e32 v60, v67, v70
	v_fma_f32 v62, v70, v67, -v60
	v_fmac_f32_e32 v62, v70, v68
	v_sub_f32_e32 v61, v61, v59
	v_add_f32_e32 v67, v58, v61
	v_add_f32_e32 v58, v60, v62
	v_sub_f32_e32 v61, v59, v58
	v_pk_add_f32 v[64:65], v[58:59], v[60:61] neg_lo:[0,1] neg_hi:[0,1]
	v_mov_b32_e32 v63, v58
	v_pk_add_f32 v[58:59], v[64:65], v[62:63] neg_lo:[0,1] neg_hi:[0,1]
	v_cvt_f32_i32_e32 v60, v66
	v_add_f32_e32 v59, v67, v59
	v_add_f32_e32 v58, v58, v59
	;; [unrolled: 1-line block ×4, first 2 shown]
	v_sub_f32_e32 v59, v61, v71
	v_mul_f32_e32 v58, v69, v58
	v_sub_f32_e32 v59, v70, v59
	v_add_f32_e32 v58, v59, v58
	v_add_f32_e32 v62, v61, v58
	v_mul_f32_e32 v64, v62, v62
	v_mov_b32_e32 v59, 0x3ecc95a3
	v_sub_f32_e32 v61, v62, v61
	v_fmac_f32_e32 v59, 0x3e9b6dac, v64
	v_sub_f32_e32 v58, v58, v61
	v_fmaak_f32 v59, v64, v59, 0x3f2aaada
	v_ldexp_f32 v65, v58, 1
	v_mul_f32_e32 v61, v62, v64
	v_mov_b32_e32 v58, 0x3f317218
	v_pk_mul_f32 v[58:59], v[60:61], v[58:59]
	v_ldexp_f32 v63, v62, 1
	v_fma_f32 v61, v60, s6, -v58
	v_fmamk_f32 v62, v60, 0xb102e308, v61
	v_pk_add_f32 v[60:61], v[58:59], v[62:63]
	v_mov_b32_e32 v64, v58
	v_sub_f32_e32 v63, v61, v63
	v_sub_f32_e32 v63, v59, v63
	v_add_f32_e32 v65, v65, v63
	v_pk_add_f32 v[58:59], v[60:61], v[58:59] neg_lo:[0,1] neg_hi:[0,1]
	v_pk_add_f32 v[66:67], v[60:61], v[64:65]
	v_mov_b32_e32 v63, v60
	v_mov_b32_e32 v59, v67
	v_pk_add_f32 v[68:69], v[62:63], v[58:59] neg_lo:[0,1] neg_hi:[0,1]
	v_pk_add_f32 v[58:59], v[62:63], v[58:59]
	v_mov_b32_e32 v64, v65
	v_mov_b32_e32 v62, v59
	v_pk_add_f32 v[70:71], v[62:63], v[60:61] neg_lo:[0,1] neg_hi:[0,1]
	v_mov_b32_e32 v58, v67
	v_mov_b32_e32 v63, v70
	v_pk_add_f32 v[72:73], v[66:67], v[62:63] neg_lo:[0,1] neg_hi:[0,1]
	v_mov_b32_e32 v66, v61
	v_mov_b32_e32 v67, v70
	;; [unrolled: 1-line block ×3, first 2 shown]
	v_pk_add_f32 v[58:59], v[58:59], v[66:67] neg_lo:[0,1] neg_hi:[0,1]
	v_mov_b32_e32 v65, v60
	v_pk_add_f32 v[58:59], v[64:65], v[58:59] neg_lo:[0,1] neg_hi:[0,1]
	v_mov_b32_e32 v72, v68
	v_pk_add_f32 v[60:61], v[72:73], v[58:59]
	s_mov_b32 s6, 0x33800000
	v_mov_b32_e32 v64, v61
	v_pk_add_f32 v[64:65], v[60:61], v[64:65]
	v_cmp_lt_f32_e64 s[6:7], |v74|, s6
	v_pk_add_f32 v[62:63], v[62:63], v[64:65]
	v_mov_b32_e32 v59, v64
	v_mov_b32_e32 v61, v62
	v_pk_add_f32 v[66:67], v[60:61], v[68:69] neg_lo:[0,1] neg_hi:[0,1]
	s_or_b64 vcc, vcc, s[6:7]
	v_sub_f32_e32 v60, v60, v66
	v_pk_add_f32 v[58:59], v[58:59], v[66:67] neg_lo:[0,1] neg_hi:[0,1]
	v_sub_f32_e32 v60, v68, v60
	v_add_f32_e32 v58, v58, v60
	v_add_f32_e32 v58, v58, v59
	v_add_f32_e32 v58, v62, v58
	v_cndmask_b32_e32 v58, v58, v74, vcc
	v_add_f32_e32 v59, v57, v58
.LBB111_120:
	s_or_b64 exec, exec, s[48:49]
	v_mov_b32_e32 v58, v59
.LBB111_121:
	s_or_b64 exec, exec, s[4:5]
	s_nop 0
	v_mov_b32_dpp v59, v58 row_bcast:31 row_mask:0xf bank_mask:0xf
	v_cmp_lt_u32_e32 vcc, 31, v29
	s_and_saveexec_b64 s[4:5], vcc
	s_cbranch_execz .LBB111_125
; %bb.122:
	v_max_f32_e32 v57, v58, v58
	v_max_f32_e32 v61, v59, v59
	v_min_f32_e32 v60, v61, v57
	v_cmp_u_f32_e32 vcc, v59, v59
	v_max_f32_e32 v57, v61, v57
	v_cmp_u_f32_e64 s[48:49], v58, v58
	v_cndmask_b32_e32 v60, v60, v59, vcc
	v_cndmask_b32_e32 v57, v57, v59, vcc
	v_cndmask_b32_e64 v60, v60, v58, s[48:49]
	v_cndmask_b32_e64 v57, v57, v58, s[48:49]
	s_movk_i32 s6, 0x1f8
	v_cmp_neq_f32_e32 vcc, v60, v57
	v_cmp_class_f32_e64 s[6:7], v60, s6
	s_or_b64 s[6:7], vcc, s[6:7]
	s_and_saveexec_b64 s[48:49], s[6:7]
	s_cbranch_execz .LBB111_124
; %bb.123:
	v_sub_f32_e32 v58, v60, v57
	s_mov_b32 s6, 0x3fb8aa3b
	v_mul_f32_e32 v59, 0x3fb8aa3b, v58
	v_fma_f32 v60, v58, s6, -v59
	v_rndne_f32_e32 v61, v59
	v_fmamk_f32 v60, v58, 0x32a5705f, v60
	v_sub_f32_e32 v59, v59, v61
	v_add_f32_e32 v59, v59, v60
	v_exp_f32_e32 v59, v59
	v_cvt_i32_f32_e32 v60, v61
	s_mov_b32 s6, 0xc2ce8ed0
	v_cmp_ngt_f32_e32 vcc, s6, v58
	s_mov_b32 s6, 0x42b17218
	v_ldexp_f32 v59, v59, v60
	v_cndmask_b32_e32 v59, 0, v59, vcc
	v_mov_b32_e32 v60, 0x7f800000
	v_cmp_nlt_f32_e32 vcc, s6, v58
	s_mov_b32 s6, 0x3f2aaaab
	s_mov_b32 s7, 0x7f800000
	v_cndmask_b32_e32 v74, v60, v59, vcc
	v_add_f32_e32 v60, 1.0, v74
	v_add_f32_e32 v58, -1.0, v60
	v_sub_f32_e32 v59, v58, v60
	v_add_f32_e32 v59, 1.0, v59
	v_sub_f32_e32 v58, v74, v58
	v_add_f32_e32 v61, v58, v59
	v_frexp_mant_f32_e32 v62, v60
	v_cvt_f64_f32_e32 v[58:59], v60
	v_frexp_exp_i32_f64_e32 v58, v[58:59]
	v_cmp_gt_f32_e32 vcc, s6, v62
	s_mov_b32 s6, 0x3f317218
	s_nop 0
	v_subbrev_co_u32_e32 v66, vcc, 0, v58, vcc
	v_sub_u32_e32 v58, 0, v66
	v_ldexp_f32 v59, v60, v58
	v_add_f32_e32 v60, -1.0, v59
	v_add_f32_e32 v62, 1.0, v59
	v_ldexp_f32 v58, v61, v58
	v_add_f32_e32 v61, 1.0, v60
	v_add_f32_e32 v63, -1.0, v62
	v_sub_f32_e32 v61, v59, v61
	v_sub_f32_e32 v59, v59, v63
	v_add_f32_e32 v61, v58, v61
	v_add_f32_e32 v58, v58, v59
	;; [unrolled: 1-line block ×3, first 2 shown]
	v_rcp_f32_e32 v69, v67
	v_sub_f32_e32 v59, v62, v67
	v_add_f32_e32 v68, v58, v59
	v_add_f32_e32 v59, v60, v61
	v_mul_f32_e32 v71, v59, v69
	v_sub_f32_e32 v58, v60, v59
	v_mul_f32_e32 v60, v67, v71
	v_fma_f32 v62, v71, v67, -v60
	v_fmac_f32_e32 v62, v71, v68
	v_add_f32_e32 v70, v61, v58
	v_add_f32_e32 v58, v60, v62
	v_sub_f32_e32 v61, v59, v58
	v_pk_add_f32 v[64:65], v[58:59], v[60:61] neg_lo:[0,1] neg_hi:[0,1]
	v_mov_b32_e32 v63, v58
	v_pk_add_f32 v[58:59], v[64:65], v[62:63] neg_lo:[0,1] neg_hi:[0,1]
	v_cmp_eq_f32_e32 vcc, s7, v74
	v_add_f32_e32 v59, v70, v59
	v_add_f32_e32 v58, v58, v59
	;; [unrolled: 1-line block ×3, first 2 shown]
	v_mul_f32_e32 v70, v69, v59
	v_mul_f32_e32 v60, v67, v70
	v_fma_f32 v62, v70, v67, -v60
	v_fmac_f32_e32 v62, v70, v68
	v_sub_f32_e32 v61, v61, v59
	v_add_f32_e32 v67, v58, v61
	v_add_f32_e32 v58, v60, v62
	v_sub_f32_e32 v61, v59, v58
	v_pk_add_f32 v[64:65], v[58:59], v[60:61] neg_lo:[0,1] neg_hi:[0,1]
	v_mov_b32_e32 v63, v58
	v_pk_add_f32 v[58:59], v[64:65], v[62:63] neg_lo:[0,1] neg_hi:[0,1]
	v_cvt_f32_i32_e32 v60, v66
	v_add_f32_e32 v59, v67, v59
	v_add_f32_e32 v58, v58, v59
	;; [unrolled: 1-line block ×4, first 2 shown]
	v_sub_f32_e32 v59, v61, v71
	v_mul_f32_e32 v58, v69, v58
	v_sub_f32_e32 v59, v70, v59
	v_add_f32_e32 v58, v59, v58
	v_add_f32_e32 v62, v61, v58
	v_mul_f32_e32 v64, v62, v62
	v_mov_b32_e32 v59, 0x3ecc95a3
	v_sub_f32_e32 v61, v62, v61
	v_fmac_f32_e32 v59, 0x3e9b6dac, v64
	v_sub_f32_e32 v58, v58, v61
	v_fmaak_f32 v59, v64, v59, 0x3f2aaada
	v_ldexp_f32 v65, v58, 1
	v_mul_f32_e32 v61, v62, v64
	v_mov_b32_e32 v58, 0x3f317218
	v_pk_mul_f32 v[58:59], v[60:61], v[58:59]
	v_ldexp_f32 v63, v62, 1
	v_fma_f32 v61, v60, s6, -v58
	v_fmamk_f32 v62, v60, 0xb102e308, v61
	v_pk_add_f32 v[60:61], v[58:59], v[62:63]
	v_mov_b32_e32 v64, v58
	v_sub_f32_e32 v63, v61, v63
	v_sub_f32_e32 v63, v59, v63
	v_add_f32_e32 v65, v65, v63
	v_pk_add_f32 v[58:59], v[60:61], v[58:59] neg_lo:[0,1] neg_hi:[0,1]
	v_pk_add_f32 v[66:67], v[60:61], v[64:65]
	v_mov_b32_e32 v63, v60
	v_mov_b32_e32 v59, v67
	v_pk_add_f32 v[68:69], v[62:63], v[58:59] neg_lo:[0,1] neg_hi:[0,1]
	v_pk_add_f32 v[58:59], v[62:63], v[58:59]
	v_mov_b32_e32 v64, v65
	v_mov_b32_e32 v62, v59
	v_pk_add_f32 v[70:71], v[62:63], v[60:61] neg_lo:[0,1] neg_hi:[0,1]
	v_mov_b32_e32 v58, v67
	v_mov_b32_e32 v63, v70
	v_pk_add_f32 v[72:73], v[66:67], v[62:63] neg_lo:[0,1] neg_hi:[0,1]
	v_mov_b32_e32 v66, v61
	v_mov_b32_e32 v67, v70
	;; [unrolled: 1-line block ×3, first 2 shown]
	v_pk_add_f32 v[58:59], v[58:59], v[66:67] neg_lo:[0,1] neg_hi:[0,1]
	v_mov_b32_e32 v65, v60
	v_pk_add_f32 v[58:59], v[64:65], v[58:59] neg_lo:[0,1] neg_hi:[0,1]
	v_mov_b32_e32 v72, v68
	v_pk_add_f32 v[60:61], v[72:73], v[58:59]
	s_mov_b32 s6, 0x33800000
	v_mov_b32_e32 v64, v61
	v_pk_add_f32 v[64:65], v[60:61], v[64:65]
	v_cmp_lt_f32_e64 s[6:7], |v74|, s6
	v_pk_add_f32 v[62:63], v[62:63], v[64:65]
	v_mov_b32_e32 v59, v64
	v_mov_b32_e32 v61, v62
	v_pk_add_f32 v[66:67], v[60:61], v[68:69] neg_lo:[0,1] neg_hi:[0,1]
	s_or_b64 vcc, vcc, s[6:7]
	v_sub_f32_e32 v60, v60, v66
	v_pk_add_f32 v[58:59], v[58:59], v[66:67] neg_lo:[0,1] neg_hi:[0,1]
	v_sub_f32_e32 v60, v68, v60
	v_add_f32_e32 v58, v58, v60
	v_add_f32_e32 v58, v58, v59
	;; [unrolled: 1-line block ×3, first 2 shown]
	v_cndmask_b32_e32 v58, v58, v74, vcc
	v_add_f32_e32 v59, v57, v58
.LBB111_124:
	s_or_b64 exec, exec, s[48:49]
	v_mov_b32_e32 v58, v59
.LBB111_125:
	s_or_b64 exec, exec, s[4:5]
	v_add_u32_e32 v57, -1, v29
	v_and_b32_e32 v59, 64, v29
	v_cmp_lt_i32_e32 vcc, v57, v59
	s_nop 1
	v_cndmask_b32_e32 v29, v57, v29, vcc
	v_lshlrev_b32_e32 v29, 2, v29
	ds_bpermute_b32 v29, v29, v58
	s_waitcnt lgkmcnt(0)
	v_max_f32_e32 v57, v29, v29
	v_cmp_u_f32_e32 vcc, v29, v29
	v_min_f32_e32 v58, v57, v56
	v_max_f32_e32 v56, v57, v56
	v_cndmask_b32_e32 v57, v58, v29, vcc
	v_cndmask_b32_e32 v58, v56, v29, vcc
	v_cndmask_b32_e64 v56, v57, v28, s[98:99]
	v_cndmask_b32_e64 v28, v58, v28, s[98:99]
	v_cmp_neq_f32_e32 vcc, v56, v28
	v_cmp_class_f32_e64 s[4:5], v56, s33
	s_or_b64 s[6:7], vcc, s[4:5]
	s_and_saveexec_b64 s[4:5], s[6:7]
	s_cbranch_execz .LBB111_127
; %bb.126:
	v_sub_f32_e32 v29, v56, v28
	s_mov_b32 s6, 0x3fb8aa3b
	v_mul_f32_e32 v56, 0x3fb8aa3b, v29
	v_fma_f32 v57, v29, s6, -v56
	v_rndne_f32_e32 v58, v56
	v_fmamk_f32 v57, v29, 0x32a5705f, v57
	v_sub_f32_e32 v56, v56, v58
	v_add_f32_e32 v56, v56, v57
	v_exp_f32_e32 v56, v56
	v_cvt_i32_f32_e32 v57, v58
	s_mov_b32 s6, 0xc2ce8ed0
	v_cmp_ngt_f32_e32 vcc, s6, v29
	s_mov_b32 s6, 0x42b17218
	v_ldexp_f32 v56, v56, v57
	v_cndmask_b32_e32 v56, 0, v56, vcc
	v_mov_b32_e32 v57, 0x7f800000
	v_cmp_nlt_f32_e32 vcc, s6, v29
	s_mov_b32 s6, 0x3f2aaaab
	s_mov_b32 s7, 0x7f800000
	v_cndmask_b32_e32 v72, v57, v56, vcc
	v_add_f32_e32 v29, 1.0, v72
	v_add_f32_e32 v56, -1.0, v29
	v_sub_f32_e32 v57, v56, v29
	v_add_f32_e32 v57, 1.0, v57
	v_sub_f32_e32 v56, v72, v56
	v_add_f32_e32 v58, v56, v57
	v_frexp_mant_f32_e32 v59, v29
	v_cvt_f64_f32_e32 v[56:57], v29
	v_frexp_exp_i32_f64_e32 v56, v[56:57]
	v_cmp_gt_f32_e32 vcc, s6, v59
	s_mov_b32 s6, 0x3f317218
	s_nop 0
	v_subbrev_co_u32_e32 v64, vcc, 0, v56, vcc
	v_sub_u32_e32 v56, 0, v64
	v_ldexp_f32 v29, v29, v56
	v_ldexp_f32 v56, v58, v56
	v_add_f32_e32 v58, -1.0, v29
	v_add_f32_e32 v57, 1.0, v58
	v_sub_f32_e32 v57, v29, v57
	v_add_f32_e32 v59, v56, v57
	v_add_f32_e32 v57, 1.0, v29
	v_add_f32_e32 v60, -1.0, v57
	v_sub_f32_e32 v29, v29, v60
	v_add_f32_e32 v29, v56, v29
	v_add_f32_e32 v65, v57, v29
	v_rcp_f32_e32 v66, v65
	v_sub_f32_e32 v56, v57, v65
	v_add_f32_e32 v57, v58, v59
	v_add_f32_e32 v29, v29, v56
	v_mul_f32_e32 v68, v57, v66
	v_sub_f32_e32 v56, v58, v57
	v_mul_f32_e32 v58, v65, v68
	v_fma_f32 v60, v68, v65, -v58
	v_fmac_f32_e32 v60, v68, v29
	v_add_f32_e32 v67, v59, v56
	v_add_f32_e32 v56, v58, v60
	v_sub_f32_e32 v59, v57, v56
	v_pk_add_f32 v[62:63], v[56:57], v[58:59] neg_lo:[0,1] neg_hi:[0,1]
	v_mov_b32_e32 v61, v56
	v_pk_add_f32 v[56:57], v[62:63], v[60:61] neg_lo:[0,1] neg_hi:[0,1]
	v_cmp_eq_f32_e32 vcc, s7, v72
	v_add_f32_e32 v57, v67, v57
	v_add_f32_e32 v56, v56, v57
	;; [unrolled: 1-line block ×3, first 2 shown]
	v_mul_f32_e32 v67, v66, v57
	v_mul_f32_e32 v58, v65, v67
	v_fma_f32 v60, v67, v65, -v58
	v_fmac_f32_e32 v60, v67, v29
	v_sub_f32_e32 v29, v59, v57
	v_add_f32_e32 v29, v56, v29
	v_add_f32_e32 v56, v58, v60
	v_sub_f32_e32 v59, v57, v56
	v_pk_add_f32 v[62:63], v[56:57], v[58:59] neg_lo:[0,1] neg_hi:[0,1]
	v_mov_b32_e32 v61, v56
	v_pk_add_f32 v[56:57], v[62:63], v[60:61] neg_lo:[0,1] neg_hi:[0,1]
	v_cvt_f32_i32_e32 v58, v64
	v_add_f32_e32 v29, v29, v57
	v_add_f32_e32 v29, v56, v29
	;; [unrolled: 1-line block ×4, first 2 shown]
	v_sub_f32_e32 v57, v56, v68
	v_mul_f32_e32 v29, v66, v29
	v_sub_f32_e32 v57, v67, v57
	v_add_f32_e32 v29, v57, v29
	v_add_f32_e32 v59, v56, v29
	v_mul_f32_e32 v60, v59, v59
	v_mov_b32_e32 v57, 0x3ecc95a3
	v_fmac_f32_e32 v57, 0x3e9b6dac, v60
	v_sub_f32_e32 v56, v59, v56
	v_fmaak_f32 v57, v60, v57, 0x3f2aaada
	v_sub_f32_e32 v29, v29, v56
	v_ldexp_f32 v61, v59, 1
	v_mul_f32_e32 v59, v59, v60
	v_mov_b32_e32 v56, 0x3f317218
	v_pk_mul_f32 v[56:57], v[58:59], v[56:57]
	v_ldexp_f32 v29, v29, 1
	v_fma_f32 v59, v58, s6, -v56
	v_fmamk_f32 v60, v58, 0xb102e308, v59
	v_pk_add_f32 v[58:59], v[56:57], v[60:61]
	v_mov_b32_e32 v62, v56
	v_sub_f32_e32 v61, v59, v61
	v_sub_f32_e32 v61, v57, v61
	v_add_f32_e32 v63, v29, v61
	v_pk_add_f32 v[56:57], v[58:59], v[56:57] neg_lo:[0,1] neg_hi:[0,1]
	v_pk_add_f32 v[64:65], v[58:59], v[62:63]
	v_mov_b32_e32 v61, v58
	v_mov_b32_e32 v57, v65
	v_pk_add_f32 v[66:67], v[60:61], v[56:57] neg_lo:[0,1] neg_hi:[0,1]
	v_pk_add_f32 v[56:57], v[60:61], v[56:57]
	v_mov_b32_e32 v62, v63
	v_mov_b32_e32 v60, v57
	v_pk_add_f32 v[68:69], v[60:61], v[58:59] neg_lo:[0,1] neg_hi:[0,1]
	v_mov_b32_e32 v56, v65
	v_mov_b32_e32 v29, v68
	v_pk_add_f32 v[70:71], v[64:65], v[28:29] neg_lo:[0,1] neg_hi:[0,1]
	v_mov_b32_e32 v64, v59
	v_mov_b32_e32 v65, v68
	;; [unrolled: 1-line block ×3, first 2 shown]
	v_pk_add_f32 v[56:57], v[56:57], v[64:65] neg_lo:[0,1] neg_hi:[0,1]
	v_mov_b32_e32 v63, v58
	v_pk_add_f32 v[56:57], v[62:63], v[56:57] neg_lo:[0,1] neg_hi:[0,1]
	v_mov_b32_e32 v70, v66
	v_pk_add_f32 v[58:59], v[70:71], v[56:57]
	s_mov_b32 s6, 0x33800000
	v_mov_b32_e32 v62, v59
	v_pk_add_f32 v[62:63], v[58:59], v[62:63]
	v_cmp_lt_f32_e64 s[6:7], |v72|, s6
	v_pk_add_f32 v[60:61], v[60:61], v[62:63]
	v_mov_b32_e32 v57, v62
	v_mov_b32_e32 v59, v60
	v_pk_add_f32 v[64:65], v[58:59], v[66:67] neg_lo:[0,1] neg_hi:[0,1]
	s_or_b64 vcc, vcc, s[6:7]
	v_sub_f32_e32 v29, v58, v64
	v_pk_add_f32 v[56:57], v[56:57], v[64:65] neg_lo:[0,1] neg_hi:[0,1]
	v_sub_f32_e32 v29, v66, v29
	v_add_f32_e32 v29, v56, v29
	v_add_f32_e32 v29, v29, v57
	;; [unrolled: 1-line block ×3, first 2 shown]
	v_cndmask_b32_e32 v29, v29, v72, vcc
	v_add_f32_e32 v29, v28, v29
.LBB111_127:
	s_or_b64 exec, exec, s[4:5]
	v_cmp_eq_u32_e32 vcc, 0, v0
	; wave barrier
	s_nop 1
	v_cndmask_b32_e32 v29, v29, v54, vcc
	ds_write_b32 v55, v29
	; wave barrier
	ds_read_b32 v28, v55 offset:4
	v_max_f32_e32 v57, v29, v29
	v_cmp_u_f32_e32 vcc, v29, v29
	s_waitcnt lgkmcnt(0)
	v_max_f32_e32 v58, v28, v28
	v_min_f32_e32 v56, v57, v58
	v_max_f32_e32 v57, v57, v58
	v_cndmask_b32_e32 v56, v56, v29, vcc
	v_cmp_u_f32_e64 s[48:49], v28, v28
	v_cndmask_b32_e32 v57, v57, v29, vcc
	s_nop 0
	v_cndmask_b32_e64 v56, v56, v28, s[48:49]
	v_cndmask_b32_e64 v28, v57, v28, s[48:49]
	v_cmp_neq_f32_e32 vcc, v56, v28
	v_cmp_class_f32_e64 s[4:5], v56, s33
	s_or_b64 s[6:7], vcc, s[4:5]
	s_and_saveexec_b64 s[4:5], s[6:7]
	s_cbranch_execz .LBB111_129
; %bb.128:
	v_sub_f32_e32 v29, v56, v28
	s_mov_b32 s6, 0x3fb8aa3b
	v_mul_f32_e32 v56, 0x3fb8aa3b, v29
	v_fma_f32 v57, v29, s6, -v56
	v_rndne_f32_e32 v58, v56
	v_fmamk_f32 v57, v29, 0x32a5705f, v57
	v_sub_f32_e32 v56, v56, v58
	v_add_f32_e32 v56, v56, v57
	v_exp_f32_e32 v56, v56
	v_cvt_i32_f32_e32 v57, v58
	s_mov_b32 s6, 0xc2ce8ed0
	v_cmp_ngt_f32_e32 vcc, s6, v29
	s_mov_b32 s6, 0x42b17218
	v_ldexp_f32 v56, v56, v57
	v_cndmask_b32_e32 v56, 0, v56, vcc
	v_mov_b32_e32 v57, 0x7f800000
	v_cmp_nlt_f32_e32 vcc, s6, v29
	s_mov_b32 s6, 0x3f2aaaab
	s_mov_b32 s7, 0x7f800000
	v_cndmask_b32_e32 v72, v57, v56, vcc
	v_add_f32_e32 v29, 1.0, v72
	v_add_f32_e32 v56, -1.0, v29
	v_sub_f32_e32 v57, v56, v29
	v_add_f32_e32 v57, 1.0, v57
	v_sub_f32_e32 v56, v72, v56
	v_add_f32_e32 v58, v56, v57
	v_frexp_mant_f32_e32 v59, v29
	v_cvt_f64_f32_e32 v[56:57], v29
	v_frexp_exp_i32_f64_e32 v56, v[56:57]
	v_cmp_gt_f32_e32 vcc, s6, v59
	s_mov_b32 s6, 0x3f317218
	s_nop 0
	v_subbrev_co_u32_e32 v64, vcc, 0, v56, vcc
	v_sub_u32_e32 v56, 0, v64
	v_ldexp_f32 v29, v29, v56
	v_ldexp_f32 v56, v58, v56
	v_add_f32_e32 v58, -1.0, v29
	v_add_f32_e32 v57, 1.0, v58
	v_sub_f32_e32 v57, v29, v57
	v_add_f32_e32 v59, v56, v57
	v_add_f32_e32 v57, 1.0, v29
	v_add_f32_e32 v60, -1.0, v57
	v_sub_f32_e32 v29, v29, v60
	v_add_f32_e32 v29, v56, v29
	v_add_f32_e32 v65, v57, v29
	v_rcp_f32_e32 v66, v65
	v_sub_f32_e32 v56, v57, v65
	v_add_f32_e32 v57, v58, v59
	v_add_f32_e32 v29, v29, v56
	v_mul_f32_e32 v68, v57, v66
	v_sub_f32_e32 v56, v58, v57
	v_mul_f32_e32 v58, v65, v68
	v_fma_f32 v60, v68, v65, -v58
	v_fmac_f32_e32 v60, v68, v29
	v_add_f32_e32 v67, v59, v56
	v_add_f32_e32 v56, v58, v60
	v_sub_f32_e32 v59, v57, v56
	v_pk_add_f32 v[62:63], v[56:57], v[58:59] neg_lo:[0,1] neg_hi:[0,1]
	v_mov_b32_e32 v61, v56
	v_pk_add_f32 v[56:57], v[62:63], v[60:61] neg_lo:[0,1] neg_hi:[0,1]
	v_cmp_eq_f32_e32 vcc, s7, v72
	v_add_f32_e32 v57, v67, v57
	v_add_f32_e32 v56, v56, v57
	;; [unrolled: 1-line block ×3, first 2 shown]
	v_mul_f32_e32 v67, v66, v57
	v_mul_f32_e32 v58, v65, v67
	v_fma_f32 v60, v67, v65, -v58
	v_fmac_f32_e32 v60, v67, v29
	v_sub_f32_e32 v29, v59, v57
	v_add_f32_e32 v29, v56, v29
	v_add_f32_e32 v56, v58, v60
	v_sub_f32_e32 v59, v57, v56
	v_pk_add_f32 v[62:63], v[56:57], v[58:59] neg_lo:[0,1] neg_hi:[0,1]
	v_mov_b32_e32 v61, v56
	v_pk_add_f32 v[56:57], v[62:63], v[60:61] neg_lo:[0,1] neg_hi:[0,1]
	v_cvt_f32_i32_e32 v58, v64
	v_add_f32_e32 v29, v29, v57
	v_add_f32_e32 v29, v56, v29
	;; [unrolled: 1-line block ×4, first 2 shown]
	v_sub_f32_e32 v57, v56, v68
	v_mul_f32_e32 v29, v66, v29
	v_sub_f32_e32 v57, v67, v57
	v_add_f32_e32 v29, v57, v29
	v_add_f32_e32 v59, v56, v29
	v_mul_f32_e32 v60, v59, v59
	v_mov_b32_e32 v57, 0x3ecc95a3
	v_fmac_f32_e32 v57, 0x3e9b6dac, v60
	v_sub_f32_e32 v56, v59, v56
	v_fmaak_f32 v57, v60, v57, 0x3f2aaada
	v_sub_f32_e32 v29, v29, v56
	v_ldexp_f32 v61, v59, 1
	v_mul_f32_e32 v59, v59, v60
	v_mov_b32_e32 v56, 0x3f317218
	v_pk_mul_f32 v[56:57], v[58:59], v[56:57]
	v_ldexp_f32 v29, v29, 1
	v_fma_f32 v59, v58, s6, -v56
	v_fmamk_f32 v60, v58, 0xb102e308, v59
	v_pk_add_f32 v[58:59], v[56:57], v[60:61]
	v_mov_b32_e32 v62, v56
	v_sub_f32_e32 v61, v59, v61
	v_sub_f32_e32 v61, v57, v61
	v_add_f32_e32 v63, v29, v61
	v_pk_add_f32 v[56:57], v[58:59], v[56:57] neg_lo:[0,1] neg_hi:[0,1]
	v_pk_add_f32 v[64:65], v[58:59], v[62:63]
	v_mov_b32_e32 v61, v58
	v_mov_b32_e32 v57, v65
	v_pk_add_f32 v[66:67], v[60:61], v[56:57] neg_lo:[0,1] neg_hi:[0,1]
	v_pk_add_f32 v[56:57], v[60:61], v[56:57]
	v_mov_b32_e32 v62, v63
	v_mov_b32_e32 v60, v57
	v_pk_add_f32 v[68:69], v[60:61], v[58:59] neg_lo:[0,1] neg_hi:[0,1]
	v_mov_b32_e32 v56, v65
	v_mov_b32_e32 v29, v68
	v_pk_add_f32 v[70:71], v[64:65], v[28:29] neg_lo:[0,1] neg_hi:[0,1]
	v_mov_b32_e32 v64, v59
	v_mov_b32_e32 v65, v68
	v_mov_b32_e32 v67, v57
	v_pk_add_f32 v[56:57], v[56:57], v[64:65] neg_lo:[0,1] neg_hi:[0,1]
	v_mov_b32_e32 v63, v58
	v_pk_add_f32 v[56:57], v[62:63], v[56:57] neg_lo:[0,1] neg_hi:[0,1]
	v_mov_b32_e32 v70, v66
	v_pk_add_f32 v[58:59], v[70:71], v[56:57]
	s_mov_b32 s6, 0x33800000
	v_mov_b32_e32 v62, v59
	v_pk_add_f32 v[62:63], v[58:59], v[62:63]
	v_cmp_lt_f32_e64 s[6:7], |v72|, s6
	v_pk_add_f32 v[60:61], v[60:61], v[62:63]
	v_mov_b32_e32 v57, v62
	v_mov_b32_e32 v59, v60
	v_pk_add_f32 v[64:65], v[58:59], v[66:67] neg_lo:[0,1] neg_hi:[0,1]
	s_or_b64 vcc, vcc, s[6:7]
	v_sub_f32_e32 v29, v58, v64
	v_pk_add_f32 v[56:57], v[56:57], v[64:65] neg_lo:[0,1] neg_hi:[0,1]
	v_sub_f32_e32 v29, v66, v29
	v_add_f32_e32 v29, v56, v29
	v_add_f32_e32 v29, v29, v57
	;; [unrolled: 1-line block ×3, first 2 shown]
	v_cndmask_b32_e32 v29, v29, v72, vcc
	v_add_f32_e32 v29, v28, v29
.LBB111_129:
	s_or_b64 exec, exec, s[4:5]
	ds_read_b32 v28, v55 offset:8
	v_max_f32_e32 v57, v29, v29
	v_cmp_u_f32_e32 vcc, v29, v29
	ds_write_b32 v55, v29 offset:4
	s_waitcnt lgkmcnt(1)
	v_max_f32_e32 v58, v28, v28
	v_min_f32_e32 v56, v57, v58
	v_max_f32_e32 v57, v57, v58
	v_cmp_u_f32_e64 s[48:49], v28, v28
	v_cndmask_b32_e32 v56, v56, v29, vcc
	v_cndmask_b32_e32 v57, v57, v29, vcc
	v_cndmask_b32_e64 v56, v56, v28, s[48:49]
	v_cndmask_b32_e64 v28, v57, v28, s[48:49]
	v_cmp_neq_f32_e32 vcc, v56, v28
	v_cmp_class_f32_e64 s[4:5], v56, s33
	s_or_b64 s[6:7], vcc, s[4:5]
	s_and_saveexec_b64 s[4:5], s[6:7]
	s_cbranch_execz .LBB111_131
; %bb.130:
	v_sub_f32_e32 v29, v56, v28
	s_mov_b32 s6, 0x3fb8aa3b
	v_mul_f32_e32 v56, 0x3fb8aa3b, v29
	v_fma_f32 v57, v29, s6, -v56
	v_rndne_f32_e32 v58, v56
	v_fmamk_f32 v57, v29, 0x32a5705f, v57
	v_sub_f32_e32 v56, v56, v58
	v_add_f32_e32 v56, v56, v57
	v_exp_f32_e32 v56, v56
	v_cvt_i32_f32_e32 v57, v58
	s_mov_b32 s6, 0xc2ce8ed0
	v_cmp_ngt_f32_e32 vcc, s6, v29
	s_mov_b32 s6, 0x42b17218
	v_ldexp_f32 v56, v56, v57
	v_cndmask_b32_e32 v56, 0, v56, vcc
	v_mov_b32_e32 v57, 0x7f800000
	v_cmp_nlt_f32_e32 vcc, s6, v29
	s_mov_b32 s6, 0x3f2aaaab
	s_mov_b32 s7, 0x7f800000
	v_cndmask_b32_e32 v72, v57, v56, vcc
	v_add_f32_e32 v29, 1.0, v72
	v_add_f32_e32 v56, -1.0, v29
	v_sub_f32_e32 v57, v56, v29
	v_add_f32_e32 v57, 1.0, v57
	v_sub_f32_e32 v56, v72, v56
	v_add_f32_e32 v58, v56, v57
	v_frexp_mant_f32_e32 v59, v29
	v_cvt_f64_f32_e32 v[56:57], v29
	v_frexp_exp_i32_f64_e32 v56, v[56:57]
	v_cmp_gt_f32_e32 vcc, s6, v59
	s_mov_b32 s6, 0x3f317218
	s_nop 0
	v_subbrev_co_u32_e32 v64, vcc, 0, v56, vcc
	v_sub_u32_e32 v56, 0, v64
	v_ldexp_f32 v29, v29, v56
	v_ldexp_f32 v56, v58, v56
	v_add_f32_e32 v58, -1.0, v29
	v_add_f32_e32 v57, 1.0, v58
	v_sub_f32_e32 v57, v29, v57
	v_add_f32_e32 v59, v56, v57
	v_add_f32_e32 v57, 1.0, v29
	v_add_f32_e32 v60, -1.0, v57
	v_sub_f32_e32 v29, v29, v60
	v_add_f32_e32 v29, v56, v29
	v_add_f32_e32 v65, v57, v29
	v_rcp_f32_e32 v66, v65
	v_sub_f32_e32 v56, v57, v65
	v_add_f32_e32 v57, v58, v59
	v_add_f32_e32 v29, v29, v56
	v_mul_f32_e32 v68, v57, v66
	v_sub_f32_e32 v56, v58, v57
	v_mul_f32_e32 v58, v65, v68
	v_fma_f32 v60, v68, v65, -v58
	v_fmac_f32_e32 v60, v68, v29
	v_add_f32_e32 v67, v59, v56
	v_add_f32_e32 v56, v58, v60
	v_sub_f32_e32 v59, v57, v56
	v_pk_add_f32 v[62:63], v[56:57], v[58:59] neg_lo:[0,1] neg_hi:[0,1]
	v_mov_b32_e32 v61, v56
	v_pk_add_f32 v[56:57], v[62:63], v[60:61] neg_lo:[0,1] neg_hi:[0,1]
	v_cmp_eq_f32_e32 vcc, s7, v72
	v_add_f32_e32 v57, v67, v57
	v_add_f32_e32 v56, v56, v57
	;; [unrolled: 1-line block ×3, first 2 shown]
	v_mul_f32_e32 v67, v66, v57
	v_mul_f32_e32 v58, v65, v67
	v_fma_f32 v60, v67, v65, -v58
	v_fmac_f32_e32 v60, v67, v29
	v_sub_f32_e32 v29, v59, v57
	v_add_f32_e32 v29, v56, v29
	v_add_f32_e32 v56, v58, v60
	v_sub_f32_e32 v59, v57, v56
	v_pk_add_f32 v[62:63], v[56:57], v[58:59] neg_lo:[0,1] neg_hi:[0,1]
	v_mov_b32_e32 v61, v56
	v_pk_add_f32 v[56:57], v[62:63], v[60:61] neg_lo:[0,1] neg_hi:[0,1]
	v_cvt_f32_i32_e32 v58, v64
	v_add_f32_e32 v29, v29, v57
	v_add_f32_e32 v29, v56, v29
	;; [unrolled: 1-line block ×4, first 2 shown]
	v_sub_f32_e32 v57, v56, v68
	v_mul_f32_e32 v29, v66, v29
	v_sub_f32_e32 v57, v67, v57
	v_add_f32_e32 v29, v57, v29
	v_add_f32_e32 v59, v56, v29
	v_mul_f32_e32 v60, v59, v59
	v_mov_b32_e32 v57, 0x3ecc95a3
	v_fmac_f32_e32 v57, 0x3e9b6dac, v60
	v_sub_f32_e32 v56, v59, v56
	v_fmaak_f32 v57, v60, v57, 0x3f2aaada
	v_sub_f32_e32 v29, v29, v56
	v_ldexp_f32 v61, v59, 1
	v_mul_f32_e32 v59, v59, v60
	v_mov_b32_e32 v56, 0x3f317218
	v_pk_mul_f32 v[56:57], v[58:59], v[56:57]
	v_ldexp_f32 v29, v29, 1
	v_fma_f32 v59, v58, s6, -v56
	v_fmamk_f32 v60, v58, 0xb102e308, v59
	v_pk_add_f32 v[58:59], v[56:57], v[60:61]
	v_mov_b32_e32 v62, v56
	v_sub_f32_e32 v61, v59, v61
	v_sub_f32_e32 v61, v57, v61
	v_add_f32_e32 v63, v29, v61
	v_pk_add_f32 v[56:57], v[58:59], v[56:57] neg_lo:[0,1] neg_hi:[0,1]
	v_pk_add_f32 v[64:65], v[58:59], v[62:63]
	v_mov_b32_e32 v61, v58
	v_mov_b32_e32 v57, v65
	v_pk_add_f32 v[66:67], v[60:61], v[56:57] neg_lo:[0,1] neg_hi:[0,1]
	v_pk_add_f32 v[56:57], v[60:61], v[56:57]
	v_mov_b32_e32 v62, v63
	v_mov_b32_e32 v60, v57
	v_pk_add_f32 v[68:69], v[60:61], v[58:59] neg_lo:[0,1] neg_hi:[0,1]
	v_mov_b32_e32 v56, v65
	v_mov_b32_e32 v29, v68
	v_pk_add_f32 v[70:71], v[64:65], v[28:29] neg_lo:[0,1] neg_hi:[0,1]
	v_mov_b32_e32 v64, v59
	v_mov_b32_e32 v65, v68
	;; [unrolled: 1-line block ×3, first 2 shown]
	v_pk_add_f32 v[56:57], v[56:57], v[64:65] neg_lo:[0,1] neg_hi:[0,1]
	v_mov_b32_e32 v63, v58
	v_pk_add_f32 v[56:57], v[62:63], v[56:57] neg_lo:[0,1] neg_hi:[0,1]
	v_mov_b32_e32 v70, v66
	v_pk_add_f32 v[58:59], v[70:71], v[56:57]
	s_mov_b32 s6, 0x33800000
	v_mov_b32_e32 v62, v59
	v_pk_add_f32 v[62:63], v[58:59], v[62:63]
	v_cmp_lt_f32_e64 s[6:7], |v72|, s6
	v_pk_add_f32 v[60:61], v[60:61], v[62:63]
	v_mov_b32_e32 v57, v62
	v_mov_b32_e32 v59, v60
	v_pk_add_f32 v[64:65], v[58:59], v[66:67] neg_lo:[0,1] neg_hi:[0,1]
	s_or_b64 vcc, vcc, s[6:7]
	v_sub_f32_e32 v29, v58, v64
	v_pk_add_f32 v[56:57], v[56:57], v[64:65] neg_lo:[0,1] neg_hi:[0,1]
	v_sub_f32_e32 v29, v66, v29
	v_add_f32_e32 v29, v56, v29
	v_add_f32_e32 v29, v29, v57
	;; [unrolled: 1-line block ×3, first 2 shown]
	v_cndmask_b32_e32 v29, v29, v72, vcc
	v_add_f32_e32 v29, v28, v29
.LBB111_131:
	s_or_b64 exec, exec, s[4:5]
	ds_read_b32 v28, v55 offset:12
	v_max_f32_e32 v57, v29, v29
	v_cmp_u_f32_e32 vcc, v29, v29
	ds_write_b32 v55, v29 offset:8
	s_waitcnt lgkmcnt(1)
	v_max_f32_e32 v58, v28, v28
	v_min_f32_e32 v56, v57, v58
	v_max_f32_e32 v57, v57, v58
	v_cmp_u_f32_e64 s[48:49], v28, v28
	v_cndmask_b32_e32 v56, v56, v29, vcc
	v_cndmask_b32_e32 v57, v57, v29, vcc
	v_cndmask_b32_e64 v56, v56, v28, s[48:49]
	v_cndmask_b32_e64 v28, v57, v28, s[48:49]
	v_cmp_neq_f32_e32 vcc, v56, v28
	v_cmp_class_f32_e64 s[4:5], v56, s33
	s_or_b64 s[6:7], vcc, s[4:5]
	s_and_saveexec_b64 s[4:5], s[6:7]
	s_cbranch_execz .LBB111_133
; %bb.132:
	v_sub_f32_e32 v29, v56, v28
	s_mov_b32 s6, 0x3fb8aa3b
	v_mul_f32_e32 v56, 0x3fb8aa3b, v29
	v_fma_f32 v57, v29, s6, -v56
	v_rndne_f32_e32 v58, v56
	v_fmamk_f32 v57, v29, 0x32a5705f, v57
	v_sub_f32_e32 v56, v56, v58
	v_add_f32_e32 v56, v56, v57
	v_exp_f32_e32 v56, v56
	v_cvt_i32_f32_e32 v57, v58
	s_mov_b32 s6, 0xc2ce8ed0
	v_cmp_ngt_f32_e32 vcc, s6, v29
	s_mov_b32 s6, 0x42b17218
	v_ldexp_f32 v56, v56, v57
	v_cndmask_b32_e32 v56, 0, v56, vcc
	v_mov_b32_e32 v57, 0x7f800000
	v_cmp_nlt_f32_e32 vcc, s6, v29
	s_mov_b32 s6, 0x3f2aaaab
	s_mov_b32 s7, 0x7f800000
	v_cndmask_b32_e32 v72, v57, v56, vcc
	v_add_f32_e32 v29, 1.0, v72
	v_add_f32_e32 v56, -1.0, v29
	v_sub_f32_e32 v57, v56, v29
	v_add_f32_e32 v57, 1.0, v57
	v_sub_f32_e32 v56, v72, v56
	v_add_f32_e32 v58, v56, v57
	v_frexp_mant_f32_e32 v59, v29
	v_cvt_f64_f32_e32 v[56:57], v29
	v_frexp_exp_i32_f64_e32 v56, v[56:57]
	v_cmp_gt_f32_e32 vcc, s6, v59
	s_mov_b32 s6, 0x3f317218
	s_nop 0
	v_subbrev_co_u32_e32 v64, vcc, 0, v56, vcc
	v_sub_u32_e32 v56, 0, v64
	v_ldexp_f32 v29, v29, v56
	v_ldexp_f32 v56, v58, v56
	v_add_f32_e32 v58, -1.0, v29
	v_add_f32_e32 v57, 1.0, v58
	v_sub_f32_e32 v57, v29, v57
	v_add_f32_e32 v59, v56, v57
	v_add_f32_e32 v57, 1.0, v29
	v_add_f32_e32 v60, -1.0, v57
	v_sub_f32_e32 v29, v29, v60
	v_add_f32_e32 v29, v56, v29
	v_add_f32_e32 v65, v57, v29
	v_rcp_f32_e32 v66, v65
	v_sub_f32_e32 v56, v57, v65
	v_add_f32_e32 v57, v58, v59
	v_add_f32_e32 v29, v29, v56
	v_mul_f32_e32 v68, v57, v66
	v_sub_f32_e32 v56, v58, v57
	v_mul_f32_e32 v58, v65, v68
	v_fma_f32 v60, v68, v65, -v58
	v_fmac_f32_e32 v60, v68, v29
	v_add_f32_e32 v67, v59, v56
	v_add_f32_e32 v56, v58, v60
	v_sub_f32_e32 v59, v57, v56
	v_pk_add_f32 v[62:63], v[56:57], v[58:59] neg_lo:[0,1] neg_hi:[0,1]
	v_mov_b32_e32 v61, v56
	v_pk_add_f32 v[56:57], v[62:63], v[60:61] neg_lo:[0,1] neg_hi:[0,1]
	v_cmp_eq_f32_e32 vcc, s7, v72
	v_add_f32_e32 v57, v67, v57
	v_add_f32_e32 v56, v56, v57
	;; [unrolled: 1-line block ×3, first 2 shown]
	v_mul_f32_e32 v67, v66, v57
	v_mul_f32_e32 v58, v65, v67
	v_fma_f32 v60, v67, v65, -v58
	v_fmac_f32_e32 v60, v67, v29
	v_sub_f32_e32 v29, v59, v57
	v_add_f32_e32 v29, v56, v29
	v_add_f32_e32 v56, v58, v60
	v_sub_f32_e32 v59, v57, v56
	v_pk_add_f32 v[62:63], v[56:57], v[58:59] neg_lo:[0,1] neg_hi:[0,1]
	v_mov_b32_e32 v61, v56
	v_pk_add_f32 v[56:57], v[62:63], v[60:61] neg_lo:[0,1] neg_hi:[0,1]
	v_cvt_f32_i32_e32 v58, v64
	v_add_f32_e32 v29, v29, v57
	v_add_f32_e32 v29, v56, v29
	;; [unrolled: 1-line block ×4, first 2 shown]
	v_sub_f32_e32 v57, v56, v68
	v_mul_f32_e32 v29, v66, v29
	v_sub_f32_e32 v57, v67, v57
	v_add_f32_e32 v29, v57, v29
	v_add_f32_e32 v59, v56, v29
	v_mul_f32_e32 v60, v59, v59
	v_mov_b32_e32 v57, 0x3ecc95a3
	v_fmac_f32_e32 v57, 0x3e9b6dac, v60
	v_sub_f32_e32 v56, v59, v56
	v_fmaak_f32 v57, v60, v57, 0x3f2aaada
	v_sub_f32_e32 v29, v29, v56
	v_ldexp_f32 v61, v59, 1
	v_mul_f32_e32 v59, v59, v60
	v_mov_b32_e32 v56, 0x3f317218
	v_pk_mul_f32 v[56:57], v[58:59], v[56:57]
	v_ldexp_f32 v29, v29, 1
	v_fma_f32 v59, v58, s6, -v56
	v_fmamk_f32 v60, v58, 0xb102e308, v59
	v_pk_add_f32 v[58:59], v[56:57], v[60:61]
	v_mov_b32_e32 v62, v56
	v_sub_f32_e32 v61, v59, v61
	v_sub_f32_e32 v61, v57, v61
	v_add_f32_e32 v63, v29, v61
	v_pk_add_f32 v[56:57], v[58:59], v[56:57] neg_lo:[0,1] neg_hi:[0,1]
	v_pk_add_f32 v[64:65], v[58:59], v[62:63]
	v_mov_b32_e32 v61, v58
	v_mov_b32_e32 v57, v65
	v_pk_add_f32 v[66:67], v[60:61], v[56:57] neg_lo:[0,1] neg_hi:[0,1]
	v_pk_add_f32 v[56:57], v[60:61], v[56:57]
	v_mov_b32_e32 v62, v63
	v_mov_b32_e32 v60, v57
	v_pk_add_f32 v[68:69], v[60:61], v[58:59] neg_lo:[0,1] neg_hi:[0,1]
	v_mov_b32_e32 v56, v65
	v_mov_b32_e32 v29, v68
	v_pk_add_f32 v[70:71], v[64:65], v[28:29] neg_lo:[0,1] neg_hi:[0,1]
	v_mov_b32_e32 v64, v59
	v_mov_b32_e32 v65, v68
	;; [unrolled: 1-line block ×3, first 2 shown]
	v_pk_add_f32 v[56:57], v[56:57], v[64:65] neg_lo:[0,1] neg_hi:[0,1]
	v_mov_b32_e32 v63, v58
	v_pk_add_f32 v[56:57], v[62:63], v[56:57] neg_lo:[0,1] neg_hi:[0,1]
	v_mov_b32_e32 v70, v66
	v_pk_add_f32 v[58:59], v[70:71], v[56:57]
	s_mov_b32 s6, 0x33800000
	v_mov_b32_e32 v62, v59
	v_pk_add_f32 v[62:63], v[58:59], v[62:63]
	v_cmp_lt_f32_e64 s[6:7], |v72|, s6
	v_pk_add_f32 v[60:61], v[60:61], v[62:63]
	v_mov_b32_e32 v57, v62
	v_mov_b32_e32 v59, v60
	v_pk_add_f32 v[64:65], v[58:59], v[66:67] neg_lo:[0,1] neg_hi:[0,1]
	s_or_b64 vcc, vcc, s[6:7]
	v_sub_f32_e32 v29, v58, v64
	v_pk_add_f32 v[56:57], v[56:57], v[64:65] neg_lo:[0,1] neg_hi:[0,1]
	v_sub_f32_e32 v29, v66, v29
	v_add_f32_e32 v29, v56, v29
	v_add_f32_e32 v29, v29, v57
	;; [unrolled: 1-line block ×3, first 2 shown]
	v_cndmask_b32_e32 v29, v29, v72, vcc
	v_add_f32_e32 v29, v28, v29
.LBB111_133:
	s_or_b64 exec, exec, s[4:5]
	ds_write_b32 v55, v29 offset:12
.LBB111_134:
	s_or_b64 exec, exec, s[2:3]
	s_load_dwordx2 s[48:49], s[0:1], 0x18
	v_mul_u32_u24_e32 v28, 0x5c, v0
	v_cmp_ne_u32_e64 s[0:1], 0, v0
	s_waitcnt lgkmcnt(0)
	s_barrier
	s_and_saveexec_b64 s[2:3], s[0:1]
	s_cbranch_execz .LBB111_136
; %bb.135:
	v_add_u32_e32 v0, -1, v0
	v_lshrrev_b32_e32 v29, 5, v0
	v_add_lshl_u32 v0, v29, v0, 2
	ds_read_b32 v54, v0
.LBB111_136:
	s_or_b64 exec, exec, s[2:3]
	s_and_saveexec_b64 s[2:3], s[0:1]
	s_cbranch_execz .LBB111_140
; %bb.137:
	s_waitcnt lgkmcnt(0)
	v_max_f32_e32 v0, v54, v54
	v_min_f32_e32 v29, v0, v53
	v_cmp_u_f32_e32 vcc, v54, v54
	v_max_f32_e32 v0, v0, v53
	s_movk_i32 s0, 0x1f8
	v_cndmask_b32_e32 v29, v29, v54, vcc
	v_cndmask_b32_e32 v0, v0, v54, vcc
	v_cndmask_b32_e64 v29, v29, v2, s[96:97]
	v_cndmask_b32_e64 v0, v0, v2, s[96:97]
	v_cmp_neq_f32_e32 vcc, v29, v0
	v_cmp_class_f32_e64 s[0:1], v29, s0
	s_or_b64 s[4:5], vcc, s[0:1]
	s_and_saveexec_b64 s[0:1], s[4:5]
	s_cbranch_execz .LBB111_139
; %bb.138:
	v_sub_f32_e32 v2, v29, v0
	s_mov_b32 s4, 0x3fb8aa3b
	v_mul_f32_e32 v29, 0x3fb8aa3b, v2
	v_fma_f32 v51, v2, s4, -v29
	v_rndne_f32_e32 v52, v29
	v_fmamk_f32 v51, v2, 0x32a5705f, v51
	v_sub_f32_e32 v29, v29, v52
	v_add_f32_e32 v29, v29, v51
	v_exp_f32_e32 v29, v29
	v_cvt_i32_f32_e32 v51, v52
	s_mov_b32 s4, 0xc2ce8ed0
	v_cmp_ngt_f32_e32 vcc, s4, v2
	s_mov_b32 s4, 0x42b17218
	v_ldexp_f32 v29, v29, v51
	v_cndmask_b32_e32 v29, 0, v29, vcc
	v_mov_b32_e32 v51, 0x7f800000
	v_cmp_nlt_f32_e32 vcc, s4, v2
	s_mov_b32 s4, 0x3f2aaaab
	s_mov_b32 s5, 0x7f800000
	v_cndmask_b32_e32 v51, v51, v29, vcc
	v_add_f32_e32 v2, 1.0, v51
	v_add_f32_e32 v29, -1.0, v2
	v_sub_f32_e32 v52, v29, v2
	v_add_f32_e32 v52, 1.0, v52
	v_sub_f32_e32 v29, v51, v29
	v_add_f32_e32 v29, v29, v52
	v_frexp_mant_f32_e32 v54, v2
	v_cvt_f64_f32_e32 v[52:53], v2
	v_frexp_exp_i32_f64_e32 v52, v[52:53]
	v_cmp_gt_f32_e32 vcc, s4, v54
	s_mov_b32 s4, 0x3f317218
	s_nop 0
	v_subbrev_co_u32_e32 v60, vcc, 0, v52, vcc
	v_sub_u32_e32 v52, 0, v60
	v_ldexp_f32 v2, v2, v52
	v_ldexp_f32 v29, v29, v52
	v_add_f32_e32 v52, -1.0, v2
	v_add_f32_e32 v53, 1.0, v52
	v_sub_f32_e32 v53, v2, v53
	v_add_f32_e32 v54, v29, v53
	v_add_f32_e32 v53, 1.0, v2
	v_add_f32_e32 v55, -1.0, v53
	v_sub_f32_e32 v2, v2, v55
	v_add_f32_e32 v2, v29, v2
	v_add_f32_e32 v29, v53, v2
	v_rcp_f32_e32 v61, v29
	v_sub_f32_e32 v53, v53, v29
	v_add_f32_e32 v2, v2, v53
	v_add_f32_e32 v53, v52, v54
	v_sub_f32_e32 v52, v52, v53
	v_mul_f32_e32 v63, v53, v61
	v_add_f32_e32 v62, v54, v52
	v_mul_f32_e32 v54, v29, v63
	v_fma_f32 v56, v63, v29, -v54
	v_fmac_f32_e32 v56, v63, v2
	v_add_f32_e32 v52, v54, v56
	v_sub_f32_e32 v55, v53, v52
	v_pk_add_f32 v[58:59], v[52:53], v[54:55] neg_lo:[0,1] neg_hi:[0,1]
	v_mov_b32_e32 v57, v52
	v_pk_add_f32 v[52:53], v[58:59], v[56:57] neg_lo:[0,1] neg_hi:[0,1]
	v_cmp_eq_f32_e32 vcc, s5, v51
	v_add_f32_e32 v53, v62, v53
	v_add_f32_e32 v52, v52, v53
	;; [unrolled: 1-line block ×3, first 2 shown]
	v_mul_f32_e32 v62, v61, v53
	v_mul_f32_e32 v54, v29, v62
	v_fma_f32 v56, v62, v29, -v54
	v_fmac_f32_e32 v56, v62, v2
	v_sub_f32_e32 v2, v55, v53
	v_add_f32_e32 v2, v52, v2
	v_add_f32_e32 v52, v54, v56
	v_sub_f32_e32 v55, v53, v52
	v_pk_add_f32 v[58:59], v[52:53], v[54:55] neg_lo:[0,1] neg_hi:[0,1]
	v_mov_b32_e32 v57, v52
	v_pk_add_f32 v[52:53], v[58:59], v[56:57] neg_lo:[0,1] neg_hi:[0,1]
	v_add_f32_e32 v29, v63, v62
	v_add_f32_e32 v2, v2, v53
	;; [unrolled: 1-line block ×4, first 2 shown]
	v_sub_f32_e32 v52, v29, v63
	v_mul_f32_e32 v2, v61, v2
	v_sub_f32_e32 v52, v62, v52
	v_add_f32_e32 v2, v52, v2
	v_add_f32_e32 v52, v29, v2
	v_cvt_f32_i32_e32 v54, v60
	v_mul_f32_e32 v55, v52, v52
	v_mov_b32_e32 v53, 0x3ecc95a3
	v_fmac_f32_e32 v53, 0x3e9b6dac, v55
	v_fmaak_f32 v53, v55, v53, 0x3f2aaada
	v_sub_f32_e32 v29, v52, v29
	v_ldexp_f32 v57, v52, 1
	v_mul_f32_e32 v55, v52, v55
	v_mov_b32_e32 v52, 0x3f317218
	v_pk_mul_f32 v[52:53], v[54:55], v[52:53]
	v_sub_f32_e32 v2, v2, v29
	v_fma_f32 v29, v54, s4, -v52
	v_fmamk_f32 v56, v54, 0xb102e308, v29
	v_pk_add_f32 v[54:55], v[52:53], v[56:57]
	v_ldexp_f32 v2, v2, 1
	v_sub_f32_e32 v29, v55, v57
	v_sub_f32_e32 v29, v53, v29
	v_add_f32_e32 v59, v2, v29
	v_mov_b32_e32 v58, v52
	v_pk_add_f32 v[52:53], v[54:55], v[52:53] neg_lo:[0,1] neg_hi:[0,1]
	v_pk_add_f32 v[60:61], v[54:55], v[58:59]
	v_mov_b32_e32 v57, v54
	v_mov_b32_e32 v53, v61
	v_pk_add_f32 v[62:63], v[56:57], v[52:53] neg_lo:[0,1] neg_hi:[0,1]
	v_pk_add_f32 v[52:53], v[56:57], v[52:53]
	s_mov_b32 s4, 0x33800000
	v_mov_b32_e32 v2, v53
	v_pk_add_f32 v[56:57], v[2:3], v[54:55] neg_lo:[0,1] neg_hi:[0,1]
	v_mov_b32_e32 v52, v61
	v_mov_b32_e32 v29, v56
	v_pk_add_f32 v[64:65], v[60:61], v[28:29] neg_lo:[0,1] neg_hi:[0,1]
	v_mov_b32_e32 v60, v55
	v_mov_b32_e32 v61, v56
	v_mov_b32_e32 v63, v53
	v_pk_add_f32 v[52:53], v[52:53], v[60:61] neg_lo:[0,1] neg_hi:[0,1]
	v_mov_b32_e32 v56, v59
	v_mov_b32_e32 v57, v54
	v_pk_add_f32 v[52:53], v[56:57], v[52:53] neg_lo:[0,1] neg_hi:[0,1]
	v_mov_b32_e32 v64, v62
	v_pk_add_f32 v[54:55], v[64:65], v[52:53]
	v_cmp_lt_f32_e64 s[4:5], |v51|, s4
	v_mov_b32_e32 v56, v55
	v_pk_add_f32 v[56:57], v[54:55], v[56:57]
	s_or_b64 vcc, vcc, s[4:5]
	v_pk_add_f32 v[58:59], v[2:3], v[56:57]
	v_mov_b32_e32 v53, v56
	v_mov_b32_e32 v55, v58
	v_pk_add_f32 v[60:61], v[54:55], v[62:63] neg_lo:[0,1] neg_hi:[0,1]
	s_nop 0
	v_sub_f32_e32 v2, v54, v60
	v_pk_add_f32 v[52:53], v[52:53], v[60:61] neg_lo:[0,1] neg_hi:[0,1]
	v_sub_f32_e32 v2, v62, v2
	v_add_f32_e32 v2, v52, v2
	v_add_f32_e32 v2, v2, v53
	;; [unrolled: 1-line block ×3, first 2 shown]
	v_cndmask_b32_e32 v2, v2, v51, vcc
	v_add_f32_e32 v54, v0, v2
.LBB111_139:
	s_or_b64 exec, exec, s[0:1]
	v_max_f32_e32 v0, v54, v54
	v_min_f32_e32 v51, v0, v34
	v_max_f32_e32 v52, v0, v34
	v_mov_b32_e32 v2, v54
	;;#ASMSTART
	;;#ASMEND
.LBB111_140:
	s_or_b64 exec, exec, s[2:3]
	v_cmp_u_f32_e32 vcc, v2, v2
	s_movk_i32 s2, 0x1f8
	s_nop 0
	v_cndmask_b32_e32 v0, v51, v2, vcc
	v_cndmask_b32_e64 v29, v0, v3, s[50:51]
	v_cndmask_b32_e32 v0, v52, v2, vcc
	v_cndmask_b32_e64 v0, v0, v3, s[50:51]
	v_cmp_neq_f32_e32 vcc, v29, v0
	v_cmp_class_f32_e64 s[0:1], v29, s2
	s_or_b64 s[4:5], vcc, s[0:1]
	v_mov_b32_e32 v3, v2
	s_and_saveexec_b64 s[0:1], s[4:5]
	s_cbranch_execz .LBB111_142
; %bb.141:
	v_sub_f32_e32 v3, v29, v0
	s_mov_b32 s3, 0x3fb8aa3b
	v_mul_f32_e32 v29, 0x3fb8aa3b, v3
	v_fma_f32 v34, v3, s3, -v29
	v_rndne_f32_e32 v51, v29
	v_fmamk_f32 v34, v3, 0x32a5705f, v34
	v_sub_f32_e32 v29, v29, v51
	v_add_f32_e32 v29, v29, v34
	v_exp_f32_e32 v29, v29
	v_cvt_i32_f32_e32 v34, v51
	s_mov_b32 s3, 0xc2ce8ed0
	v_cmp_ngt_f32_e32 vcc, s3, v3
	s_mov_b32 s3, 0x42b17218
	v_ldexp_f32 v29, v29, v34
	v_cndmask_b32_e32 v29, 0, v29, vcc
	v_mov_b32_e32 v34, 0x7f800000
	v_cmp_nlt_f32_e32 vcc, s3, v3
	s_mov_b32 s3, 0x3f2aaaab
	s_mov_b32 s4, 0x7f800000
	v_cndmask_b32_e32 v29, v34, v29, vcc
	v_add_f32_e32 v3, 1.0, v29
	v_add_f32_e32 v34, -1.0, v3
	v_sub_f32_e32 v51, v34, v3
	v_add_f32_e32 v51, 1.0, v51
	v_sub_f32_e32 v34, v29, v34
	v_add_f32_e32 v34, v34, v51
	v_frexp_mant_f32_e32 v51, v3
	v_cvt_f64_f32_e32 v[52:53], v3
	v_frexp_exp_i32_f64_e32 v52, v[52:53]
	v_cmp_gt_f32_e32 vcc, s3, v51
	s_mov_b32 s3, 0x3f317218
	s_nop 0
	v_subbrev_co_u32_e32 v51, vcc, 0, v52, vcc
	v_sub_u32_e32 v52, 0, v51
	v_ldexp_f32 v3, v3, v52
	v_ldexp_f32 v34, v34, v52
	v_add_f32_e32 v52, -1.0, v3
	v_add_f32_e32 v53, 1.0, v52
	v_sub_f32_e32 v53, v3, v53
	s_waitcnt lgkmcnt(0)
	v_add_f32_e32 v54, v34, v53
	v_add_f32_e32 v53, 1.0, v3
	v_add_f32_e32 v55, -1.0, v53
	v_sub_f32_e32 v3, v3, v55
	v_add_f32_e32 v3, v34, v3
	v_add_f32_e32 v34, v53, v3
	v_rcp_f32_e32 v60, v34
	v_sub_f32_e32 v53, v53, v34
	v_add_f32_e32 v3, v3, v53
	v_add_f32_e32 v53, v52, v54
	v_sub_f32_e32 v52, v52, v53
	v_mul_f32_e32 v62, v53, v60
	v_add_f32_e32 v61, v54, v52
	v_mul_f32_e32 v54, v34, v62
	v_fma_f32 v56, v62, v34, -v54
	v_fmac_f32_e32 v56, v62, v3
	v_add_f32_e32 v52, v54, v56
	v_sub_f32_e32 v55, v53, v52
	v_pk_add_f32 v[58:59], v[52:53], v[54:55] neg_lo:[0,1] neg_hi:[0,1]
	v_mov_b32_e32 v57, v52
	v_pk_add_f32 v[52:53], v[58:59], v[56:57] neg_lo:[0,1] neg_hi:[0,1]
	v_cmp_eq_f32_e32 vcc, s4, v29
	v_add_f32_e32 v53, v61, v53
	v_add_f32_e32 v52, v52, v53
	;; [unrolled: 1-line block ×3, first 2 shown]
	v_mul_f32_e32 v61, v60, v53
	v_mul_f32_e32 v54, v34, v61
	v_fma_f32 v56, v61, v34, -v54
	v_fmac_f32_e32 v56, v61, v3
	v_sub_f32_e32 v3, v55, v53
	v_add_f32_e32 v3, v52, v3
	v_add_f32_e32 v52, v54, v56
	v_sub_f32_e32 v55, v53, v52
	v_pk_add_f32 v[58:59], v[52:53], v[54:55] neg_lo:[0,1] neg_hi:[0,1]
	v_mov_b32_e32 v57, v52
	v_pk_add_f32 v[52:53], v[58:59], v[56:57] neg_lo:[0,1] neg_hi:[0,1]
	v_add_f32_e32 v34, v62, v61
	v_add_f32_e32 v3, v3, v53
	;; [unrolled: 1-line block ×4, first 2 shown]
	v_sub_f32_e32 v52, v34, v62
	v_mul_f32_e32 v3, v60, v3
	v_sub_f32_e32 v52, v61, v52
	v_add_f32_e32 v3, v52, v3
	v_add_f32_e32 v52, v34, v3
	v_cvt_f32_i32_e32 v54, v51
	v_mul_f32_e32 v55, v52, v52
	v_mov_b32_e32 v53, 0x3ecc95a3
	v_fmac_f32_e32 v53, 0x3e9b6dac, v55
	v_fmaak_f32 v53, v55, v53, 0x3f2aaada
	v_sub_f32_e32 v34, v52, v34
	v_ldexp_f32 v57, v52, 1
	v_mul_f32_e32 v55, v52, v55
	v_mov_b32_e32 v52, 0x3f317218
	v_pk_mul_f32 v[52:53], v[54:55], v[52:53]
	v_sub_f32_e32 v3, v3, v34
	v_fma_f32 v34, v54, s3, -v52
	v_fmamk_f32 v56, v54, 0xb102e308, v34
	v_pk_add_f32 v[54:55], v[52:53], v[56:57]
	v_ldexp_f32 v3, v3, 1
	v_sub_f32_e32 v34, v55, v57
	v_sub_f32_e32 v34, v53, v34
	v_add_f32_e32 v59, v3, v34
	v_mov_b32_e32 v58, v52
	v_pk_add_f32 v[52:53], v[54:55], v[52:53] neg_lo:[0,1] neg_hi:[0,1]
	v_pk_add_f32 v[60:61], v[54:55], v[58:59]
	v_mov_b32_e32 v57, v54
	v_mov_b32_e32 v53, v61
	v_pk_add_f32 v[62:63], v[56:57], v[52:53] neg_lo:[0,1] neg_hi:[0,1]
	v_pk_add_f32 v[52:53], v[56:57], v[52:53]
	s_mov_b32 s3, 0x33800000
	v_mov_b32_e32 v34, v53
	v_pk_add_f32 v[56:57], v[34:35], v[54:55] neg_lo:[0,1] neg_hi:[0,1]
	v_mov_b32_e32 v52, v61
	v_mov_b32_e32 v3, v56
	v_pk_add_f32 v[64:65], v[60:61], v[2:3] neg_lo:[0,1] neg_hi:[0,1]
	v_mov_b32_e32 v60, v55
	v_mov_b32_e32 v61, v56
	;; [unrolled: 1-line block ×3, first 2 shown]
	v_pk_add_f32 v[52:53], v[52:53], v[60:61] neg_lo:[0,1] neg_hi:[0,1]
	v_mov_b32_e32 v56, v59
	v_mov_b32_e32 v57, v54
	v_pk_add_f32 v[52:53], v[56:57], v[52:53] neg_lo:[0,1] neg_hi:[0,1]
	v_mov_b32_e32 v64, v62
	v_pk_add_f32 v[54:55], v[64:65], v[52:53]
	v_cmp_lt_f32_e64 s[4:5], |v29|, s3
	v_mov_b32_e32 v56, v55
	v_pk_add_f32 v[56:57], v[54:55], v[56:57]
	s_or_b64 vcc, vcc, s[4:5]
	v_pk_add_f32 v[58:59], v[34:35], v[56:57]
	v_mov_b32_e32 v53, v56
	v_mov_b32_e32 v55, v58
	v_pk_add_f32 v[60:61], v[54:55], v[62:63] neg_lo:[0,1] neg_hi:[0,1]
	s_nop 0
	v_sub_f32_e32 v3, v54, v60
	v_pk_add_f32 v[52:53], v[52:53], v[60:61] neg_lo:[0,1] neg_hi:[0,1]
	v_sub_f32_e32 v3, v62, v3
	v_add_f32_e32 v3, v52, v3
	v_add_f32_e32 v3, v3, v53
	;; [unrolled: 1-line block ×3, first 2 shown]
	v_cndmask_b32_e32 v3, v3, v29, vcc
	v_add_f32_e32 v3, v0, v3
.LBB111_142:
	s_or_b64 exec, exec, s[0:1]
	v_max_f32_e32 v0, v3, v3
	v_min_f32_e32 v29, v0, v1
	v_cmp_u_f32_e32 vcc, v3, v3
	v_max_f32_e32 v0, v0, v1
	s_nop 0
	v_cndmask_b32_e32 v29, v29, v3, vcc
	v_cndmask_b32_e32 v0, v0, v3, vcc
	v_cndmask_b32_e64 v29, v29, v4, s[52:53]
	v_cndmask_b32_e64 v0, v0, v4, s[52:53]
	v_cmp_neq_f32_e32 vcc, v29, v0
	v_cmp_class_f32_e64 s[0:1], v29, s2
	s_or_b64 s[2:3], vcc, s[0:1]
	v_mov_b32_e32 v4, v3
	s_and_saveexec_b64 s[0:1], s[2:3]
	s_cbranch_execz .LBB111_144
; %bb.143:
	v_sub_f32_e32 v1, v29, v0
	s_mov_b32 s2, 0x3fb8aa3b
	v_mul_f32_e32 v4, 0x3fb8aa3b, v1
	v_fma_f32 v29, v1, s2, -v4
	v_rndne_f32_e32 v34, v4
	v_fmamk_f32 v29, v1, 0x32a5705f, v29
	v_sub_f32_e32 v4, v4, v34
	v_add_f32_e32 v4, v4, v29
	v_exp_f32_e32 v4, v4
	v_cvt_i32_f32_e32 v29, v34
	s_mov_b32 s2, 0xc2ce8ed0
	v_cmp_ngt_f32_e32 vcc, s2, v1
	s_mov_b32 s2, 0x42b17218
	v_ldexp_f32 v4, v4, v29
	v_cndmask_b32_e32 v4, 0, v4, vcc
	v_mov_b32_e32 v29, 0x7f800000
	v_cmp_nlt_f32_e32 vcc, s2, v1
	s_mov_b32 s2, 0x3f2aaaab
	s_mov_b32 s3, 0x7f800000
	v_cndmask_b32_e32 v29, v29, v4, vcc
	v_add_f32_e32 v1, 1.0, v29
	v_add_f32_e32 v4, -1.0, v1
	v_sub_f32_e32 v34, v4, v1
	v_add_f32_e32 v34, 1.0, v34
	v_sub_f32_e32 v4, v29, v4
	v_add_f32_e32 v4, v4, v34
	v_frexp_mant_f32_e32 v34, v1
	v_cvt_f64_f32_e32 v[52:53], v1
	v_frexp_exp_i32_f64_e32 v51, v[52:53]
	v_cmp_gt_f32_e32 vcc, s2, v34
	s_mov_b32 s2, 0x3f317218
	s_nop 0
	v_subbrev_co_u32_e32 v34, vcc, 0, v51, vcc
	v_sub_u32_e32 v51, 0, v34
	v_ldexp_f32 v1, v1, v51
	v_ldexp_f32 v4, v4, v51
	v_add_f32_e32 v51, -1.0, v1
	v_add_f32_e32 v53, 1.0, v1
	v_add_f32_e32 v52, 1.0, v51
	s_waitcnt lgkmcnt(0)
	v_add_f32_e32 v54, -1.0, v53
	v_sub_f32_e32 v52, v1, v52
	v_sub_f32_e32 v1, v1, v54
	v_add_f32_e32 v1, v4, v1
	v_add_f32_e32 v52, v4, v52
	;; [unrolled: 1-line block ×3, first 2 shown]
	v_rcp_f32_e32 v60, v4
	v_sub_f32_e32 v53, v53, v4
	v_add_f32_e32 v1, v1, v53
	v_add_f32_e32 v53, v51, v52
	v_mul_f32_e32 v61, v53, v60
	v_mul_f32_e32 v54, v4, v61
	v_fma_f32 v56, v61, v4, -v54
	v_sub_f32_e32 v51, v51, v53
	v_fmac_f32_e32 v56, v61, v1
	v_add_f32_e32 v51, v52, v51
	v_add_f32_e32 v52, v54, v56
	v_sub_f32_e32 v55, v53, v52
	v_pk_add_f32 v[58:59], v[52:53], v[54:55] neg_lo:[0,1] neg_hi:[0,1]
	v_mov_b32_e32 v57, v52
	v_pk_add_f32 v[52:53], v[58:59], v[56:57] neg_lo:[0,1] neg_hi:[0,1]
	v_cmp_eq_f32_e32 vcc, s3, v29
	v_add_f32_e32 v51, v51, v53
	v_add_f32_e32 v51, v52, v51
	;; [unrolled: 1-line block ×3, first 2 shown]
	v_mul_f32_e32 v62, v60, v53
	v_mul_f32_e32 v54, v4, v62
	v_fma_f32 v56, v62, v4, -v54
	v_fmac_f32_e32 v56, v62, v1
	v_add_f32_e32 v52, v54, v56
	v_sub_f32_e32 v1, v55, v53
	v_sub_f32_e32 v55, v53, v52
	v_pk_add_f32 v[58:59], v[52:53], v[54:55] neg_lo:[0,1] neg_hi:[0,1]
	v_mov_b32_e32 v57, v52
	v_add_f32_e32 v1, v51, v1
	v_pk_add_f32 v[52:53], v[58:59], v[56:57] neg_lo:[0,1] neg_hi:[0,1]
	v_add_f32_e32 v4, v61, v62
	v_add_f32_e32 v1, v1, v53
	;; [unrolled: 1-line block ×4, first 2 shown]
	v_sub_f32_e32 v51, v4, v61
	v_mul_f32_e32 v1, v60, v1
	v_sub_f32_e32 v51, v62, v51
	v_add_f32_e32 v1, v51, v1
	v_add_f32_e32 v51, v4, v1
	v_cvt_f32_i32_e32 v54, v34
	v_mul_f32_e32 v52, v51, v51
	v_mov_b32_e32 v53, 0x3ecc95a3
	v_fmac_f32_e32 v53, 0x3e9b6dac, v52
	v_fmaak_f32 v53, v52, v53, 0x3f2aaada
	v_mul_f32_e32 v55, v51, v52
	v_mov_b32_e32 v52, 0x3f317218
	v_sub_f32_e32 v4, v51, v4
	v_pk_mul_f32 v[52:53], v[54:55], v[52:53]
	v_sub_f32_e32 v1, v1, v4
	v_fma_f32 v4, v54, s2, -v52
	v_ldexp_f32 v57, v51, 1
	v_fmamk_f32 v56, v54, 0xb102e308, v4
	v_pk_add_f32 v[54:55], v[52:53], v[56:57]
	v_ldexp_f32 v1, v1, 1
	v_sub_f32_e32 v4, v55, v57
	v_sub_f32_e32 v4, v53, v4
	v_add_f32_e32 v59, v1, v4
	v_mov_b32_e32 v58, v52
	v_pk_add_f32 v[52:53], v[54:55], v[52:53] neg_lo:[0,1] neg_hi:[0,1]
	v_pk_add_f32 v[60:61], v[54:55], v[58:59]
	v_mov_b32_e32 v57, v54
	v_mov_b32_e32 v53, v61
	v_pk_add_f32 v[62:63], v[56:57], v[52:53] neg_lo:[0,1] neg_hi:[0,1]
	v_pk_add_f32 v[52:53], v[56:57], v[52:53]
	s_mov_b32 s2, 0x33800000
	v_mov_b32_e32 v4, v53
	v_pk_add_f32 v[56:57], v[4:5], v[54:55] neg_lo:[0,1] neg_hi:[0,1]
	v_mov_b32_e32 v52, v61
	v_mov_b32_e32 v1, v56
	v_pk_add_f32 v[64:65], v[60:61], v[0:1] neg_lo:[0,1] neg_hi:[0,1]
	v_mov_b32_e32 v60, v55
	v_mov_b32_e32 v61, v56
	;; [unrolled: 1-line block ×3, first 2 shown]
	v_pk_add_f32 v[52:53], v[52:53], v[60:61] neg_lo:[0,1] neg_hi:[0,1]
	v_mov_b32_e32 v56, v59
	v_mov_b32_e32 v57, v54
	v_pk_add_f32 v[52:53], v[56:57], v[52:53] neg_lo:[0,1] neg_hi:[0,1]
	v_mov_b32_e32 v64, v62
	v_pk_add_f32 v[54:55], v[64:65], v[52:53]
	v_cmp_lt_f32_e64 s[2:3], |v29|, s2
	v_mov_b32_e32 v34, v55
	v_pk_add_f32 v[56:57], v[54:55], v[34:35]
	s_or_b64 vcc, vcc, s[2:3]
	v_pk_add_f32 v[58:59], v[4:5], v[56:57]
	v_mov_b32_e32 v53, v56
	v_mov_b32_e32 v55, v58
	v_pk_add_f32 v[60:61], v[54:55], v[62:63] neg_lo:[0,1] neg_hi:[0,1]
	s_nop 0
	v_sub_f32_e32 v1, v54, v60
	v_pk_add_f32 v[52:53], v[52:53], v[60:61] neg_lo:[0,1] neg_hi:[0,1]
	v_sub_f32_e32 v1, v62, v1
	v_add_f32_e32 v1, v52, v1
	v_add_f32_e32 v1, v1, v53
	;; [unrolled: 1-line block ×3, first 2 shown]
	v_cndmask_b32_e32 v1, v1, v29, vcc
	v_add_f32_e32 v4, v0, v1
.LBB111_144:
	s_or_b64 exec, exec, s[0:1]
	v_max_f32_e32 v0, v4, v4
	v_min_f32_e32 v1, v0, v27
	v_cmp_u_f32_e32 vcc, v4, v4
	v_max_f32_e32 v0, v0, v27
	s_movk_i32 s2, 0x1f8
	v_cndmask_b32_e32 v1, v1, v4, vcc
	v_cndmask_b32_e32 v0, v0, v4, vcc
	v_cndmask_b32_e64 v1, v1, v5, s[54:55]
	v_cndmask_b32_e64 v0, v0, v5, s[54:55]
	v_cmp_neq_f32_e32 vcc, v1, v0
	v_cmp_class_f32_e64 s[0:1], v1, s2
	s_or_b64 s[4:5], vcc, s[0:1]
	v_mov_b32_e32 v5, v4
	s_and_saveexec_b64 s[0:1], s[4:5]
	s_cbranch_execz .LBB111_146
; %bb.145:
	v_sub_f32_e32 v1, v1, v0
	s_mov_b32 s3, 0x3fb8aa3b
	v_mul_f32_e32 v5, 0x3fb8aa3b, v1
	v_fma_f32 v27, v1, s3, -v5
	v_rndne_f32_e32 v29, v5
	v_fmamk_f32 v27, v1, 0x32a5705f, v27
	v_sub_f32_e32 v5, v5, v29
	v_add_f32_e32 v5, v5, v27
	v_exp_f32_e32 v5, v5
	v_cvt_i32_f32_e32 v27, v29
	s_mov_b32 s3, 0xc2ce8ed0
	v_cmp_ngt_f32_e32 vcc, s3, v1
	s_mov_b32 s3, 0x42b17218
	v_ldexp_f32 v5, v5, v27
	v_cndmask_b32_e32 v5, 0, v5, vcc
	v_mov_b32_e32 v27, 0x7f800000
	v_cmp_nlt_f32_e32 vcc, s3, v1
	s_mov_b32 s3, 0x3f2aaaab
	s_mov_b32 s4, 0x7f800000
	v_cndmask_b32_e32 v5, v27, v5, vcc
	v_add_f32_e32 v1, 1.0, v5
	v_add_f32_e32 v27, -1.0, v1
	v_sub_f32_e32 v29, v27, v1
	v_add_f32_e32 v29, 1.0, v29
	v_sub_f32_e32 v27, v5, v27
	v_add_f32_e32 v27, v27, v29
	v_frexp_mant_f32_e32 v29, v1
	v_cvt_f64_f32_e32 v[52:53], v1
	v_frexp_exp_i32_f64_e32 v34, v[52:53]
	v_cmp_gt_f32_e32 vcc, s3, v29
	s_mov_b32 s3, 0x3f317218
	s_nop 0
	v_subbrev_co_u32_e32 v29, vcc, 0, v34, vcc
	v_sub_u32_e32 v34, 0, v29
	v_ldexp_f32 v1, v1, v34
	v_ldexp_f32 v27, v27, v34
	v_add_f32_e32 v34, -1.0, v1
	v_add_f32_e32 v52, 1.0, v1
	v_add_f32_e32 v51, 1.0, v34
	v_add_f32_e32 v53, -1.0, v52
	v_sub_f32_e32 v51, v1, v51
	v_sub_f32_e32 v1, v1, v53
	v_add_f32_e32 v1, v27, v1
	v_add_f32_e32 v51, v27, v51
	;; [unrolled: 1-line block ×3, first 2 shown]
	v_rcp_f32_e32 v60, v27
	v_add_f32_e32 v53, v34, v51
	v_sub_f32_e32 v34, v34, v53
	v_add_f32_e32 v34, v51, v34
	v_mul_f32_e32 v51, v53, v60
	v_sub_f32_e32 v52, v52, v27
	s_waitcnt lgkmcnt(0)
	v_mul_f32_e32 v54, v27, v51
	v_add_f32_e32 v1, v1, v52
	v_fma_f32 v56, v51, v27, -v54
	v_fmac_f32_e32 v56, v51, v1
	v_add_f32_e32 v52, v54, v56
	v_sub_f32_e32 v55, v53, v52
	v_pk_add_f32 v[58:59], v[52:53], v[54:55] neg_lo:[0,1] neg_hi:[0,1]
	v_mov_b32_e32 v57, v52
	v_pk_add_f32 v[52:53], v[58:59], v[56:57] neg_lo:[0,1] neg_hi:[0,1]
	v_cmp_eq_f32_e32 vcc, s4, v5
	v_add_f32_e32 v34, v34, v53
	v_add_f32_e32 v34, v52, v34
	;; [unrolled: 1-line block ×3, first 2 shown]
	v_mul_f32_e32 v61, v60, v53
	v_mul_f32_e32 v54, v27, v61
	v_fma_f32 v56, v61, v27, -v54
	v_fmac_f32_e32 v56, v61, v1
	v_add_f32_e32 v52, v54, v56
	v_sub_f32_e32 v1, v55, v53
	v_sub_f32_e32 v55, v53, v52
	v_pk_add_f32 v[58:59], v[52:53], v[54:55] neg_lo:[0,1] neg_hi:[0,1]
	v_mov_b32_e32 v57, v52
	v_add_f32_e32 v1, v34, v1
	v_pk_add_f32 v[52:53], v[58:59], v[56:57] neg_lo:[0,1] neg_hi:[0,1]
	v_add_f32_e32 v27, v51, v61
	v_add_f32_e32 v1, v1, v53
	;; [unrolled: 1-line block ×4, first 2 shown]
	v_sub_f32_e32 v34, v27, v51
	v_mul_f32_e32 v1, v60, v1
	v_sub_f32_e32 v34, v61, v34
	v_add_f32_e32 v1, v34, v1
	v_add_f32_e32 v34, v27, v1
	v_cvt_f32_i32_e32 v54, v29
	v_mul_f32_e32 v51, v34, v34
	v_mov_b32_e32 v52, 0x3ecc95a3
	v_fmac_f32_e32 v52, 0x3e9b6dac, v51
	v_fmaak_f32 v53, v51, v52, 0x3f2aaada
	v_mul_f32_e32 v55, v34, v51
	v_mov_b32_e32 v52, 0x3f317218
	v_sub_f32_e32 v27, v34, v27
	v_pk_mul_f32 v[52:53], v[54:55], v[52:53]
	v_sub_f32_e32 v1, v1, v27
	v_fma_f32 v27, v54, s3, -v52
	v_ldexp_f32 v57, v34, 1
	v_fmamk_f32 v56, v54, 0xb102e308, v27
	v_pk_add_f32 v[54:55], v[52:53], v[56:57]
	v_ldexp_f32 v1, v1, 1
	v_sub_f32_e32 v27, v55, v57
	v_sub_f32_e32 v27, v53, v27
	v_add_f32_e32 v59, v1, v27
	v_mov_b32_e32 v58, v52
	v_pk_add_f32 v[52:53], v[54:55], v[52:53] neg_lo:[0,1] neg_hi:[0,1]
	v_pk_add_f32 v[60:61], v[54:55], v[58:59]
	v_mov_b32_e32 v57, v54
	v_mov_b32_e32 v53, v61
	v_pk_add_f32 v[62:63], v[56:57], v[52:53] neg_lo:[0,1] neg_hi:[0,1]
	v_pk_add_f32 v[52:53], v[56:57], v[52:53]
	s_mov_b32 s3, 0x33800000
	v_mov_b32_e32 v34, v53
	v_pk_add_f32 v[56:57], v[34:35], v[54:55] neg_lo:[0,1] neg_hi:[0,1]
	v_mov_b32_e32 v52, v61
	v_mov_b32_e32 v1, v56
	v_pk_add_f32 v[64:65], v[60:61], v[0:1] neg_lo:[0,1] neg_hi:[0,1]
	v_mov_b32_e32 v60, v55
	v_mov_b32_e32 v61, v56
	;; [unrolled: 1-line block ×3, first 2 shown]
	v_pk_add_f32 v[52:53], v[52:53], v[60:61] neg_lo:[0,1] neg_hi:[0,1]
	v_mov_b32_e32 v56, v59
	v_mov_b32_e32 v57, v54
	v_pk_add_f32 v[52:53], v[56:57], v[52:53] neg_lo:[0,1] neg_hi:[0,1]
	v_mov_b32_e32 v64, v62
	v_pk_add_f32 v[54:55], v[64:65], v[52:53]
	v_cmp_lt_f32_e64 s[4:5], |v5|, s3
	v_mov_b32_e32 v56, v55
	v_pk_add_f32 v[56:57], v[54:55], v[56:57]
	s_or_b64 vcc, vcc, s[4:5]
	v_pk_add_f32 v[58:59], v[34:35], v[56:57]
	v_mov_b32_e32 v53, v56
	v_mov_b32_e32 v55, v58
	v_pk_add_f32 v[60:61], v[54:55], v[62:63] neg_lo:[0,1] neg_hi:[0,1]
	s_nop 0
	v_sub_f32_e32 v1, v54, v60
	v_pk_add_f32 v[52:53], v[52:53], v[60:61] neg_lo:[0,1] neg_hi:[0,1]
	v_sub_f32_e32 v1, v62, v1
	v_add_f32_e32 v1, v52, v1
	v_add_f32_e32 v1, v1, v53
	;; [unrolled: 1-line block ×3, first 2 shown]
	v_cndmask_b32_e32 v1, v1, v5, vcc
	v_add_f32_e32 v5, v0, v1
.LBB111_146:
	s_or_b64 exec, exec, s[0:1]
	v_max_f32_e32 v0, v5, v5
	v_min_f32_e32 v1, v0, v30
	v_cmp_u_f32_e32 vcc, v5, v5
	v_max_f32_e32 v0, v0, v30
	s_nop 0
	v_cndmask_b32_e32 v1, v1, v5, vcc
	v_cndmask_b32_e32 v0, v0, v5, vcc
	v_cndmask_b32_e64 v1, v1, v22, s[56:57]
	v_cndmask_b32_e64 v0, v0, v22, s[56:57]
	v_cmp_neq_f32_e32 vcc, v1, v0
	v_cmp_class_f32_e64 s[0:1], v1, s2
	s_or_b64 s[2:3], vcc, s[0:1]
	v_mov_b32_e32 v22, v5
	s_and_saveexec_b64 s[0:1], s[2:3]
	s_cbranch_execz .LBB111_148
; %bb.147:
	v_sub_f32_e32 v1, v1, v0
	s_mov_b32 s2, 0x3fb8aa3b
	v_mul_f32_e32 v22, 0x3fb8aa3b, v1
	v_fma_f32 v27, v1, s2, -v22
	v_rndne_f32_e32 v29, v22
	v_fmamk_f32 v27, v1, 0x32a5705f, v27
	v_sub_f32_e32 v22, v22, v29
	v_add_f32_e32 v22, v22, v27
	v_exp_f32_e32 v22, v22
	v_cvt_i32_f32_e32 v27, v29
	s_mov_b32 s2, 0xc2ce8ed0
	v_cmp_ngt_f32_e32 vcc, s2, v1
	s_mov_b32 s2, 0x42b17218
	v_ldexp_f32 v22, v22, v27
	v_cndmask_b32_e32 v22, 0, v22, vcc
	v_mov_b32_e32 v27, 0x7f800000
	v_cmp_nlt_f32_e32 vcc, s2, v1
	s_mov_b32 s2, 0x3f2aaaab
	s_mov_b32 s3, 0x7f800000
	v_cndmask_b32_e32 v27, v27, v22, vcc
	v_add_f32_e32 v1, 1.0, v27
	v_add_f32_e32 v22, -1.0, v1
	v_sub_f32_e32 v29, v22, v1
	v_add_f32_e32 v29, 1.0, v29
	v_sub_f32_e32 v22, v27, v22
	v_add_f32_e32 v22, v22, v29
	v_frexp_mant_f32_e32 v29, v1
	v_cvt_f64_f32_e32 v[52:53], v1
	v_frexp_exp_i32_f64_e32 v30, v[52:53]
	v_cmp_gt_f32_e32 vcc, s2, v29
	s_mov_b32 s2, 0x3f317218
	s_nop 0
	v_subbrev_co_u32_e32 v29, vcc, 0, v30, vcc
	v_sub_u32_e32 v30, 0, v29
	v_ldexp_f32 v1, v1, v30
	v_ldexp_f32 v22, v22, v30
	v_add_f32_e32 v30, -1.0, v1
	v_add_f32_e32 v51, 1.0, v1
	v_add_f32_e32 v34, 1.0, v30
	v_add_f32_e32 v52, -1.0, v51
	v_sub_f32_e32 v34, v1, v34
	v_sub_f32_e32 v1, v1, v52
	v_add_f32_e32 v1, v22, v1
	v_add_f32_e32 v34, v22, v34
	;; [unrolled: 1-line block ×3, first 2 shown]
	v_sub_f32_e32 v51, v51, v22
	v_add_f32_e32 v1, v1, v51
	v_rcp_f32_e32 v51, v22
	v_add_f32_e32 v53, v30, v34
	v_sub_f32_e32 v30, v30, v53
	v_add_f32_e32 v30, v34, v30
	v_mul_f32_e32 v34, v53, v51
	s_waitcnt lgkmcnt(0)
	v_mul_f32_e32 v54, v22, v34
	v_fma_f32 v56, v34, v22, -v54
	v_fmac_f32_e32 v56, v34, v1
	v_add_f32_e32 v52, v54, v56
	v_sub_f32_e32 v55, v53, v52
	v_pk_add_f32 v[58:59], v[52:53], v[54:55] neg_lo:[0,1] neg_hi:[0,1]
	v_mov_b32_e32 v57, v52
	v_pk_add_f32 v[52:53], v[58:59], v[56:57] neg_lo:[0,1] neg_hi:[0,1]
	v_cmp_eq_f32_e32 vcc, s3, v27
	v_add_f32_e32 v30, v30, v53
	v_add_f32_e32 v30, v52, v30
	;; [unrolled: 1-line block ×3, first 2 shown]
	v_mul_f32_e32 v60, v51, v53
	v_mul_f32_e32 v54, v22, v60
	v_fma_f32 v56, v60, v22, -v54
	v_fmac_f32_e32 v56, v60, v1
	v_add_f32_e32 v52, v54, v56
	v_sub_f32_e32 v1, v55, v53
	v_sub_f32_e32 v55, v53, v52
	v_pk_add_f32 v[58:59], v[52:53], v[54:55] neg_lo:[0,1] neg_hi:[0,1]
	v_mov_b32_e32 v57, v52
	v_add_f32_e32 v1, v30, v1
	v_pk_add_f32 v[52:53], v[58:59], v[56:57] neg_lo:[0,1] neg_hi:[0,1]
	v_add_f32_e32 v22, v34, v60
	v_add_f32_e32 v1, v1, v53
	v_add_f32_e32 v1, v52, v1
	v_add_f32_e32 v1, v55, v1
	v_sub_f32_e32 v30, v22, v34
	v_mul_f32_e32 v1, v51, v1
	v_sub_f32_e32 v30, v60, v30
	v_add_f32_e32 v1, v30, v1
	v_add_f32_e32 v30, v22, v1
	v_cvt_f32_i32_e32 v54, v29
	v_mul_f32_e32 v34, v30, v30
	v_mov_b32_e32 v51, 0x3ecc95a3
	v_fmac_f32_e32 v51, 0x3e9b6dac, v34
	v_fmaak_f32 v53, v34, v51, 0x3f2aaada
	v_mul_f32_e32 v55, v30, v34
	v_mov_b32_e32 v52, 0x3f317218
	v_sub_f32_e32 v22, v30, v22
	v_pk_mul_f32 v[52:53], v[54:55], v[52:53]
	v_sub_f32_e32 v1, v1, v22
	v_fma_f32 v22, v54, s2, -v52
	v_ldexp_f32 v57, v30, 1
	v_fmamk_f32 v56, v54, 0xb102e308, v22
	v_pk_add_f32 v[54:55], v[52:53], v[56:57]
	v_ldexp_f32 v1, v1, 1
	v_sub_f32_e32 v22, v55, v57
	v_sub_f32_e32 v22, v53, v22
	v_add_f32_e32 v59, v1, v22
	v_mov_b32_e32 v58, v52
	v_pk_add_f32 v[52:53], v[54:55], v[52:53] neg_lo:[0,1] neg_hi:[0,1]
	v_pk_add_f32 v[60:61], v[54:55], v[58:59]
	v_mov_b32_e32 v57, v54
	v_mov_b32_e32 v53, v61
	v_pk_add_f32 v[62:63], v[56:57], v[52:53] neg_lo:[0,1] neg_hi:[0,1]
	v_pk_add_f32 v[52:53], v[56:57], v[52:53]
	s_mov_b32 s2, 0x33800000
	v_mov_b32_e32 v22, v53
	v_pk_add_f32 v[56:57], v[22:23], v[54:55] neg_lo:[0,1] neg_hi:[0,1]
	v_mov_b32_e32 v52, v61
	v_mov_b32_e32 v1, v56
	v_pk_add_f32 v[64:65], v[60:61], v[0:1] neg_lo:[0,1] neg_hi:[0,1]
	v_mov_b32_e32 v60, v55
	v_mov_b32_e32 v61, v56
	;; [unrolled: 1-line block ×3, first 2 shown]
	v_pk_add_f32 v[52:53], v[52:53], v[60:61] neg_lo:[0,1] neg_hi:[0,1]
	v_mov_b32_e32 v56, v59
	v_mov_b32_e32 v57, v54
	v_pk_add_f32 v[52:53], v[56:57], v[52:53] neg_lo:[0,1] neg_hi:[0,1]
	v_mov_b32_e32 v64, v62
	v_pk_add_f32 v[54:55], v[64:65], v[52:53]
	v_cmp_lt_f32_e64 s[2:3], |v27|, s2
	v_mov_b32_e32 v30, v55
	v_pk_add_f32 v[56:57], v[54:55], v[30:31]
	s_or_b64 vcc, vcc, s[2:3]
	v_pk_add_f32 v[58:59], v[22:23], v[56:57]
	v_mov_b32_e32 v53, v56
	v_mov_b32_e32 v55, v58
	v_pk_add_f32 v[60:61], v[54:55], v[62:63] neg_lo:[0,1] neg_hi:[0,1]
	s_nop 0
	v_sub_f32_e32 v1, v54, v60
	v_pk_add_f32 v[52:53], v[52:53], v[60:61] neg_lo:[0,1] neg_hi:[0,1]
	v_sub_f32_e32 v1, v62, v1
	v_add_f32_e32 v1, v52, v1
	v_add_f32_e32 v1, v1, v53
	;; [unrolled: 1-line block ×3, first 2 shown]
	v_cndmask_b32_e32 v1, v1, v27, vcc
	v_add_f32_e32 v22, v0, v1
.LBB111_148:
	s_or_b64 exec, exec, s[0:1]
	v_max_f32_e32 v0, v22, v22
	v_min_f32_e32 v1, v0, v31
	v_cmp_u_f32_e32 vcc, v22, v22
	v_max_f32_e32 v0, v0, v31
	s_movk_i32 s2, 0x1f8
	v_cndmask_b32_e32 v1, v1, v22, vcc
	v_cndmask_b32_e32 v0, v0, v22, vcc
	v_cndmask_b32_e64 v1, v1, v23, s[58:59]
	v_cndmask_b32_e64 v0, v0, v23, s[58:59]
	v_cmp_neq_f32_e32 vcc, v1, v0
	v_cmp_class_f32_e64 s[0:1], v1, s2
	s_or_b64 s[4:5], vcc, s[0:1]
	v_mov_b32_e32 v23, v22
	s_and_saveexec_b64 s[0:1], s[4:5]
	s_cbranch_execz .LBB111_150
; %bb.149:
	v_sub_f32_e32 v1, v1, v0
	s_mov_b32 s3, 0x3fb8aa3b
	v_mul_f32_e32 v23, 0x3fb8aa3b, v1
	v_fma_f32 v27, v1, s3, -v23
	v_rndne_f32_e32 v29, v23
	v_fmamk_f32 v27, v1, 0x32a5705f, v27
	v_sub_f32_e32 v23, v23, v29
	v_add_f32_e32 v23, v23, v27
	v_exp_f32_e32 v23, v23
	v_cvt_i32_f32_e32 v27, v29
	s_mov_b32 s3, 0xc2ce8ed0
	v_cmp_ngt_f32_e32 vcc, s3, v1
	s_mov_b32 s3, 0x42b17218
	v_ldexp_f32 v23, v23, v27
	v_cndmask_b32_e32 v23, 0, v23, vcc
	v_mov_b32_e32 v27, 0x7f800000
	v_cmp_nlt_f32_e32 vcc, s3, v1
	s_mov_b32 s3, 0x3f2aaaab
	s_mov_b32 s4, 0x7f800000
	v_cndmask_b32_e32 v23, v27, v23, vcc
	v_add_f32_e32 v1, 1.0, v23
	v_add_f32_e32 v27, -1.0, v1
	v_sub_f32_e32 v29, v27, v1
	v_add_f32_e32 v29, 1.0, v29
	v_sub_f32_e32 v27, v23, v27
	v_add_f32_e32 v27, v27, v29
	v_frexp_mant_f32_e32 v29, v1
	v_cvt_f64_f32_e32 v[30:31], v1
	v_frexp_exp_i32_f64_e32 v30, v[30:31]
	v_cmp_gt_f32_e32 vcc, s3, v29
	s_mov_b32 s3, 0x3f317218
	s_nop 0
	v_subbrev_co_u32_e32 v29, vcc, 0, v30, vcc
	v_sub_u32_e32 v30, 0, v29
	v_ldexp_f32 v1, v1, v30
	v_ldexp_f32 v27, v27, v30
	v_add_f32_e32 v30, -1.0, v1
	v_add_f32_e32 v31, 1.0, v30
	v_sub_f32_e32 v31, v1, v31
	v_add_f32_e32 v34, v27, v31
	v_add_f32_e32 v31, 1.0, v1
	v_add_f32_e32 v51, -1.0, v31
	v_sub_f32_e32 v1, v1, v51
	v_add_f32_e32 v1, v27, v1
	v_add_f32_e32 v27, v31, v1
	v_rcp_f32_e32 v51, v27
	v_sub_f32_e32 v31, v31, v27
	v_add_f32_e32 v1, v1, v31
	v_add_f32_e32 v31, v30, v34
	v_mul_f32_e32 v58, v31, v51
	v_mul_f32_e32 v52, v27, v58
	s_waitcnt lgkmcnt(0)
	v_fma_f32 v54, v58, v27, -v52
	v_sub_f32_e32 v30, v30, v31
	v_fmac_f32_e32 v54, v58, v1
	v_add_f32_e32 v34, v34, v30
	v_add_f32_e32 v30, v52, v54
	v_sub_f32_e32 v53, v31, v30
	v_pk_add_f32 v[56:57], v[30:31], v[52:53] neg_lo:[0,1] neg_hi:[0,1]
	v_mov_b32_e32 v55, v30
	v_pk_add_f32 v[30:31], v[56:57], v[54:55] neg_lo:[0,1] neg_hi:[0,1]
	v_cmp_eq_f32_e32 vcc, s4, v23
	v_add_f32_e32 v31, v34, v31
	v_add_f32_e32 v30, v30, v31
	;; [unrolled: 1-line block ×3, first 2 shown]
	v_mul_f32_e32 v34, v51, v31
	v_mul_f32_e32 v52, v27, v34
	v_fma_f32 v54, v34, v27, -v52
	v_fmac_f32_e32 v54, v34, v1
	v_sub_f32_e32 v1, v53, v31
	v_add_f32_e32 v1, v30, v1
	v_add_f32_e32 v30, v52, v54
	v_sub_f32_e32 v53, v31, v30
	v_pk_add_f32 v[56:57], v[30:31], v[52:53] neg_lo:[0,1] neg_hi:[0,1]
	v_mov_b32_e32 v55, v30
	v_pk_add_f32 v[30:31], v[56:57], v[54:55] neg_lo:[0,1] neg_hi:[0,1]
	v_add_f32_e32 v27, v58, v34
	v_add_f32_e32 v1, v1, v31
	;; [unrolled: 1-line block ×4, first 2 shown]
	v_sub_f32_e32 v30, v27, v58
	v_mul_f32_e32 v1, v51, v1
	v_sub_f32_e32 v30, v34, v30
	v_add_f32_e32 v1, v30, v1
	v_add_f32_e32 v30, v27, v1
	v_cvt_f32_i32_e32 v52, v29
	v_mul_f32_e32 v34, v30, v30
	v_mov_b32_e32 v31, 0x3ecc95a3
	v_fmac_f32_e32 v31, 0x3e9b6dac, v34
	v_fmaak_f32 v31, v34, v31, 0x3f2aaada
	v_sub_f32_e32 v27, v30, v27
	v_ldexp_f32 v55, v30, 1
	v_mul_f32_e32 v53, v30, v34
	v_mov_b32_e32 v30, 0x3f317218
	v_pk_mul_f32 v[30:31], v[52:53], v[30:31]
	v_sub_f32_e32 v1, v1, v27
	v_fma_f32 v27, v52, s3, -v30
	v_fmamk_f32 v54, v52, 0xb102e308, v27
	v_pk_add_f32 v[52:53], v[30:31], v[54:55]
	v_ldexp_f32 v1, v1, 1
	v_sub_f32_e32 v27, v53, v55
	v_sub_f32_e32 v27, v31, v27
	v_add_f32_e32 v57, v1, v27
	v_mov_b32_e32 v56, v30
	v_pk_add_f32 v[30:31], v[52:53], v[30:31] neg_lo:[0,1] neg_hi:[0,1]
	v_pk_add_f32 v[58:59], v[52:53], v[56:57]
	v_mov_b32_e32 v55, v52
	v_mov_b32_e32 v31, v59
	v_pk_add_f32 v[60:61], v[54:55], v[30:31] neg_lo:[0,1] neg_hi:[0,1]
	v_pk_add_f32 v[30:31], v[54:55], v[30:31]
	s_mov_b32 s3, 0x33800000
	v_mov_b32_e32 v34, v31
	v_pk_add_f32 v[54:55], v[34:35], v[52:53] neg_lo:[0,1] neg_hi:[0,1]
	v_mov_b32_e32 v30, v59
	v_mov_b32_e32 v1, v54
	v_pk_add_f32 v[62:63], v[58:59], v[0:1] neg_lo:[0,1] neg_hi:[0,1]
	v_mov_b32_e32 v58, v53
	v_mov_b32_e32 v59, v54
	;; [unrolled: 1-line block ×3, first 2 shown]
	v_pk_add_f32 v[30:31], v[30:31], v[58:59] neg_lo:[0,1] neg_hi:[0,1]
	v_mov_b32_e32 v54, v57
	v_mov_b32_e32 v55, v52
	v_pk_add_f32 v[30:31], v[54:55], v[30:31] neg_lo:[0,1] neg_hi:[0,1]
	v_mov_b32_e32 v62, v60
	v_pk_add_f32 v[52:53], v[62:63], v[30:31]
	v_cmp_lt_f32_e64 s[4:5], |v23|, s3
	v_mov_b32_e32 v54, v53
	v_pk_add_f32 v[54:55], v[52:53], v[54:55]
	s_or_b64 vcc, vcc, s[4:5]
	v_pk_add_f32 v[56:57], v[34:35], v[54:55]
	v_mov_b32_e32 v31, v54
	v_mov_b32_e32 v53, v56
	v_pk_add_f32 v[58:59], v[52:53], v[60:61] neg_lo:[0,1] neg_hi:[0,1]
	s_nop 0
	v_sub_f32_e32 v1, v52, v58
	v_pk_add_f32 v[30:31], v[30:31], v[58:59] neg_lo:[0,1] neg_hi:[0,1]
	v_sub_f32_e32 v1, v60, v1
	v_add_f32_e32 v1, v30, v1
	v_add_f32_e32 v1, v1, v31
	;; [unrolled: 1-line block ×3, first 2 shown]
	v_cndmask_b32_e32 v1, v1, v23, vcc
	v_add_f32_e32 v23, v0, v1
.LBB111_150:
	s_or_b64 exec, exec, s[0:1]
	v_max_f32_e32 v0, v23, v23
	v_min_f32_e32 v1, v0, v32
	v_cmp_u_f32_e32 vcc, v23, v23
	v_max_f32_e32 v0, v0, v32
	s_nop 0
	v_cndmask_b32_e32 v1, v1, v23, vcc
	v_cndmask_b32_e32 v0, v0, v23, vcc
	v_cndmask_b32_e64 v1, v1, v24, s[60:61]
	v_cndmask_b32_e64 v0, v0, v24, s[60:61]
	v_cmp_neq_f32_e32 vcc, v1, v0
	v_cmp_class_f32_e64 s[0:1], v1, s2
	s_or_b64 s[2:3], vcc, s[0:1]
	v_mov_b32_e32 v24, v23
	s_and_saveexec_b64 s[0:1], s[2:3]
	s_cbranch_execz .LBB111_152
; %bb.151:
	v_sub_f32_e32 v1, v1, v0
	s_mov_b32 s2, 0x3fb8aa3b
	v_mul_f32_e32 v24, 0x3fb8aa3b, v1
	v_fma_f32 v27, v1, s2, -v24
	v_rndne_f32_e32 v29, v24
	v_fmamk_f32 v27, v1, 0x32a5705f, v27
	v_sub_f32_e32 v24, v24, v29
	v_add_f32_e32 v24, v24, v27
	v_exp_f32_e32 v24, v24
	v_cvt_i32_f32_e32 v27, v29
	s_mov_b32 s2, 0xc2ce8ed0
	v_cmp_ngt_f32_e32 vcc, s2, v1
	s_mov_b32 s2, 0x42b17218
	v_ldexp_f32 v24, v24, v27
	v_cndmask_b32_e32 v24, 0, v24, vcc
	v_mov_b32_e32 v27, 0x7f800000
	v_cmp_nlt_f32_e32 vcc, s2, v1
	s_mov_b32 s2, 0x3f2aaaab
	s_mov_b32 s3, 0x7f800000
	v_cndmask_b32_e32 v27, v27, v24, vcc
	v_add_f32_e32 v1, 1.0, v27
	v_add_f32_e32 v24, -1.0, v1
	v_sub_f32_e32 v29, v24, v1
	v_add_f32_e32 v29, 1.0, v29
	v_sub_f32_e32 v24, v27, v24
	v_add_f32_e32 v24, v24, v29
	v_frexp_mant_f32_e32 v29, v1
	v_cvt_f64_f32_e32 v[30:31], v1
	v_frexp_exp_i32_f64_e32 v30, v[30:31]
	v_cmp_gt_f32_e32 vcc, s2, v29
	s_mov_b32 s2, 0x3f317218
	s_nop 0
	v_subbrev_co_u32_e32 v29, vcc, 0, v30, vcc
	v_sub_u32_e32 v30, 0, v29
	v_ldexp_f32 v1, v1, v30
	v_ldexp_f32 v24, v24, v30
	v_add_f32_e32 v30, -1.0, v1
	v_add_f32_e32 v31, 1.0, v30
	v_sub_f32_e32 v31, v1, v31
	v_add_f32_e32 v32, v24, v31
	v_add_f32_e32 v31, 1.0, v1
	v_add_f32_e32 v34, -1.0, v31
	v_sub_f32_e32 v1, v1, v34
	v_add_f32_e32 v1, v24, v1
	v_add_f32_e32 v24, v31, v1
	v_rcp_f32_e32 v34, v24
	v_sub_f32_e32 v31, v31, v24
	v_add_f32_e32 v1, v1, v31
	v_add_f32_e32 v31, v30, v32
	v_mul_f32_e32 v51, v31, v34
	v_mul_f32_e32 v52, v24, v51
	s_waitcnt lgkmcnt(0)
	v_fma_f32 v54, v51, v24, -v52
	v_sub_f32_e32 v30, v30, v31
	v_fmac_f32_e32 v54, v51, v1
	v_add_f32_e32 v32, v32, v30
	v_add_f32_e32 v30, v52, v54
	v_sub_f32_e32 v53, v31, v30
	v_pk_add_f32 v[56:57], v[30:31], v[52:53] neg_lo:[0,1] neg_hi:[0,1]
	v_mov_b32_e32 v55, v30
	v_pk_add_f32 v[30:31], v[56:57], v[54:55] neg_lo:[0,1] neg_hi:[0,1]
	v_cmp_eq_f32_e32 vcc, s3, v27
	v_add_f32_e32 v31, v32, v31
	v_add_f32_e32 v30, v30, v31
	;; [unrolled: 1-line block ×3, first 2 shown]
	v_mul_f32_e32 v32, v34, v31
	v_mul_f32_e32 v52, v24, v32
	v_fma_f32 v54, v32, v24, -v52
	v_fmac_f32_e32 v54, v32, v1
	v_sub_f32_e32 v1, v53, v31
	v_add_f32_e32 v1, v30, v1
	v_add_f32_e32 v30, v52, v54
	v_sub_f32_e32 v53, v31, v30
	v_pk_add_f32 v[56:57], v[30:31], v[52:53] neg_lo:[0,1] neg_hi:[0,1]
	v_mov_b32_e32 v55, v30
	v_pk_add_f32 v[30:31], v[56:57], v[54:55] neg_lo:[0,1] neg_hi:[0,1]
	v_add_f32_e32 v24, v51, v32
	v_add_f32_e32 v1, v1, v31
	;; [unrolled: 1-line block ×4, first 2 shown]
	v_sub_f32_e32 v30, v24, v51
	v_mul_f32_e32 v1, v34, v1
	v_sub_f32_e32 v30, v32, v30
	v_add_f32_e32 v1, v30, v1
	v_add_f32_e32 v30, v24, v1
	v_cvt_f32_i32_e32 v52, v29
	v_mul_f32_e32 v32, v30, v30
	v_mov_b32_e32 v31, 0x3ecc95a3
	v_fmac_f32_e32 v31, 0x3e9b6dac, v32
	v_fmaak_f32 v31, v32, v31, 0x3f2aaada
	v_sub_f32_e32 v24, v30, v24
	v_ldexp_f32 v55, v30, 1
	v_mul_f32_e32 v53, v30, v32
	v_mov_b32_e32 v30, 0x3f317218
	v_pk_mul_f32 v[30:31], v[52:53], v[30:31]
	v_sub_f32_e32 v1, v1, v24
	v_fma_f32 v24, v52, s2, -v30
	v_fmamk_f32 v54, v52, 0xb102e308, v24
	v_pk_add_f32 v[52:53], v[30:31], v[54:55]
	v_ldexp_f32 v1, v1, 1
	v_sub_f32_e32 v24, v53, v55
	v_sub_f32_e32 v24, v31, v24
	v_add_f32_e32 v57, v1, v24
	v_mov_b32_e32 v56, v30
	v_pk_add_f32 v[30:31], v[52:53], v[30:31] neg_lo:[0,1] neg_hi:[0,1]
	v_pk_add_f32 v[58:59], v[52:53], v[56:57]
	v_mov_b32_e32 v55, v52
	v_mov_b32_e32 v31, v59
	v_pk_add_f32 v[60:61], v[54:55], v[30:31] neg_lo:[0,1] neg_hi:[0,1]
	v_pk_add_f32 v[30:31], v[54:55], v[30:31]
	s_mov_b32 s2, 0x33800000
	v_mov_b32_e32 v24, v31
	v_pk_add_f32 v[54:55], v[24:25], v[52:53] neg_lo:[0,1] neg_hi:[0,1]
	v_mov_b32_e32 v30, v59
	v_mov_b32_e32 v1, v54
	v_pk_add_f32 v[62:63], v[58:59], v[0:1] neg_lo:[0,1] neg_hi:[0,1]
	v_mov_b32_e32 v58, v53
	v_mov_b32_e32 v59, v54
	;; [unrolled: 1-line block ×3, first 2 shown]
	v_pk_add_f32 v[30:31], v[30:31], v[58:59] neg_lo:[0,1] neg_hi:[0,1]
	v_mov_b32_e32 v54, v57
	v_mov_b32_e32 v55, v52
	v_pk_add_f32 v[30:31], v[54:55], v[30:31] neg_lo:[0,1] neg_hi:[0,1]
	v_mov_b32_e32 v62, v60
	v_pk_add_f32 v[52:53], v[62:63], v[30:31]
	v_cmp_lt_f32_e64 s[2:3], |v27|, s2
	v_mov_b32_e32 v32, v53
	v_pk_add_f32 v[54:55], v[52:53], v[32:33]
	s_or_b64 vcc, vcc, s[2:3]
	v_pk_add_f32 v[56:57], v[24:25], v[54:55]
	v_mov_b32_e32 v31, v54
	v_mov_b32_e32 v53, v56
	v_pk_add_f32 v[58:59], v[52:53], v[60:61] neg_lo:[0,1] neg_hi:[0,1]
	s_nop 0
	v_sub_f32_e32 v1, v52, v58
	v_pk_add_f32 v[30:31], v[30:31], v[58:59] neg_lo:[0,1] neg_hi:[0,1]
	v_sub_f32_e32 v1, v60, v1
	v_add_f32_e32 v1, v30, v1
	v_add_f32_e32 v1, v1, v31
	;; [unrolled: 1-line block ×3, first 2 shown]
	v_cndmask_b32_e32 v1, v1, v27, vcc
	v_add_f32_e32 v24, v0, v1
.LBB111_152:
	s_or_b64 exec, exec, s[0:1]
	v_max_f32_e32 v0, v24, v24
	v_min_f32_e32 v1, v0, v33
	v_cmp_u_f32_e32 vcc, v24, v24
	v_max_f32_e32 v0, v0, v33
	s_movk_i32 s2, 0x1f8
	v_cndmask_b32_e32 v1, v1, v24, vcc
	v_cndmask_b32_e32 v0, v0, v24, vcc
	v_cndmask_b32_e64 v1, v1, v25, s[62:63]
	v_cndmask_b32_e64 v0, v0, v25, s[62:63]
	v_cmp_neq_f32_e32 vcc, v1, v0
	v_cmp_class_f32_e64 s[0:1], v1, s2
	s_or_b64 s[4:5], vcc, s[0:1]
	v_mov_b32_e32 v25, v24
	s_and_saveexec_b64 s[0:1], s[4:5]
	s_cbranch_execz .LBB111_154
; %bb.153:
	v_sub_f32_e32 v1, v1, v0
	s_mov_b32 s3, 0x3fb8aa3b
	v_mul_f32_e32 v25, 0x3fb8aa3b, v1
	v_fma_f32 v27, v1, s3, -v25
	v_rndne_f32_e32 v29, v25
	v_fmamk_f32 v27, v1, 0x32a5705f, v27
	v_sub_f32_e32 v25, v25, v29
	v_add_f32_e32 v25, v25, v27
	v_exp_f32_e32 v25, v25
	v_cvt_i32_f32_e32 v27, v29
	s_mov_b32 s3, 0xc2ce8ed0
	v_cmp_ngt_f32_e32 vcc, s3, v1
	s_mov_b32 s3, 0x42b17218
	v_ldexp_f32 v25, v25, v27
	v_cndmask_b32_e32 v25, 0, v25, vcc
	v_mov_b32_e32 v27, 0x7f800000
	v_cmp_nlt_f32_e32 vcc, s3, v1
	s_mov_b32 s3, 0x3f2aaaab
	s_mov_b32 s4, 0x7f800000
	v_cndmask_b32_e32 v25, v27, v25, vcc
	v_add_f32_e32 v1, 1.0, v25
	v_add_f32_e32 v27, -1.0, v1
	v_sub_f32_e32 v29, v27, v1
	v_add_f32_e32 v29, 1.0, v29
	v_sub_f32_e32 v27, v25, v27
	v_add_f32_e32 v27, v27, v29
	v_frexp_mant_f32_e32 v29, v1
	v_cvt_f64_f32_e32 v[30:31], v1
	v_frexp_exp_i32_f64_e32 v30, v[30:31]
	v_cmp_gt_f32_e32 vcc, s3, v29
	s_mov_b32 s3, 0x3f317218
	s_nop 0
	v_subbrev_co_u32_e32 v29, vcc, 0, v30, vcc
	v_sub_u32_e32 v30, 0, v29
	v_ldexp_f32 v1, v1, v30
	v_ldexp_f32 v27, v27, v30
	v_add_f32_e32 v30, -1.0, v1
	v_add_f32_e32 v31, 1.0, v30
	v_sub_f32_e32 v31, v1, v31
	v_add_f32_e32 v32, v27, v31
	v_add_f32_e32 v31, 1.0, v1
	v_add_f32_e32 v33, -1.0, v31
	v_sub_f32_e32 v1, v1, v33
	v_add_f32_e32 v1, v27, v1
	v_add_f32_e32 v27, v31, v1
	v_rcp_f32_e32 v34, v27
	v_sub_f32_e32 v31, v31, v27
	v_add_f32_e32 v1, v1, v31
	v_add_f32_e32 v31, v30, v32
	v_sub_f32_e32 v30, v30, v31
	v_mul_f32_e32 v56, v31, v34
	v_add_f32_e32 v51, v32, v30
	v_mul_f32_e32 v32, v27, v56
	v_fma_f32 v52, v56, v27, -v32
	v_fmac_f32_e32 v52, v56, v1
	v_add_f32_e32 v30, v32, v52
	v_sub_f32_e32 v33, v31, v30
	s_waitcnt lgkmcnt(0)
	v_pk_add_f32 v[54:55], v[30:31], v[32:33] neg_lo:[0,1] neg_hi:[0,1]
	v_mov_b32_e32 v53, v30
	v_pk_add_f32 v[30:31], v[54:55], v[52:53] neg_lo:[0,1] neg_hi:[0,1]
	v_cmp_eq_f32_e32 vcc, s4, v25
	v_add_f32_e32 v31, v51, v31
	v_add_f32_e32 v30, v30, v31
	;; [unrolled: 1-line block ×3, first 2 shown]
	v_mul_f32_e32 v51, v34, v31
	v_mul_f32_e32 v32, v27, v51
	v_fma_f32 v52, v51, v27, -v32
	v_fmac_f32_e32 v52, v51, v1
	v_sub_f32_e32 v1, v33, v31
	v_add_f32_e32 v1, v30, v1
	v_add_f32_e32 v30, v32, v52
	v_sub_f32_e32 v33, v31, v30
	v_pk_add_f32 v[54:55], v[30:31], v[32:33] neg_lo:[0,1] neg_hi:[0,1]
	v_mov_b32_e32 v53, v30
	v_pk_add_f32 v[30:31], v[54:55], v[52:53] neg_lo:[0,1] neg_hi:[0,1]
	v_add_f32_e32 v27, v56, v51
	v_add_f32_e32 v1, v1, v31
	v_add_f32_e32 v1, v30, v1
	v_add_f32_e32 v1, v33, v1
	v_sub_f32_e32 v30, v27, v56
	v_mul_f32_e32 v1, v34, v1
	v_sub_f32_e32 v30, v51, v30
	v_add_f32_e32 v1, v30, v1
	v_add_f32_e32 v30, v27, v1
	v_cvt_f32_i32_e32 v32, v29
	v_mul_f32_e32 v33, v30, v30
	v_mov_b32_e32 v31, 0x3ecc95a3
	v_fmac_f32_e32 v31, 0x3e9b6dac, v33
	v_fmaak_f32 v31, v33, v31, 0x3f2aaada
	v_sub_f32_e32 v27, v30, v27
	v_ldexp_f32 v53, v30, 1
	v_mul_f32_e32 v33, v30, v33
	v_mov_b32_e32 v30, 0x3f317218
	v_pk_mul_f32 v[30:31], v[32:33], v[30:31]
	v_sub_f32_e32 v1, v1, v27
	v_fma_f32 v27, v32, s3, -v30
	v_fmamk_f32 v52, v32, 0xb102e308, v27
	v_pk_add_f32 v[32:33], v[30:31], v[52:53]
	v_ldexp_f32 v1, v1, 1
	v_sub_f32_e32 v27, v33, v53
	v_sub_f32_e32 v27, v31, v27
	v_add_f32_e32 v55, v1, v27
	v_mov_b32_e32 v54, v30
	v_pk_add_f32 v[30:31], v[32:33], v[30:31] neg_lo:[0,1] neg_hi:[0,1]
	v_pk_add_f32 v[56:57], v[32:33], v[54:55]
	v_mov_b32_e32 v53, v32
	v_mov_b32_e32 v31, v57
	v_pk_add_f32 v[58:59], v[52:53], v[30:31] neg_lo:[0,1] neg_hi:[0,1]
	v_pk_add_f32 v[30:31], v[52:53], v[30:31]
	s_mov_b32 s3, 0x33800000
	v_mov_b32_e32 v34, v31
	v_pk_add_f32 v[52:53], v[34:35], v[32:33] neg_lo:[0,1] neg_hi:[0,1]
	v_mov_b32_e32 v30, v57
	v_mov_b32_e32 v1, v52
	v_pk_add_f32 v[60:61], v[56:57], v[0:1] neg_lo:[0,1] neg_hi:[0,1]
	v_mov_b32_e32 v56, v33
	v_mov_b32_e32 v57, v52
	v_mov_b32_e32 v59, v31
	v_pk_add_f32 v[30:31], v[30:31], v[56:57] neg_lo:[0,1] neg_hi:[0,1]
	v_mov_b32_e32 v52, v55
	v_mov_b32_e32 v53, v32
	v_pk_add_f32 v[30:31], v[52:53], v[30:31] neg_lo:[0,1] neg_hi:[0,1]
	v_mov_b32_e32 v60, v58
	v_pk_add_f32 v[32:33], v[60:61], v[30:31]
	v_cmp_lt_f32_e64 s[4:5], |v25|, s3
	v_mov_b32_e32 v52, v33
	v_pk_add_f32 v[52:53], v[32:33], v[52:53]
	s_or_b64 vcc, vcc, s[4:5]
	v_pk_add_f32 v[54:55], v[34:35], v[52:53]
	v_mov_b32_e32 v31, v52
	v_mov_b32_e32 v33, v54
	v_pk_add_f32 v[56:57], v[32:33], v[58:59] neg_lo:[0,1] neg_hi:[0,1]
	s_nop 0
	v_sub_f32_e32 v1, v32, v56
	v_pk_add_f32 v[30:31], v[30:31], v[56:57] neg_lo:[0,1] neg_hi:[0,1]
	v_sub_f32_e32 v1, v58, v1
	v_add_f32_e32 v1, v30, v1
	v_add_f32_e32 v1, v1, v31
	;; [unrolled: 1-line block ×3, first 2 shown]
	v_cndmask_b32_e32 v1, v1, v25, vcc
	v_add_f32_e32 v25, v0, v1
.LBB111_154:
	s_or_b64 exec, exec, s[0:1]
	v_max_f32_e32 v0, v25, v25
	v_min_f32_e32 v1, v0, v35
	v_cmp_u_f32_e32 vcc, v25, v25
	v_max_f32_e32 v0, v0, v35
	s_nop 0
	v_cndmask_b32_e32 v1, v1, v25, vcc
	v_cndmask_b32_e32 v0, v0, v25, vcc
	v_cndmask_b32_e64 v1, v1, v18, s[64:65]
	v_cndmask_b32_e64 v0, v0, v18, s[64:65]
	v_cmp_neq_f32_e32 vcc, v1, v0
	v_cmp_class_f32_e64 s[0:1], v1, s2
	s_or_b64 s[2:3], vcc, s[0:1]
	v_mov_b32_e32 v18, v25
	s_and_saveexec_b64 s[0:1], s[2:3]
	s_cbranch_execz .LBB111_156
; %bb.155:
	v_sub_f32_e32 v1, v1, v0
	s_mov_b32 s2, 0x3fb8aa3b
	v_mul_f32_e32 v18, 0x3fb8aa3b, v1
	v_fma_f32 v27, v1, s2, -v18
	v_rndne_f32_e32 v29, v18
	v_fmamk_f32 v27, v1, 0x32a5705f, v27
	v_sub_f32_e32 v18, v18, v29
	v_add_f32_e32 v18, v18, v27
	v_exp_f32_e32 v18, v18
	v_cvt_i32_f32_e32 v27, v29
	s_mov_b32 s2, 0xc2ce8ed0
	v_cmp_ngt_f32_e32 vcc, s2, v1
	s_mov_b32 s2, 0x42b17218
	v_ldexp_f32 v18, v18, v27
	v_cndmask_b32_e32 v18, 0, v18, vcc
	v_mov_b32_e32 v27, 0x7f800000
	v_cmp_nlt_f32_e32 vcc, s2, v1
	s_mov_b32 s2, 0x3f2aaaab
	s_mov_b32 s3, 0x7f800000
	v_cndmask_b32_e32 v27, v27, v18, vcc
	v_add_f32_e32 v1, 1.0, v27
	v_add_f32_e32 v18, -1.0, v1
	v_sub_f32_e32 v29, v18, v1
	v_add_f32_e32 v29, 1.0, v29
	v_sub_f32_e32 v18, v27, v18
	v_add_f32_e32 v18, v18, v29
	v_frexp_mant_f32_e32 v29, v1
	v_cvt_f64_f32_e32 v[30:31], v1
	v_frexp_exp_i32_f64_e32 v30, v[30:31]
	v_cmp_gt_f32_e32 vcc, s2, v29
	s_mov_b32 s2, 0x3f317218
	s_nop 0
	v_subbrev_co_u32_e32 v29, vcc, 0, v30, vcc
	v_sub_u32_e32 v30, 0, v29
	v_ldexp_f32 v1, v1, v30
	v_ldexp_f32 v18, v18, v30
	v_add_f32_e32 v30, -1.0, v1
	v_add_f32_e32 v31, 1.0, v30
	v_sub_f32_e32 v31, v1, v31
	v_add_f32_e32 v32, v18, v31
	v_add_f32_e32 v31, 1.0, v1
	v_add_f32_e32 v33, -1.0, v31
	v_sub_f32_e32 v1, v1, v33
	v_add_f32_e32 v1, v18, v1
	v_add_f32_e32 v18, v31, v1
	v_rcp_f32_e32 v51, v18
	v_sub_f32_e32 v31, v31, v18
	v_add_f32_e32 v1, v1, v31
	v_add_f32_e32 v31, v30, v32
	v_sub_f32_e32 v30, v30, v31
	v_mul_f32_e32 v55, v31, v51
	s_waitcnt lgkmcnt(0)
	v_add_f32_e32 v54, v32, v30
	v_mul_f32_e32 v32, v18, v55
	v_fma_f32 v34, v55, v18, -v32
	v_fmac_f32_e32 v34, v55, v1
	v_add_f32_e32 v30, v32, v34
	v_sub_f32_e32 v33, v31, v30
	v_pk_add_f32 v[52:53], v[30:31], v[32:33] neg_lo:[0,1] neg_hi:[0,1]
	v_mov_b32_e32 v35, v30
	v_pk_add_f32 v[30:31], v[52:53], v[34:35] neg_lo:[0,1] neg_hi:[0,1]
	v_cmp_eq_f32_e32 vcc, s3, v27
	v_add_f32_e32 v31, v54, v31
	v_add_f32_e32 v30, v30, v31
	;; [unrolled: 1-line block ×3, first 2 shown]
	v_mul_f32_e32 v54, v51, v31
	v_mul_f32_e32 v32, v18, v54
	v_fma_f32 v34, v54, v18, -v32
	v_fmac_f32_e32 v34, v54, v1
	v_sub_f32_e32 v1, v33, v31
	v_add_f32_e32 v1, v30, v1
	v_add_f32_e32 v30, v32, v34
	v_sub_f32_e32 v33, v31, v30
	v_pk_add_f32 v[52:53], v[30:31], v[32:33] neg_lo:[0,1] neg_hi:[0,1]
	v_mov_b32_e32 v35, v30
	v_pk_add_f32 v[30:31], v[52:53], v[34:35] neg_lo:[0,1] neg_hi:[0,1]
	v_add_f32_e32 v18, v55, v54
	v_add_f32_e32 v1, v1, v31
	;; [unrolled: 1-line block ×4, first 2 shown]
	v_sub_f32_e32 v30, v18, v55
	v_mul_f32_e32 v1, v51, v1
	v_sub_f32_e32 v30, v54, v30
	v_add_f32_e32 v1, v30, v1
	v_add_f32_e32 v30, v18, v1
	v_cvt_f32_i32_e32 v32, v29
	v_mul_f32_e32 v33, v30, v30
	v_mov_b32_e32 v31, 0x3ecc95a3
	v_fmac_f32_e32 v31, 0x3e9b6dac, v33
	v_fmaak_f32 v31, v33, v31, 0x3f2aaada
	v_sub_f32_e32 v18, v30, v18
	v_ldexp_f32 v35, v30, 1
	v_mul_f32_e32 v33, v30, v33
	v_mov_b32_e32 v30, 0x3f317218
	v_pk_mul_f32 v[30:31], v[32:33], v[30:31]
	v_sub_f32_e32 v1, v1, v18
	v_fma_f32 v18, v32, s2, -v30
	v_fmamk_f32 v34, v32, 0xb102e308, v18
	v_pk_add_f32 v[32:33], v[30:31], v[34:35]
	v_ldexp_f32 v1, v1, 1
	v_sub_f32_e32 v18, v33, v35
	v_sub_f32_e32 v18, v31, v18
	v_add_f32_e32 v53, v1, v18
	v_mov_b32_e32 v52, v30
	v_pk_add_f32 v[30:31], v[32:33], v[30:31] neg_lo:[0,1] neg_hi:[0,1]
	v_pk_add_f32 v[54:55], v[32:33], v[52:53]
	v_mov_b32_e32 v35, v32
	v_mov_b32_e32 v31, v55
	v_pk_add_f32 v[56:57], v[34:35], v[30:31] neg_lo:[0,1] neg_hi:[0,1]
	v_pk_add_f32 v[30:31], v[34:35], v[30:31]
	s_mov_b32 s2, 0x33800000
	v_mov_b32_e32 v18, v31
	v_pk_add_f32 v[34:35], v[18:19], v[32:33] neg_lo:[0,1] neg_hi:[0,1]
	v_mov_b32_e32 v30, v55
	v_mov_b32_e32 v1, v34
	v_pk_add_f32 v[58:59], v[54:55], v[0:1] neg_lo:[0,1] neg_hi:[0,1]
	v_mov_b32_e32 v54, v33
	v_mov_b32_e32 v55, v34
	;; [unrolled: 1-line block ×3, first 2 shown]
	v_pk_add_f32 v[30:31], v[30:31], v[54:55] neg_lo:[0,1] neg_hi:[0,1]
	v_mov_b32_e32 v34, v53
	v_mov_b32_e32 v35, v32
	v_pk_add_f32 v[30:31], v[34:35], v[30:31] neg_lo:[0,1] neg_hi:[0,1]
	v_mov_b32_e32 v58, v56
	v_pk_add_f32 v[32:33], v[58:59], v[30:31]
	v_cmp_lt_f32_e64 s[2:3], |v27|, s2
	v_mov_b32_e32 v34, v33
	v_pk_add_f32 v[34:35], v[32:33], v[34:35]
	s_or_b64 vcc, vcc, s[2:3]
	v_pk_add_f32 v[52:53], v[18:19], v[34:35]
	v_mov_b32_e32 v31, v34
	v_mov_b32_e32 v33, v52
	v_pk_add_f32 v[54:55], v[32:33], v[56:57] neg_lo:[0,1] neg_hi:[0,1]
	s_nop 0
	v_sub_f32_e32 v1, v32, v54
	v_pk_add_f32 v[30:31], v[30:31], v[54:55] neg_lo:[0,1] neg_hi:[0,1]
	v_sub_f32_e32 v1, v56, v1
	v_add_f32_e32 v1, v30, v1
	v_add_f32_e32 v1, v1, v31
	;; [unrolled: 1-line block ×3, first 2 shown]
	v_cndmask_b32_e32 v1, v1, v27, vcc
	v_add_f32_e32 v18, v0, v1
.LBB111_156:
	s_or_b64 exec, exec, s[0:1]
	v_max_f32_e32 v0, v18, v18
	v_min_f32_e32 v1, v0, v36
	v_cmp_u_f32_e32 vcc, v18, v18
	v_max_f32_e32 v0, v0, v36
	s_movk_i32 s2, 0x1f8
	v_cndmask_b32_e32 v1, v1, v18, vcc
	v_cndmask_b32_e32 v0, v0, v18, vcc
	v_cndmask_b32_e64 v1, v1, v19, s[66:67]
	v_cndmask_b32_e64 v0, v0, v19, s[66:67]
	v_cmp_neq_f32_e32 vcc, v1, v0
	v_cmp_class_f32_e64 s[0:1], v1, s2
	s_or_b64 s[4:5], vcc, s[0:1]
	v_mov_b32_e32 v19, v18
	s_and_saveexec_b64 s[0:1], s[4:5]
	s_cbranch_execz .LBB111_158
; %bb.157:
	v_sub_f32_e32 v1, v1, v0
	s_mov_b32 s3, 0x3fb8aa3b
	v_mul_f32_e32 v19, 0x3fb8aa3b, v1
	v_fma_f32 v27, v1, s3, -v19
	v_rndne_f32_e32 v29, v19
	v_fmamk_f32 v27, v1, 0x32a5705f, v27
	v_sub_f32_e32 v19, v19, v29
	v_add_f32_e32 v19, v19, v27
	v_exp_f32_e32 v19, v19
	v_cvt_i32_f32_e32 v27, v29
	s_mov_b32 s3, 0xc2ce8ed0
	v_cmp_ngt_f32_e32 vcc, s3, v1
	s_mov_b32 s3, 0x42b17218
	v_ldexp_f32 v19, v19, v27
	v_cndmask_b32_e32 v19, 0, v19, vcc
	v_mov_b32_e32 v27, 0x7f800000
	v_cmp_nlt_f32_e32 vcc, s3, v1
	s_mov_b32 s3, 0x3f2aaaab
	s_mov_b32 s4, 0x7f800000
	v_cndmask_b32_e32 v19, v27, v19, vcc
	v_add_f32_e32 v1, 1.0, v19
	v_add_f32_e32 v27, -1.0, v1
	v_sub_f32_e32 v29, v27, v1
	v_add_f32_e32 v29, 1.0, v29
	v_sub_f32_e32 v27, v19, v27
	v_add_f32_e32 v27, v27, v29
	v_frexp_mant_f32_e32 v29, v1
	v_cvt_f64_f32_e32 v[30:31], v1
	v_frexp_exp_i32_f64_e32 v30, v[30:31]
	v_cmp_gt_f32_e32 vcc, s3, v29
	s_mov_b32 s3, 0x3f317218
	s_nop 0
	v_subbrev_co_u32_e32 v29, vcc, 0, v30, vcc
	v_sub_u32_e32 v30, 0, v29
	v_ldexp_f32 v1, v1, v30
	v_ldexp_f32 v27, v27, v30
	v_add_f32_e32 v30, -1.0, v1
	v_add_f32_e32 v31, 1.0, v30
	v_sub_f32_e32 v31, v1, v31
	v_add_f32_e32 v32, v27, v31
	v_add_f32_e32 v31, 1.0, v1
	v_add_f32_e32 v33, -1.0, v31
	v_sub_f32_e32 v1, v1, v33
	v_add_f32_e32 v1, v27, v1
	v_add_f32_e32 v27, v31, v1
	v_rcp_f32_e32 v36, v27
	v_sub_f32_e32 v31, v31, v27
	v_add_f32_e32 v1, v1, v31
	v_add_f32_e32 v31, v30, v32
	v_sub_f32_e32 v30, v30, v31
	s_waitcnt lgkmcnt(0)
	v_mul_f32_e32 v54, v31, v36
	v_add_f32_e32 v51, v32, v30
	v_mul_f32_e32 v32, v27, v54
	v_fma_f32 v34, v54, v27, -v32
	v_fmac_f32_e32 v34, v54, v1
	v_add_f32_e32 v30, v32, v34
	v_sub_f32_e32 v33, v31, v30
	v_pk_add_f32 v[52:53], v[30:31], v[32:33] neg_lo:[0,1] neg_hi:[0,1]
	v_mov_b32_e32 v35, v30
	v_pk_add_f32 v[30:31], v[52:53], v[34:35] neg_lo:[0,1] neg_hi:[0,1]
	v_cmp_eq_f32_e32 vcc, s4, v19
	v_add_f32_e32 v31, v51, v31
	v_add_f32_e32 v30, v30, v31
	v_add_f32_e32 v31, v33, v30
	v_mul_f32_e32 v51, v36, v31
	v_mul_f32_e32 v32, v27, v51
	v_fma_f32 v34, v51, v27, -v32
	v_fmac_f32_e32 v34, v51, v1
	v_sub_f32_e32 v1, v33, v31
	v_add_f32_e32 v1, v30, v1
	v_add_f32_e32 v30, v32, v34
	v_sub_f32_e32 v33, v31, v30
	v_pk_add_f32 v[52:53], v[30:31], v[32:33] neg_lo:[0,1] neg_hi:[0,1]
	v_mov_b32_e32 v35, v30
	v_pk_add_f32 v[30:31], v[52:53], v[34:35] neg_lo:[0,1] neg_hi:[0,1]
	v_add_f32_e32 v27, v54, v51
	v_add_f32_e32 v1, v1, v31
	;; [unrolled: 1-line block ×4, first 2 shown]
	v_sub_f32_e32 v30, v27, v54
	v_mul_f32_e32 v1, v36, v1
	v_sub_f32_e32 v30, v51, v30
	v_add_f32_e32 v1, v30, v1
	v_add_f32_e32 v30, v27, v1
	v_cvt_f32_i32_e32 v32, v29
	v_mul_f32_e32 v33, v30, v30
	v_mov_b32_e32 v31, 0x3ecc95a3
	v_fmac_f32_e32 v31, 0x3e9b6dac, v33
	v_fmaak_f32 v31, v33, v31, 0x3f2aaada
	v_sub_f32_e32 v27, v30, v27
	v_ldexp_f32 v35, v30, 1
	v_mul_f32_e32 v33, v30, v33
	v_mov_b32_e32 v30, 0x3f317218
	v_pk_mul_f32 v[30:31], v[32:33], v[30:31]
	v_sub_f32_e32 v1, v1, v27
	v_fma_f32 v27, v32, s3, -v30
	v_fmamk_f32 v34, v32, 0xb102e308, v27
	v_pk_add_f32 v[32:33], v[30:31], v[34:35]
	v_ldexp_f32 v1, v1, 1
	v_sub_f32_e32 v27, v33, v35
	v_sub_f32_e32 v27, v31, v27
	v_add_f32_e32 v53, v1, v27
	v_mov_b32_e32 v52, v30
	v_pk_add_f32 v[30:31], v[32:33], v[30:31] neg_lo:[0,1] neg_hi:[0,1]
	v_pk_add_f32 v[54:55], v[32:33], v[52:53]
	v_mov_b32_e32 v35, v32
	v_mov_b32_e32 v31, v55
	v_pk_add_f32 v[56:57], v[34:35], v[30:31] neg_lo:[0,1] neg_hi:[0,1]
	v_pk_add_f32 v[30:31], v[34:35], v[30:31]
	v_mov_b32_e32 v52, v53
	v_mov_b32_e32 v34, v31
	v_pk_add_f32 v[58:59], v[34:35], v[32:33] neg_lo:[0,1] neg_hi:[0,1]
	v_mov_b32_e32 v30, v55
	v_mov_b32_e32 v1, v58
	v_pk_add_f32 v[60:61], v[54:55], v[0:1] neg_lo:[0,1] neg_hi:[0,1]
	v_mov_b32_e32 v54, v33
	v_mov_b32_e32 v55, v58
	;; [unrolled: 1-line block ×3, first 2 shown]
	v_pk_add_f32 v[30:31], v[30:31], v[54:55] neg_lo:[0,1] neg_hi:[0,1]
	v_mov_b32_e32 v53, v32
	v_pk_add_f32 v[30:31], v[52:53], v[30:31] neg_lo:[0,1] neg_hi:[0,1]
	v_mov_b32_e32 v60, v56
	v_pk_add_f32 v[32:33], v[60:61], v[30:31]
	s_mov_b32 s3, 0x33800000
	v_mov_b32_e32 v36, v33
	v_pk_add_f32 v[52:53], v[32:33], v[36:37]
	v_cmp_lt_f32_e64 s[4:5], |v19|, s3
	v_pk_add_f32 v[34:35], v[34:35], v[52:53]
	v_mov_b32_e32 v31, v52
	v_mov_b32_e32 v33, v34
	v_pk_add_f32 v[54:55], v[32:33], v[56:57] neg_lo:[0,1] neg_hi:[0,1]
	s_or_b64 vcc, vcc, s[4:5]
	v_sub_f32_e32 v1, v32, v54
	v_pk_add_f32 v[30:31], v[30:31], v[54:55] neg_lo:[0,1] neg_hi:[0,1]
	v_sub_f32_e32 v1, v56, v1
	v_add_f32_e32 v1, v30, v1
	v_add_f32_e32 v1, v1, v31
	;; [unrolled: 1-line block ×3, first 2 shown]
	v_cndmask_b32_e32 v1, v1, v19, vcc
	v_add_f32_e32 v19, v0, v1
.LBB111_158:
	s_or_b64 exec, exec, s[0:1]
	v_max_f32_e32 v0, v19, v19
	v_min_f32_e32 v1, v0, v37
	v_cmp_u_f32_e32 vcc, v19, v19
	v_max_f32_e32 v0, v0, v37
	s_nop 0
	v_cndmask_b32_e32 v1, v1, v19, vcc
	v_cndmask_b32_e32 v0, v0, v19, vcc
	v_cndmask_b32_e64 v1, v1, v20, s[68:69]
	v_cndmask_b32_e64 v0, v0, v20, s[68:69]
	v_cmp_neq_f32_e32 vcc, v1, v0
	v_cmp_class_f32_e64 s[0:1], v1, s2
	s_or_b64 s[2:3], vcc, s[0:1]
	v_mov_b32_e32 v20, v19
	s_and_saveexec_b64 s[0:1], s[2:3]
	s_cbranch_execz .LBB111_160
; %bb.159:
	v_sub_f32_e32 v1, v1, v0
	s_mov_b32 s2, 0x3fb8aa3b
	v_mul_f32_e32 v20, 0x3fb8aa3b, v1
	v_fma_f32 v27, v1, s2, -v20
	v_rndne_f32_e32 v29, v20
	v_fmamk_f32 v27, v1, 0x32a5705f, v27
	v_sub_f32_e32 v20, v20, v29
	v_add_f32_e32 v20, v20, v27
	v_exp_f32_e32 v20, v20
	v_cvt_i32_f32_e32 v27, v29
	s_mov_b32 s2, 0xc2ce8ed0
	v_cmp_ngt_f32_e32 vcc, s2, v1
	s_mov_b32 s2, 0x42b17218
	v_ldexp_f32 v20, v20, v27
	v_cndmask_b32_e32 v20, 0, v20, vcc
	v_mov_b32_e32 v27, 0x7f800000
	v_cmp_nlt_f32_e32 vcc, s2, v1
	s_mov_b32 s2, 0x3f2aaaab
	s_mov_b32 s3, 0x7f800000
	v_cndmask_b32_e32 v27, v27, v20, vcc
	v_add_f32_e32 v1, 1.0, v27
	v_add_f32_e32 v20, -1.0, v1
	v_sub_f32_e32 v29, v20, v1
	v_add_f32_e32 v29, 1.0, v29
	v_sub_f32_e32 v20, v27, v20
	v_add_f32_e32 v20, v20, v29
	v_frexp_mant_f32_e32 v29, v1
	v_cvt_f64_f32_e32 v[30:31], v1
	v_frexp_exp_i32_f64_e32 v30, v[30:31]
	v_cmp_gt_f32_e32 vcc, s2, v29
	s_mov_b32 s2, 0x3f317218
	s_nop 0
	v_subbrev_co_u32_e32 v29, vcc, 0, v30, vcc
	v_sub_u32_e32 v30, 0, v29
	v_ldexp_f32 v1, v1, v30
	v_ldexp_f32 v20, v20, v30
	v_add_f32_e32 v30, -1.0, v1
	v_add_f32_e32 v31, 1.0, v30
	v_sub_f32_e32 v31, v1, v31
	v_add_f32_e32 v32, v20, v31
	v_add_f32_e32 v31, 1.0, v1
	v_add_f32_e32 v33, -1.0, v31
	v_sub_f32_e32 v1, v1, v33
	v_add_f32_e32 v1, v20, v1
	v_add_f32_e32 v20, v31, v1
	v_rcp_f32_e32 v51, v20
	v_sub_f32_e32 v31, v31, v20
	v_add_f32_e32 v1, v1, v31
	v_add_f32_e32 v31, v30, v32
	v_sub_f32_e32 v30, v30, v31
	v_mul_f32_e32 v53, v31, v51
	v_add_f32_e32 v52, v32, v30
	v_mul_f32_e32 v32, v20, v53
	v_fma_f32 v34, v53, v20, -v32
	v_fmac_f32_e32 v34, v53, v1
	v_add_f32_e32 v30, v32, v34
	v_sub_f32_e32 v33, v31, v30
	v_pk_add_f32 v[36:37], v[30:31], v[32:33] neg_lo:[0,1] neg_hi:[0,1]
	v_mov_b32_e32 v35, v30
	v_pk_add_f32 v[30:31], v[36:37], v[34:35] neg_lo:[0,1] neg_hi:[0,1]
	v_cmp_eq_f32_e32 vcc, s3, v27
	v_add_f32_e32 v31, v52, v31
	v_add_f32_e32 v30, v30, v31
	;; [unrolled: 1-line block ×3, first 2 shown]
	v_mul_f32_e32 v52, v51, v31
	v_mul_f32_e32 v32, v20, v52
	v_fma_f32 v34, v52, v20, -v32
	v_fmac_f32_e32 v34, v52, v1
	v_sub_f32_e32 v1, v33, v31
	v_add_f32_e32 v1, v30, v1
	v_add_f32_e32 v30, v32, v34
	v_sub_f32_e32 v33, v31, v30
	v_pk_add_f32 v[36:37], v[30:31], v[32:33] neg_lo:[0,1] neg_hi:[0,1]
	v_mov_b32_e32 v35, v30
	v_pk_add_f32 v[30:31], v[36:37], v[34:35] neg_lo:[0,1] neg_hi:[0,1]
	v_add_f32_e32 v20, v53, v52
	v_add_f32_e32 v1, v1, v31
	;; [unrolled: 1-line block ×4, first 2 shown]
	v_sub_f32_e32 v30, v20, v53
	v_mul_f32_e32 v1, v51, v1
	v_sub_f32_e32 v30, v52, v30
	v_add_f32_e32 v1, v30, v1
	v_add_f32_e32 v30, v20, v1
	v_cvt_f32_i32_e32 v32, v29
	v_mul_f32_e32 v33, v30, v30
	v_mov_b32_e32 v31, 0x3ecc95a3
	v_fmac_f32_e32 v31, 0x3e9b6dac, v33
	v_fmaak_f32 v31, v33, v31, 0x3f2aaada
	v_sub_f32_e32 v20, v30, v20
	v_ldexp_f32 v35, v30, 1
	v_mul_f32_e32 v33, v30, v33
	v_mov_b32_e32 v30, 0x3f317218
	v_pk_mul_f32 v[30:31], v[32:33], v[30:31]
	v_sub_f32_e32 v1, v1, v20
	v_fma_f32 v20, v32, s2, -v30
	v_fmamk_f32 v34, v32, 0xb102e308, v20
	v_pk_add_f32 v[32:33], v[30:31], v[34:35]
	v_ldexp_f32 v1, v1, 1
	v_sub_f32_e32 v20, v33, v35
	v_sub_f32_e32 v20, v31, v20
	v_add_f32_e32 v37, v1, v20
	v_mov_b32_e32 v36, v30
	v_pk_add_f32 v[30:31], v[32:33], v[30:31] neg_lo:[0,1] neg_hi:[0,1]
	v_pk_add_f32 v[52:53], v[32:33], v[36:37]
	v_mov_b32_e32 v35, v32
	v_mov_b32_e32 v31, v53
	s_waitcnt lgkmcnt(0)
	v_pk_add_f32 v[54:55], v[34:35], v[30:31] neg_lo:[0,1] neg_hi:[0,1]
	v_pk_add_f32 v[30:31], v[34:35], v[30:31]
	s_mov_b32 s2, 0x33800000
	v_mov_b32_e32 v20, v31
	v_pk_add_f32 v[34:35], v[20:21], v[32:33] neg_lo:[0,1] neg_hi:[0,1]
	v_mov_b32_e32 v30, v53
	v_mov_b32_e32 v1, v34
	v_pk_add_f32 v[56:57], v[52:53], v[0:1] neg_lo:[0,1] neg_hi:[0,1]
	v_mov_b32_e32 v52, v33
	v_mov_b32_e32 v53, v34
	;; [unrolled: 1-line block ×3, first 2 shown]
	v_pk_add_f32 v[30:31], v[30:31], v[52:53] neg_lo:[0,1] neg_hi:[0,1]
	v_mov_b32_e32 v34, v37
	v_mov_b32_e32 v35, v32
	v_pk_add_f32 v[30:31], v[34:35], v[30:31] neg_lo:[0,1] neg_hi:[0,1]
	v_mov_b32_e32 v56, v54
	v_pk_add_f32 v[32:33], v[56:57], v[30:31]
	v_cmp_lt_f32_e64 s[2:3], |v27|, s2
	v_mov_b32_e32 v34, v33
	v_pk_add_f32 v[34:35], v[32:33], v[34:35]
	s_or_b64 vcc, vcc, s[2:3]
	v_pk_add_f32 v[36:37], v[20:21], v[34:35]
	v_mov_b32_e32 v31, v34
	v_mov_b32_e32 v33, v36
	v_pk_add_f32 v[52:53], v[32:33], v[54:55] neg_lo:[0,1] neg_hi:[0,1]
	s_nop 0
	v_sub_f32_e32 v1, v32, v52
	v_pk_add_f32 v[30:31], v[30:31], v[52:53] neg_lo:[0,1] neg_hi:[0,1]
	v_sub_f32_e32 v1, v54, v1
	v_add_f32_e32 v1, v30, v1
	v_add_f32_e32 v1, v1, v31
	;; [unrolled: 1-line block ×3, first 2 shown]
	v_cndmask_b32_e32 v1, v1, v27, vcc
	v_add_f32_e32 v20, v0, v1
.LBB111_160:
	s_or_b64 exec, exec, s[0:1]
	v_max_f32_e32 v0, v20, v20
	v_min_f32_e32 v1, v0, v38
	v_cmp_u_f32_e32 vcc, v20, v20
	v_max_f32_e32 v0, v0, v38
	s_movk_i32 s2, 0x1f8
	v_cndmask_b32_e32 v1, v1, v20, vcc
	v_cndmask_b32_e32 v0, v0, v20, vcc
	v_cndmask_b32_e64 v1, v1, v21, s[70:71]
	v_cndmask_b32_e64 v0, v0, v21, s[70:71]
	v_cmp_neq_f32_e32 vcc, v1, v0
	v_cmp_class_f32_e64 s[0:1], v1, s2
	s_or_b64 s[4:5], vcc, s[0:1]
	v_mov_b32_e32 v21, v20
	s_and_saveexec_b64 s[0:1], s[4:5]
	s_cbranch_execz .LBB111_162
; %bb.161:
	v_sub_f32_e32 v1, v1, v0
	s_mov_b32 s3, 0x3fb8aa3b
	v_mul_f32_e32 v21, 0x3fb8aa3b, v1
	v_fma_f32 v27, v1, s3, -v21
	v_rndne_f32_e32 v29, v21
	v_fmamk_f32 v27, v1, 0x32a5705f, v27
	v_sub_f32_e32 v21, v21, v29
	v_add_f32_e32 v21, v21, v27
	v_exp_f32_e32 v21, v21
	v_cvt_i32_f32_e32 v27, v29
	s_mov_b32 s3, 0xc2ce8ed0
	v_cmp_ngt_f32_e32 vcc, s3, v1
	s_mov_b32 s3, 0x42b17218
	v_ldexp_f32 v21, v21, v27
	v_cndmask_b32_e32 v21, 0, v21, vcc
	v_mov_b32_e32 v27, 0x7f800000
	v_cmp_nlt_f32_e32 vcc, s3, v1
	s_mov_b32 s3, 0x3f2aaaab
	s_mov_b32 s4, 0x7f800000
	v_cndmask_b32_e32 v21, v27, v21, vcc
	v_add_f32_e32 v1, 1.0, v21
	v_add_f32_e32 v27, -1.0, v1
	v_sub_f32_e32 v29, v27, v1
	v_add_f32_e32 v29, 1.0, v29
	v_sub_f32_e32 v27, v21, v27
	v_add_f32_e32 v27, v27, v29
	v_frexp_mant_f32_e32 v29, v1
	v_cvt_f64_f32_e32 v[30:31], v1
	v_frexp_exp_i32_f64_e32 v30, v[30:31]
	v_cmp_gt_f32_e32 vcc, s3, v29
	s_mov_b32 s3, 0x3f317218
	s_nop 0
	v_subbrev_co_u32_e32 v29, vcc, 0, v30, vcc
	v_sub_u32_e32 v30, 0, v29
	v_ldexp_f32 v1, v1, v30
	v_ldexp_f32 v27, v27, v30
	v_add_f32_e32 v30, -1.0, v1
	v_add_f32_e32 v31, 1.0, v30
	v_sub_f32_e32 v31, v1, v31
	v_add_f32_e32 v32, v27, v31
	v_add_f32_e32 v31, 1.0, v1
	v_add_f32_e32 v33, -1.0, v31
	v_sub_f32_e32 v1, v1, v33
	v_add_f32_e32 v1, v27, v1
	v_add_f32_e32 v27, v31, v1
	v_rcp_f32_e32 v38, v27
	v_sub_f32_e32 v31, v31, v27
	v_add_f32_e32 v1, v1, v31
	v_add_f32_e32 v31, v30, v32
	v_sub_f32_e32 v30, v30, v31
	v_mul_f32_e32 v52, v31, v38
	v_add_f32_e32 v51, v32, v30
	v_mul_f32_e32 v32, v27, v52
	v_fma_f32 v34, v52, v27, -v32
	v_fmac_f32_e32 v34, v52, v1
	v_add_f32_e32 v30, v32, v34
	v_sub_f32_e32 v33, v31, v30
	v_pk_add_f32 v[36:37], v[30:31], v[32:33] neg_lo:[0,1] neg_hi:[0,1]
	v_mov_b32_e32 v35, v30
	v_pk_add_f32 v[30:31], v[36:37], v[34:35] neg_lo:[0,1] neg_hi:[0,1]
	v_cmp_eq_f32_e32 vcc, s4, v21
	v_add_f32_e32 v31, v51, v31
	v_add_f32_e32 v30, v30, v31
	;; [unrolled: 1-line block ×3, first 2 shown]
	v_mul_f32_e32 v51, v38, v31
	v_mul_f32_e32 v32, v27, v51
	v_fma_f32 v34, v51, v27, -v32
	v_fmac_f32_e32 v34, v51, v1
	v_sub_f32_e32 v1, v33, v31
	v_add_f32_e32 v1, v30, v1
	v_add_f32_e32 v30, v32, v34
	v_sub_f32_e32 v33, v31, v30
	v_pk_add_f32 v[36:37], v[30:31], v[32:33] neg_lo:[0,1] neg_hi:[0,1]
	v_mov_b32_e32 v35, v30
	v_pk_add_f32 v[30:31], v[36:37], v[34:35] neg_lo:[0,1] neg_hi:[0,1]
	v_add_f32_e32 v27, v52, v51
	v_add_f32_e32 v1, v1, v31
	v_add_f32_e32 v1, v30, v1
	v_add_f32_e32 v1, v33, v1
	v_sub_f32_e32 v30, v27, v52
	v_mul_f32_e32 v1, v38, v1
	v_sub_f32_e32 v30, v51, v30
	v_add_f32_e32 v1, v30, v1
	v_add_f32_e32 v30, v27, v1
	v_cvt_f32_i32_e32 v32, v29
	v_mul_f32_e32 v33, v30, v30
	v_mov_b32_e32 v31, 0x3ecc95a3
	v_fmac_f32_e32 v31, 0x3e9b6dac, v33
	v_fmaak_f32 v31, v33, v31, 0x3f2aaada
	v_sub_f32_e32 v27, v30, v27
	v_ldexp_f32 v35, v30, 1
	v_mul_f32_e32 v33, v30, v33
	v_mov_b32_e32 v30, 0x3f317218
	v_pk_mul_f32 v[30:31], v[32:33], v[30:31]
	v_sub_f32_e32 v1, v1, v27
	v_fma_f32 v27, v32, s3, -v30
	v_fmamk_f32 v34, v32, 0xb102e308, v27
	v_pk_add_f32 v[32:33], v[30:31], v[34:35]
	v_ldexp_f32 v1, v1, 1
	v_sub_f32_e32 v27, v33, v35
	v_sub_f32_e32 v27, v31, v27
	v_add_f32_e32 v37, v1, v27
	v_mov_b32_e32 v36, v30
	v_pk_add_f32 v[30:31], v[32:33], v[30:31] neg_lo:[0,1] neg_hi:[0,1]
	v_pk_add_f32 v[52:53], v[32:33], v[36:37]
	v_mov_b32_e32 v35, v32
	v_mov_b32_e32 v31, v53
	s_waitcnt lgkmcnt(0)
	v_pk_add_f32 v[54:55], v[34:35], v[30:31] neg_lo:[0,1] neg_hi:[0,1]
	v_pk_add_f32 v[30:31], v[34:35], v[30:31]
	v_mov_b32_e32 v36, v37
	v_mov_b32_e32 v34, v31
	v_pk_add_f32 v[56:57], v[34:35], v[32:33] neg_lo:[0,1] neg_hi:[0,1]
	v_mov_b32_e32 v30, v53
	v_mov_b32_e32 v1, v56
	v_pk_add_f32 v[58:59], v[52:53], v[0:1] neg_lo:[0,1] neg_hi:[0,1]
	v_mov_b32_e32 v52, v33
	v_mov_b32_e32 v53, v56
	;; [unrolled: 1-line block ×3, first 2 shown]
	v_pk_add_f32 v[30:31], v[30:31], v[52:53] neg_lo:[0,1] neg_hi:[0,1]
	v_mov_b32_e32 v37, v32
	v_pk_add_f32 v[30:31], v[36:37], v[30:31] neg_lo:[0,1] neg_hi:[0,1]
	v_mov_b32_e32 v58, v54
	v_pk_add_f32 v[32:33], v[58:59], v[30:31]
	s_mov_b32 s3, 0x33800000
	v_mov_b32_e32 v36, v33
	v_pk_add_f32 v[36:37], v[32:33], v[36:37]
	v_cmp_lt_f32_e64 s[4:5], |v21|, s3
	v_pk_add_f32 v[34:35], v[34:35], v[36:37]
	v_mov_b32_e32 v31, v36
	v_mov_b32_e32 v33, v34
	v_pk_add_f32 v[52:53], v[32:33], v[54:55] neg_lo:[0,1] neg_hi:[0,1]
	s_or_b64 vcc, vcc, s[4:5]
	v_sub_f32_e32 v1, v32, v52
	v_pk_add_f32 v[30:31], v[30:31], v[52:53] neg_lo:[0,1] neg_hi:[0,1]
	v_sub_f32_e32 v1, v54, v1
	v_add_f32_e32 v1, v30, v1
	v_add_f32_e32 v1, v1, v31
	;; [unrolled: 1-line block ×3, first 2 shown]
	v_cndmask_b32_e32 v1, v1, v21, vcc
	v_add_f32_e32 v21, v0, v1
.LBB111_162:
	s_or_b64 exec, exec, s[0:1]
	v_max_f32_e32 v0, v21, v21
	v_min_f32_e32 v1, v0, v39
	v_cmp_u_f32_e32 vcc, v21, v21
	v_max_f32_e32 v0, v0, v39
	s_nop 0
	v_cndmask_b32_e32 v1, v1, v21, vcc
	v_cndmask_b32_e32 v0, v0, v21, vcc
	v_cndmask_b32_e64 v1, v1, v14, s[72:73]
	v_cndmask_b32_e64 v0, v0, v14, s[72:73]
	v_cmp_neq_f32_e32 vcc, v1, v0
	v_cmp_class_f32_e64 s[0:1], v1, s2
	s_or_b64 s[2:3], vcc, s[0:1]
	v_mov_b32_e32 v14, v21
	s_and_saveexec_b64 s[0:1], s[2:3]
	s_cbranch_execz .LBB111_164
; %bb.163:
	v_sub_f32_e32 v1, v1, v0
	s_mov_b32 s2, 0x3fb8aa3b
	v_mul_f32_e32 v14, 0x3fb8aa3b, v1
	v_fma_f32 v27, v1, s2, -v14
	v_rndne_f32_e32 v29, v14
	v_fmamk_f32 v27, v1, 0x32a5705f, v27
	v_sub_f32_e32 v14, v14, v29
	v_add_f32_e32 v14, v14, v27
	v_exp_f32_e32 v14, v14
	v_cvt_i32_f32_e32 v27, v29
	s_mov_b32 s2, 0xc2ce8ed0
	v_cmp_ngt_f32_e32 vcc, s2, v1
	s_mov_b32 s2, 0x42b17218
	v_ldexp_f32 v14, v14, v27
	v_cndmask_b32_e32 v14, 0, v14, vcc
	v_mov_b32_e32 v27, 0x7f800000
	v_cmp_nlt_f32_e32 vcc, s2, v1
	s_mov_b32 s2, 0x3f2aaaab
	s_mov_b32 s3, 0x7f800000
	v_cndmask_b32_e32 v27, v27, v14, vcc
	v_add_f32_e32 v1, 1.0, v27
	v_add_f32_e32 v14, -1.0, v1
	v_sub_f32_e32 v29, v14, v1
	v_add_f32_e32 v29, 1.0, v29
	v_sub_f32_e32 v14, v27, v14
	v_add_f32_e32 v14, v14, v29
	v_frexp_mant_f32_e32 v29, v1
	v_cvt_f64_f32_e32 v[30:31], v1
	v_frexp_exp_i32_f64_e32 v30, v[30:31]
	v_cmp_gt_f32_e32 vcc, s2, v29
	s_mov_b32 s2, 0x3f317218
	s_nop 0
	v_subbrev_co_u32_e32 v29, vcc, 0, v30, vcc
	v_sub_u32_e32 v30, 0, v29
	v_ldexp_f32 v1, v1, v30
	v_ldexp_f32 v14, v14, v30
	v_add_f32_e32 v30, -1.0, v1
	v_add_f32_e32 v31, 1.0, v30
	v_sub_f32_e32 v31, v1, v31
	v_add_f32_e32 v32, v14, v31
	v_add_f32_e32 v31, 1.0, v1
	v_add_f32_e32 v33, -1.0, v31
	v_sub_f32_e32 v1, v1, v33
	v_add_f32_e32 v1, v14, v1
	v_add_f32_e32 v14, v31, v1
	v_rcp_f32_e32 v38, v14
	v_sub_f32_e32 v31, v31, v14
	v_add_f32_e32 v1, v1, v31
	v_add_f32_e32 v31, v30, v32
	v_sub_f32_e32 v30, v30, v31
	v_mul_f32_e32 v51, v31, v38
	v_add_f32_e32 v39, v32, v30
	v_mul_f32_e32 v32, v14, v51
	v_fma_f32 v34, v51, v14, -v32
	v_fmac_f32_e32 v34, v51, v1
	v_add_f32_e32 v30, v32, v34
	v_sub_f32_e32 v33, v31, v30
	v_pk_add_f32 v[36:37], v[30:31], v[32:33] neg_lo:[0,1] neg_hi:[0,1]
	v_mov_b32_e32 v35, v30
	v_pk_add_f32 v[30:31], v[36:37], v[34:35] neg_lo:[0,1] neg_hi:[0,1]
	v_cmp_eq_f32_e32 vcc, s3, v27
	v_add_f32_e32 v31, v39, v31
	v_add_f32_e32 v30, v30, v31
	;; [unrolled: 1-line block ×3, first 2 shown]
	v_mul_f32_e32 v39, v38, v31
	v_mul_f32_e32 v32, v14, v39
	v_fma_f32 v34, v39, v14, -v32
	v_fmac_f32_e32 v34, v39, v1
	v_sub_f32_e32 v1, v33, v31
	v_add_f32_e32 v1, v30, v1
	v_add_f32_e32 v30, v32, v34
	v_sub_f32_e32 v33, v31, v30
	v_pk_add_f32 v[36:37], v[30:31], v[32:33] neg_lo:[0,1] neg_hi:[0,1]
	v_mov_b32_e32 v35, v30
	v_pk_add_f32 v[30:31], v[36:37], v[34:35] neg_lo:[0,1] neg_hi:[0,1]
	v_add_f32_e32 v14, v51, v39
	v_add_f32_e32 v1, v1, v31
	;; [unrolled: 1-line block ×4, first 2 shown]
	v_sub_f32_e32 v30, v14, v51
	v_mul_f32_e32 v1, v38, v1
	v_sub_f32_e32 v30, v39, v30
	v_add_f32_e32 v1, v30, v1
	v_add_f32_e32 v30, v14, v1
	v_cvt_f32_i32_e32 v32, v29
	v_mul_f32_e32 v33, v30, v30
	v_mov_b32_e32 v31, 0x3ecc95a3
	v_fmac_f32_e32 v31, 0x3e9b6dac, v33
	v_fmaak_f32 v31, v33, v31, 0x3f2aaada
	v_sub_f32_e32 v14, v30, v14
	v_ldexp_f32 v35, v30, 1
	v_mul_f32_e32 v33, v30, v33
	v_mov_b32_e32 v30, 0x3f317218
	v_pk_mul_f32 v[30:31], v[32:33], v[30:31]
	v_sub_f32_e32 v1, v1, v14
	v_fma_f32 v14, v32, s2, -v30
	v_fmamk_f32 v34, v32, 0xb102e308, v14
	v_pk_add_f32 v[32:33], v[30:31], v[34:35]
	v_ldexp_f32 v1, v1, 1
	v_sub_f32_e32 v14, v33, v35
	v_sub_f32_e32 v14, v31, v14
	v_add_f32_e32 v37, v1, v14
	v_mov_b32_e32 v36, v30
	v_pk_add_f32 v[30:31], v[32:33], v[30:31] neg_lo:[0,1] neg_hi:[0,1]
	v_pk_add_f32 v[38:39], v[32:33], v[36:37]
	v_mov_b32_e32 v35, v32
	v_mov_b32_e32 v31, v39
	v_pk_add_f32 v[52:53], v[34:35], v[30:31] neg_lo:[0,1] neg_hi:[0,1]
	v_pk_add_f32 v[30:31], v[34:35], v[30:31]
	s_mov_b32 s2, 0x33800000
	v_mov_b32_e32 v14, v31
	v_pk_add_f32 v[34:35], v[14:15], v[32:33] neg_lo:[0,1] neg_hi:[0,1]
	v_mov_b32_e32 v30, v39
	v_mov_b32_e32 v1, v34
	s_waitcnt lgkmcnt(0)
	v_pk_add_f32 v[54:55], v[38:39], v[0:1] neg_lo:[0,1] neg_hi:[0,1]
	v_mov_b32_e32 v38, v33
	v_mov_b32_e32 v39, v34
	v_mov_b32_e32 v53, v31
	v_pk_add_f32 v[30:31], v[30:31], v[38:39] neg_lo:[0,1] neg_hi:[0,1]
	v_mov_b32_e32 v34, v37
	v_mov_b32_e32 v35, v32
	v_pk_add_f32 v[30:31], v[34:35], v[30:31] neg_lo:[0,1] neg_hi:[0,1]
	v_mov_b32_e32 v54, v52
	v_pk_add_f32 v[32:33], v[54:55], v[30:31]
	v_cmp_lt_f32_e64 s[2:3], |v27|, s2
	v_mov_b32_e32 v34, v33
	v_pk_add_f32 v[34:35], v[32:33], v[34:35]
	s_or_b64 vcc, vcc, s[2:3]
	v_pk_add_f32 v[36:37], v[14:15], v[34:35]
	v_mov_b32_e32 v31, v34
	v_mov_b32_e32 v33, v36
	v_pk_add_f32 v[38:39], v[32:33], v[52:53] neg_lo:[0,1] neg_hi:[0,1]
	s_nop 0
	v_sub_f32_e32 v1, v32, v38
	v_pk_add_f32 v[30:31], v[30:31], v[38:39] neg_lo:[0,1] neg_hi:[0,1]
	v_sub_f32_e32 v1, v52, v1
	v_add_f32_e32 v1, v30, v1
	v_add_f32_e32 v1, v1, v31
	;; [unrolled: 1-line block ×3, first 2 shown]
	v_cndmask_b32_e32 v1, v1, v27, vcc
	v_add_f32_e32 v14, v0, v1
.LBB111_164:
	s_or_b64 exec, exec, s[0:1]
	v_max_f32_e32 v0, v14, v14
	v_min_f32_e32 v1, v0, v40
	v_cmp_u_f32_e32 vcc, v14, v14
	v_max_f32_e32 v0, v0, v40
	s_movk_i32 s2, 0x1f8
	v_cndmask_b32_e32 v1, v1, v14, vcc
	v_cndmask_b32_e32 v0, v0, v14, vcc
	v_cndmask_b32_e64 v1, v1, v15, s[74:75]
	v_cndmask_b32_e64 v0, v0, v15, s[74:75]
	v_cmp_neq_f32_e32 vcc, v1, v0
	v_cmp_class_f32_e64 s[0:1], v1, s2
	s_or_b64 s[4:5], vcc, s[0:1]
	v_mov_b32_e32 v15, v14
	s_and_saveexec_b64 s[0:1], s[4:5]
	s_cbranch_execz .LBB111_166
; %bb.165:
	v_sub_f32_e32 v1, v1, v0
	s_mov_b32 s3, 0x3fb8aa3b
	v_mul_f32_e32 v15, 0x3fb8aa3b, v1
	v_fma_f32 v27, v1, s3, -v15
	v_rndne_f32_e32 v29, v15
	v_fmamk_f32 v27, v1, 0x32a5705f, v27
	v_sub_f32_e32 v15, v15, v29
	v_add_f32_e32 v15, v15, v27
	v_exp_f32_e32 v15, v15
	v_cvt_i32_f32_e32 v27, v29
	s_mov_b32 s3, 0xc2ce8ed0
	v_cmp_ngt_f32_e32 vcc, s3, v1
	s_mov_b32 s3, 0x42b17218
	v_ldexp_f32 v15, v15, v27
	v_cndmask_b32_e32 v15, 0, v15, vcc
	v_mov_b32_e32 v27, 0x7f800000
	v_cmp_nlt_f32_e32 vcc, s3, v1
	s_mov_b32 s3, 0x3f2aaaab
	s_mov_b32 s4, 0x7f800000
	v_cndmask_b32_e32 v15, v27, v15, vcc
	v_add_f32_e32 v1, 1.0, v15
	v_add_f32_e32 v27, -1.0, v1
	v_sub_f32_e32 v29, v27, v1
	v_add_f32_e32 v29, 1.0, v29
	v_sub_f32_e32 v27, v15, v27
	v_add_f32_e32 v27, v27, v29
	v_frexp_mant_f32_e32 v29, v1
	v_cvt_f64_f32_e32 v[30:31], v1
	v_frexp_exp_i32_f64_e32 v30, v[30:31]
	v_cmp_gt_f32_e32 vcc, s3, v29
	s_mov_b32 s3, 0x3f317218
	s_nop 0
	v_subbrev_co_u32_e32 v29, vcc, 0, v30, vcc
	v_sub_u32_e32 v30, 0, v29
	v_ldexp_f32 v1, v1, v30
	v_ldexp_f32 v27, v27, v30
	v_add_f32_e32 v30, -1.0, v1
	v_add_f32_e32 v31, 1.0, v30
	v_sub_f32_e32 v31, v1, v31
	v_add_f32_e32 v32, v27, v31
	v_add_f32_e32 v31, 1.0, v1
	v_add_f32_e32 v33, -1.0, v31
	v_sub_f32_e32 v1, v1, v33
	v_add_f32_e32 v1, v27, v1
	v_add_f32_e32 v27, v31, v1
	v_rcp_f32_e32 v38, v27
	v_sub_f32_e32 v31, v31, v27
	v_add_f32_e32 v1, v1, v31
	v_add_f32_e32 v31, v30, v32
	v_sub_f32_e32 v30, v30, v31
	v_mul_f32_e32 v40, v31, v38
	v_add_f32_e32 v39, v32, v30
	v_mul_f32_e32 v32, v27, v40
	v_fma_f32 v34, v40, v27, -v32
	v_fmac_f32_e32 v34, v40, v1
	v_add_f32_e32 v30, v32, v34
	v_sub_f32_e32 v33, v31, v30
	v_pk_add_f32 v[36:37], v[30:31], v[32:33] neg_lo:[0,1] neg_hi:[0,1]
	v_mov_b32_e32 v35, v30
	v_pk_add_f32 v[30:31], v[36:37], v[34:35] neg_lo:[0,1] neg_hi:[0,1]
	v_cmp_eq_f32_e32 vcc, s4, v15
	v_add_f32_e32 v31, v39, v31
	v_add_f32_e32 v30, v30, v31
	;; [unrolled: 1-line block ×3, first 2 shown]
	v_mul_f32_e32 v39, v38, v31
	v_mul_f32_e32 v32, v27, v39
	v_fma_f32 v34, v39, v27, -v32
	v_fmac_f32_e32 v34, v39, v1
	v_sub_f32_e32 v1, v33, v31
	v_add_f32_e32 v1, v30, v1
	v_add_f32_e32 v30, v32, v34
	v_sub_f32_e32 v33, v31, v30
	v_pk_add_f32 v[36:37], v[30:31], v[32:33] neg_lo:[0,1] neg_hi:[0,1]
	v_mov_b32_e32 v35, v30
	v_pk_add_f32 v[30:31], v[36:37], v[34:35] neg_lo:[0,1] neg_hi:[0,1]
	v_add_f32_e32 v27, v40, v39
	v_add_f32_e32 v1, v1, v31
	;; [unrolled: 1-line block ×4, first 2 shown]
	v_sub_f32_e32 v30, v27, v40
	v_mul_f32_e32 v1, v38, v1
	v_sub_f32_e32 v30, v39, v30
	v_add_f32_e32 v1, v30, v1
	v_add_f32_e32 v30, v27, v1
	v_cvt_f32_i32_e32 v32, v29
	v_mul_f32_e32 v33, v30, v30
	v_mov_b32_e32 v31, 0x3ecc95a3
	v_fmac_f32_e32 v31, 0x3e9b6dac, v33
	v_fmaak_f32 v31, v33, v31, 0x3f2aaada
	v_sub_f32_e32 v27, v30, v27
	v_ldexp_f32 v35, v30, 1
	v_mul_f32_e32 v33, v30, v33
	v_mov_b32_e32 v30, 0x3f317218
	v_pk_mul_f32 v[30:31], v[32:33], v[30:31]
	v_sub_f32_e32 v1, v1, v27
	v_fma_f32 v27, v32, s3, -v30
	v_fmamk_f32 v34, v32, 0xb102e308, v27
	v_pk_add_f32 v[32:33], v[30:31], v[34:35]
	v_ldexp_f32 v1, v1, 1
	v_sub_f32_e32 v27, v33, v35
	v_sub_f32_e32 v27, v31, v27
	v_add_f32_e32 v37, v1, v27
	v_mov_b32_e32 v36, v30
	v_pk_add_f32 v[30:31], v[32:33], v[30:31] neg_lo:[0,1] neg_hi:[0,1]
	v_pk_add_f32 v[38:39], v[32:33], v[36:37]
	v_mov_b32_e32 v35, v32
	v_mov_b32_e32 v31, v39
	v_pk_add_f32 v[52:53], v[34:35], v[30:31] neg_lo:[0,1] neg_hi:[0,1]
	v_pk_add_f32 v[30:31], v[34:35], v[30:31]
	v_mov_b32_e32 v36, v37
	v_mov_b32_e32 v34, v31
	s_waitcnt lgkmcnt(0)
	v_pk_add_f32 v[54:55], v[34:35], v[32:33] neg_lo:[0,1] neg_hi:[0,1]
	v_mov_b32_e32 v30, v39
	v_mov_b32_e32 v1, v54
	v_pk_add_f32 v[56:57], v[38:39], v[0:1] neg_lo:[0,1] neg_hi:[0,1]
	v_mov_b32_e32 v38, v33
	v_mov_b32_e32 v39, v54
	;; [unrolled: 1-line block ×3, first 2 shown]
	v_pk_add_f32 v[30:31], v[30:31], v[38:39] neg_lo:[0,1] neg_hi:[0,1]
	v_mov_b32_e32 v37, v32
	v_pk_add_f32 v[30:31], v[36:37], v[30:31] neg_lo:[0,1] neg_hi:[0,1]
	v_mov_b32_e32 v56, v52
	v_pk_add_f32 v[32:33], v[56:57], v[30:31]
	s_mov_b32 s3, 0x33800000
	v_mov_b32_e32 v36, v33
	v_pk_add_f32 v[36:37], v[32:33], v[36:37]
	v_cmp_lt_f32_e64 s[4:5], |v15|, s3
	v_pk_add_f32 v[34:35], v[34:35], v[36:37]
	v_mov_b32_e32 v31, v36
	v_mov_b32_e32 v33, v34
	v_pk_add_f32 v[38:39], v[32:33], v[52:53] neg_lo:[0,1] neg_hi:[0,1]
	s_or_b64 vcc, vcc, s[4:5]
	v_sub_f32_e32 v1, v32, v38
	v_pk_add_f32 v[30:31], v[30:31], v[38:39] neg_lo:[0,1] neg_hi:[0,1]
	v_sub_f32_e32 v1, v52, v1
	v_add_f32_e32 v1, v30, v1
	v_add_f32_e32 v1, v1, v31
	;; [unrolled: 1-line block ×3, first 2 shown]
	v_cndmask_b32_e32 v1, v1, v15, vcc
	v_add_f32_e32 v15, v0, v1
.LBB111_166:
	s_or_b64 exec, exec, s[0:1]
	v_max_f32_e32 v0, v15, v15
	v_min_f32_e32 v1, v0, v41
	v_cmp_u_f32_e32 vcc, v15, v15
	v_max_f32_e32 v0, v0, v41
	s_nop 0
	v_cndmask_b32_e32 v1, v1, v15, vcc
	v_cndmask_b32_e32 v0, v0, v15, vcc
	v_cndmask_b32_e64 v1, v1, v16, s[76:77]
	v_cndmask_b32_e64 v0, v0, v16, s[76:77]
	v_cmp_neq_f32_e32 vcc, v1, v0
	v_cmp_class_f32_e64 s[0:1], v1, s2
	s_or_b64 s[2:3], vcc, s[0:1]
	v_mov_b32_e32 v16, v15
	s_and_saveexec_b64 s[0:1], s[2:3]
	s_cbranch_execz .LBB111_168
; %bb.167:
	v_sub_f32_e32 v1, v1, v0
	s_mov_b32 s2, 0x3fb8aa3b
	v_mul_f32_e32 v16, 0x3fb8aa3b, v1
	v_fma_f32 v27, v1, s2, -v16
	v_rndne_f32_e32 v29, v16
	v_fmamk_f32 v27, v1, 0x32a5705f, v27
	v_sub_f32_e32 v16, v16, v29
	v_add_f32_e32 v16, v16, v27
	v_exp_f32_e32 v16, v16
	v_cvt_i32_f32_e32 v27, v29
	s_mov_b32 s2, 0xc2ce8ed0
	v_cmp_ngt_f32_e32 vcc, s2, v1
	s_mov_b32 s2, 0x42b17218
	v_ldexp_f32 v16, v16, v27
	v_cndmask_b32_e32 v16, 0, v16, vcc
	v_mov_b32_e32 v27, 0x7f800000
	v_cmp_nlt_f32_e32 vcc, s2, v1
	s_mov_b32 s2, 0x3f2aaaab
	s_mov_b32 s3, 0x7f800000
	v_cndmask_b32_e32 v27, v27, v16, vcc
	v_add_f32_e32 v1, 1.0, v27
	v_add_f32_e32 v16, -1.0, v1
	v_sub_f32_e32 v29, v16, v1
	v_add_f32_e32 v29, 1.0, v29
	v_sub_f32_e32 v16, v27, v16
	v_add_f32_e32 v16, v16, v29
	v_frexp_mant_f32_e32 v29, v1
	v_cvt_f64_f32_e32 v[30:31], v1
	v_frexp_exp_i32_f64_e32 v30, v[30:31]
	v_cmp_gt_f32_e32 vcc, s2, v29
	s_mov_b32 s2, 0x3f317218
	s_nop 0
	v_subbrev_co_u32_e32 v29, vcc, 0, v30, vcc
	v_sub_u32_e32 v30, 0, v29
	v_ldexp_f32 v1, v1, v30
	v_ldexp_f32 v16, v16, v30
	v_add_f32_e32 v30, -1.0, v1
	v_add_f32_e32 v31, 1.0, v30
	v_sub_f32_e32 v31, v1, v31
	v_add_f32_e32 v32, v16, v31
	v_add_f32_e32 v31, 1.0, v1
	v_add_f32_e32 v33, -1.0, v31
	v_sub_f32_e32 v1, v1, v33
	v_add_f32_e32 v1, v16, v1
	v_add_f32_e32 v16, v31, v1
	v_rcp_f32_e32 v38, v16
	v_sub_f32_e32 v31, v31, v16
	v_add_f32_e32 v1, v1, v31
	v_add_f32_e32 v31, v30, v32
	v_sub_f32_e32 v30, v30, v31
	v_mul_f32_e32 v40, v31, v38
	v_add_f32_e32 v39, v32, v30
	v_mul_f32_e32 v32, v16, v40
	v_fma_f32 v34, v40, v16, -v32
	v_fmac_f32_e32 v34, v40, v1
	v_add_f32_e32 v30, v32, v34
	v_sub_f32_e32 v33, v31, v30
	v_pk_add_f32 v[36:37], v[30:31], v[32:33] neg_lo:[0,1] neg_hi:[0,1]
	v_mov_b32_e32 v35, v30
	v_pk_add_f32 v[30:31], v[36:37], v[34:35] neg_lo:[0,1] neg_hi:[0,1]
	v_cmp_eq_f32_e32 vcc, s3, v27
	v_add_f32_e32 v31, v39, v31
	v_add_f32_e32 v30, v30, v31
	;; [unrolled: 1-line block ×3, first 2 shown]
	v_mul_f32_e32 v39, v38, v31
	v_mul_f32_e32 v32, v16, v39
	v_fma_f32 v34, v39, v16, -v32
	v_fmac_f32_e32 v34, v39, v1
	v_sub_f32_e32 v1, v33, v31
	v_add_f32_e32 v1, v30, v1
	v_add_f32_e32 v30, v32, v34
	v_sub_f32_e32 v33, v31, v30
	v_pk_add_f32 v[36:37], v[30:31], v[32:33] neg_lo:[0,1] neg_hi:[0,1]
	v_mov_b32_e32 v35, v30
	v_pk_add_f32 v[30:31], v[36:37], v[34:35] neg_lo:[0,1] neg_hi:[0,1]
	v_add_f32_e32 v16, v40, v39
	v_add_f32_e32 v1, v1, v31
	;; [unrolled: 1-line block ×4, first 2 shown]
	v_sub_f32_e32 v30, v16, v40
	v_mul_f32_e32 v1, v38, v1
	v_sub_f32_e32 v30, v39, v30
	v_add_f32_e32 v1, v30, v1
	v_add_f32_e32 v30, v16, v1
	v_cvt_f32_i32_e32 v32, v29
	v_mul_f32_e32 v33, v30, v30
	v_mov_b32_e32 v31, 0x3ecc95a3
	v_fmac_f32_e32 v31, 0x3e9b6dac, v33
	v_fmaak_f32 v31, v33, v31, 0x3f2aaada
	v_sub_f32_e32 v16, v30, v16
	v_ldexp_f32 v35, v30, 1
	v_mul_f32_e32 v33, v30, v33
	v_mov_b32_e32 v30, 0x3f317218
	v_pk_mul_f32 v[30:31], v[32:33], v[30:31]
	v_sub_f32_e32 v1, v1, v16
	v_fma_f32 v16, v32, s2, -v30
	v_fmamk_f32 v34, v32, 0xb102e308, v16
	v_pk_add_f32 v[32:33], v[30:31], v[34:35]
	v_ldexp_f32 v1, v1, 1
	v_sub_f32_e32 v16, v33, v35
	v_sub_f32_e32 v16, v31, v16
	v_add_f32_e32 v37, v1, v16
	v_mov_b32_e32 v36, v30
	v_pk_add_f32 v[30:31], v[32:33], v[30:31] neg_lo:[0,1] neg_hi:[0,1]
	v_pk_add_f32 v[38:39], v[32:33], v[36:37]
	v_mov_b32_e32 v35, v32
	v_mov_b32_e32 v31, v39
	v_pk_add_f32 v[40:41], v[34:35], v[30:31] neg_lo:[0,1] neg_hi:[0,1]
	v_pk_add_f32 v[30:31], v[34:35], v[30:31]
	s_mov_b32 s2, 0x33800000
	v_mov_b32_e32 v16, v31
	v_pk_add_f32 v[34:35], v[16:17], v[32:33] neg_lo:[0,1] neg_hi:[0,1]
	v_mov_b32_e32 v30, v39
	v_mov_b32_e32 v1, v34
	v_pk_add_f32 v[52:53], v[38:39], v[0:1] neg_lo:[0,1] neg_hi:[0,1]
	v_mov_b32_e32 v38, v33
	v_mov_b32_e32 v39, v34
	;; [unrolled: 1-line block ×3, first 2 shown]
	v_pk_add_f32 v[30:31], v[30:31], v[38:39] neg_lo:[0,1] neg_hi:[0,1]
	v_mov_b32_e32 v34, v37
	v_mov_b32_e32 v35, v32
	v_pk_add_f32 v[30:31], v[34:35], v[30:31] neg_lo:[0,1] neg_hi:[0,1]
	v_mov_b32_e32 v52, v40
	v_pk_add_f32 v[32:33], v[52:53], v[30:31]
	v_cmp_lt_f32_e64 s[2:3], |v27|, s2
	v_mov_b32_e32 v34, v33
	v_pk_add_f32 v[34:35], v[32:33], v[34:35]
	s_or_b64 vcc, vcc, s[2:3]
	v_pk_add_f32 v[36:37], v[16:17], v[34:35]
	v_mov_b32_e32 v31, v34
	v_mov_b32_e32 v33, v36
	v_pk_add_f32 v[38:39], v[32:33], v[40:41] neg_lo:[0,1] neg_hi:[0,1]
	s_nop 0
	v_sub_f32_e32 v1, v32, v38
	v_pk_add_f32 v[30:31], v[30:31], v[38:39] neg_lo:[0,1] neg_hi:[0,1]
	v_sub_f32_e32 v1, v40, v1
	v_add_f32_e32 v1, v30, v1
	v_add_f32_e32 v1, v1, v31
	;; [unrolled: 1-line block ×3, first 2 shown]
	v_cndmask_b32_e32 v1, v1, v27, vcc
	v_add_f32_e32 v16, v0, v1
.LBB111_168:
	s_or_b64 exec, exec, s[0:1]
	v_max_f32_e32 v0, v16, v16
	v_min_f32_e32 v1, v0, v42
	v_cmp_u_f32_e32 vcc, v16, v16
	v_max_f32_e32 v0, v0, v42
	s_movk_i32 s2, 0x1f8
	v_cndmask_b32_e32 v1, v1, v16, vcc
	v_cndmask_b32_e32 v0, v0, v16, vcc
	v_cndmask_b32_e64 v1, v1, v17, s[78:79]
	v_cndmask_b32_e64 v0, v0, v17, s[78:79]
	v_cmp_neq_f32_e32 vcc, v1, v0
	v_cmp_class_f32_e64 s[0:1], v1, s2
	s_or_b64 s[4:5], vcc, s[0:1]
	v_mov_b32_e32 v17, v16
	s_and_saveexec_b64 s[0:1], s[4:5]
	s_cbranch_execz .LBB111_170
; %bb.169:
	v_sub_f32_e32 v1, v1, v0
	s_mov_b32 s3, 0x3fb8aa3b
	v_mul_f32_e32 v17, 0x3fb8aa3b, v1
	v_fma_f32 v27, v1, s3, -v17
	v_rndne_f32_e32 v29, v17
	v_fmamk_f32 v27, v1, 0x32a5705f, v27
	v_sub_f32_e32 v17, v17, v29
	v_add_f32_e32 v17, v17, v27
	v_exp_f32_e32 v17, v17
	v_cvt_i32_f32_e32 v27, v29
	s_mov_b32 s3, 0xc2ce8ed0
	v_cmp_ngt_f32_e32 vcc, s3, v1
	s_mov_b32 s3, 0x42b17218
	v_ldexp_f32 v17, v17, v27
	v_cndmask_b32_e32 v17, 0, v17, vcc
	v_mov_b32_e32 v27, 0x7f800000
	v_cmp_nlt_f32_e32 vcc, s3, v1
	s_mov_b32 s3, 0x3f2aaaab
	s_mov_b32 s4, 0x7f800000
	v_cndmask_b32_e32 v17, v27, v17, vcc
	v_add_f32_e32 v1, 1.0, v17
	v_add_f32_e32 v27, -1.0, v1
	v_sub_f32_e32 v29, v27, v1
	v_add_f32_e32 v29, 1.0, v29
	v_sub_f32_e32 v27, v17, v27
	v_add_f32_e32 v27, v27, v29
	v_frexp_mant_f32_e32 v29, v1
	v_cvt_f64_f32_e32 v[30:31], v1
	v_frexp_exp_i32_f64_e32 v30, v[30:31]
	v_cmp_gt_f32_e32 vcc, s3, v29
	s_mov_b32 s3, 0x3f317218
	s_nop 0
	v_subbrev_co_u32_e32 v29, vcc, 0, v30, vcc
	v_sub_u32_e32 v30, 0, v29
	v_ldexp_f32 v1, v1, v30
	v_ldexp_f32 v27, v27, v30
	v_add_f32_e32 v30, -1.0, v1
	v_add_f32_e32 v31, 1.0, v30
	v_sub_f32_e32 v31, v1, v31
	v_add_f32_e32 v32, v27, v31
	v_add_f32_e32 v31, 1.0, v1
	v_add_f32_e32 v33, -1.0, v31
	v_sub_f32_e32 v1, v1, v33
	v_add_f32_e32 v1, v27, v1
	v_add_f32_e32 v27, v31, v1
	v_rcp_f32_e32 v38, v27
	v_sub_f32_e32 v31, v31, v27
	v_add_f32_e32 v1, v1, v31
	v_add_f32_e32 v31, v30, v32
	v_sub_f32_e32 v30, v30, v31
	v_mul_f32_e32 v40, v31, v38
	v_add_f32_e32 v39, v32, v30
	v_mul_f32_e32 v32, v27, v40
	v_fma_f32 v34, v40, v27, -v32
	v_fmac_f32_e32 v34, v40, v1
	v_add_f32_e32 v30, v32, v34
	v_sub_f32_e32 v33, v31, v30
	v_pk_add_f32 v[36:37], v[30:31], v[32:33] neg_lo:[0,1] neg_hi:[0,1]
	v_mov_b32_e32 v35, v30
	v_pk_add_f32 v[30:31], v[36:37], v[34:35] neg_lo:[0,1] neg_hi:[0,1]
	v_cmp_eq_f32_e32 vcc, s4, v17
	v_add_f32_e32 v31, v39, v31
	v_add_f32_e32 v30, v30, v31
	;; [unrolled: 1-line block ×3, first 2 shown]
	v_mul_f32_e32 v39, v38, v31
	v_mul_f32_e32 v32, v27, v39
	v_fma_f32 v34, v39, v27, -v32
	v_fmac_f32_e32 v34, v39, v1
	v_sub_f32_e32 v1, v33, v31
	v_add_f32_e32 v1, v30, v1
	v_add_f32_e32 v30, v32, v34
	v_sub_f32_e32 v33, v31, v30
	v_pk_add_f32 v[36:37], v[30:31], v[32:33] neg_lo:[0,1] neg_hi:[0,1]
	v_mov_b32_e32 v35, v30
	v_pk_add_f32 v[30:31], v[36:37], v[34:35] neg_lo:[0,1] neg_hi:[0,1]
	v_add_f32_e32 v27, v40, v39
	v_add_f32_e32 v1, v1, v31
	;; [unrolled: 1-line block ×4, first 2 shown]
	v_sub_f32_e32 v30, v27, v40
	v_mul_f32_e32 v1, v38, v1
	v_sub_f32_e32 v30, v39, v30
	v_add_f32_e32 v1, v30, v1
	v_add_f32_e32 v30, v27, v1
	v_cvt_f32_i32_e32 v32, v29
	v_mul_f32_e32 v33, v30, v30
	v_mov_b32_e32 v31, 0x3ecc95a3
	v_fmac_f32_e32 v31, 0x3e9b6dac, v33
	v_fmaak_f32 v31, v33, v31, 0x3f2aaada
	v_sub_f32_e32 v27, v30, v27
	v_ldexp_f32 v35, v30, 1
	v_mul_f32_e32 v33, v30, v33
	v_mov_b32_e32 v30, 0x3f317218
	v_pk_mul_f32 v[30:31], v[32:33], v[30:31]
	v_sub_f32_e32 v1, v1, v27
	v_fma_f32 v27, v32, s3, -v30
	v_fmamk_f32 v34, v32, 0xb102e308, v27
	v_pk_add_f32 v[32:33], v[30:31], v[34:35]
	v_ldexp_f32 v1, v1, 1
	v_sub_f32_e32 v27, v33, v35
	v_sub_f32_e32 v27, v31, v27
	v_add_f32_e32 v37, v1, v27
	v_mov_b32_e32 v36, v30
	v_pk_add_f32 v[30:31], v[32:33], v[30:31] neg_lo:[0,1] neg_hi:[0,1]
	v_pk_add_f32 v[38:39], v[32:33], v[36:37]
	v_mov_b32_e32 v35, v32
	v_mov_b32_e32 v31, v39
	v_pk_add_f32 v[40:41], v[34:35], v[30:31] neg_lo:[0,1] neg_hi:[0,1]
	v_pk_add_f32 v[30:31], v[34:35], v[30:31]
	v_mov_b32_e32 v36, v37
	v_mov_b32_e32 v34, v31
	v_pk_add_f32 v[52:53], v[34:35], v[32:33] neg_lo:[0,1] neg_hi:[0,1]
	v_mov_b32_e32 v30, v39
	v_mov_b32_e32 v1, v52
	s_waitcnt lgkmcnt(0)
	v_pk_add_f32 v[54:55], v[38:39], v[0:1] neg_lo:[0,1] neg_hi:[0,1]
	v_mov_b32_e32 v38, v33
	v_mov_b32_e32 v39, v52
	v_mov_b32_e32 v41, v31
	v_pk_add_f32 v[30:31], v[30:31], v[38:39] neg_lo:[0,1] neg_hi:[0,1]
	v_mov_b32_e32 v37, v32
	v_pk_add_f32 v[30:31], v[36:37], v[30:31] neg_lo:[0,1] neg_hi:[0,1]
	v_mov_b32_e32 v54, v40
	v_pk_add_f32 v[32:33], v[54:55], v[30:31]
	s_mov_b32 s3, 0x33800000
	v_mov_b32_e32 v36, v33
	v_pk_add_f32 v[36:37], v[32:33], v[36:37]
	v_cmp_lt_f32_e64 s[4:5], |v17|, s3
	v_pk_add_f32 v[34:35], v[34:35], v[36:37]
	v_mov_b32_e32 v31, v36
	v_mov_b32_e32 v33, v34
	v_pk_add_f32 v[38:39], v[32:33], v[40:41] neg_lo:[0,1] neg_hi:[0,1]
	s_or_b64 vcc, vcc, s[4:5]
	v_sub_f32_e32 v1, v32, v38
	v_pk_add_f32 v[30:31], v[30:31], v[38:39] neg_lo:[0,1] neg_hi:[0,1]
	v_sub_f32_e32 v1, v40, v1
	v_add_f32_e32 v1, v30, v1
	v_add_f32_e32 v1, v1, v31
	;; [unrolled: 1-line block ×3, first 2 shown]
	v_cndmask_b32_e32 v1, v1, v17, vcc
	v_add_f32_e32 v17, v0, v1
.LBB111_170:
	s_or_b64 exec, exec, s[0:1]
	v_max_f32_e32 v0, v17, v17
	v_min_f32_e32 v1, v0, v43
	v_cmp_u_f32_e32 vcc, v17, v17
	v_max_f32_e32 v0, v0, v43
	s_nop 0
	v_cndmask_b32_e32 v1, v1, v17, vcc
	v_cndmask_b32_e32 v0, v0, v17, vcc
	v_cndmask_b32_e64 v1, v1, v10, s[80:81]
	v_cndmask_b32_e64 v0, v0, v10, s[80:81]
	v_cmp_neq_f32_e32 vcc, v1, v0
	v_cmp_class_f32_e64 s[0:1], v1, s2
	s_or_b64 s[2:3], vcc, s[0:1]
	v_mov_b32_e32 v10, v17
	s_and_saveexec_b64 s[0:1], s[2:3]
	s_cbranch_execz .LBB111_172
; %bb.171:
	v_sub_f32_e32 v1, v1, v0
	s_mov_b32 s2, 0x3fb8aa3b
	v_mul_f32_e32 v10, 0x3fb8aa3b, v1
	v_fma_f32 v27, v1, s2, -v10
	v_rndne_f32_e32 v29, v10
	v_fmamk_f32 v27, v1, 0x32a5705f, v27
	v_sub_f32_e32 v10, v10, v29
	v_add_f32_e32 v10, v10, v27
	v_exp_f32_e32 v10, v10
	v_cvt_i32_f32_e32 v27, v29
	s_mov_b32 s2, 0xc2ce8ed0
	v_cmp_ngt_f32_e32 vcc, s2, v1
	s_mov_b32 s2, 0x42b17218
	v_ldexp_f32 v10, v10, v27
	v_cndmask_b32_e32 v10, 0, v10, vcc
	v_mov_b32_e32 v27, 0x7f800000
	v_cmp_nlt_f32_e32 vcc, s2, v1
	s_mov_b32 s2, 0x3f2aaaab
	s_mov_b32 s3, 0x7f800000
	v_cndmask_b32_e32 v27, v27, v10, vcc
	v_add_f32_e32 v1, 1.0, v27
	v_add_f32_e32 v10, -1.0, v1
	v_sub_f32_e32 v29, v10, v1
	v_add_f32_e32 v29, 1.0, v29
	v_sub_f32_e32 v10, v27, v10
	v_add_f32_e32 v10, v10, v29
	v_frexp_mant_f32_e32 v29, v1
	v_cvt_f64_f32_e32 v[30:31], v1
	v_frexp_exp_i32_f64_e32 v30, v[30:31]
	v_cmp_gt_f32_e32 vcc, s2, v29
	s_mov_b32 s2, 0x3f317218
	s_nop 0
	v_subbrev_co_u32_e32 v29, vcc, 0, v30, vcc
	v_sub_u32_e32 v30, 0, v29
	v_ldexp_f32 v1, v1, v30
	v_ldexp_f32 v10, v10, v30
	v_add_f32_e32 v30, -1.0, v1
	v_add_f32_e32 v31, 1.0, v30
	v_sub_f32_e32 v31, v1, v31
	v_add_f32_e32 v32, v10, v31
	v_add_f32_e32 v31, 1.0, v1
	v_add_f32_e32 v33, -1.0, v31
	v_sub_f32_e32 v1, v1, v33
	v_add_f32_e32 v1, v10, v1
	v_add_f32_e32 v10, v31, v1
	v_rcp_f32_e32 v38, v10
	v_sub_f32_e32 v31, v31, v10
	v_add_f32_e32 v1, v1, v31
	v_add_f32_e32 v31, v30, v32
	v_sub_f32_e32 v30, v30, v31
	v_mul_f32_e32 v40, v31, v38
	v_add_f32_e32 v39, v32, v30
	v_mul_f32_e32 v32, v10, v40
	v_fma_f32 v34, v40, v10, -v32
	v_fmac_f32_e32 v34, v40, v1
	v_add_f32_e32 v30, v32, v34
	v_sub_f32_e32 v33, v31, v30
	v_pk_add_f32 v[36:37], v[30:31], v[32:33] neg_lo:[0,1] neg_hi:[0,1]
	v_mov_b32_e32 v35, v30
	v_pk_add_f32 v[30:31], v[36:37], v[34:35] neg_lo:[0,1] neg_hi:[0,1]
	v_cmp_eq_f32_e32 vcc, s3, v27
	v_add_f32_e32 v31, v39, v31
	v_add_f32_e32 v30, v30, v31
	;; [unrolled: 1-line block ×3, first 2 shown]
	v_mul_f32_e32 v39, v38, v31
	v_mul_f32_e32 v32, v10, v39
	v_fma_f32 v34, v39, v10, -v32
	v_fmac_f32_e32 v34, v39, v1
	v_sub_f32_e32 v1, v33, v31
	v_add_f32_e32 v1, v30, v1
	v_add_f32_e32 v30, v32, v34
	v_sub_f32_e32 v33, v31, v30
	v_pk_add_f32 v[36:37], v[30:31], v[32:33] neg_lo:[0,1] neg_hi:[0,1]
	v_mov_b32_e32 v35, v30
	v_pk_add_f32 v[30:31], v[36:37], v[34:35] neg_lo:[0,1] neg_hi:[0,1]
	v_add_f32_e32 v10, v40, v39
	v_add_f32_e32 v1, v1, v31
	;; [unrolled: 1-line block ×4, first 2 shown]
	v_sub_f32_e32 v30, v10, v40
	v_mul_f32_e32 v1, v38, v1
	v_sub_f32_e32 v30, v39, v30
	v_add_f32_e32 v1, v30, v1
	v_add_f32_e32 v30, v10, v1
	v_cvt_f32_i32_e32 v32, v29
	v_mul_f32_e32 v33, v30, v30
	v_mov_b32_e32 v31, 0x3ecc95a3
	v_fmac_f32_e32 v31, 0x3e9b6dac, v33
	v_fmaak_f32 v31, v33, v31, 0x3f2aaada
	v_sub_f32_e32 v10, v30, v10
	v_ldexp_f32 v35, v30, 1
	v_mul_f32_e32 v33, v30, v33
	v_mov_b32_e32 v30, 0x3f317218
	v_pk_mul_f32 v[30:31], v[32:33], v[30:31]
	v_sub_f32_e32 v1, v1, v10
	v_fma_f32 v10, v32, s2, -v30
	v_fmamk_f32 v34, v32, 0xb102e308, v10
	v_pk_add_f32 v[32:33], v[30:31], v[34:35]
	v_ldexp_f32 v1, v1, 1
	v_sub_f32_e32 v10, v33, v35
	v_sub_f32_e32 v10, v31, v10
	v_add_f32_e32 v37, v1, v10
	v_mov_b32_e32 v36, v30
	v_pk_add_f32 v[30:31], v[32:33], v[30:31] neg_lo:[0,1] neg_hi:[0,1]
	v_pk_add_f32 v[38:39], v[32:33], v[36:37]
	v_mov_b32_e32 v35, v32
	v_mov_b32_e32 v31, v39
	v_pk_add_f32 v[40:41], v[34:35], v[30:31] neg_lo:[0,1] neg_hi:[0,1]
	v_pk_add_f32 v[30:31], v[34:35], v[30:31]
	s_mov_b32 s2, 0x33800000
	v_mov_b32_e32 v10, v31
	v_pk_add_f32 v[34:35], v[10:11], v[32:33] neg_lo:[0,1] neg_hi:[0,1]
	v_mov_b32_e32 v30, v39
	v_mov_b32_e32 v1, v34
	v_pk_add_f32 v[42:43], v[38:39], v[0:1] neg_lo:[0,1] neg_hi:[0,1]
	v_mov_b32_e32 v38, v33
	v_mov_b32_e32 v39, v34
	;; [unrolled: 1-line block ×3, first 2 shown]
	v_pk_add_f32 v[30:31], v[30:31], v[38:39] neg_lo:[0,1] neg_hi:[0,1]
	v_mov_b32_e32 v34, v37
	v_mov_b32_e32 v35, v32
	v_pk_add_f32 v[30:31], v[34:35], v[30:31] neg_lo:[0,1] neg_hi:[0,1]
	v_mov_b32_e32 v42, v40
	v_pk_add_f32 v[32:33], v[42:43], v[30:31]
	v_cmp_lt_f32_e64 s[2:3], |v27|, s2
	v_mov_b32_e32 v34, v33
	v_pk_add_f32 v[34:35], v[32:33], v[34:35]
	s_or_b64 vcc, vcc, s[2:3]
	v_pk_add_f32 v[36:37], v[10:11], v[34:35]
	v_mov_b32_e32 v31, v34
	v_mov_b32_e32 v33, v36
	v_pk_add_f32 v[38:39], v[32:33], v[40:41] neg_lo:[0,1] neg_hi:[0,1]
	s_nop 0
	v_sub_f32_e32 v1, v32, v38
	v_pk_add_f32 v[30:31], v[30:31], v[38:39] neg_lo:[0,1] neg_hi:[0,1]
	v_sub_f32_e32 v1, v40, v1
	v_add_f32_e32 v1, v30, v1
	v_add_f32_e32 v1, v1, v31
	;; [unrolled: 1-line block ×3, first 2 shown]
	v_cndmask_b32_e32 v1, v1, v27, vcc
	v_add_f32_e32 v10, v0, v1
.LBB111_172:
	s_or_b64 exec, exec, s[0:1]
	v_max_f32_e32 v0, v10, v10
	v_min_f32_e32 v1, v0, v44
	v_cmp_u_f32_e32 vcc, v10, v10
	v_max_f32_e32 v0, v0, v44
	s_movk_i32 s2, 0x1f8
	v_cndmask_b32_e32 v1, v1, v10, vcc
	v_cndmask_b32_e32 v0, v0, v10, vcc
	v_cndmask_b32_e64 v1, v1, v11, s[82:83]
	v_cndmask_b32_e64 v0, v0, v11, s[82:83]
	v_cmp_neq_f32_e32 vcc, v1, v0
	v_cmp_class_f32_e64 s[0:1], v1, s2
	s_or_b64 s[4:5], vcc, s[0:1]
	v_mov_b32_e32 v11, v10
	s_and_saveexec_b64 s[0:1], s[4:5]
	s_cbranch_execz .LBB111_174
; %bb.173:
	v_sub_f32_e32 v1, v1, v0
	s_mov_b32 s3, 0x3fb8aa3b
	v_mul_f32_e32 v11, 0x3fb8aa3b, v1
	v_fma_f32 v27, v1, s3, -v11
	v_rndne_f32_e32 v29, v11
	v_fmamk_f32 v27, v1, 0x32a5705f, v27
	v_sub_f32_e32 v11, v11, v29
	v_add_f32_e32 v11, v11, v27
	v_exp_f32_e32 v11, v11
	v_cvt_i32_f32_e32 v27, v29
	s_mov_b32 s3, 0xc2ce8ed0
	v_cmp_ngt_f32_e32 vcc, s3, v1
	s_mov_b32 s3, 0x42b17218
	v_ldexp_f32 v11, v11, v27
	v_cndmask_b32_e32 v11, 0, v11, vcc
	v_mov_b32_e32 v27, 0x7f800000
	v_cmp_nlt_f32_e32 vcc, s3, v1
	s_mov_b32 s3, 0x3f2aaaab
	s_mov_b32 s4, 0x7f800000
	v_cndmask_b32_e32 v11, v27, v11, vcc
	v_add_f32_e32 v1, 1.0, v11
	v_add_f32_e32 v27, -1.0, v1
	v_sub_f32_e32 v29, v27, v1
	v_add_f32_e32 v29, 1.0, v29
	v_sub_f32_e32 v27, v11, v27
	v_add_f32_e32 v27, v27, v29
	v_frexp_mant_f32_e32 v29, v1
	v_cvt_f64_f32_e32 v[30:31], v1
	v_frexp_exp_i32_f64_e32 v30, v[30:31]
	v_cmp_gt_f32_e32 vcc, s3, v29
	s_mov_b32 s3, 0x3f317218
	s_nop 0
	v_subbrev_co_u32_e32 v29, vcc, 0, v30, vcc
	v_sub_u32_e32 v30, 0, v29
	v_ldexp_f32 v1, v1, v30
	v_ldexp_f32 v27, v27, v30
	v_add_f32_e32 v30, -1.0, v1
	v_add_f32_e32 v31, 1.0, v30
	v_sub_f32_e32 v31, v1, v31
	v_add_f32_e32 v32, v27, v31
	v_add_f32_e32 v31, 1.0, v1
	v_add_f32_e32 v33, -1.0, v31
	v_sub_f32_e32 v1, v1, v33
	v_add_f32_e32 v1, v27, v1
	v_add_f32_e32 v27, v31, v1
	v_rcp_f32_e32 v38, v27
	v_sub_f32_e32 v31, v31, v27
	v_add_f32_e32 v1, v1, v31
	v_add_f32_e32 v31, v30, v32
	v_sub_f32_e32 v30, v30, v31
	v_mul_f32_e32 v40, v31, v38
	v_add_f32_e32 v39, v32, v30
	v_mul_f32_e32 v32, v27, v40
	v_fma_f32 v34, v40, v27, -v32
	v_fmac_f32_e32 v34, v40, v1
	v_add_f32_e32 v30, v32, v34
	v_sub_f32_e32 v33, v31, v30
	v_pk_add_f32 v[36:37], v[30:31], v[32:33] neg_lo:[0,1] neg_hi:[0,1]
	v_mov_b32_e32 v35, v30
	v_pk_add_f32 v[30:31], v[36:37], v[34:35] neg_lo:[0,1] neg_hi:[0,1]
	v_cmp_eq_f32_e32 vcc, s4, v11
	v_add_f32_e32 v31, v39, v31
	v_add_f32_e32 v30, v30, v31
	;; [unrolled: 1-line block ×3, first 2 shown]
	v_mul_f32_e32 v39, v38, v31
	v_mul_f32_e32 v32, v27, v39
	v_fma_f32 v34, v39, v27, -v32
	v_fmac_f32_e32 v34, v39, v1
	v_sub_f32_e32 v1, v33, v31
	v_add_f32_e32 v1, v30, v1
	v_add_f32_e32 v30, v32, v34
	v_sub_f32_e32 v33, v31, v30
	v_pk_add_f32 v[36:37], v[30:31], v[32:33] neg_lo:[0,1] neg_hi:[0,1]
	v_mov_b32_e32 v35, v30
	v_pk_add_f32 v[30:31], v[36:37], v[34:35] neg_lo:[0,1] neg_hi:[0,1]
	v_add_f32_e32 v27, v40, v39
	v_add_f32_e32 v1, v1, v31
	;; [unrolled: 1-line block ×4, first 2 shown]
	v_sub_f32_e32 v30, v27, v40
	v_mul_f32_e32 v1, v38, v1
	v_sub_f32_e32 v30, v39, v30
	v_add_f32_e32 v1, v30, v1
	v_add_f32_e32 v30, v27, v1
	v_cvt_f32_i32_e32 v32, v29
	v_mul_f32_e32 v33, v30, v30
	v_mov_b32_e32 v31, 0x3ecc95a3
	v_fmac_f32_e32 v31, 0x3e9b6dac, v33
	v_fmaak_f32 v31, v33, v31, 0x3f2aaada
	v_sub_f32_e32 v27, v30, v27
	v_ldexp_f32 v35, v30, 1
	v_mul_f32_e32 v33, v30, v33
	v_mov_b32_e32 v30, 0x3f317218
	v_pk_mul_f32 v[30:31], v[32:33], v[30:31]
	v_sub_f32_e32 v1, v1, v27
	v_fma_f32 v27, v32, s3, -v30
	v_fmamk_f32 v34, v32, 0xb102e308, v27
	v_pk_add_f32 v[32:33], v[30:31], v[34:35]
	v_ldexp_f32 v1, v1, 1
	v_sub_f32_e32 v27, v33, v35
	v_sub_f32_e32 v27, v31, v27
	v_add_f32_e32 v37, v1, v27
	v_mov_b32_e32 v36, v30
	v_pk_add_f32 v[30:31], v[32:33], v[30:31] neg_lo:[0,1] neg_hi:[0,1]
	v_pk_add_f32 v[38:39], v[32:33], v[36:37]
	v_mov_b32_e32 v35, v32
	v_mov_b32_e32 v31, v39
	v_pk_add_f32 v[40:41], v[34:35], v[30:31] neg_lo:[0,1] neg_hi:[0,1]
	v_pk_add_f32 v[30:31], v[34:35], v[30:31]
	v_mov_b32_e32 v36, v37
	v_mov_b32_e32 v34, v31
	v_pk_add_f32 v[42:43], v[34:35], v[32:33] neg_lo:[0,1] neg_hi:[0,1]
	v_mov_b32_e32 v30, v39
	v_mov_b32_e32 v1, v42
	v_pk_add_f32 v[52:53], v[38:39], v[0:1] neg_lo:[0,1] neg_hi:[0,1]
	v_mov_b32_e32 v38, v33
	v_mov_b32_e32 v39, v42
	;; [unrolled: 1-line block ×3, first 2 shown]
	v_pk_add_f32 v[30:31], v[30:31], v[38:39] neg_lo:[0,1] neg_hi:[0,1]
	v_mov_b32_e32 v37, v32
	v_pk_add_f32 v[30:31], v[36:37], v[30:31] neg_lo:[0,1] neg_hi:[0,1]
	v_mov_b32_e32 v52, v40
	v_pk_add_f32 v[32:33], v[52:53], v[30:31]
	s_mov_b32 s3, 0x33800000
	v_mov_b32_e32 v36, v33
	v_pk_add_f32 v[36:37], v[32:33], v[36:37]
	v_cmp_lt_f32_e64 s[4:5], |v11|, s3
	v_pk_add_f32 v[34:35], v[34:35], v[36:37]
	v_mov_b32_e32 v31, v36
	v_mov_b32_e32 v33, v34
	v_pk_add_f32 v[38:39], v[32:33], v[40:41] neg_lo:[0,1] neg_hi:[0,1]
	s_or_b64 vcc, vcc, s[4:5]
	v_sub_f32_e32 v1, v32, v38
	v_pk_add_f32 v[30:31], v[30:31], v[38:39] neg_lo:[0,1] neg_hi:[0,1]
	v_sub_f32_e32 v1, v40, v1
	v_add_f32_e32 v1, v30, v1
	v_add_f32_e32 v1, v1, v31
	;; [unrolled: 1-line block ×3, first 2 shown]
	v_cndmask_b32_e32 v1, v1, v11, vcc
	v_add_f32_e32 v11, v0, v1
.LBB111_174:
	s_or_b64 exec, exec, s[0:1]
	v_max_f32_e32 v0, v11, v11
	v_min_f32_e32 v1, v0, v45
	v_cmp_u_f32_e32 vcc, v11, v11
	v_max_f32_e32 v0, v0, v45
	s_nop 0
	v_cndmask_b32_e32 v1, v1, v11, vcc
	v_cndmask_b32_e32 v0, v0, v11, vcc
	v_cndmask_b32_e64 v1, v1, v12, s[84:85]
	v_cndmask_b32_e64 v0, v0, v12, s[84:85]
	v_cmp_neq_f32_e32 vcc, v1, v0
	v_cmp_class_f32_e64 s[0:1], v1, s2
	s_or_b64 s[2:3], vcc, s[0:1]
	v_mov_b32_e32 v12, v11
	s_and_saveexec_b64 s[0:1], s[2:3]
	s_cbranch_execz .LBB111_176
; %bb.175:
	v_sub_f32_e32 v1, v1, v0
	s_mov_b32 s2, 0x3fb8aa3b
	v_mul_f32_e32 v12, 0x3fb8aa3b, v1
	v_fma_f32 v27, v1, s2, -v12
	v_rndne_f32_e32 v29, v12
	v_fmamk_f32 v27, v1, 0x32a5705f, v27
	v_sub_f32_e32 v12, v12, v29
	v_add_f32_e32 v12, v12, v27
	v_exp_f32_e32 v12, v12
	v_cvt_i32_f32_e32 v27, v29
	s_mov_b32 s2, 0xc2ce8ed0
	v_cmp_ngt_f32_e32 vcc, s2, v1
	s_mov_b32 s2, 0x42b17218
	v_ldexp_f32 v12, v12, v27
	v_cndmask_b32_e32 v12, 0, v12, vcc
	v_mov_b32_e32 v27, 0x7f800000
	v_cmp_nlt_f32_e32 vcc, s2, v1
	s_mov_b32 s2, 0x3f2aaaab
	s_mov_b32 s3, 0x7f800000
	v_cndmask_b32_e32 v27, v27, v12, vcc
	v_add_f32_e32 v1, 1.0, v27
	v_add_f32_e32 v12, -1.0, v1
	v_sub_f32_e32 v29, v12, v1
	v_add_f32_e32 v29, 1.0, v29
	v_sub_f32_e32 v12, v27, v12
	v_add_f32_e32 v12, v12, v29
	v_frexp_mant_f32_e32 v29, v1
	v_cvt_f64_f32_e32 v[30:31], v1
	v_frexp_exp_i32_f64_e32 v30, v[30:31]
	v_cmp_gt_f32_e32 vcc, s2, v29
	s_mov_b32 s2, 0x3f317218
	s_nop 0
	v_subbrev_co_u32_e32 v29, vcc, 0, v30, vcc
	v_sub_u32_e32 v30, 0, v29
	v_ldexp_f32 v1, v1, v30
	v_ldexp_f32 v12, v12, v30
	v_add_f32_e32 v30, -1.0, v1
	v_add_f32_e32 v31, 1.0, v30
	v_sub_f32_e32 v31, v1, v31
	v_add_f32_e32 v32, v12, v31
	v_add_f32_e32 v31, 1.0, v1
	v_add_f32_e32 v33, -1.0, v31
	v_sub_f32_e32 v1, v1, v33
	v_add_f32_e32 v1, v12, v1
	v_add_f32_e32 v12, v31, v1
	v_rcp_f32_e32 v38, v12
	v_sub_f32_e32 v31, v31, v12
	v_add_f32_e32 v1, v1, v31
	v_add_f32_e32 v31, v30, v32
	v_sub_f32_e32 v30, v30, v31
	v_mul_f32_e32 v40, v31, v38
	v_add_f32_e32 v39, v32, v30
	v_mul_f32_e32 v32, v12, v40
	v_fma_f32 v34, v40, v12, -v32
	v_fmac_f32_e32 v34, v40, v1
	v_add_f32_e32 v30, v32, v34
	v_sub_f32_e32 v33, v31, v30
	v_pk_add_f32 v[36:37], v[30:31], v[32:33] neg_lo:[0,1] neg_hi:[0,1]
	v_mov_b32_e32 v35, v30
	v_pk_add_f32 v[30:31], v[36:37], v[34:35] neg_lo:[0,1] neg_hi:[0,1]
	v_cmp_eq_f32_e32 vcc, s3, v27
	v_add_f32_e32 v31, v39, v31
	v_add_f32_e32 v30, v30, v31
	;; [unrolled: 1-line block ×3, first 2 shown]
	v_mul_f32_e32 v39, v38, v31
	v_mul_f32_e32 v32, v12, v39
	v_fma_f32 v34, v39, v12, -v32
	v_fmac_f32_e32 v34, v39, v1
	v_sub_f32_e32 v1, v33, v31
	v_add_f32_e32 v1, v30, v1
	v_add_f32_e32 v30, v32, v34
	v_sub_f32_e32 v33, v31, v30
	v_pk_add_f32 v[36:37], v[30:31], v[32:33] neg_lo:[0,1] neg_hi:[0,1]
	v_mov_b32_e32 v35, v30
	v_pk_add_f32 v[30:31], v[36:37], v[34:35] neg_lo:[0,1] neg_hi:[0,1]
	v_add_f32_e32 v12, v40, v39
	v_add_f32_e32 v1, v1, v31
	;; [unrolled: 1-line block ×4, first 2 shown]
	v_sub_f32_e32 v30, v12, v40
	v_mul_f32_e32 v1, v38, v1
	v_sub_f32_e32 v30, v39, v30
	v_add_f32_e32 v1, v30, v1
	v_add_f32_e32 v30, v12, v1
	v_cvt_f32_i32_e32 v32, v29
	v_mul_f32_e32 v33, v30, v30
	v_mov_b32_e32 v31, 0x3ecc95a3
	v_fmac_f32_e32 v31, 0x3e9b6dac, v33
	v_fmaak_f32 v31, v33, v31, 0x3f2aaada
	v_sub_f32_e32 v12, v30, v12
	v_ldexp_f32 v35, v30, 1
	v_mul_f32_e32 v33, v30, v33
	v_mov_b32_e32 v30, 0x3f317218
	v_pk_mul_f32 v[30:31], v[32:33], v[30:31]
	v_sub_f32_e32 v1, v1, v12
	v_fma_f32 v12, v32, s2, -v30
	v_fmamk_f32 v34, v32, 0xb102e308, v12
	v_pk_add_f32 v[32:33], v[30:31], v[34:35]
	v_ldexp_f32 v1, v1, 1
	v_sub_f32_e32 v12, v33, v35
	v_sub_f32_e32 v12, v31, v12
	v_add_f32_e32 v37, v1, v12
	v_mov_b32_e32 v36, v30
	v_pk_add_f32 v[30:31], v[32:33], v[30:31] neg_lo:[0,1] neg_hi:[0,1]
	v_pk_add_f32 v[38:39], v[32:33], v[36:37]
	v_mov_b32_e32 v35, v32
	v_mov_b32_e32 v31, v39
	v_pk_add_f32 v[40:41], v[34:35], v[30:31] neg_lo:[0,1] neg_hi:[0,1]
	v_pk_add_f32 v[30:31], v[34:35], v[30:31]
	s_mov_b32 s2, 0x33800000
	v_mov_b32_e32 v12, v31
	v_pk_add_f32 v[34:35], v[12:13], v[32:33] neg_lo:[0,1] neg_hi:[0,1]
	v_mov_b32_e32 v30, v39
	v_mov_b32_e32 v1, v34
	v_pk_add_f32 v[42:43], v[38:39], v[0:1] neg_lo:[0,1] neg_hi:[0,1]
	v_mov_b32_e32 v38, v33
	v_mov_b32_e32 v39, v34
	;; [unrolled: 1-line block ×3, first 2 shown]
	v_pk_add_f32 v[30:31], v[30:31], v[38:39] neg_lo:[0,1] neg_hi:[0,1]
	v_mov_b32_e32 v34, v37
	v_mov_b32_e32 v35, v32
	v_pk_add_f32 v[30:31], v[34:35], v[30:31] neg_lo:[0,1] neg_hi:[0,1]
	v_mov_b32_e32 v42, v40
	v_pk_add_f32 v[32:33], v[42:43], v[30:31]
	v_cmp_lt_f32_e64 s[2:3], |v27|, s2
	v_mov_b32_e32 v34, v33
	v_pk_add_f32 v[34:35], v[32:33], v[34:35]
	s_or_b64 vcc, vcc, s[2:3]
	v_pk_add_f32 v[36:37], v[12:13], v[34:35]
	v_mov_b32_e32 v31, v34
	v_mov_b32_e32 v33, v36
	v_pk_add_f32 v[38:39], v[32:33], v[40:41] neg_lo:[0,1] neg_hi:[0,1]
	s_nop 0
	v_sub_f32_e32 v1, v32, v38
	v_pk_add_f32 v[30:31], v[30:31], v[38:39] neg_lo:[0,1] neg_hi:[0,1]
	v_sub_f32_e32 v1, v40, v1
	v_add_f32_e32 v1, v30, v1
	v_add_f32_e32 v1, v1, v31
	;; [unrolled: 1-line block ×3, first 2 shown]
	v_cndmask_b32_e32 v1, v1, v27, vcc
	v_add_f32_e32 v12, v0, v1
.LBB111_176:
	s_or_b64 exec, exec, s[0:1]
	v_max_f32_e32 v0, v12, v12
	v_min_f32_e32 v1, v0, v46
	v_cmp_u_f32_e32 vcc, v12, v12
	v_max_f32_e32 v0, v0, v46
	s_movk_i32 s2, 0x1f8
	v_cndmask_b32_e32 v1, v1, v12, vcc
	v_cndmask_b32_e32 v0, v0, v12, vcc
	v_cndmask_b32_e64 v1, v1, v13, s[86:87]
	v_cndmask_b32_e64 v0, v0, v13, s[86:87]
	v_cmp_neq_f32_e32 vcc, v1, v0
	v_cmp_class_f32_e64 s[0:1], v1, s2
	s_or_b64 s[4:5], vcc, s[0:1]
	v_mov_b32_e32 v13, v12
	s_and_saveexec_b64 s[0:1], s[4:5]
	s_cbranch_execz .LBB111_178
; %bb.177:
	v_sub_f32_e32 v1, v1, v0
	s_mov_b32 s3, 0x3fb8aa3b
	v_mul_f32_e32 v13, 0x3fb8aa3b, v1
	v_fma_f32 v27, v1, s3, -v13
	v_rndne_f32_e32 v29, v13
	v_fmamk_f32 v27, v1, 0x32a5705f, v27
	v_sub_f32_e32 v13, v13, v29
	v_add_f32_e32 v13, v13, v27
	v_exp_f32_e32 v13, v13
	v_cvt_i32_f32_e32 v27, v29
	s_mov_b32 s3, 0xc2ce8ed0
	v_cmp_ngt_f32_e32 vcc, s3, v1
	s_mov_b32 s3, 0x42b17218
	v_ldexp_f32 v13, v13, v27
	v_cndmask_b32_e32 v13, 0, v13, vcc
	v_mov_b32_e32 v27, 0x7f800000
	v_cmp_nlt_f32_e32 vcc, s3, v1
	s_mov_b32 s3, 0x3f2aaaab
	s_mov_b32 s4, 0x7f800000
	v_cndmask_b32_e32 v13, v27, v13, vcc
	v_add_f32_e32 v1, 1.0, v13
	v_add_f32_e32 v27, -1.0, v1
	v_sub_f32_e32 v29, v27, v1
	v_add_f32_e32 v29, 1.0, v29
	v_sub_f32_e32 v27, v13, v27
	v_add_f32_e32 v27, v27, v29
	v_frexp_mant_f32_e32 v29, v1
	v_cvt_f64_f32_e32 v[30:31], v1
	v_frexp_exp_i32_f64_e32 v30, v[30:31]
	v_cmp_gt_f32_e32 vcc, s3, v29
	s_mov_b32 s3, 0x3f317218
	s_nop 0
	v_subbrev_co_u32_e32 v29, vcc, 0, v30, vcc
	v_sub_u32_e32 v30, 0, v29
	v_ldexp_f32 v1, v1, v30
	v_ldexp_f32 v27, v27, v30
	v_add_f32_e32 v30, -1.0, v1
	v_add_f32_e32 v31, 1.0, v30
	v_sub_f32_e32 v31, v1, v31
	v_add_f32_e32 v32, v27, v31
	v_add_f32_e32 v31, 1.0, v1
	v_add_f32_e32 v33, -1.0, v31
	v_sub_f32_e32 v1, v1, v33
	v_add_f32_e32 v1, v27, v1
	v_add_f32_e32 v27, v31, v1
	v_rcp_f32_e32 v38, v27
	v_sub_f32_e32 v31, v31, v27
	v_add_f32_e32 v1, v1, v31
	v_add_f32_e32 v31, v30, v32
	v_sub_f32_e32 v30, v30, v31
	v_mul_f32_e32 v40, v31, v38
	v_add_f32_e32 v39, v32, v30
	v_mul_f32_e32 v32, v27, v40
	v_fma_f32 v34, v40, v27, -v32
	v_fmac_f32_e32 v34, v40, v1
	v_add_f32_e32 v30, v32, v34
	v_sub_f32_e32 v33, v31, v30
	v_pk_add_f32 v[36:37], v[30:31], v[32:33] neg_lo:[0,1] neg_hi:[0,1]
	v_mov_b32_e32 v35, v30
	v_pk_add_f32 v[30:31], v[36:37], v[34:35] neg_lo:[0,1] neg_hi:[0,1]
	v_cmp_eq_f32_e32 vcc, s4, v13
	v_add_f32_e32 v31, v39, v31
	v_add_f32_e32 v30, v30, v31
	;; [unrolled: 1-line block ×3, first 2 shown]
	v_mul_f32_e32 v39, v38, v31
	v_mul_f32_e32 v32, v27, v39
	v_fma_f32 v34, v39, v27, -v32
	v_fmac_f32_e32 v34, v39, v1
	v_sub_f32_e32 v1, v33, v31
	v_add_f32_e32 v1, v30, v1
	v_add_f32_e32 v30, v32, v34
	v_sub_f32_e32 v33, v31, v30
	v_pk_add_f32 v[36:37], v[30:31], v[32:33] neg_lo:[0,1] neg_hi:[0,1]
	v_mov_b32_e32 v35, v30
	v_pk_add_f32 v[30:31], v[36:37], v[34:35] neg_lo:[0,1] neg_hi:[0,1]
	v_add_f32_e32 v27, v40, v39
	v_add_f32_e32 v1, v1, v31
	;; [unrolled: 1-line block ×4, first 2 shown]
	v_sub_f32_e32 v30, v27, v40
	v_mul_f32_e32 v1, v38, v1
	v_sub_f32_e32 v30, v39, v30
	v_add_f32_e32 v1, v30, v1
	v_add_f32_e32 v30, v27, v1
	v_cvt_f32_i32_e32 v32, v29
	v_mul_f32_e32 v33, v30, v30
	v_mov_b32_e32 v31, 0x3ecc95a3
	v_fmac_f32_e32 v31, 0x3e9b6dac, v33
	v_fmaak_f32 v31, v33, v31, 0x3f2aaada
	v_sub_f32_e32 v27, v30, v27
	v_ldexp_f32 v35, v30, 1
	v_mul_f32_e32 v33, v30, v33
	v_mov_b32_e32 v30, 0x3f317218
	v_pk_mul_f32 v[30:31], v[32:33], v[30:31]
	v_sub_f32_e32 v1, v1, v27
	v_fma_f32 v27, v32, s3, -v30
	v_fmamk_f32 v34, v32, 0xb102e308, v27
	v_pk_add_f32 v[32:33], v[30:31], v[34:35]
	v_ldexp_f32 v1, v1, 1
	v_sub_f32_e32 v27, v33, v35
	v_sub_f32_e32 v27, v31, v27
	v_add_f32_e32 v37, v1, v27
	v_mov_b32_e32 v36, v30
	v_pk_add_f32 v[30:31], v[32:33], v[30:31] neg_lo:[0,1] neg_hi:[0,1]
	v_pk_add_f32 v[38:39], v[32:33], v[36:37]
	v_mov_b32_e32 v35, v32
	v_mov_b32_e32 v31, v39
	v_pk_add_f32 v[40:41], v[34:35], v[30:31] neg_lo:[0,1] neg_hi:[0,1]
	v_pk_add_f32 v[30:31], v[34:35], v[30:31]
	v_mov_b32_e32 v36, v37
	v_mov_b32_e32 v34, v31
	v_pk_add_f32 v[42:43], v[34:35], v[32:33] neg_lo:[0,1] neg_hi:[0,1]
	v_mov_b32_e32 v30, v39
	v_mov_b32_e32 v1, v42
	v_pk_add_f32 v[44:45], v[38:39], v[0:1] neg_lo:[0,1] neg_hi:[0,1]
	v_mov_b32_e32 v38, v33
	v_mov_b32_e32 v39, v42
	;; [unrolled: 1-line block ×3, first 2 shown]
	v_pk_add_f32 v[30:31], v[30:31], v[38:39] neg_lo:[0,1] neg_hi:[0,1]
	v_mov_b32_e32 v37, v32
	v_pk_add_f32 v[30:31], v[36:37], v[30:31] neg_lo:[0,1] neg_hi:[0,1]
	v_mov_b32_e32 v44, v40
	v_pk_add_f32 v[32:33], v[44:45], v[30:31]
	s_mov_b32 s3, 0x33800000
	v_mov_b32_e32 v36, v33
	v_pk_add_f32 v[36:37], v[32:33], v[36:37]
	v_cmp_lt_f32_e64 s[4:5], |v13|, s3
	v_pk_add_f32 v[34:35], v[34:35], v[36:37]
	v_mov_b32_e32 v31, v36
	v_mov_b32_e32 v33, v34
	v_pk_add_f32 v[38:39], v[32:33], v[40:41] neg_lo:[0,1] neg_hi:[0,1]
	s_or_b64 vcc, vcc, s[4:5]
	v_sub_f32_e32 v1, v32, v38
	v_pk_add_f32 v[30:31], v[30:31], v[38:39] neg_lo:[0,1] neg_hi:[0,1]
	v_sub_f32_e32 v1, v40, v1
	v_add_f32_e32 v1, v30, v1
	v_add_f32_e32 v1, v1, v31
	;; [unrolled: 1-line block ×3, first 2 shown]
	v_cndmask_b32_e32 v1, v1, v13, vcc
	v_add_f32_e32 v13, v0, v1
.LBB111_178:
	s_or_b64 exec, exec, s[0:1]
	v_max_f32_e32 v0, v13, v13
	v_min_f32_e32 v1, v0, v47
	v_cmp_u_f32_e32 vcc, v13, v13
	v_max_f32_e32 v0, v0, v47
	s_nop 0
	v_cndmask_b32_e32 v1, v1, v13, vcc
	v_cndmask_b32_e32 v0, v0, v13, vcc
	v_cndmask_b32_e64 v1, v1, v6, s[88:89]
	v_cndmask_b32_e64 v0, v0, v6, s[88:89]
	v_cmp_neq_f32_e32 vcc, v1, v0
	v_cmp_class_f32_e64 s[0:1], v1, s2
	s_or_b64 s[2:3], vcc, s[0:1]
	v_mov_b32_e32 v6, v13
	s_and_saveexec_b64 s[0:1], s[2:3]
	s_cbranch_execz .LBB111_180
; %bb.179:
	v_sub_f32_e32 v1, v1, v0
	s_mov_b32 s2, 0x3fb8aa3b
	v_mul_f32_e32 v6, 0x3fb8aa3b, v1
	v_fma_f32 v27, v1, s2, -v6
	v_rndne_f32_e32 v29, v6
	v_fmamk_f32 v27, v1, 0x32a5705f, v27
	v_sub_f32_e32 v6, v6, v29
	v_add_f32_e32 v6, v6, v27
	v_exp_f32_e32 v6, v6
	v_cvt_i32_f32_e32 v27, v29
	s_mov_b32 s2, 0xc2ce8ed0
	v_cmp_ngt_f32_e32 vcc, s2, v1
	s_mov_b32 s2, 0x42b17218
	v_ldexp_f32 v6, v6, v27
	v_cndmask_b32_e32 v6, 0, v6, vcc
	v_mov_b32_e32 v27, 0x7f800000
	v_cmp_nlt_f32_e32 vcc, s2, v1
	s_mov_b32 s2, 0x3f2aaaab
	s_mov_b32 s3, 0x7f800000
	v_cndmask_b32_e32 v27, v27, v6, vcc
	v_add_f32_e32 v1, 1.0, v27
	v_add_f32_e32 v6, -1.0, v1
	v_sub_f32_e32 v29, v6, v1
	v_add_f32_e32 v29, 1.0, v29
	v_sub_f32_e32 v6, v27, v6
	v_add_f32_e32 v6, v6, v29
	v_frexp_mant_f32_e32 v29, v1
	v_cvt_f64_f32_e32 v[30:31], v1
	v_frexp_exp_i32_f64_e32 v30, v[30:31]
	v_cmp_gt_f32_e32 vcc, s2, v29
	s_mov_b32 s2, 0x3f317218
	s_nop 0
	v_subbrev_co_u32_e32 v29, vcc, 0, v30, vcc
	v_sub_u32_e32 v30, 0, v29
	v_ldexp_f32 v1, v1, v30
	v_ldexp_f32 v6, v6, v30
	v_add_f32_e32 v30, -1.0, v1
	v_add_f32_e32 v31, 1.0, v30
	v_sub_f32_e32 v31, v1, v31
	v_add_f32_e32 v32, v6, v31
	v_add_f32_e32 v31, 1.0, v1
	v_add_f32_e32 v33, -1.0, v31
	v_sub_f32_e32 v1, v1, v33
	v_add_f32_e32 v1, v6, v1
	v_add_f32_e32 v6, v31, v1
	v_rcp_f32_e32 v38, v6
	v_sub_f32_e32 v31, v31, v6
	v_add_f32_e32 v1, v1, v31
	v_add_f32_e32 v31, v30, v32
	v_sub_f32_e32 v30, v30, v31
	v_mul_f32_e32 v40, v31, v38
	v_add_f32_e32 v39, v32, v30
	v_mul_f32_e32 v32, v6, v40
	v_fma_f32 v34, v40, v6, -v32
	v_fmac_f32_e32 v34, v40, v1
	v_add_f32_e32 v30, v32, v34
	v_sub_f32_e32 v33, v31, v30
	v_pk_add_f32 v[36:37], v[30:31], v[32:33] neg_lo:[0,1] neg_hi:[0,1]
	v_mov_b32_e32 v35, v30
	v_pk_add_f32 v[30:31], v[36:37], v[34:35] neg_lo:[0,1] neg_hi:[0,1]
	v_cmp_eq_f32_e32 vcc, s3, v27
	v_add_f32_e32 v31, v39, v31
	v_add_f32_e32 v30, v30, v31
	;; [unrolled: 1-line block ×3, first 2 shown]
	v_mul_f32_e32 v39, v38, v31
	v_mul_f32_e32 v32, v6, v39
	v_fma_f32 v34, v39, v6, -v32
	v_fmac_f32_e32 v34, v39, v1
	v_sub_f32_e32 v1, v33, v31
	v_add_f32_e32 v1, v30, v1
	v_add_f32_e32 v30, v32, v34
	v_sub_f32_e32 v33, v31, v30
	v_pk_add_f32 v[36:37], v[30:31], v[32:33] neg_lo:[0,1] neg_hi:[0,1]
	v_mov_b32_e32 v35, v30
	v_pk_add_f32 v[30:31], v[36:37], v[34:35] neg_lo:[0,1] neg_hi:[0,1]
	v_add_f32_e32 v6, v40, v39
	v_add_f32_e32 v1, v1, v31
	;; [unrolled: 1-line block ×4, first 2 shown]
	v_sub_f32_e32 v30, v6, v40
	v_mul_f32_e32 v1, v38, v1
	v_sub_f32_e32 v30, v39, v30
	v_add_f32_e32 v1, v30, v1
	v_add_f32_e32 v30, v6, v1
	v_cvt_f32_i32_e32 v32, v29
	v_mul_f32_e32 v33, v30, v30
	v_mov_b32_e32 v31, 0x3ecc95a3
	v_fmac_f32_e32 v31, 0x3e9b6dac, v33
	v_fmaak_f32 v31, v33, v31, 0x3f2aaada
	v_sub_f32_e32 v6, v30, v6
	v_ldexp_f32 v35, v30, 1
	v_mul_f32_e32 v33, v30, v33
	v_mov_b32_e32 v30, 0x3f317218
	v_pk_mul_f32 v[30:31], v[32:33], v[30:31]
	v_sub_f32_e32 v1, v1, v6
	v_fma_f32 v6, v32, s2, -v30
	v_fmamk_f32 v34, v32, 0xb102e308, v6
	v_pk_add_f32 v[32:33], v[30:31], v[34:35]
	v_ldexp_f32 v1, v1, 1
	v_sub_f32_e32 v6, v33, v35
	v_sub_f32_e32 v6, v31, v6
	v_add_f32_e32 v37, v1, v6
	v_mov_b32_e32 v36, v30
	v_pk_add_f32 v[30:31], v[32:33], v[30:31] neg_lo:[0,1] neg_hi:[0,1]
	v_pk_add_f32 v[38:39], v[32:33], v[36:37]
	v_mov_b32_e32 v35, v32
	v_mov_b32_e32 v31, v39
	v_pk_add_f32 v[40:41], v[34:35], v[30:31] neg_lo:[0,1] neg_hi:[0,1]
	v_pk_add_f32 v[30:31], v[34:35], v[30:31]
	s_mov_b32 s2, 0x33800000
	v_mov_b32_e32 v6, v31
	v_pk_add_f32 v[34:35], v[6:7], v[32:33] neg_lo:[0,1] neg_hi:[0,1]
	v_mov_b32_e32 v30, v39
	v_mov_b32_e32 v1, v34
	v_pk_add_f32 v[42:43], v[38:39], v[0:1] neg_lo:[0,1] neg_hi:[0,1]
	v_mov_b32_e32 v38, v33
	v_mov_b32_e32 v39, v34
	;; [unrolled: 1-line block ×3, first 2 shown]
	v_pk_add_f32 v[30:31], v[30:31], v[38:39] neg_lo:[0,1] neg_hi:[0,1]
	v_mov_b32_e32 v34, v37
	v_mov_b32_e32 v35, v32
	v_pk_add_f32 v[30:31], v[34:35], v[30:31] neg_lo:[0,1] neg_hi:[0,1]
	v_mov_b32_e32 v42, v40
	v_pk_add_f32 v[32:33], v[42:43], v[30:31]
	v_cmp_lt_f32_e64 s[2:3], |v27|, s2
	v_mov_b32_e32 v34, v33
	v_pk_add_f32 v[34:35], v[32:33], v[34:35]
	s_or_b64 vcc, vcc, s[2:3]
	v_pk_add_f32 v[36:37], v[6:7], v[34:35]
	v_mov_b32_e32 v31, v34
	v_mov_b32_e32 v33, v36
	v_pk_add_f32 v[38:39], v[32:33], v[40:41] neg_lo:[0,1] neg_hi:[0,1]
	s_nop 0
	v_sub_f32_e32 v1, v32, v38
	v_pk_add_f32 v[30:31], v[30:31], v[38:39] neg_lo:[0,1] neg_hi:[0,1]
	v_sub_f32_e32 v1, v40, v1
	v_add_f32_e32 v1, v30, v1
	v_add_f32_e32 v1, v1, v31
	;; [unrolled: 1-line block ×3, first 2 shown]
	v_cndmask_b32_e32 v1, v1, v27, vcc
	v_add_f32_e32 v6, v0, v1
.LBB111_180:
	s_or_b64 exec, exec, s[0:1]
	v_max_f32_e32 v0, v6, v6
	v_min_f32_e32 v1, v0, v48
	v_cmp_u_f32_e32 vcc, v6, v6
	v_max_f32_e32 v0, v0, v48
	s_movk_i32 s2, 0x1f8
	v_cndmask_b32_e32 v1, v1, v6, vcc
	v_cndmask_b32_e32 v0, v0, v6, vcc
	v_cndmask_b32_e64 v1, v1, v7, s[90:91]
	v_cndmask_b32_e64 v0, v0, v7, s[90:91]
	v_cmp_neq_f32_e32 vcc, v1, v0
	v_cmp_class_f32_e64 s[0:1], v1, s2
	s_or_b64 s[4:5], vcc, s[0:1]
	v_mov_b32_e32 v7, v6
	s_and_saveexec_b64 s[0:1], s[4:5]
	s_cbranch_execz .LBB111_182
; %bb.181:
	v_sub_f32_e32 v1, v1, v0
	s_mov_b32 s3, 0x3fb8aa3b
	v_mul_f32_e32 v7, 0x3fb8aa3b, v1
	v_fma_f32 v27, v1, s3, -v7
	v_rndne_f32_e32 v29, v7
	v_fmamk_f32 v27, v1, 0x32a5705f, v27
	v_sub_f32_e32 v7, v7, v29
	v_add_f32_e32 v7, v7, v27
	v_exp_f32_e32 v7, v7
	v_cvt_i32_f32_e32 v27, v29
	s_mov_b32 s3, 0xc2ce8ed0
	v_cmp_ngt_f32_e32 vcc, s3, v1
	s_mov_b32 s3, 0x42b17218
	v_ldexp_f32 v7, v7, v27
	v_cndmask_b32_e32 v7, 0, v7, vcc
	v_mov_b32_e32 v27, 0x7f800000
	v_cmp_nlt_f32_e32 vcc, s3, v1
	s_mov_b32 s3, 0x3f2aaaab
	s_mov_b32 s4, 0x7f800000
	v_cndmask_b32_e32 v7, v27, v7, vcc
	v_add_f32_e32 v1, 1.0, v7
	v_add_f32_e32 v27, -1.0, v1
	v_sub_f32_e32 v29, v27, v1
	v_add_f32_e32 v29, 1.0, v29
	v_sub_f32_e32 v27, v7, v27
	v_add_f32_e32 v27, v27, v29
	v_frexp_mant_f32_e32 v29, v1
	v_cvt_f64_f32_e32 v[30:31], v1
	v_frexp_exp_i32_f64_e32 v30, v[30:31]
	v_cmp_gt_f32_e32 vcc, s3, v29
	s_mov_b32 s3, 0x3f317218
	s_nop 0
	v_subbrev_co_u32_e32 v29, vcc, 0, v30, vcc
	v_sub_u32_e32 v30, 0, v29
	v_ldexp_f32 v1, v1, v30
	v_ldexp_f32 v27, v27, v30
	v_add_f32_e32 v30, -1.0, v1
	v_add_f32_e32 v31, 1.0, v30
	v_sub_f32_e32 v31, v1, v31
	v_add_f32_e32 v32, v27, v31
	v_add_f32_e32 v31, 1.0, v1
	v_add_f32_e32 v33, -1.0, v31
	v_sub_f32_e32 v1, v1, v33
	v_add_f32_e32 v1, v27, v1
	v_add_f32_e32 v27, v31, v1
	v_rcp_f32_e32 v38, v27
	v_sub_f32_e32 v31, v31, v27
	v_add_f32_e32 v1, v1, v31
	v_add_f32_e32 v31, v30, v32
	v_sub_f32_e32 v30, v30, v31
	v_mul_f32_e32 v40, v31, v38
	v_add_f32_e32 v39, v32, v30
	v_mul_f32_e32 v32, v27, v40
	v_fma_f32 v34, v40, v27, -v32
	v_fmac_f32_e32 v34, v40, v1
	v_add_f32_e32 v30, v32, v34
	v_sub_f32_e32 v33, v31, v30
	v_pk_add_f32 v[36:37], v[30:31], v[32:33] neg_lo:[0,1] neg_hi:[0,1]
	v_mov_b32_e32 v35, v30
	v_pk_add_f32 v[30:31], v[36:37], v[34:35] neg_lo:[0,1] neg_hi:[0,1]
	v_cmp_eq_f32_e32 vcc, s4, v7
	v_add_f32_e32 v31, v39, v31
	v_add_f32_e32 v30, v30, v31
	;; [unrolled: 1-line block ×3, first 2 shown]
	v_mul_f32_e32 v39, v38, v31
	v_mul_f32_e32 v32, v27, v39
	v_fma_f32 v34, v39, v27, -v32
	v_fmac_f32_e32 v34, v39, v1
	v_sub_f32_e32 v1, v33, v31
	v_add_f32_e32 v1, v30, v1
	v_add_f32_e32 v30, v32, v34
	v_sub_f32_e32 v33, v31, v30
	v_pk_add_f32 v[36:37], v[30:31], v[32:33] neg_lo:[0,1] neg_hi:[0,1]
	v_mov_b32_e32 v35, v30
	v_pk_add_f32 v[30:31], v[36:37], v[34:35] neg_lo:[0,1] neg_hi:[0,1]
	v_add_f32_e32 v27, v40, v39
	v_add_f32_e32 v1, v1, v31
	;; [unrolled: 1-line block ×4, first 2 shown]
	v_sub_f32_e32 v30, v27, v40
	v_mul_f32_e32 v1, v38, v1
	v_sub_f32_e32 v30, v39, v30
	v_add_f32_e32 v1, v30, v1
	v_add_f32_e32 v30, v27, v1
	v_cvt_f32_i32_e32 v32, v29
	v_mul_f32_e32 v33, v30, v30
	v_mov_b32_e32 v31, 0x3ecc95a3
	v_fmac_f32_e32 v31, 0x3e9b6dac, v33
	v_fmaak_f32 v31, v33, v31, 0x3f2aaada
	v_sub_f32_e32 v27, v30, v27
	v_ldexp_f32 v35, v30, 1
	v_mul_f32_e32 v33, v30, v33
	v_mov_b32_e32 v30, 0x3f317218
	v_pk_mul_f32 v[30:31], v[32:33], v[30:31]
	v_sub_f32_e32 v1, v1, v27
	v_fma_f32 v27, v32, s3, -v30
	v_fmamk_f32 v34, v32, 0xb102e308, v27
	v_pk_add_f32 v[32:33], v[30:31], v[34:35]
	v_ldexp_f32 v1, v1, 1
	v_sub_f32_e32 v27, v33, v35
	v_sub_f32_e32 v27, v31, v27
	v_add_f32_e32 v37, v1, v27
	v_mov_b32_e32 v36, v30
	v_pk_add_f32 v[30:31], v[32:33], v[30:31] neg_lo:[0,1] neg_hi:[0,1]
	v_pk_add_f32 v[38:39], v[32:33], v[36:37]
	v_mov_b32_e32 v35, v32
	v_mov_b32_e32 v31, v39
	v_pk_add_f32 v[40:41], v[34:35], v[30:31] neg_lo:[0,1] neg_hi:[0,1]
	v_pk_add_f32 v[30:31], v[34:35], v[30:31]
	v_mov_b32_e32 v36, v37
	v_mov_b32_e32 v34, v31
	v_pk_add_f32 v[42:43], v[34:35], v[32:33] neg_lo:[0,1] neg_hi:[0,1]
	v_mov_b32_e32 v30, v39
	v_mov_b32_e32 v1, v42
	v_pk_add_f32 v[44:45], v[38:39], v[0:1] neg_lo:[0,1] neg_hi:[0,1]
	v_mov_b32_e32 v38, v33
	v_mov_b32_e32 v39, v42
	;; [unrolled: 1-line block ×3, first 2 shown]
	v_pk_add_f32 v[30:31], v[30:31], v[38:39] neg_lo:[0,1] neg_hi:[0,1]
	v_mov_b32_e32 v37, v32
	v_pk_add_f32 v[30:31], v[36:37], v[30:31] neg_lo:[0,1] neg_hi:[0,1]
	v_mov_b32_e32 v44, v40
	v_pk_add_f32 v[32:33], v[44:45], v[30:31]
	s_mov_b32 s3, 0x33800000
	v_mov_b32_e32 v36, v33
	v_pk_add_f32 v[36:37], v[32:33], v[36:37]
	v_cmp_lt_f32_e64 s[4:5], |v7|, s3
	v_pk_add_f32 v[34:35], v[34:35], v[36:37]
	v_mov_b32_e32 v31, v36
	v_mov_b32_e32 v33, v34
	v_pk_add_f32 v[38:39], v[32:33], v[40:41] neg_lo:[0,1] neg_hi:[0,1]
	s_or_b64 vcc, vcc, s[4:5]
	v_sub_f32_e32 v1, v32, v38
	v_pk_add_f32 v[30:31], v[30:31], v[38:39] neg_lo:[0,1] neg_hi:[0,1]
	v_sub_f32_e32 v1, v40, v1
	v_add_f32_e32 v1, v30, v1
	v_add_f32_e32 v1, v1, v31
	;; [unrolled: 1-line block ×3, first 2 shown]
	v_cndmask_b32_e32 v1, v1, v7, vcc
	v_add_f32_e32 v7, v0, v1
.LBB111_182:
	s_or_b64 exec, exec, s[0:1]
	v_max_f32_e32 v0, v7, v7
	v_min_f32_e32 v1, v0, v49
	v_cmp_u_f32_e32 vcc, v7, v7
	v_max_f32_e32 v0, v0, v49
	s_nop 0
	v_cndmask_b32_e32 v1, v1, v7, vcc
	v_cndmask_b32_e32 v0, v0, v7, vcc
	v_cndmask_b32_e64 v1, v1, v8, s[92:93]
	v_cndmask_b32_e64 v0, v0, v8, s[92:93]
	v_cmp_neq_f32_e32 vcc, v1, v0
	v_cmp_class_f32_e64 s[0:1], v1, s2
	s_or_b64 s[2:3], vcc, s[0:1]
	v_mov_b32_e32 v8, v7
	s_and_saveexec_b64 s[0:1], s[2:3]
	s_cbranch_execz .LBB111_184
; %bb.183:
	v_sub_f32_e32 v1, v1, v0
	s_mov_b32 s2, 0x3fb8aa3b
	v_mul_f32_e32 v8, 0x3fb8aa3b, v1
	v_fma_f32 v27, v1, s2, -v8
	v_rndne_f32_e32 v29, v8
	v_fmamk_f32 v27, v1, 0x32a5705f, v27
	v_sub_f32_e32 v8, v8, v29
	v_add_f32_e32 v8, v8, v27
	v_exp_f32_e32 v8, v8
	v_cvt_i32_f32_e32 v27, v29
	s_mov_b32 s2, 0xc2ce8ed0
	v_cmp_ngt_f32_e32 vcc, s2, v1
	s_mov_b32 s2, 0x42b17218
	v_ldexp_f32 v8, v8, v27
	v_cndmask_b32_e32 v8, 0, v8, vcc
	v_mov_b32_e32 v27, 0x7f800000
	v_cmp_nlt_f32_e32 vcc, s2, v1
	s_mov_b32 s2, 0x3f2aaaab
	s_mov_b32 s3, 0x7f800000
	v_cndmask_b32_e32 v27, v27, v8, vcc
	v_add_f32_e32 v1, 1.0, v27
	v_add_f32_e32 v8, -1.0, v1
	v_sub_f32_e32 v29, v8, v1
	v_add_f32_e32 v29, 1.0, v29
	v_sub_f32_e32 v8, v27, v8
	v_add_f32_e32 v8, v8, v29
	v_frexp_mant_f32_e32 v29, v1
	v_cvt_f64_f32_e32 v[30:31], v1
	v_frexp_exp_i32_f64_e32 v30, v[30:31]
	v_cmp_gt_f32_e32 vcc, s2, v29
	s_mov_b32 s2, 0x3f317218
	s_nop 0
	v_subbrev_co_u32_e32 v29, vcc, 0, v30, vcc
	v_sub_u32_e32 v30, 0, v29
	v_ldexp_f32 v1, v1, v30
	v_ldexp_f32 v8, v8, v30
	v_add_f32_e32 v30, -1.0, v1
	v_add_f32_e32 v31, 1.0, v30
	v_sub_f32_e32 v31, v1, v31
	v_add_f32_e32 v32, v8, v31
	v_add_f32_e32 v31, 1.0, v1
	v_add_f32_e32 v33, -1.0, v31
	v_sub_f32_e32 v1, v1, v33
	v_add_f32_e32 v1, v8, v1
	v_add_f32_e32 v8, v31, v1
	v_rcp_f32_e32 v38, v8
	v_sub_f32_e32 v31, v31, v8
	v_add_f32_e32 v1, v1, v31
	v_add_f32_e32 v31, v30, v32
	v_sub_f32_e32 v30, v30, v31
	v_mul_f32_e32 v40, v31, v38
	v_add_f32_e32 v39, v32, v30
	v_mul_f32_e32 v32, v8, v40
	v_fma_f32 v34, v40, v8, -v32
	v_fmac_f32_e32 v34, v40, v1
	v_add_f32_e32 v30, v32, v34
	v_sub_f32_e32 v33, v31, v30
	v_pk_add_f32 v[36:37], v[30:31], v[32:33] neg_lo:[0,1] neg_hi:[0,1]
	v_mov_b32_e32 v35, v30
	v_pk_add_f32 v[30:31], v[36:37], v[34:35] neg_lo:[0,1] neg_hi:[0,1]
	v_cmp_eq_f32_e32 vcc, s3, v27
	v_add_f32_e32 v31, v39, v31
	v_add_f32_e32 v30, v30, v31
	;; [unrolled: 1-line block ×3, first 2 shown]
	v_mul_f32_e32 v39, v38, v31
	v_mul_f32_e32 v32, v8, v39
	v_fma_f32 v34, v39, v8, -v32
	v_fmac_f32_e32 v34, v39, v1
	v_sub_f32_e32 v1, v33, v31
	v_add_f32_e32 v1, v30, v1
	v_add_f32_e32 v30, v32, v34
	v_sub_f32_e32 v33, v31, v30
	v_pk_add_f32 v[36:37], v[30:31], v[32:33] neg_lo:[0,1] neg_hi:[0,1]
	v_mov_b32_e32 v35, v30
	v_pk_add_f32 v[30:31], v[36:37], v[34:35] neg_lo:[0,1] neg_hi:[0,1]
	v_add_f32_e32 v8, v40, v39
	v_add_f32_e32 v1, v1, v31
	;; [unrolled: 1-line block ×4, first 2 shown]
	v_sub_f32_e32 v30, v8, v40
	v_mul_f32_e32 v1, v38, v1
	v_sub_f32_e32 v30, v39, v30
	v_add_f32_e32 v1, v30, v1
	v_add_f32_e32 v30, v8, v1
	v_cvt_f32_i32_e32 v32, v29
	v_mul_f32_e32 v33, v30, v30
	v_mov_b32_e32 v31, 0x3ecc95a3
	v_fmac_f32_e32 v31, 0x3e9b6dac, v33
	v_fmaak_f32 v31, v33, v31, 0x3f2aaada
	v_sub_f32_e32 v8, v30, v8
	v_ldexp_f32 v35, v30, 1
	v_mul_f32_e32 v33, v30, v33
	v_mov_b32_e32 v30, 0x3f317218
	v_pk_mul_f32 v[30:31], v[32:33], v[30:31]
	v_sub_f32_e32 v1, v1, v8
	v_fma_f32 v8, v32, s2, -v30
	v_fmamk_f32 v34, v32, 0xb102e308, v8
	v_pk_add_f32 v[32:33], v[30:31], v[34:35]
	v_ldexp_f32 v1, v1, 1
	v_sub_f32_e32 v8, v33, v35
	v_sub_f32_e32 v8, v31, v8
	v_add_f32_e32 v37, v1, v8
	v_mov_b32_e32 v36, v30
	v_pk_add_f32 v[30:31], v[32:33], v[30:31] neg_lo:[0,1] neg_hi:[0,1]
	v_pk_add_f32 v[38:39], v[32:33], v[36:37]
	v_mov_b32_e32 v35, v32
	v_mov_b32_e32 v31, v39
	v_pk_add_f32 v[40:41], v[34:35], v[30:31] neg_lo:[0,1] neg_hi:[0,1]
	v_pk_add_f32 v[30:31], v[34:35], v[30:31]
	s_mov_b32 s2, 0x33800000
	v_mov_b32_e32 v8, v31
	v_pk_add_f32 v[34:35], v[8:9], v[32:33] neg_lo:[0,1] neg_hi:[0,1]
	v_mov_b32_e32 v30, v39
	v_mov_b32_e32 v1, v34
	v_pk_add_f32 v[42:43], v[38:39], v[0:1] neg_lo:[0,1] neg_hi:[0,1]
	v_mov_b32_e32 v38, v33
	v_mov_b32_e32 v39, v34
	;; [unrolled: 1-line block ×3, first 2 shown]
	v_pk_add_f32 v[30:31], v[30:31], v[38:39] neg_lo:[0,1] neg_hi:[0,1]
	v_mov_b32_e32 v34, v37
	v_mov_b32_e32 v35, v32
	v_pk_add_f32 v[30:31], v[34:35], v[30:31] neg_lo:[0,1] neg_hi:[0,1]
	v_mov_b32_e32 v42, v40
	v_pk_add_f32 v[32:33], v[42:43], v[30:31]
	v_cmp_lt_f32_e64 s[2:3], |v27|, s2
	v_mov_b32_e32 v34, v33
	v_pk_add_f32 v[34:35], v[32:33], v[34:35]
	s_or_b64 vcc, vcc, s[2:3]
	v_pk_add_f32 v[36:37], v[8:9], v[34:35]
	v_mov_b32_e32 v31, v34
	v_mov_b32_e32 v33, v36
	v_pk_add_f32 v[38:39], v[32:33], v[40:41] neg_lo:[0,1] neg_hi:[0,1]
	s_nop 0
	v_sub_f32_e32 v1, v32, v38
	v_pk_add_f32 v[30:31], v[30:31], v[38:39] neg_lo:[0,1] neg_hi:[0,1]
	v_sub_f32_e32 v1, v40, v1
	v_add_f32_e32 v1, v30, v1
	v_add_f32_e32 v1, v1, v31
	;; [unrolled: 1-line block ×3, first 2 shown]
	v_cndmask_b32_e32 v1, v1, v27, vcc
	v_add_f32_e32 v8, v0, v1
.LBB111_184:
	s_or_b64 exec, exec, s[0:1]
	v_max_f32_e32 v0, v8, v8
	v_min_f32_e32 v1, v0, v50
	v_cmp_u_f32_e32 vcc, v8, v8
	v_max_f32_e32 v0, v0, v50
	s_movk_i32 s0, 0x1f8
	v_cndmask_b32_e32 v1, v1, v8, vcc
	v_cndmask_b32_e32 v0, v0, v8, vcc
	v_cndmask_b32_e64 v1, v1, v9, s[94:95]
	v_cndmask_b32_e64 v0, v0, v9, s[94:95]
	v_cmp_neq_f32_e32 vcc, v1, v0
	v_cmp_class_f32_e64 s[0:1], v1, s0
	s_or_b64 s[2:3], vcc, s[0:1]
	v_mov_b32_e32 v9, v8
	s_and_saveexec_b64 s[0:1], s[2:3]
	s_cbranch_execz .LBB111_186
; %bb.185:
	v_sub_f32_e32 v1, v1, v0
	s_mov_b32 s2, 0x3fb8aa3b
	v_mul_f32_e32 v9, 0x3fb8aa3b, v1
	v_fma_f32 v27, v1, s2, -v9
	v_rndne_f32_e32 v29, v9
	v_fmamk_f32 v27, v1, 0x32a5705f, v27
	v_sub_f32_e32 v9, v9, v29
	v_add_f32_e32 v9, v9, v27
	v_exp_f32_e32 v9, v9
	v_cvt_i32_f32_e32 v27, v29
	s_mov_b32 s2, 0xc2ce8ed0
	v_cmp_ngt_f32_e32 vcc, s2, v1
	s_mov_b32 s2, 0x42b17218
	v_ldexp_f32 v9, v9, v27
	v_cndmask_b32_e32 v9, 0, v9, vcc
	v_mov_b32_e32 v27, 0x7f800000
	v_cmp_nlt_f32_e32 vcc, s2, v1
	s_mov_b32 s2, 0x3f2aaaab
	s_mov_b32 s3, 0x7f800000
	v_cndmask_b32_e32 v9, v27, v9, vcc
	v_add_f32_e32 v1, 1.0, v9
	v_add_f32_e32 v27, -1.0, v1
	v_sub_f32_e32 v29, v27, v1
	v_add_f32_e32 v29, 1.0, v29
	v_sub_f32_e32 v27, v9, v27
	v_add_f32_e32 v27, v27, v29
	v_frexp_mant_f32_e32 v29, v1
	v_cvt_f64_f32_e32 v[30:31], v1
	v_frexp_exp_i32_f64_e32 v30, v[30:31]
	v_cmp_gt_f32_e32 vcc, s2, v29
	s_mov_b32 s2, 0x3f317218
	s_nop 0
	v_subbrev_co_u32_e32 v29, vcc, 0, v30, vcc
	v_sub_u32_e32 v30, 0, v29
	v_ldexp_f32 v1, v1, v30
	v_ldexp_f32 v27, v27, v30
	v_add_f32_e32 v30, -1.0, v1
	v_add_f32_e32 v31, 1.0, v30
	v_sub_f32_e32 v31, v1, v31
	v_add_f32_e32 v32, v27, v31
	v_add_f32_e32 v31, 1.0, v1
	v_add_f32_e32 v33, -1.0, v31
	v_sub_f32_e32 v1, v1, v33
	v_add_f32_e32 v1, v27, v1
	v_add_f32_e32 v27, v31, v1
	v_rcp_f32_e32 v38, v27
	v_sub_f32_e32 v31, v31, v27
	v_add_f32_e32 v1, v1, v31
	v_add_f32_e32 v31, v30, v32
	v_sub_f32_e32 v30, v30, v31
	v_mul_f32_e32 v40, v31, v38
	v_add_f32_e32 v39, v32, v30
	v_mul_f32_e32 v32, v27, v40
	v_fma_f32 v34, v40, v27, -v32
	v_fmac_f32_e32 v34, v40, v1
	v_add_f32_e32 v30, v32, v34
	v_sub_f32_e32 v33, v31, v30
	v_pk_add_f32 v[36:37], v[30:31], v[32:33] neg_lo:[0,1] neg_hi:[0,1]
	v_mov_b32_e32 v35, v30
	v_pk_add_f32 v[30:31], v[36:37], v[34:35] neg_lo:[0,1] neg_hi:[0,1]
	v_cmp_eq_f32_e32 vcc, s3, v9
	v_add_f32_e32 v31, v39, v31
	v_add_f32_e32 v30, v30, v31
	;; [unrolled: 1-line block ×3, first 2 shown]
	v_mul_f32_e32 v39, v38, v31
	v_mul_f32_e32 v32, v27, v39
	v_fma_f32 v34, v39, v27, -v32
	v_fmac_f32_e32 v34, v39, v1
	v_sub_f32_e32 v1, v33, v31
	v_add_f32_e32 v1, v30, v1
	v_add_f32_e32 v30, v32, v34
	v_sub_f32_e32 v33, v31, v30
	v_pk_add_f32 v[36:37], v[30:31], v[32:33] neg_lo:[0,1] neg_hi:[0,1]
	v_mov_b32_e32 v35, v30
	v_pk_add_f32 v[30:31], v[36:37], v[34:35] neg_lo:[0,1] neg_hi:[0,1]
	v_add_f32_e32 v27, v40, v39
	v_add_f32_e32 v1, v1, v31
	;; [unrolled: 1-line block ×4, first 2 shown]
	v_sub_f32_e32 v30, v27, v40
	v_mul_f32_e32 v1, v38, v1
	v_sub_f32_e32 v30, v39, v30
	v_add_f32_e32 v1, v30, v1
	v_add_f32_e32 v30, v27, v1
	v_cvt_f32_i32_e32 v32, v29
	v_mul_f32_e32 v33, v30, v30
	v_mov_b32_e32 v31, 0x3ecc95a3
	v_fmac_f32_e32 v31, 0x3e9b6dac, v33
	v_fmaak_f32 v31, v33, v31, 0x3f2aaada
	v_sub_f32_e32 v27, v30, v27
	v_ldexp_f32 v35, v30, 1
	v_mul_f32_e32 v33, v30, v33
	v_mov_b32_e32 v30, 0x3f317218
	v_pk_mul_f32 v[30:31], v[32:33], v[30:31]
	v_sub_f32_e32 v1, v1, v27
	v_fma_f32 v27, v32, s2, -v30
	v_fmamk_f32 v34, v32, 0xb102e308, v27
	v_pk_add_f32 v[32:33], v[30:31], v[34:35]
	v_ldexp_f32 v1, v1, 1
	v_sub_f32_e32 v27, v33, v35
	v_sub_f32_e32 v27, v31, v27
	v_add_f32_e32 v37, v1, v27
	v_mov_b32_e32 v36, v30
	v_pk_add_f32 v[30:31], v[32:33], v[30:31] neg_lo:[0,1] neg_hi:[0,1]
	v_pk_add_f32 v[38:39], v[32:33], v[36:37]
	v_mov_b32_e32 v35, v32
	v_mov_b32_e32 v31, v39
	v_pk_add_f32 v[40:41], v[34:35], v[30:31] neg_lo:[0,1] neg_hi:[0,1]
	v_pk_add_f32 v[30:31], v[34:35], v[30:31]
	v_mov_b32_e32 v36, v37
	v_mov_b32_e32 v34, v31
	v_pk_add_f32 v[42:43], v[34:35], v[32:33] neg_lo:[0,1] neg_hi:[0,1]
	v_mov_b32_e32 v30, v39
	v_mov_b32_e32 v1, v42
	v_pk_add_f32 v[44:45], v[38:39], v[0:1] neg_lo:[0,1] neg_hi:[0,1]
	v_mov_b32_e32 v38, v33
	v_mov_b32_e32 v39, v42
	;; [unrolled: 1-line block ×3, first 2 shown]
	v_pk_add_f32 v[30:31], v[30:31], v[38:39] neg_lo:[0,1] neg_hi:[0,1]
	v_mov_b32_e32 v37, v32
	v_pk_add_f32 v[30:31], v[36:37], v[30:31] neg_lo:[0,1] neg_hi:[0,1]
	v_mov_b32_e32 v44, v40
	v_pk_add_f32 v[32:33], v[44:45], v[30:31]
	s_mov_b32 s2, 0x33800000
	v_mov_b32_e32 v36, v33
	v_pk_add_f32 v[36:37], v[32:33], v[36:37]
	v_cmp_lt_f32_e64 s[2:3], |v9|, s2
	v_pk_add_f32 v[34:35], v[34:35], v[36:37]
	v_mov_b32_e32 v31, v36
	v_mov_b32_e32 v33, v34
	v_pk_add_f32 v[38:39], v[32:33], v[40:41] neg_lo:[0,1] neg_hi:[0,1]
	s_or_b64 vcc, vcc, s[2:3]
	v_sub_f32_e32 v1, v32, v38
	v_pk_add_f32 v[30:31], v[30:31], v[38:39] neg_lo:[0,1] neg_hi:[0,1]
	v_sub_f32_e32 v1, v40, v1
	v_add_f32_e32 v1, v30, v1
	v_add_f32_e32 v1, v1, v31
	;; [unrolled: 1-line block ×3, first 2 shown]
	v_cndmask_b32_e32 v1, v1, v9, vcc
	v_add_f32_e32 v9, v0, v1
.LBB111_186:
	s_or_b64 exec, exec, s[0:1]
	v_add_u32_e32 v0, v26, v28
	s_waitcnt lgkmcnt(0)
	s_barrier
	ds_write_b128 v0, v[2:5]
	ds_write_b128 v0, v[22:25] offset:16
	ds_write_b128 v0, v[18:21] offset:32
	;; [unrolled: 1-line block ×5, first 2 shown]
	s_waitcnt lgkmcnt(0)
	s_barrier
	ds_read2st64_b32 v[22:23], v26 offset0:4 offset1:8
	ds_read2st64_b32 v[20:21], v26 offset0:12 offset1:16
	;; [unrolled: 1-line block ×11, first 2 shown]
	ds_read_b32 v24, v26 offset:23552
	v_mov_b32_e32 v27, 0
	v_lshl_add_u64 v[0:1], s[48:49], 0, v[26:27]
	s_mov_b64 s[0:1], exec
	v_readlane_b32 s2, v77, 0
	v_readlane_b32 s3, v77, 1
	s_and_b64 s[2:3], s[0:1], s[2:3]
	s_mov_b64 exec, s[2:3]
	s_cbranch_execz .LBB111_188
; %bb.187:
	ds_read_b32 v25, v26
	s_waitcnt lgkmcnt(0)
	global_store_dword v[0:1], v25, off
.LBB111_188:
	s_or_b64 exec, exec, s[0:1]
	s_mov_b64 s[0:1], exec
	v_readlane_b32 s2, v77, 2
	v_readlane_b32 s3, v77, 3
	s_and_b64 s[2:3], s[0:1], s[2:3]
	s_mov_b64 exec, s[2:3]
	s_cbranch_execz .LBB111_190
; %bb.189:
	s_waitcnt lgkmcnt(11)
	global_store_dword v[0:1], v22, off offset:1024
.LBB111_190:
	s_or_b64 exec, exec, s[0:1]
	s_mov_b64 s[0:1], exec
	v_readlane_b32 s2, v77, 4
	v_readlane_b32 s3, v77, 5
	s_and_b64 s[2:3], s[0:1], s[2:3]
	s_mov_b64 exec, s[2:3]
	s_cbranch_execz .LBB111_192
; %bb.191:
	s_waitcnt lgkmcnt(11)
	global_store_dword v[0:1], v23, off offset:2048
.LBB111_192:
	;; [unrolled: 11-line block ×3, first 2 shown]
	s_or_b64 exec, exec, s[0:1]
	s_mov_b64 s[0:1], exec
	v_readlane_b32 s2, v77, 8
	v_readlane_b32 s3, v77, 9
	s_and_b64 s[2:3], s[0:1], s[2:3]
	s_mov_b64 exec, s[2:3]
	s_cbranch_execnz .LBB111_215
; %bb.195:
	s_or_b64 exec, exec, s[0:1]
	s_and_saveexec_b64 s[0:1], s[8:9]
	s_cbranch_execnz .LBB111_216
.LBB111_196:
	s_or_b64 exec, exec, s[0:1]
	s_and_saveexec_b64 s[0:1], s[10:11]
	s_cbranch_execnz .LBB111_217
.LBB111_197:
	s_or_b64 exec, exec, s[0:1]
	s_and_saveexec_b64 s[0:1], s[12:13]
	s_cbranch_execnz .LBB111_218
.LBB111_198:
	s_or_b64 exec, exec, s[0:1]
	s_and_saveexec_b64 s[0:1], s[14:15]
	s_cbranch_execnz .LBB111_219
.LBB111_199:
	s_or_b64 exec, exec, s[0:1]
	s_and_saveexec_b64 s[0:1], s[16:17]
	s_cbranch_execnz .LBB111_220
.LBB111_200:
	s_or_b64 exec, exec, s[0:1]
	s_and_saveexec_b64 s[0:1], s[18:19]
	s_cbranch_execnz .LBB111_221
.LBB111_201:
	s_or_b64 exec, exec, s[0:1]
	s_and_saveexec_b64 s[0:1], s[20:21]
	s_cbranch_execnz .LBB111_222
.LBB111_202:
	s_or_b64 exec, exec, s[0:1]
	s_and_saveexec_b64 s[0:1], s[22:23]
	s_cbranch_execnz .LBB111_223
.LBB111_203:
	s_or_b64 exec, exec, s[0:1]
	s_and_saveexec_b64 s[0:1], s[24:25]
	s_cbranch_execnz .LBB111_224
.LBB111_204:
	s_or_b64 exec, exec, s[0:1]
	s_and_saveexec_b64 s[0:1], s[26:27]
	s_cbranch_execnz .LBB111_225
.LBB111_205:
	s_or_b64 exec, exec, s[0:1]
	s_and_saveexec_b64 s[0:1], s[28:29]
	s_cbranch_execnz .LBB111_226
.LBB111_206:
	s_or_b64 exec, exec, s[0:1]
	s_and_saveexec_b64 s[0:1], s[30:31]
	s_cbranch_execnz .LBB111_227
.LBB111_207:
	s_or_b64 exec, exec, s[0:1]
	s_and_saveexec_b64 s[0:1], s[34:35]
	s_cbranch_execnz .LBB111_228
.LBB111_208:
	s_or_b64 exec, exec, s[0:1]
	s_and_saveexec_b64 s[0:1], s[36:37]
	s_cbranch_execnz .LBB111_229
.LBB111_209:
	s_or_b64 exec, exec, s[0:1]
	s_and_saveexec_b64 s[0:1], s[38:39]
	s_cbranch_execnz .LBB111_230
.LBB111_210:
	s_or_b64 exec, exec, s[0:1]
	s_and_saveexec_b64 s[0:1], s[40:41]
	s_cbranch_execnz .LBB111_231
.LBB111_211:
	s_or_b64 exec, exec, s[0:1]
	s_and_saveexec_b64 s[0:1], s[42:43]
	s_cbranch_execnz .LBB111_232
.LBB111_212:
	s_or_b64 exec, exec, s[0:1]
	s_and_saveexec_b64 s[0:1], s[44:45]
	s_cbranch_execnz .LBB111_233
.LBB111_213:
	s_or_b64 exec, exec, s[0:1]
	s_and_saveexec_b64 s[0:1], s[46:47]
	s_cbranch_execnz .LBB111_234
.LBB111_214:
	s_endpgm
.LBB111_215:
	s_waitcnt lgkmcnt(11)
	v_add_co_u32_e32 v22, vcc, 0x1000, v0
	s_nop 1
	v_addc_co_u32_e32 v23, vcc, 0, v1, vcc
	s_waitcnt lgkmcnt(10)
	global_store_dword v[22:23], v21, off
	s_or_b64 exec, exec, s[0:1]
	s_and_saveexec_b64 s[0:1], s[8:9]
	s_cbranch_execz .LBB111_196
.LBB111_216:
	s_waitcnt lgkmcnt(10)
	v_add_co_u32_e32 v20, vcc, 0x1000, v0
	s_nop 1
	v_addc_co_u32_e32 v21, vcc, 0, v1, vcc
	s_waitcnt lgkmcnt(9)
	global_store_dword v[20:21], v18, off offset:1024
	s_or_b64 exec, exec, s[0:1]
	s_and_saveexec_b64 s[0:1], s[10:11]
	s_cbranch_execz .LBB111_197
.LBB111_217:
	s_waitcnt lgkmcnt(10)
	v_add_co_u32_e32 v20, vcc, 0x1000, v0
	s_nop 1
	v_addc_co_u32_e32 v21, vcc, 0, v1, vcc
	s_waitcnt lgkmcnt(9)
	global_store_dword v[20:21], v19, off offset:2048
	s_or_b64 exec, exec, s[0:1]
	s_and_saveexec_b64 s[0:1], s[12:13]
	s_cbranch_execz .LBB111_198
.LBB111_218:
	s_waitcnt lgkmcnt(9)
	v_add_co_u32_e32 v18, vcc, 0x1000, v0
	s_nop 1
	v_addc_co_u32_e32 v19, vcc, 0, v1, vcc
	s_waitcnt lgkmcnt(8)
	global_store_dword v[18:19], v16, off offset:3072
	s_or_b64 exec, exec, s[0:1]
	s_and_saveexec_b64 s[0:1], s[14:15]
	s_cbranch_execz .LBB111_199
.LBB111_219:
	s_waitcnt lgkmcnt(9)
	v_add_co_u32_e32 v18, vcc, 0x2000, v0
	s_nop 1
	v_addc_co_u32_e32 v19, vcc, 0, v1, vcc
	s_waitcnt lgkmcnt(8)
	global_store_dword v[18:19], v17, off
	s_or_b64 exec, exec, s[0:1]
	s_and_saveexec_b64 s[0:1], s[16:17]
	s_cbranch_execz .LBB111_200
.LBB111_220:
	s_waitcnt lgkmcnt(8)
	v_add_co_u32_e32 v16, vcc, 0x2000, v0
	s_nop 1
	v_addc_co_u32_e32 v17, vcc, 0, v1, vcc
	s_waitcnt lgkmcnt(7)
	global_store_dword v[16:17], v14, off offset:1024
	s_or_b64 exec, exec, s[0:1]
	s_and_saveexec_b64 s[0:1], s[18:19]
	s_cbranch_execz .LBB111_201
.LBB111_221:
	s_waitcnt lgkmcnt(8)
	v_add_co_u32_e32 v16, vcc, 0x2000, v0
	s_nop 1
	v_addc_co_u32_e32 v17, vcc, 0, v1, vcc
	s_waitcnt lgkmcnt(7)
	global_store_dword v[16:17], v15, off offset:2048
	s_or_b64 exec, exec, s[0:1]
	s_and_saveexec_b64 s[0:1], s[20:21]
	s_cbranch_execz .LBB111_202
.LBB111_222:
	s_waitcnt lgkmcnt(7)
	v_add_co_u32_e32 v14, vcc, 0x2000, v0
	s_nop 1
	v_addc_co_u32_e32 v15, vcc, 0, v1, vcc
	s_waitcnt lgkmcnt(6)
	global_store_dword v[14:15], v12, off offset:3072
	s_or_b64 exec, exec, s[0:1]
	s_and_saveexec_b64 s[0:1], s[22:23]
	s_cbranch_execz .LBB111_203
.LBB111_223:
	s_waitcnt lgkmcnt(7)
	v_add_co_u32_e32 v14, vcc, 0x3000, v0
	s_nop 1
	v_addc_co_u32_e32 v15, vcc, 0, v1, vcc
	s_waitcnt lgkmcnt(6)
	global_store_dword v[14:15], v13, off
	s_or_b64 exec, exec, s[0:1]
	s_and_saveexec_b64 s[0:1], s[24:25]
	s_cbranch_execz .LBB111_204
.LBB111_224:
	s_waitcnt lgkmcnt(6)
	v_add_co_u32_e32 v12, vcc, 0x3000, v0
	s_nop 1
	v_addc_co_u32_e32 v13, vcc, 0, v1, vcc
	s_waitcnt lgkmcnt(5)
	global_store_dword v[12:13], v10, off offset:1024
	s_or_b64 exec, exec, s[0:1]
	s_and_saveexec_b64 s[0:1], s[26:27]
	s_cbranch_execz .LBB111_205
.LBB111_225:
	s_waitcnt lgkmcnt(6)
	v_add_co_u32_e32 v12, vcc, 0x3000, v0
	s_nop 1
	v_addc_co_u32_e32 v13, vcc, 0, v1, vcc
	s_waitcnt lgkmcnt(5)
	global_store_dword v[12:13], v11, off offset:2048
	s_or_b64 exec, exec, s[0:1]
	s_and_saveexec_b64 s[0:1], s[28:29]
	s_cbranch_execz .LBB111_206
.LBB111_226:
	s_waitcnt lgkmcnt(5)
	v_add_co_u32_e32 v10, vcc, 0x3000, v0
	s_nop 1
	v_addc_co_u32_e32 v11, vcc, 0, v1, vcc
	s_waitcnt lgkmcnt(4)
	global_store_dword v[10:11], v8, off offset:3072
	s_or_b64 exec, exec, s[0:1]
	s_and_saveexec_b64 s[0:1], s[30:31]
	s_cbranch_execz .LBB111_207
.LBB111_227:
	s_waitcnt lgkmcnt(5)
	v_add_co_u32_e32 v10, vcc, 0x4000, v0
	s_nop 1
	v_addc_co_u32_e32 v11, vcc, 0, v1, vcc
	s_waitcnt lgkmcnt(4)
	global_store_dword v[10:11], v9, off
	s_or_b64 exec, exec, s[0:1]
	s_and_saveexec_b64 s[0:1], s[34:35]
	s_cbranch_execz .LBB111_208
.LBB111_228:
	s_waitcnt lgkmcnt(4)
	v_add_co_u32_e32 v8, vcc, 0x4000, v0
	s_nop 1
	v_addc_co_u32_e32 v9, vcc, 0, v1, vcc
	s_waitcnt lgkmcnt(3)
	global_store_dword v[8:9], v6, off offset:1024
	s_or_b64 exec, exec, s[0:1]
	s_and_saveexec_b64 s[0:1], s[36:37]
	s_cbranch_execz .LBB111_209
.LBB111_229:
	s_waitcnt lgkmcnt(4)
	v_add_co_u32_e32 v8, vcc, 0x4000, v0
	s_nop 1
	v_addc_co_u32_e32 v9, vcc, 0, v1, vcc
	s_waitcnt lgkmcnt(3)
	global_store_dword v[8:9], v7, off offset:2048
	s_or_b64 exec, exec, s[0:1]
	s_and_saveexec_b64 s[0:1], s[38:39]
	s_cbranch_execz .LBB111_210
.LBB111_230:
	s_waitcnt lgkmcnt(3)
	v_add_co_u32_e32 v6, vcc, 0x4000, v0
	s_nop 1
	v_addc_co_u32_e32 v7, vcc, 0, v1, vcc
	s_waitcnt lgkmcnt(2)
	global_store_dword v[6:7], v4, off offset:3072
	s_or_b64 exec, exec, s[0:1]
	s_and_saveexec_b64 s[0:1], s[40:41]
	s_cbranch_execz .LBB111_211
.LBB111_231:
	s_waitcnt lgkmcnt(3)
	v_add_co_u32_e32 v6, vcc, 0x5000, v0
	s_nop 1
	v_addc_co_u32_e32 v7, vcc, 0, v1, vcc
	s_waitcnt lgkmcnt(2)
	global_store_dword v[6:7], v5, off
	s_or_b64 exec, exec, s[0:1]
	s_and_saveexec_b64 s[0:1], s[42:43]
	s_cbranch_execz .LBB111_212
.LBB111_232:
	s_waitcnt lgkmcnt(2)
	v_add_co_u32_e32 v4, vcc, 0x5000, v0
	s_nop 1
	v_addc_co_u32_e32 v5, vcc, 0, v1, vcc
	s_waitcnt lgkmcnt(1)
	global_store_dword v[4:5], v2, off offset:1024
	s_or_b64 exec, exec, s[0:1]
	s_and_saveexec_b64 s[0:1], s[44:45]
	s_cbranch_execz .LBB111_213
.LBB111_233:
	s_waitcnt lgkmcnt(2)
	v_add_co_u32_e32 v4, vcc, 0x5000, v0
	s_nop 1
	v_addc_co_u32_e32 v5, vcc, 0, v1, vcc
	s_waitcnt lgkmcnt(1)
	global_store_dword v[4:5], v3, off offset:2048
	s_or_b64 exec, exec, s[0:1]
	s_and_saveexec_b64 s[0:1], s[46:47]
	s_cbranch_execz .LBB111_214
.LBB111_234:
	v_add_co_u32_e32 v0, vcc, 0x5000, v0
	s_nop 1
	v_addc_co_u32_e32 v1, vcc, 0, v1, vcc
	s_waitcnt lgkmcnt(0)
	global_store_dword v[0:1], v24, off offset:3072
	s_endpgm
	.section	.rodata,"a",@progbits
	.p2align	6, 0x0
	.amdhsa_kernel _ZN7rocprim17ROCPRIM_400000_NS6detail17trampoline_kernelINS0_14default_configENS1_20scan_config_selectorIfEEZZNS1_9scan_implILNS1_25lookback_scan_determinismE0ELb0ELb0ES3_PKfPffZZZN2at6native31launch_logcumsumexp_cuda_kernelERKNSB_10TensorBaseESF_lENKUlvE_clEvENKUlvE0_clEvEUlffE_fEEDaPvRmT3_T4_T5_mT6_P12ihipStream_tbENKUlT_T0_E_clISt17integral_constantIbLb0EESW_EEDaSR_SS_EUlSR_E0_NS1_11comp_targetILNS1_3genE5ELNS1_11target_archE942ELNS1_3gpuE9ELNS1_3repE0EEENS1_30default_config_static_selectorELNS0_4arch9wavefront6targetE1EEEvT1_
		.amdhsa_group_segment_fixed_size 24576
		.amdhsa_private_segment_fixed_size 0
		.amdhsa_kernarg_size 32
		.amdhsa_user_sgpr_count 2
		.amdhsa_user_sgpr_dispatch_ptr 0
		.amdhsa_user_sgpr_queue_ptr 0
		.amdhsa_user_sgpr_kernarg_segment_ptr 1
		.amdhsa_user_sgpr_dispatch_id 0
		.amdhsa_user_sgpr_kernarg_preload_length 0
		.amdhsa_user_sgpr_kernarg_preload_offset 0
		.amdhsa_user_sgpr_private_segment_size 0
		.amdhsa_uses_dynamic_stack 0
		.amdhsa_enable_private_segment 0
		.amdhsa_system_sgpr_workgroup_id_x 1
		.amdhsa_system_sgpr_workgroup_id_y 0
		.amdhsa_system_sgpr_workgroup_id_z 0
		.amdhsa_system_sgpr_workgroup_info 0
		.amdhsa_system_vgpr_workitem_id 0
		.amdhsa_next_free_vgpr 78
		.amdhsa_next_free_sgpr 100
		.amdhsa_accum_offset 80
		.amdhsa_reserve_vcc 1
		.amdhsa_float_round_mode_32 0
		.amdhsa_float_round_mode_16_64 0
		.amdhsa_float_denorm_mode_32 3
		.amdhsa_float_denorm_mode_16_64 3
		.amdhsa_dx10_clamp 1
		.amdhsa_ieee_mode 1
		.amdhsa_fp16_overflow 0
		.amdhsa_tg_split 0
		.amdhsa_exception_fp_ieee_invalid_op 0
		.amdhsa_exception_fp_denorm_src 0
		.amdhsa_exception_fp_ieee_div_zero 0
		.amdhsa_exception_fp_ieee_overflow 0
		.amdhsa_exception_fp_ieee_underflow 0
		.amdhsa_exception_fp_ieee_inexact 0
		.amdhsa_exception_int_div_zero 0
	.end_amdhsa_kernel
	.section	.text._ZN7rocprim17ROCPRIM_400000_NS6detail17trampoline_kernelINS0_14default_configENS1_20scan_config_selectorIfEEZZNS1_9scan_implILNS1_25lookback_scan_determinismE0ELb0ELb0ES3_PKfPffZZZN2at6native31launch_logcumsumexp_cuda_kernelERKNSB_10TensorBaseESF_lENKUlvE_clEvENKUlvE0_clEvEUlffE_fEEDaPvRmT3_T4_T5_mT6_P12ihipStream_tbENKUlT_T0_E_clISt17integral_constantIbLb0EESW_EEDaSR_SS_EUlSR_E0_NS1_11comp_targetILNS1_3genE5ELNS1_11target_archE942ELNS1_3gpuE9ELNS1_3repE0EEENS1_30default_config_static_selectorELNS0_4arch9wavefront6targetE1EEEvT1_,"axG",@progbits,_ZN7rocprim17ROCPRIM_400000_NS6detail17trampoline_kernelINS0_14default_configENS1_20scan_config_selectorIfEEZZNS1_9scan_implILNS1_25lookback_scan_determinismE0ELb0ELb0ES3_PKfPffZZZN2at6native31launch_logcumsumexp_cuda_kernelERKNSB_10TensorBaseESF_lENKUlvE_clEvENKUlvE0_clEvEUlffE_fEEDaPvRmT3_T4_T5_mT6_P12ihipStream_tbENKUlT_T0_E_clISt17integral_constantIbLb0EESW_EEDaSR_SS_EUlSR_E0_NS1_11comp_targetILNS1_3genE5ELNS1_11target_archE942ELNS1_3gpuE9ELNS1_3repE0EEENS1_30default_config_static_selectorELNS0_4arch9wavefront6targetE1EEEvT1_,comdat
.Lfunc_end111:
	.size	_ZN7rocprim17ROCPRIM_400000_NS6detail17trampoline_kernelINS0_14default_configENS1_20scan_config_selectorIfEEZZNS1_9scan_implILNS1_25lookback_scan_determinismE0ELb0ELb0ES3_PKfPffZZZN2at6native31launch_logcumsumexp_cuda_kernelERKNSB_10TensorBaseESF_lENKUlvE_clEvENKUlvE0_clEvEUlffE_fEEDaPvRmT3_T4_T5_mT6_P12ihipStream_tbENKUlT_T0_E_clISt17integral_constantIbLb0EESW_EEDaSR_SS_EUlSR_E0_NS1_11comp_targetILNS1_3genE5ELNS1_11target_archE942ELNS1_3gpuE9ELNS1_3repE0EEENS1_30default_config_static_selectorELNS0_4arch9wavefront6targetE1EEEvT1_, .Lfunc_end111-_ZN7rocprim17ROCPRIM_400000_NS6detail17trampoline_kernelINS0_14default_configENS1_20scan_config_selectorIfEEZZNS1_9scan_implILNS1_25lookback_scan_determinismE0ELb0ELb0ES3_PKfPffZZZN2at6native31launch_logcumsumexp_cuda_kernelERKNSB_10TensorBaseESF_lENKUlvE_clEvENKUlvE0_clEvEUlffE_fEEDaPvRmT3_T4_T5_mT6_P12ihipStream_tbENKUlT_T0_E_clISt17integral_constantIbLb0EESW_EEDaSR_SS_EUlSR_E0_NS1_11comp_targetILNS1_3genE5ELNS1_11target_archE942ELNS1_3gpuE9ELNS1_3repE0EEENS1_30default_config_static_selectorELNS0_4arch9wavefront6targetE1EEEvT1_
                                        ; -- End function
	.section	.AMDGPU.csdata,"",@progbits
; Kernel info:
; codeLenInByte = 53584
; NumSgprs: 106
; NumVgprs: 78
; NumAgprs: 0
; TotalNumVgprs: 78
; ScratchSize: 0
; MemoryBound: 0
; FloatMode: 240
; IeeeMode: 1
; LDSByteSize: 24576 bytes/workgroup (compile time only)
; SGPRBlocks: 13
; VGPRBlocks: 9
; NumSGPRsForWavesPerEU: 106
; NumVGPRsForWavesPerEU: 78
; AccumOffset: 80
; Occupancy: 2
; WaveLimiterHint : 0
; COMPUTE_PGM_RSRC2:SCRATCH_EN: 0
; COMPUTE_PGM_RSRC2:USER_SGPR: 2
; COMPUTE_PGM_RSRC2:TRAP_HANDLER: 0
; COMPUTE_PGM_RSRC2:TGID_X_EN: 1
; COMPUTE_PGM_RSRC2:TGID_Y_EN: 0
; COMPUTE_PGM_RSRC2:TGID_Z_EN: 0
; COMPUTE_PGM_RSRC2:TIDIG_COMP_CNT: 0
; COMPUTE_PGM_RSRC3_GFX90A:ACCUM_OFFSET: 19
; COMPUTE_PGM_RSRC3_GFX90A:TG_SPLIT: 0
	.section	.text._ZN7rocprim17ROCPRIM_400000_NS6detail17trampoline_kernelINS0_14default_configENS1_20scan_config_selectorIfEEZZNS1_9scan_implILNS1_25lookback_scan_determinismE0ELb0ELb0ES3_PKfPffZZZN2at6native31launch_logcumsumexp_cuda_kernelERKNSB_10TensorBaseESF_lENKUlvE_clEvENKUlvE0_clEvEUlffE_fEEDaPvRmT3_T4_T5_mT6_P12ihipStream_tbENKUlT_T0_E_clISt17integral_constantIbLb0EESW_EEDaSR_SS_EUlSR_E0_NS1_11comp_targetILNS1_3genE4ELNS1_11target_archE910ELNS1_3gpuE8ELNS1_3repE0EEENS1_30default_config_static_selectorELNS0_4arch9wavefront6targetE1EEEvT1_,"axG",@progbits,_ZN7rocprim17ROCPRIM_400000_NS6detail17trampoline_kernelINS0_14default_configENS1_20scan_config_selectorIfEEZZNS1_9scan_implILNS1_25lookback_scan_determinismE0ELb0ELb0ES3_PKfPffZZZN2at6native31launch_logcumsumexp_cuda_kernelERKNSB_10TensorBaseESF_lENKUlvE_clEvENKUlvE0_clEvEUlffE_fEEDaPvRmT3_T4_T5_mT6_P12ihipStream_tbENKUlT_T0_E_clISt17integral_constantIbLb0EESW_EEDaSR_SS_EUlSR_E0_NS1_11comp_targetILNS1_3genE4ELNS1_11target_archE910ELNS1_3gpuE8ELNS1_3repE0EEENS1_30default_config_static_selectorELNS0_4arch9wavefront6targetE1EEEvT1_,comdat
	.globl	_ZN7rocprim17ROCPRIM_400000_NS6detail17trampoline_kernelINS0_14default_configENS1_20scan_config_selectorIfEEZZNS1_9scan_implILNS1_25lookback_scan_determinismE0ELb0ELb0ES3_PKfPffZZZN2at6native31launch_logcumsumexp_cuda_kernelERKNSB_10TensorBaseESF_lENKUlvE_clEvENKUlvE0_clEvEUlffE_fEEDaPvRmT3_T4_T5_mT6_P12ihipStream_tbENKUlT_T0_E_clISt17integral_constantIbLb0EESW_EEDaSR_SS_EUlSR_E0_NS1_11comp_targetILNS1_3genE4ELNS1_11target_archE910ELNS1_3gpuE8ELNS1_3repE0EEENS1_30default_config_static_selectorELNS0_4arch9wavefront6targetE1EEEvT1_ ; -- Begin function _ZN7rocprim17ROCPRIM_400000_NS6detail17trampoline_kernelINS0_14default_configENS1_20scan_config_selectorIfEEZZNS1_9scan_implILNS1_25lookback_scan_determinismE0ELb0ELb0ES3_PKfPffZZZN2at6native31launch_logcumsumexp_cuda_kernelERKNSB_10TensorBaseESF_lENKUlvE_clEvENKUlvE0_clEvEUlffE_fEEDaPvRmT3_T4_T5_mT6_P12ihipStream_tbENKUlT_T0_E_clISt17integral_constantIbLb0EESW_EEDaSR_SS_EUlSR_E0_NS1_11comp_targetILNS1_3genE4ELNS1_11target_archE910ELNS1_3gpuE8ELNS1_3repE0EEENS1_30default_config_static_selectorELNS0_4arch9wavefront6targetE1EEEvT1_
	.p2align	8
	.type	_ZN7rocprim17ROCPRIM_400000_NS6detail17trampoline_kernelINS0_14default_configENS1_20scan_config_selectorIfEEZZNS1_9scan_implILNS1_25lookback_scan_determinismE0ELb0ELb0ES3_PKfPffZZZN2at6native31launch_logcumsumexp_cuda_kernelERKNSB_10TensorBaseESF_lENKUlvE_clEvENKUlvE0_clEvEUlffE_fEEDaPvRmT3_T4_T5_mT6_P12ihipStream_tbENKUlT_T0_E_clISt17integral_constantIbLb0EESW_EEDaSR_SS_EUlSR_E0_NS1_11comp_targetILNS1_3genE4ELNS1_11target_archE910ELNS1_3gpuE8ELNS1_3repE0EEENS1_30default_config_static_selectorELNS0_4arch9wavefront6targetE1EEEvT1_,@function
_ZN7rocprim17ROCPRIM_400000_NS6detail17trampoline_kernelINS0_14default_configENS1_20scan_config_selectorIfEEZZNS1_9scan_implILNS1_25lookback_scan_determinismE0ELb0ELb0ES3_PKfPffZZZN2at6native31launch_logcumsumexp_cuda_kernelERKNSB_10TensorBaseESF_lENKUlvE_clEvENKUlvE0_clEvEUlffE_fEEDaPvRmT3_T4_T5_mT6_P12ihipStream_tbENKUlT_T0_E_clISt17integral_constantIbLb0EESW_EEDaSR_SS_EUlSR_E0_NS1_11comp_targetILNS1_3genE4ELNS1_11target_archE910ELNS1_3gpuE8ELNS1_3repE0EEENS1_30default_config_static_selectorELNS0_4arch9wavefront6targetE1EEEvT1_: ; @_ZN7rocprim17ROCPRIM_400000_NS6detail17trampoline_kernelINS0_14default_configENS1_20scan_config_selectorIfEEZZNS1_9scan_implILNS1_25lookback_scan_determinismE0ELb0ELb0ES3_PKfPffZZZN2at6native31launch_logcumsumexp_cuda_kernelERKNSB_10TensorBaseESF_lENKUlvE_clEvENKUlvE0_clEvEUlffE_fEEDaPvRmT3_T4_T5_mT6_P12ihipStream_tbENKUlT_T0_E_clISt17integral_constantIbLb0EESW_EEDaSR_SS_EUlSR_E0_NS1_11comp_targetILNS1_3genE4ELNS1_11target_archE910ELNS1_3gpuE8ELNS1_3repE0EEENS1_30default_config_static_selectorELNS0_4arch9wavefront6targetE1EEEvT1_
; %bb.0:
	.section	.rodata,"a",@progbits
	.p2align	6, 0x0
	.amdhsa_kernel _ZN7rocprim17ROCPRIM_400000_NS6detail17trampoline_kernelINS0_14default_configENS1_20scan_config_selectorIfEEZZNS1_9scan_implILNS1_25lookback_scan_determinismE0ELb0ELb0ES3_PKfPffZZZN2at6native31launch_logcumsumexp_cuda_kernelERKNSB_10TensorBaseESF_lENKUlvE_clEvENKUlvE0_clEvEUlffE_fEEDaPvRmT3_T4_T5_mT6_P12ihipStream_tbENKUlT_T0_E_clISt17integral_constantIbLb0EESW_EEDaSR_SS_EUlSR_E0_NS1_11comp_targetILNS1_3genE4ELNS1_11target_archE910ELNS1_3gpuE8ELNS1_3repE0EEENS1_30default_config_static_selectorELNS0_4arch9wavefront6targetE1EEEvT1_
		.amdhsa_group_segment_fixed_size 0
		.amdhsa_private_segment_fixed_size 0
		.amdhsa_kernarg_size 32
		.amdhsa_user_sgpr_count 2
		.amdhsa_user_sgpr_dispatch_ptr 0
		.amdhsa_user_sgpr_queue_ptr 0
		.amdhsa_user_sgpr_kernarg_segment_ptr 1
		.amdhsa_user_sgpr_dispatch_id 0
		.amdhsa_user_sgpr_kernarg_preload_length 0
		.amdhsa_user_sgpr_kernarg_preload_offset 0
		.amdhsa_user_sgpr_private_segment_size 0
		.amdhsa_uses_dynamic_stack 0
		.amdhsa_enable_private_segment 0
		.amdhsa_system_sgpr_workgroup_id_x 1
		.amdhsa_system_sgpr_workgroup_id_y 0
		.amdhsa_system_sgpr_workgroup_id_z 0
		.amdhsa_system_sgpr_workgroup_info 0
		.amdhsa_system_vgpr_workitem_id 0
		.amdhsa_next_free_vgpr 1
		.amdhsa_next_free_sgpr 0
		.amdhsa_accum_offset 4
		.amdhsa_reserve_vcc 0
		.amdhsa_float_round_mode_32 0
		.amdhsa_float_round_mode_16_64 0
		.amdhsa_float_denorm_mode_32 3
		.amdhsa_float_denorm_mode_16_64 3
		.amdhsa_dx10_clamp 1
		.amdhsa_ieee_mode 1
		.amdhsa_fp16_overflow 0
		.amdhsa_tg_split 0
		.amdhsa_exception_fp_ieee_invalid_op 0
		.amdhsa_exception_fp_denorm_src 0
		.amdhsa_exception_fp_ieee_div_zero 0
		.amdhsa_exception_fp_ieee_overflow 0
		.amdhsa_exception_fp_ieee_underflow 0
		.amdhsa_exception_fp_ieee_inexact 0
		.amdhsa_exception_int_div_zero 0
	.end_amdhsa_kernel
	.section	.text._ZN7rocprim17ROCPRIM_400000_NS6detail17trampoline_kernelINS0_14default_configENS1_20scan_config_selectorIfEEZZNS1_9scan_implILNS1_25lookback_scan_determinismE0ELb0ELb0ES3_PKfPffZZZN2at6native31launch_logcumsumexp_cuda_kernelERKNSB_10TensorBaseESF_lENKUlvE_clEvENKUlvE0_clEvEUlffE_fEEDaPvRmT3_T4_T5_mT6_P12ihipStream_tbENKUlT_T0_E_clISt17integral_constantIbLb0EESW_EEDaSR_SS_EUlSR_E0_NS1_11comp_targetILNS1_3genE4ELNS1_11target_archE910ELNS1_3gpuE8ELNS1_3repE0EEENS1_30default_config_static_selectorELNS0_4arch9wavefront6targetE1EEEvT1_,"axG",@progbits,_ZN7rocprim17ROCPRIM_400000_NS6detail17trampoline_kernelINS0_14default_configENS1_20scan_config_selectorIfEEZZNS1_9scan_implILNS1_25lookback_scan_determinismE0ELb0ELb0ES3_PKfPffZZZN2at6native31launch_logcumsumexp_cuda_kernelERKNSB_10TensorBaseESF_lENKUlvE_clEvENKUlvE0_clEvEUlffE_fEEDaPvRmT3_T4_T5_mT6_P12ihipStream_tbENKUlT_T0_E_clISt17integral_constantIbLb0EESW_EEDaSR_SS_EUlSR_E0_NS1_11comp_targetILNS1_3genE4ELNS1_11target_archE910ELNS1_3gpuE8ELNS1_3repE0EEENS1_30default_config_static_selectorELNS0_4arch9wavefront6targetE1EEEvT1_,comdat
.Lfunc_end112:
	.size	_ZN7rocprim17ROCPRIM_400000_NS6detail17trampoline_kernelINS0_14default_configENS1_20scan_config_selectorIfEEZZNS1_9scan_implILNS1_25lookback_scan_determinismE0ELb0ELb0ES3_PKfPffZZZN2at6native31launch_logcumsumexp_cuda_kernelERKNSB_10TensorBaseESF_lENKUlvE_clEvENKUlvE0_clEvEUlffE_fEEDaPvRmT3_T4_T5_mT6_P12ihipStream_tbENKUlT_T0_E_clISt17integral_constantIbLb0EESW_EEDaSR_SS_EUlSR_E0_NS1_11comp_targetILNS1_3genE4ELNS1_11target_archE910ELNS1_3gpuE8ELNS1_3repE0EEENS1_30default_config_static_selectorELNS0_4arch9wavefront6targetE1EEEvT1_, .Lfunc_end112-_ZN7rocprim17ROCPRIM_400000_NS6detail17trampoline_kernelINS0_14default_configENS1_20scan_config_selectorIfEEZZNS1_9scan_implILNS1_25lookback_scan_determinismE0ELb0ELb0ES3_PKfPffZZZN2at6native31launch_logcumsumexp_cuda_kernelERKNSB_10TensorBaseESF_lENKUlvE_clEvENKUlvE0_clEvEUlffE_fEEDaPvRmT3_T4_T5_mT6_P12ihipStream_tbENKUlT_T0_E_clISt17integral_constantIbLb0EESW_EEDaSR_SS_EUlSR_E0_NS1_11comp_targetILNS1_3genE4ELNS1_11target_archE910ELNS1_3gpuE8ELNS1_3repE0EEENS1_30default_config_static_selectorELNS0_4arch9wavefront6targetE1EEEvT1_
                                        ; -- End function
	.section	.AMDGPU.csdata,"",@progbits
; Kernel info:
; codeLenInByte = 0
; NumSgprs: 6
; NumVgprs: 0
; NumAgprs: 0
; TotalNumVgprs: 0
; ScratchSize: 0
; MemoryBound: 0
; FloatMode: 240
; IeeeMode: 1
; LDSByteSize: 0 bytes/workgroup (compile time only)
; SGPRBlocks: 0
; VGPRBlocks: 0
; NumSGPRsForWavesPerEU: 6
; NumVGPRsForWavesPerEU: 1
; AccumOffset: 4
; Occupancy: 8
; WaveLimiterHint : 0
; COMPUTE_PGM_RSRC2:SCRATCH_EN: 0
; COMPUTE_PGM_RSRC2:USER_SGPR: 2
; COMPUTE_PGM_RSRC2:TRAP_HANDLER: 0
; COMPUTE_PGM_RSRC2:TGID_X_EN: 1
; COMPUTE_PGM_RSRC2:TGID_Y_EN: 0
; COMPUTE_PGM_RSRC2:TGID_Z_EN: 0
; COMPUTE_PGM_RSRC2:TIDIG_COMP_CNT: 0
; COMPUTE_PGM_RSRC3_GFX90A:ACCUM_OFFSET: 0
; COMPUTE_PGM_RSRC3_GFX90A:TG_SPLIT: 0
	.section	.text._ZN7rocprim17ROCPRIM_400000_NS6detail17trampoline_kernelINS0_14default_configENS1_20scan_config_selectorIfEEZZNS1_9scan_implILNS1_25lookback_scan_determinismE0ELb0ELb0ES3_PKfPffZZZN2at6native31launch_logcumsumexp_cuda_kernelERKNSB_10TensorBaseESF_lENKUlvE_clEvENKUlvE0_clEvEUlffE_fEEDaPvRmT3_T4_T5_mT6_P12ihipStream_tbENKUlT_T0_E_clISt17integral_constantIbLb0EESW_EEDaSR_SS_EUlSR_E0_NS1_11comp_targetILNS1_3genE3ELNS1_11target_archE908ELNS1_3gpuE7ELNS1_3repE0EEENS1_30default_config_static_selectorELNS0_4arch9wavefront6targetE1EEEvT1_,"axG",@progbits,_ZN7rocprim17ROCPRIM_400000_NS6detail17trampoline_kernelINS0_14default_configENS1_20scan_config_selectorIfEEZZNS1_9scan_implILNS1_25lookback_scan_determinismE0ELb0ELb0ES3_PKfPffZZZN2at6native31launch_logcumsumexp_cuda_kernelERKNSB_10TensorBaseESF_lENKUlvE_clEvENKUlvE0_clEvEUlffE_fEEDaPvRmT3_T4_T5_mT6_P12ihipStream_tbENKUlT_T0_E_clISt17integral_constantIbLb0EESW_EEDaSR_SS_EUlSR_E0_NS1_11comp_targetILNS1_3genE3ELNS1_11target_archE908ELNS1_3gpuE7ELNS1_3repE0EEENS1_30default_config_static_selectorELNS0_4arch9wavefront6targetE1EEEvT1_,comdat
	.globl	_ZN7rocprim17ROCPRIM_400000_NS6detail17trampoline_kernelINS0_14default_configENS1_20scan_config_selectorIfEEZZNS1_9scan_implILNS1_25lookback_scan_determinismE0ELb0ELb0ES3_PKfPffZZZN2at6native31launch_logcumsumexp_cuda_kernelERKNSB_10TensorBaseESF_lENKUlvE_clEvENKUlvE0_clEvEUlffE_fEEDaPvRmT3_T4_T5_mT6_P12ihipStream_tbENKUlT_T0_E_clISt17integral_constantIbLb0EESW_EEDaSR_SS_EUlSR_E0_NS1_11comp_targetILNS1_3genE3ELNS1_11target_archE908ELNS1_3gpuE7ELNS1_3repE0EEENS1_30default_config_static_selectorELNS0_4arch9wavefront6targetE1EEEvT1_ ; -- Begin function _ZN7rocprim17ROCPRIM_400000_NS6detail17trampoline_kernelINS0_14default_configENS1_20scan_config_selectorIfEEZZNS1_9scan_implILNS1_25lookback_scan_determinismE0ELb0ELb0ES3_PKfPffZZZN2at6native31launch_logcumsumexp_cuda_kernelERKNSB_10TensorBaseESF_lENKUlvE_clEvENKUlvE0_clEvEUlffE_fEEDaPvRmT3_T4_T5_mT6_P12ihipStream_tbENKUlT_T0_E_clISt17integral_constantIbLb0EESW_EEDaSR_SS_EUlSR_E0_NS1_11comp_targetILNS1_3genE3ELNS1_11target_archE908ELNS1_3gpuE7ELNS1_3repE0EEENS1_30default_config_static_selectorELNS0_4arch9wavefront6targetE1EEEvT1_
	.p2align	8
	.type	_ZN7rocprim17ROCPRIM_400000_NS6detail17trampoline_kernelINS0_14default_configENS1_20scan_config_selectorIfEEZZNS1_9scan_implILNS1_25lookback_scan_determinismE0ELb0ELb0ES3_PKfPffZZZN2at6native31launch_logcumsumexp_cuda_kernelERKNSB_10TensorBaseESF_lENKUlvE_clEvENKUlvE0_clEvEUlffE_fEEDaPvRmT3_T4_T5_mT6_P12ihipStream_tbENKUlT_T0_E_clISt17integral_constantIbLb0EESW_EEDaSR_SS_EUlSR_E0_NS1_11comp_targetILNS1_3genE3ELNS1_11target_archE908ELNS1_3gpuE7ELNS1_3repE0EEENS1_30default_config_static_selectorELNS0_4arch9wavefront6targetE1EEEvT1_,@function
_ZN7rocprim17ROCPRIM_400000_NS6detail17trampoline_kernelINS0_14default_configENS1_20scan_config_selectorIfEEZZNS1_9scan_implILNS1_25lookback_scan_determinismE0ELb0ELb0ES3_PKfPffZZZN2at6native31launch_logcumsumexp_cuda_kernelERKNSB_10TensorBaseESF_lENKUlvE_clEvENKUlvE0_clEvEUlffE_fEEDaPvRmT3_T4_T5_mT6_P12ihipStream_tbENKUlT_T0_E_clISt17integral_constantIbLb0EESW_EEDaSR_SS_EUlSR_E0_NS1_11comp_targetILNS1_3genE3ELNS1_11target_archE908ELNS1_3gpuE7ELNS1_3repE0EEENS1_30default_config_static_selectorELNS0_4arch9wavefront6targetE1EEEvT1_: ; @_ZN7rocprim17ROCPRIM_400000_NS6detail17trampoline_kernelINS0_14default_configENS1_20scan_config_selectorIfEEZZNS1_9scan_implILNS1_25lookback_scan_determinismE0ELb0ELb0ES3_PKfPffZZZN2at6native31launch_logcumsumexp_cuda_kernelERKNSB_10TensorBaseESF_lENKUlvE_clEvENKUlvE0_clEvEUlffE_fEEDaPvRmT3_T4_T5_mT6_P12ihipStream_tbENKUlT_T0_E_clISt17integral_constantIbLb0EESW_EEDaSR_SS_EUlSR_E0_NS1_11comp_targetILNS1_3genE3ELNS1_11target_archE908ELNS1_3gpuE7ELNS1_3repE0EEENS1_30default_config_static_selectorELNS0_4arch9wavefront6targetE1EEEvT1_
; %bb.0:
	.section	.rodata,"a",@progbits
	.p2align	6, 0x0
	.amdhsa_kernel _ZN7rocprim17ROCPRIM_400000_NS6detail17trampoline_kernelINS0_14default_configENS1_20scan_config_selectorIfEEZZNS1_9scan_implILNS1_25lookback_scan_determinismE0ELb0ELb0ES3_PKfPffZZZN2at6native31launch_logcumsumexp_cuda_kernelERKNSB_10TensorBaseESF_lENKUlvE_clEvENKUlvE0_clEvEUlffE_fEEDaPvRmT3_T4_T5_mT6_P12ihipStream_tbENKUlT_T0_E_clISt17integral_constantIbLb0EESW_EEDaSR_SS_EUlSR_E0_NS1_11comp_targetILNS1_3genE3ELNS1_11target_archE908ELNS1_3gpuE7ELNS1_3repE0EEENS1_30default_config_static_selectorELNS0_4arch9wavefront6targetE1EEEvT1_
		.amdhsa_group_segment_fixed_size 0
		.amdhsa_private_segment_fixed_size 0
		.amdhsa_kernarg_size 32
		.amdhsa_user_sgpr_count 2
		.amdhsa_user_sgpr_dispatch_ptr 0
		.amdhsa_user_sgpr_queue_ptr 0
		.amdhsa_user_sgpr_kernarg_segment_ptr 1
		.amdhsa_user_sgpr_dispatch_id 0
		.amdhsa_user_sgpr_kernarg_preload_length 0
		.amdhsa_user_sgpr_kernarg_preload_offset 0
		.amdhsa_user_sgpr_private_segment_size 0
		.amdhsa_uses_dynamic_stack 0
		.amdhsa_enable_private_segment 0
		.amdhsa_system_sgpr_workgroup_id_x 1
		.amdhsa_system_sgpr_workgroup_id_y 0
		.amdhsa_system_sgpr_workgroup_id_z 0
		.amdhsa_system_sgpr_workgroup_info 0
		.amdhsa_system_vgpr_workitem_id 0
		.amdhsa_next_free_vgpr 1
		.amdhsa_next_free_sgpr 0
		.amdhsa_accum_offset 4
		.amdhsa_reserve_vcc 0
		.amdhsa_float_round_mode_32 0
		.amdhsa_float_round_mode_16_64 0
		.amdhsa_float_denorm_mode_32 3
		.amdhsa_float_denorm_mode_16_64 3
		.amdhsa_dx10_clamp 1
		.amdhsa_ieee_mode 1
		.amdhsa_fp16_overflow 0
		.amdhsa_tg_split 0
		.amdhsa_exception_fp_ieee_invalid_op 0
		.amdhsa_exception_fp_denorm_src 0
		.amdhsa_exception_fp_ieee_div_zero 0
		.amdhsa_exception_fp_ieee_overflow 0
		.amdhsa_exception_fp_ieee_underflow 0
		.amdhsa_exception_fp_ieee_inexact 0
		.amdhsa_exception_int_div_zero 0
	.end_amdhsa_kernel
	.section	.text._ZN7rocprim17ROCPRIM_400000_NS6detail17trampoline_kernelINS0_14default_configENS1_20scan_config_selectorIfEEZZNS1_9scan_implILNS1_25lookback_scan_determinismE0ELb0ELb0ES3_PKfPffZZZN2at6native31launch_logcumsumexp_cuda_kernelERKNSB_10TensorBaseESF_lENKUlvE_clEvENKUlvE0_clEvEUlffE_fEEDaPvRmT3_T4_T5_mT6_P12ihipStream_tbENKUlT_T0_E_clISt17integral_constantIbLb0EESW_EEDaSR_SS_EUlSR_E0_NS1_11comp_targetILNS1_3genE3ELNS1_11target_archE908ELNS1_3gpuE7ELNS1_3repE0EEENS1_30default_config_static_selectorELNS0_4arch9wavefront6targetE1EEEvT1_,"axG",@progbits,_ZN7rocprim17ROCPRIM_400000_NS6detail17trampoline_kernelINS0_14default_configENS1_20scan_config_selectorIfEEZZNS1_9scan_implILNS1_25lookback_scan_determinismE0ELb0ELb0ES3_PKfPffZZZN2at6native31launch_logcumsumexp_cuda_kernelERKNSB_10TensorBaseESF_lENKUlvE_clEvENKUlvE0_clEvEUlffE_fEEDaPvRmT3_T4_T5_mT6_P12ihipStream_tbENKUlT_T0_E_clISt17integral_constantIbLb0EESW_EEDaSR_SS_EUlSR_E0_NS1_11comp_targetILNS1_3genE3ELNS1_11target_archE908ELNS1_3gpuE7ELNS1_3repE0EEENS1_30default_config_static_selectorELNS0_4arch9wavefront6targetE1EEEvT1_,comdat
.Lfunc_end113:
	.size	_ZN7rocprim17ROCPRIM_400000_NS6detail17trampoline_kernelINS0_14default_configENS1_20scan_config_selectorIfEEZZNS1_9scan_implILNS1_25lookback_scan_determinismE0ELb0ELb0ES3_PKfPffZZZN2at6native31launch_logcumsumexp_cuda_kernelERKNSB_10TensorBaseESF_lENKUlvE_clEvENKUlvE0_clEvEUlffE_fEEDaPvRmT3_T4_T5_mT6_P12ihipStream_tbENKUlT_T0_E_clISt17integral_constantIbLb0EESW_EEDaSR_SS_EUlSR_E0_NS1_11comp_targetILNS1_3genE3ELNS1_11target_archE908ELNS1_3gpuE7ELNS1_3repE0EEENS1_30default_config_static_selectorELNS0_4arch9wavefront6targetE1EEEvT1_, .Lfunc_end113-_ZN7rocprim17ROCPRIM_400000_NS6detail17trampoline_kernelINS0_14default_configENS1_20scan_config_selectorIfEEZZNS1_9scan_implILNS1_25lookback_scan_determinismE0ELb0ELb0ES3_PKfPffZZZN2at6native31launch_logcumsumexp_cuda_kernelERKNSB_10TensorBaseESF_lENKUlvE_clEvENKUlvE0_clEvEUlffE_fEEDaPvRmT3_T4_T5_mT6_P12ihipStream_tbENKUlT_T0_E_clISt17integral_constantIbLb0EESW_EEDaSR_SS_EUlSR_E0_NS1_11comp_targetILNS1_3genE3ELNS1_11target_archE908ELNS1_3gpuE7ELNS1_3repE0EEENS1_30default_config_static_selectorELNS0_4arch9wavefront6targetE1EEEvT1_
                                        ; -- End function
	.section	.AMDGPU.csdata,"",@progbits
; Kernel info:
; codeLenInByte = 0
; NumSgprs: 6
; NumVgprs: 0
; NumAgprs: 0
; TotalNumVgprs: 0
; ScratchSize: 0
; MemoryBound: 0
; FloatMode: 240
; IeeeMode: 1
; LDSByteSize: 0 bytes/workgroup (compile time only)
; SGPRBlocks: 0
; VGPRBlocks: 0
; NumSGPRsForWavesPerEU: 6
; NumVGPRsForWavesPerEU: 1
; AccumOffset: 4
; Occupancy: 8
; WaveLimiterHint : 0
; COMPUTE_PGM_RSRC2:SCRATCH_EN: 0
; COMPUTE_PGM_RSRC2:USER_SGPR: 2
; COMPUTE_PGM_RSRC2:TRAP_HANDLER: 0
; COMPUTE_PGM_RSRC2:TGID_X_EN: 1
; COMPUTE_PGM_RSRC2:TGID_Y_EN: 0
; COMPUTE_PGM_RSRC2:TGID_Z_EN: 0
; COMPUTE_PGM_RSRC2:TIDIG_COMP_CNT: 0
; COMPUTE_PGM_RSRC3_GFX90A:ACCUM_OFFSET: 0
; COMPUTE_PGM_RSRC3_GFX90A:TG_SPLIT: 0
	.section	.text._ZN7rocprim17ROCPRIM_400000_NS6detail17trampoline_kernelINS0_14default_configENS1_20scan_config_selectorIfEEZZNS1_9scan_implILNS1_25lookback_scan_determinismE0ELb0ELb0ES3_PKfPffZZZN2at6native31launch_logcumsumexp_cuda_kernelERKNSB_10TensorBaseESF_lENKUlvE_clEvENKUlvE0_clEvEUlffE_fEEDaPvRmT3_T4_T5_mT6_P12ihipStream_tbENKUlT_T0_E_clISt17integral_constantIbLb0EESW_EEDaSR_SS_EUlSR_E0_NS1_11comp_targetILNS1_3genE2ELNS1_11target_archE906ELNS1_3gpuE6ELNS1_3repE0EEENS1_30default_config_static_selectorELNS0_4arch9wavefront6targetE1EEEvT1_,"axG",@progbits,_ZN7rocprim17ROCPRIM_400000_NS6detail17trampoline_kernelINS0_14default_configENS1_20scan_config_selectorIfEEZZNS1_9scan_implILNS1_25lookback_scan_determinismE0ELb0ELb0ES3_PKfPffZZZN2at6native31launch_logcumsumexp_cuda_kernelERKNSB_10TensorBaseESF_lENKUlvE_clEvENKUlvE0_clEvEUlffE_fEEDaPvRmT3_T4_T5_mT6_P12ihipStream_tbENKUlT_T0_E_clISt17integral_constantIbLb0EESW_EEDaSR_SS_EUlSR_E0_NS1_11comp_targetILNS1_3genE2ELNS1_11target_archE906ELNS1_3gpuE6ELNS1_3repE0EEENS1_30default_config_static_selectorELNS0_4arch9wavefront6targetE1EEEvT1_,comdat
	.globl	_ZN7rocprim17ROCPRIM_400000_NS6detail17trampoline_kernelINS0_14default_configENS1_20scan_config_selectorIfEEZZNS1_9scan_implILNS1_25lookback_scan_determinismE0ELb0ELb0ES3_PKfPffZZZN2at6native31launch_logcumsumexp_cuda_kernelERKNSB_10TensorBaseESF_lENKUlvE_clEvENKUlvE0_clEvEUlffE_fEEDaPvRmT3_T4_T5_mT6_P12ihipStream_tbENKUlT_T0_E_clISt17integral_constantIbLb0EESW_EEDaSR_SS_EUlSR_E0_NS1_11comp_targetILNS1_3genE2ELNS1_11target_archE906ELNS1_3gpuE6ELNS1_3repE0EEENS1_30default_config_static_selectorELNS0_4arch9wavefront6targetE1EEEvT1_ ; -- Begin function _ZN7rocprim17ROCPRIM_400000_NS6detail17trampoline_kernelINS0_14default_configENS1_20scan_config_selectorIfEEZZNS1_9scan_implILNS1_25lookback_scan_determinismE0ELb0ELb0ES3_PKfPffZZZN2at6native31launch_logcumsumexp_cuda_kernelERKNSB_10TensorBaseESF_lENKUlvE_clEvENKUlvE0_clEvEUlffE_fEEDaPvRmT3_T4_T5_mT6_P12ihipStream_tbENKUlT_T0_E_clISt17integral_constantIbLb0EESW_EEDaSR_SS_EUlSR_E0_NS1_11comp_targetILNS1_3genE2ELNS1_11target_archE906ELNS1_3gpuE6ELNS1_3repE0EEENS1_30default_config_static_selectorELNS0_4arch9wavefront6targetE1EEEvT1_
	.p2align	8
	.type	_ZN7rocprim17ROCPRIM_400000_NS6detail17trampoline_kernelINS0_14default_configENS1_20scan_config_selectorIfEEZZNS1_9scan_implILNS1_25lookback_scan_determinismE0ELb0ELb0ES3_PKfPffZZZN2at6native31launch_logcumsumexp_cuda_kernelERKNSB_10TensorBaseESF_lENKUlvE_clEvENKUlvE0_clEvEUlffE_fEEDaPvRmT3_T4_T5_mT6_P12ihipStream_tbENKUlT_T0_E_clISt17integral_constantIbLb0EESW_EEDaSR_SS_EUlSR_E0_NS1_11comp_targetILNS1_3genE2ELNS1_11target_archE906ELNS1_3gpuE6ELNS1_3repE0EEENS1_30default_config_static_selectorELNS0_4arch9wavefront6targetE1EEEvT1_,@function
_ZN7rocprim17ROCPRIM_400000_NS6detail17trampoline_kernelINS0_14default_configENS1_20scan_config_selectorIfEEZZNS1_9scan_implILNS1_25lookback_scan_determinismE0ELb0ELb0ES3_PKfPffZZZN2at6native31launch_logcumsumexp_cuda_kernelERKNSB_10TensorBaseESF_lENKUlvE_clEvENKUlvE0_clEvEUlffE_fEEDaPvRmT3_T4_T5_mT6_P12ihipStream_tbENKUlT_T0_E_clISt17integral_constantIbLb0EESW_EEDaSR_SS_EUlSR_E0_NS1_11comp_targetILNS1_3genE2ELNS1_11target_archE906ELNS1_3gpuE6ELNS1_3repE0EEENS1_30default_config_static_selectorELNS0_4arch9wavefront6targetE1EEEvT1_: ; @_ZN7rocprim17ROCPRIM_400000_NS6detail17trampoline_kernelINS0_14default_configENS1_20scan_config_selectorIfEEZZNS1_9scan_implILNS1_25lookback_scan_determinismE0ELb0ELb0ES3_PKfPffZZZN2at6native31launch_logcumsumexp_cuda_kernelERKNSB_10TensorBaseESF_lENKUlvE_clEvENKUlvE0_clEvEUlffE_fEEDaPvRmT3_T4_T5_mT6_P12ihipStream_tbENKUlT_T0_E_clISt17integral_constantIbLb0EESW_EEDaSR_SS_EUlSR_E0_NS1_11comp_targetILNS1_3genE2ELNS1_11target_archE906ELNS1_3gpuE6ELNS1_3repE0EEENS1_30default_config_static_selectorELNS0_4arch9wavefront6targetE1EEEvT1_
; %bb.0:
	.section	.rodata,"a",@progbits
	.p2align	6, 0x0
	.amdhsa_kernel _ZN7rocprim17ROCPRIM_400000_NS6detail17trampoline_kernelINS0_14default_configENS1_20scan_config_selectorIfEEZZNS1_9scan_implILNS1_25lookback_scan_determinismE0ELb0ELb0ES3_PKfPffZZZN2at6native31launch_logcumsumexp_cuda_kernelERKNSB_10TensorBaseESF_lENKUlvE_clEvENKUlvE0_clEvEUlffE_fEEDaPvRmT3_T4_T5_mT6_P12ihipStream_tbENKUlT_T0_E_clISt17integral_constantIbLb0EESW_EEDaSR_SS_EUlSR_E0_NS1_11comp_targetILNS1_3genE2ELNS1_11target_archE906ELNS1_3gpuE6ELNS1_3repE0EEENS1_30default_config_static_selectorELNS0_4arch9wavefront6targetE1EEEvT1_
		.amdhsa_group_segment_fixed_size 0
		.amdhsa_private_segment_fixed_size 0
		.amdhsa_kernarg_size 32
		.amdhsa_user_sgpr_count 2
		.amdhsa_user_sgpr_dispatch_ptr 0
		.amdhsa_user_sgpr_queue_ptr 0
		.amdhsa_user_sgpr_kernarg_segment_ptr 1
		.amdhsa_user_sgpr_dispatch_id 0
		.amdhsa_user_sgpr_kernarg_preload_length 0
		.amdhsa_user_sgpr_kernarg_preload_offset 0
		.amdhsa_user_sgpr_private_segment_size 0
		.amdhsa_uses_dynamic_stack 0
		.amdhsa_enable_private_segment 0
		.amdhsa_system_sgpr_workgroup_id_x 1
		.amdhsa_system_sgpr_workgroup_id_y 0
		.amdhsa_system_sgpr_workgroup_id_z 0
		.amdhsa_system_sgpr_workgroup_info 0
		.amdhsa_system_vgpr_workitem_id 0
		.amdhsa_next_free_vgpr 1
		.amdhsa_next_free_sgpr 0
		.amdhsa_accum_offset 4
		.amdhsa_reserve_vcc 0
		.amdhsa_float_round_mode_32 0
		.amdhsa_float_round_mode_16_64 0
		.amdhsa_float_denorm_mode_32 3
		.amdhsa_float_denorm_mode_16_64 3
		.amdhsa_dx10_clamp 1
		.amdhsa_ieee_mode 1
		.amdhsa_fp16_overflow 0
		.amdhsa_tg_split 0
		.amdhsa_exception_fp_ieee_invalid_op 0
		.amdhsa_exception_fp_denorm_src 0
		.amdhsa_exception_fp_ieee_div_zero 0
		.amdhsa_exception_fp_ieee_overflow 0
		.amdhsa_exception_fp_ieee_underflow 0
		.amdhsa_exception_fp_ieee_inexact 0
		.amdhsa_exception_int_div_zero 0
	.end_amdhsa_kernel
	.section	.text._ZN7rocprim17ROCPRIM_400000_NS6detail17trampoline_kernelINS0_14default_configENS1_20scan_config_selectorIfEEZZNS1_9scan_implILNS1_25lookback_scan_determinismE0ELb0ELb0ES3_PKfPffZZZN2at6native31launch_logcumsumexp_cuda_kernelERKNSB_10TensorBaseESF_lENKUlvE_clEvENKUlvE0_clEvEUlffE_fEEDaPvRmT3_T4_T5_mT6_P12ihipStream_tbENKUlT_T0_E_clISt17integral_constantIbLb0EESW_EEDaSR_SS_EUlSR_E0_NS1_11comp_targetILNS1_3genE2ELNS1_11target_archE906ELNS1_3gpuE6ELNS1_3repE0EEENS1_30default_config_static_selectorELNS0_4arch9wavefront6targetE1EEEvT1_,"axG",@progbits,_ZN7rocprim17ROCPRIM_400000_NS6detail17trampoline_kernelINS0_14default_configENS1_20scan_config_selectorIfEEZZNS1_9scan_implILNS1_25lookback_scan_determinismE0ELb0ELb0ES3_PKfPffZZZN2at6native31launch_logcumsumexp_cuda_kernelERKNSB_10TensorBaseESF_lENKUlvE_clEvENKUlvE0_clEvEUlffE_fEEDaPvRmT3_T4_T5_mT6_P12ihipStream_tbENKUlT_T0_E_clISt17integral_constantIbLb0EESW_EEDaSR_SS_EUlSR_E0_NS1_11comp_targetILNS1_3genE2ELNS1_11target_archE906ELNS1_3gpuE6ELNS1_3repE0EEENS1_30default_config_static_selectorELNS0_4arch9wavefront6targetE1EEEvT1_,comdat
.Lfunc_end114:
	.size	_ZN7rocprim17ROCPRIM_400000_NS6detail17trampoline_kernelINS0_14default_configENS1_20scan_config_selectorIfEEZZNS1_9scan_implILNS1_25lookback_scan_determinismE0ELb0ELb0ES3_PKfPffZZZN2at6native31launch_logcumsumexp_cuda_kernelERKNSB_10TensorBaseESF_lENKUlvE_clEvENKUlvE0_clEvEUlffE_fEEDaPvRmT3_T4_T5_mT6_P12ihipStream_tbENKUlT_T0_E_clISt17integral_constantIbLb0EESW_EEDaSR_SS_EUlSR_E0_NS1_11comp_targetILNS1_3genE2ELNS1_11target_archE906ELNS1_3gpuE6ELNS1_3repE0EEENS1_30default_config_static_selectorELNS0_4arch9wavefront6targetE1EEEvT1_, .Lfunc_end114-_ZN7rocprim17ROCPRIM_400000_NS6detail17trampoline_kernelINS0_14default_configENS1_20scan_config_selectorIfEEZZNS1_9scan_implILNS1_25lookback_scan_determinismE0ELb0ELb0ES3_PKfPffZZZN2at6native31launch_logcumsumexp_cuda_kernelERKNSB_10TensorBaseESF_lENKUlvE_clEvENKUlvE0_clEvEUlffE_fEEDaPvRmT3_T4_T5_mT6_P12ihipStream_tbENKUlT_T0_E_clISt17integral_constantIbLb0EESW_EEDaSR_SS_EUlSR_E0_NS1_11comp_targetILNS1_3genE2ELNS1_11target_archE906ELNS1_3gpuE6ELNS1_3repE0EEENS1_30default_config_static_selectorELNS0_4arch9wavefront6targetE1EEEvT1_
                                        ; -- End function
	.section	.AMDGPU.csdata,"",@progbits
; Kernel info:
; codeLenInByte = 0
; NumSgprs: 6
; NumVgprs: 0
; NumAgprs: 0
; TotalNumVgprs: 0
; ScratchSize: 0
; MemoryBound: 0
; FloatMode: 240
; IeeeMode: 1
; LDSByteSize: 0 bytes/workgroup (compile time only)
; SGPRBlocks: 0
; VGPRBlocks: 0
; NumSGPRsForWavesPerEU: 6
; NumVGPRsForWavesPerEU: 1
; AccumOffset: 4
; Occupancy: 8
; WaveLimiterHint : 0
; COMPUTE_PGM_RSRC2:SCRATCH_EN: 0
; COMPUTE_PGM_RSRC2:USER_SGPR: 2
; COMPUTE_PGM_RSRC2:TRAP_HANDLER: 0
; COMPUTE_PGM_RSRC2:TGID_X_EN: 1
; COMPUTE_PGM_RSRC2:TGID_Y_EN: 0
; COMPUTE_PGM_RSRC2:TGID_Z_EN: 0
; COMPUTE_PGM_RSRC2:TIDIG_COMP_CNT: 0
; COMPUTE_PGM_RSRC3_GFX90A:ACCUM_OFFSET: 0
; COMPUTE_PGM_RSRC3_GFX90A:TG_SPLIT: 0
	.section	.text._ZN7rocprim17ROCPRIM_400000_NS6detail17trampoline_kernelINS0_14default_configENS1_20scan_config_selectorIfEEZZNS1_9scan_implILNS1_25lookback_scan_determinismE0ELb0ELb0ES3_PKfPffZZZN2at6native31launch_logcumsumexp_cuda_kernelERKNSB_10TensorBaseESF_lENKUlvE_clEvENKUlvE0_clEvEUlffE_fEEDaPvRmT3_T4_T5_mT6_P12ihipStream_tbENKUlT_T0_E_clISt17integral_constantIbLb0EESW_EEDaSR_SS_EUlSR_E0_NS1_11comp_targetILNS1_3genE10ELNS1_11target_archE1201ELNS1_3gpuE5ELNS1_3repE0EEENS1_30default_config_static_selectorELNS0_4arch9wavefront6targetE1EEEvT1_,"axG",@progbits,_ZN7rocprim17ROCPRIM_400000_NS6detail17trampoline_kernelINS0_14default_configENS1_20scan_config_selectorIfEEZZNS1_9scan_implILNS1_25lookback_scan_determinismE0ELb0ELb0ES3_PKfPffZZZN2at6native31launch_logcumsumexp_cuda_kernelERKNSB_10TensorBaseESF_lENKUlvE_clEvENKUlvE0_clEvEUlffE_fEEDaPvRmT3_T4_T5_mT6_P12ihipStream_tbENKUlT_T0_E_clISt17integral_constantIbLb0EESW_EEDaSR_SS_EUlSR_E0_NS1_11comp_targetILNS1_3genE10ELNS1_11target_archE1201ELNS1_3gpuE5ELNS1_3repE0EEENS1_30default_config_static_selectorELNS0_4arch9wavefront6targetE1EEEvT1_,comdat
	.globl	_ZN7rocprim17ROCPRIM_400000_NS6detail17trampoline_kernelINS0_14default_configENS1_20scan_config_selectorIfEEZZNS1_9scan_implILNS1_25lookback_scan_determinismE0ELb0ELb0ES3_PKfPffZZZN2at6native31launch_logcumsumexp_cuda_kernelERKNSB_10TensorBaseESF_lENKUlvE_clEvENKUlvE0_clEvEUlffE_fEEDaPvRmT3_T4_T5_mT6_P12ihipStream_tbENKUlT_T0_E_clISt17integral_constantIbLb0EESW_EEDaSR_SS_EUlSR_E0_NS1_11comp_targetILNS1_3genE10ELNS1_11target_archE1201ELNS1_3gpuE5ELNS1_3repE0EEENS1_30default_config_static_selectorELNS0_4arch9wavefront6targetE1EEEvT1_ ; -- Begin function _ZN7rocprim17ROCPRIM_400000_NS6detail17trampoline_kernelINS0_14default_configENS1_20scan_config_selectorIfEEZZNS1_9scan_implILNS1_25lookback_scan_determinismE0ELb0ELb0ES3_PKfPffZZZN2at6native31launch_logcumsumexp_cuda_kernelERKNSB_10TensorBaseESF_lENKUlvE_clEvENKUlvE0_clEvEUlffE_fEEDaPvRmT3_T4_T5_mT6_P12ihipStream_tbENKUlT_T0_E_clISt17integral_constantIbLb0EESW_EEDaSR_SS_EUlSR_E0_NS1_11comp_targetILNS1_3genE10ELNS1_11target_archE1201ELNS1_3gpuE5ELNS1_3repE0EEENS1_30default_config_static_selectorELNS0_4arch9wavefront6targetE1EEEvT1_
	.p2align	8
	.type	_ZN7rocprim17ROCPRIM_400000_NS6detail17trampoline_kernelINS0_14default_configENS1_20scan_config_selectorIfEEZZNS1_9scan_implILNS1_25lookback_scan_determinismE0ELb0ELb0ES3_PKfPffZZZN2at6native31launch_logcumsumexp_cuda_kernelERKNSB_10TensorBaseESF_lENKUlvE_clEvENKUlvE0_clEvEUlffE_fEEDaPvRmT3_T4_T5_mT6_P12ihipStream_tbENKUlT_T0_E_clISt17integral_constantIbLb0EESW_EEDaSR_SS_EUlSR_E0_NS1_11comp_targetILNS1_3genE10ELNS1_11target_archE1201ELNS1_3gpuE5ELNS1_3repE0EEENS1_30default_config_static_selectorELNS0_4arch9wavefront6targetE1EEEvT1_,@function
_ZN7rocprim17ROCPRIM_400000_NS6detail17trampoline_kernelINS0_14default_configENS1_20scan_config_selectorIfEEZZNS1_9scan_implILNS1_25lookback_scan_determinismE0ELb0ELb0ES3_PKfPffZZZN2at6native31launch_logcumsumexp_cuda_kernelERKNSB_10TensorBaseESF_lENKUlvE_clEvENKUlvE0_clEvEUlffE_fEEDaPvRmT3_T4_T5_mT6_P12ihipStream_tbENKUlT_T0_E_clISt17integral_constantIbLb0EESW_EEDaSR_SS_EUlSR_E0_NS1_11comp_targetILNS1_3genE10ELNS1_11target_archE1201ELNS1_3gpuE5ELNS1_3repE0EEENS1_30default_config_static_selectorELNS0_4arch9wavefront6targetE1EEEvT1_: ; @_ZN7rocprim17ROCPRIM_400000_NS6detail17trampoline_kernelINS0_14default_configENS1_20scan_config_selectorIfEEZZNS1_9scan_implILNS1_25lookback_scan_determinismE0ELb0ELb0ES3_PKfPffZZZN2at6native31launch_logcumsumexp_cuda_kernelERKNSB_10TensorBaseESF_lENKUlvE_clEvENKUlvE0_clEvEUlffE_fEEDaPvRmT3_T4_T5_mT6_P12ihipStream_tbENKUlT_T0_E_clISt17integral_constantIbLb0EESW_EEDaSR_SS_EUlSR_E0_NS1_11comp_targetILNS1_3genE10ELNS1_11target_archE1201ELNS1_3gpuE5ELNS1_3repE0EEENS1_30default_config_static_selectorELNS0_4arch9wavefront6targetE1EEEvT1_
; %bb.0:
	.section	.rodata,"a",@progbits
	.p2align	6, 0x0
	.amdhsa_kernel _ZN7rocprim17ROCPRIM_400000_NS6detail17trampoline_kernelINS0_14default_configENS1_20scan_config_selectorIfEEZZNS1_9scan_implILNS1_25lookback_scan_determinismE0ELb0ELb0ES3_PKfPffZZZN2at6native31launch_logcumsumexp_cuda_kernelERKNSB_10TensorBaseESF_lENKUlvE_clEvENKUlvE0_clEvEUlffE_fEEDaPvRmT3_T4_T5_mT6_P12ihipStream_tbENKUlT_T0_E_clISt17integral_constantIbLb0EESW_EEDaSR_SS_EUlSR_E0_NS1_11comp_targetILNS1_3genE10ELNS1_11target_archE1201ELNS1_3gpuE5ELNS1_3repE0EEENS1_30default_config_static_selectorELNS0_4arch9wavefront6targetE1EEEvT1_
		.amdhsa_group_segment_fixed_size 0
		.amdhsa_private_segment_fixed_size 0
		.amdhsa_kernarg_size 32
		.amdhsa_user_sgpr_count 2
		.amdhsa_user_sgpr_dispatch_ptr 0
		.amdhsa_user_sgpr_queue_ptr 0
		.amdhsa_user_sgpr_kernarg_segment_ptr 1
		.amdhsa_user_sgpr_dispatch_id 0
		.amdhsa_user_sgpr_kernarg_preload_length 0
		.amdhsa_user_sgpr_kernarg_preload_offset 0
		.amdhsa_user_sgpr_private_segment_size 0
		.amdhsa_uses_dynamic_stack 0
		.amdhsa_enable_private_segment 0
		.amdhsa_system_sgpr_workgroup_id_x 1
		.amdhsa_system_sgpr_workgroup_id_y 0
		.amdhsa_system_sgpr_workgroup_id_z 0
		.amdhsa_system_sgpr_workgroup_info 0
		.amdhsa_system_vgpr_workitem_id 0
		.amdhsa_next_free_vgpr 1
		.amdhsa_next_free_sgpr 0
		.amdhsa_accum_offset 4
		.amdhsa_reserve_vcc 0
		.amdhsa_float_round_mode_32 0
		.amdhsa_float_round_mode_16_64 0
		.amdhsa_float_denorm_mode_32 3
		.amdhsa_float_denorm_mode_16_64 3
		.amdhsa_dx10_clamp 1
		.amdhsa_ieee_mode 1
		.amdhsa_fp16_overflow 0
		.amdhsa_tg_split 0
		.amdhsa_exception_fp_ieee_invalid_op 0
		.amdhsa_exception_fp_denorm_src 0
		.amdhsa_exception_fp_ieee_div_zero 0
		.amdhsa_exception_fp_ieee_overflow 0
		.amdhsa_exception_fp_ieee_underflow 0
		.amdhsa_exception_fp_ieee_inexact 0
		.amdhsa_exception_int_div_zero 0
	.end_amdhsa_kernel
	.section	.text._ZN7rocprim17ROCPRIM_400000_NS6detail17trampoline_kernelINS0_14default_configENS1_20scan_config_selectorIfEEZZNS1_9scan_implILNS1_25lookback_scan_determinismE0ELb0ELb0ES3_PKfPffZZZN2at6native31launch_logcumsumexp_cuda_kernelERKNSB_10TensorBaseESF_lENKUlvE_clEvENKUlvE0_clEvEUlffE_fEEDaPvRmT3_T4_T5_mT6_P12ihipStream_tbENKUlT_T0_E_clISt17integral_constantIbLb0EESW_EEDaSR_SS_EUlSR_E0_NS1_11comp_targetILNS1_3genE10ELNS1_11target_archE1201ELNS1_3gpuE5ELNS1_3repE0EEENS1_30default_config_static_selectorELNS0_4arch9wavefront6targetE1EEEvT1_,"axG",@progbits,_ZN7rocprim17ROCPRIM_400000_NS6detail17trampoline_kernelINS0_14default_configENS1_20scan_config_selectorIfEEZZNS1_9scan_implILNS1_25lookback_scan_determinismE0ELb0ELb0ES3_PKfPffZZZN2at6native31launch_logcumsumexp_cuda_kernelERKNSB_10TensorBaseESF_lENKUlvE_clEvENKUlvE0_clEvEUlffE_fEEDaPvRmT3_T4_T5_mT6_P12ihipStream_tbENKUlT_T0_E_clISt17integral_constantIbLb0EESW_EEDaSR_SS_EUlSR_E0_NS1_11comp_targetILNS1_3genE10ELNS1_11target_archE1201ELNS1_3gpuE5ELNS1_3repE0EEENS1_30default_config_static_selectorELNS0_4arch9wavefront6targetE1EEEvT1_,comdat
.Lfunc_end115:
	.size	_ZN7rocprim17ROCPRIM_400000_NS6detail17trampoline_kernelINS0_14default_configENS1_20scan_config_selectorIfEEZZNS1_9scan_implILNS1_25lookback_scan_determinismE0ELb0ELb0ES3_PKfPffZZZN2at6native31launch_logcumsumexp_cuda_kernelERKNSB_10TensorBaseESF_lENKUlvE_clEvENKUlvE0_clEvEUlffE_fEEDaPvRmT3_T4_T5_mT6_P12ihipStream_tbENKUlT_T0_E_clISt17integral_constantIbLb0EESW_EEDaSR_SS_EUlSR_E0_NS1_11comp_targetILNS1_3genE10ELNS1_11target_archE1201ELNS1_3gpuE5ELNS1_3repE0EEENS1_30default_config_static_selectorELNS0_4arch9wavefront6targetE1EEEvT1_, .Lfunc_end115-_ZN7rocprim17ROCPRIM_400000_NS6detail17trampoline_kernelINS0_14default_configENS1_20scan_config_selectorIfEEZZNS1_9scan_implILNS1_25lookback_scan_determinismE0ELb0ELb0ES3_PKfPffZZZN2at6native31launch_logcumsumexp_cuda_kernelERKNSB_10TensorBaseESF_lENKUlvE_clEvENKUlvE0_clEvEUlffE_fEEDaPvRmT3_T4_T5_mT6_P12ihipStream_tbENKUlT_T0_E_clISt17integral_constantIbLb0EESW_EEDaSR_SS_EUlSR_E0_NS1_11comp_targetILNS1_3genE10ELNS1_11target_archE1201ELNS1_3gpuE5ELNS1_3repE0EEENS1_30default_config_static_selectorELNS0_4arch9wavefront6targetE1EEEvT1_
                                        ; -- End function
	.section	.AMDGPU.csdata,"",@progbits
; Kernel info:
; codeLenInByte = 0
; NumSgprs: 6
; NumVgprs: 0
; NumAgprs: 0
; TotalNumVgprs: 0
; ScratchSize: 0
; MemoryBound: 0
; FloatMode: 240
; IeeeMode: 1
; LDSByteSize: 0 bytes/workgroup (compile time only)
; SGPRBlocks: 0
; VGPRBlocks: 0
; NumSGPRsForWavesPerEU: 6
; NumVGPRsForWavesPerEU: 1
; AccumOffset: 4
; Occupancy: 8
; WaveLimiterHint : 0
; COMPUTE_PGM_RSRC2:SCRATCH_EN: 0
; COMPUTE_PGM_RSRC2:USER_SGPR: 2
; COMPUTE_PGM_RSRC2:TRAP_HANDLER: 0
; COMPUTE_PGM_RSRC2:TGID_X_EN: 1
; COMPUTE_PGM_RSRC2:TGID_Y_EN: 0
; COMPUTE_PGM_RSRC2:TGID_Z_EN: 0
; COMPUTE_PGM_RSRC2:TIDIG_COMP_CNT: 0
; COMPUTE_PGM_RSRC3_GFX90A:ACCUM_OFFSET: 0
; COMPUTE_PGM_RSRC3_GFX90A:TG_SPLIT: 0
	.section	.text._ZN7rocprim17ROCPRIM_400000_NS6detail17trampoline_kernelINS0_14default_configENS1_20scan_config_selectorIfEEZZNS1_9scan_implILNS1_25lookback_scan_determinismE0ELb0ELb0ES3_PKfPffZZZN2at6native31launch_logcumsumexp_cuda_kernelERKNSB_10TensorBaseESF_lENKUlvE_clEvENKUlvE0_clEvEUlffE_fEEDaPvRmT3_T4_T5_mT6_P12ihipStream_tbENKUlT_T0_E_clISt17integral_constantIbLb0EESW_EEDaSR_SS_EUlSR_E0_NS1_11comp_targetILNS1_3genE10ELNS1_11target_archE1200ELNS1_3gpuE4ELNS1_3repE0EEENS1_30default_config_static_selectorELNS0_4arch9wavefront6targetE1EEEvT1_,"axG",@progbits,_ZN7rocprim17ROCPRIM_400000_NS6detail17trampoline_kernelINS0_14default_configENS1_20scan_config_selectorIfEEZZNS1_9scan_implILNS1_25lookback_scan_determinismE0ELb0ELb0ES3_PKfPffZZZN2at6native31launch_logcumsumexp_cuda_kernelERKNSB_10TensorBaseESF_lENKUlvE_clEvENKUlvE0_clEvEUlffE_fEEDaPvRmT3_T4_T5_mT6_P12ihipStream_tbENKUlT_T0_E_clISt17integral_constantIbLb0EESW_EEDaSR_SS_EUlSR_E0_NS1_11comp_targetILNS1_3genE10ELNS1_11target_archE1200ELNS1_3gpuE4ELNS1_3repE0EEENS1_30default_config_static_selectorELNS0_4arch9wavefront6targetE1EEEvT1_,comdat
	.globl	_ZN7rocprim17ROCPRIM_400000_NS6detail17trampoline_kernelINS0_14default_configENS1_20scan_config_selectorIfEEZZNS1_9scan_implILNS1_25lookback_scan_determinismE0ELb0ELb0ES3_PKfPffZZZN2at6native31launch_logcumsumexp_cuda_kernelERKNSB_10TensorBaseESF_lENKUlvE_clEvENKUlvE0_clEvEUlffE_fEEDaPvRmT3_T4_T5_mT6_P12ihipStream_tbENKUlT_T0_E_clISt17integral_constantIbLb0EESW_EEDaSR_SS_EUlSR_E0_NS1_11comp_targetILNS1_3genE10ELNS1_11target_archE1200ELNS1_3gpuE4ELNS1_3repE0EEENS1_30default_config_static_selectorELNS0_4arch9wavefront6targetE1EEEvT1_ ; -- Begin function _ZN7rocprim17ROCPRIM_400000_NS6detail17trampoline_kernelINS0_14default_configENS1_20scan_config_selectorIfEEZZNS1_9scan_implILNS1_25lookback_scan_determinismE0ELb0ELb0ES3_PKfPffZZZN2at6native31launch_logcumsumexp_cuda_kernelERKNSB_10TensorBaseESF_lENKUlvE_clEvENKUlvE0_clEvEUlffE_fEEDaPvRmT3_T4_T5_mT6_P12ihipStream_tbENKUlT_T0_E_clISt17integral_constantIbLb0EESW_EEDaSR_SS_EUlSR_E0_NS1_11comp_targetILNS1_3genE10ELNS1_11target_archE1200ELNS1_3gpuE4ELNS1_3repE0EEENS1_30default_config_static_selectorELNS0_4arch9wavefront6targetE1EEEvT1_
	.p2align	8
	.type	_ZN7rocprim17ROCPRIM_400000_NS6detail17trampoline_kernelINS0_14default_configENS1_20scan_config_selectorIfEEZZNS1_9scan_implILNS1_25lookback_scan_determinismE0ELb0ELb0ES3_PKfPffZZZN2at6native31launch_logcumsumexp_cuda_kernelERKNSB_10TensorBaseESF_lENKUlvE_clEvENKUlvE0_clEvEUlffE_fEEDaPvRmT3_T4_T5_mT6_P12ihipStream_tbENKUlT_T0_E_clISt17integral_constantIbLb0EESW_EEDaSR_SS_EUlSR_E0_NS1_11comp_targetILNS1_3genE10ELNS1_11target_archE1200ELNS1_3gpuE4ELNS1_3repE0EEENS1_30default_config_static_selectorELNS0_4arch9wavefront6targetE1EEEvT1_,@function
_ZN7rocprim17ROCPRIM_400000_NS6detail17trampoline_kernelINS0_14default_configENS1_20scan_config_selectorIfEEZZNS1_9scan_implILNS1_25lookback_scan_determinismE0ELb0ELb0ES3_PKfPffZZZN2at6native31launch_logcumsumexp_cuda_kernelERKNSB_10TensorBaseESF_lENKUlvE_clEvENKUlvE0_clEvEUlffE_fEEDaPvRmT3_T4_T5_mT6_P12ihipStream_tbENKUlT_T0_E_clISt17integral_constantIbLb0EESW_EEDaSR_SS_EUlSR_E0_NS1_11comp_targetILNS1_3genE10ELNS1_11target_archE1200ELNS1_3gpuE4ELNS1_3repE0EEENS1_30default_config_static_selectorELNS0_4arch9wavefront6targetE1EEEvT1_: ; @_ZN7rocprim17ROCPRIM_400000_NS6detail17trampoline_kernelINS0_14default_configENS1_20scan_config_selectorIfEEZZNS1_9scan_implILNS1_25lookback_scan_determinismE0ELb0ELb0ES3_PKfPffZZZN2at6native31launch_logcumsumexp_cuda_kernelERKNSB_10TensorBaseESF_lENKUlvE_clEvENKUlvE0_clEvEUlffE_fEEDaPvRmT3_T4_T5_mT6_P12ihipStream_tbENKUlT_T0_E_clISt17integral_constantIbLb0EESW_EEDaSR_SS_EUlSR_E0_NS1_11comp_targetILNS1_3genE10ELNS1_11target_archE1200ELNS1_3gpuE4ELNS1_3repE0EEENS1_30default_config_static_selectorELNS0_4arch9wavefront6targetE1EEEvT1_
; %bb.0:
	.section	.rodata,"a",@progbits
	.p2align	6, 0x0
	.amdhsa_kernel _ZN7rocprim17ROCPRIM_400000_NS6detail17trampoline_kernelINS0_14default_configENS1_20scan_config_selectorIfEEZZNS1_9scan_implILNS1_25lookback_scan_determinismE0ELb0ELb0ES3_PKfPffZZZN2at6native31launch_logcumsumexp_cuda_kernelERKNSB_10TensorBaseESF_lENKUlvE_clEvENKUlvE0_clEvEUlffE_fEEDaPvRmT3_T4_T5_mT6_P12ihipStream_tbENKUlT_T0_E_clISt17integral_constantIbLb0EESW_EEDaSR_SS_EUlSR_E0_NS1_11comp_targetILNS1_3genE10ELNS1_11target_archE1200ELNS1_3gpuE4ELNS1_3repE0EEENS1_30default_config_static_selectorELNS0_4arch9wavefront6targetE1EEEvT1_
		.amdhsa_group_segment_fixed_size 0
		.amdhsa_private_segment_fixed_size 0
		.amdhsa_kernarg_size 32
		.amdhsa_user_sgpr_count 2
		.amdhsa_user_sgpr_dispatch_ptr 0
		.amdhsa_user_sgpr_queue_ptr 0
		.amdhsa_user_sgpr_kernarg_segment_ptr 1
		.amdhsa_user_sgpr_dispatch_id 0
		.amdhsa_user_sgpr_kernarg_preload_length 0
		.amdhsa_user_sgpr_kernarg_preload_offset 0
		.amdhsa_user_sgpr_private_segment_size 0
		.amdhsa_uses_dynamic_stack 0
		.amdhsa_enable_private_segment 0
		.amdhsa_system_sgpr_workgroup_id_x 1
		.amdhsa_system_sgpr_workgroup_id_y 0
		.amdhsa_system_sgpr_workgroup_id_z 0
		.amdhsa_system_sgpr_workgroup_info 0
		.amdhsa_system_vgpr_workitem_id 0
		.amdhsa_next_free_vgpr 1
		.amdhsa_next_free_sgpr 0
		.amdhsa_accum_offset 4
		.amdhsa_reserve_vcc 0
		.amdhsa_float_round_mode_32 0
		.amdhsa_float_round_mode_16_64 0
		.amdhsa_float_denorm_mode_32 3
		.amdhsa_float_denorm_mode_16_64 3
		.amdhsa_dx10_clamp 1
		.amdhsa_ieee_mode 1
		.amdhsa_fp16_overflow 0
		.amdhsa_tg_split 0
		.amdhsa_exception_fp_ieee_invalid_op 0
		.amdhsa_exception_fp_denorm_src 0
		.amdhsa_exception_fp_ieee_div_zero 0
		.amdhsa_exception_fp_ieee_overflow 0
		.amdhsa_exception_fp_ieee_underflow 0
		.amdhsa_exception_fp_ieee_inexact 0
		.amdhsa_exception_int_div_zero 0
	.end_amdhsa_kernel
	.section	.text._ZN7rocprim17ROCPRIM_400000_NS6detail17trampoline_kernelINS0_14default_configENS1_20scan_config_selectorIfEEZZNS1_9scan_implILNS1_25lookback_scan_determinismE0ELb0ELb0ES3_PKfPffZZZN2at6native31launch_logcumsumexp_cuda_kernelERKNSB_10TensorBaseESF_lENKUlvE_clEvENKUlvE0_clEvEUlffE_fEEDaPvRmT3_T4_T5_mT6_P12ihipStream_tbENKUlT_T0_E_clISt17integral_constantIbLb0EESW_EEDaSR_SS_EUlSR_E0_NS1_11comp_targetILNS1_3genE10ELNS1_11target_archE1200ELNS1_3gpuE4ELNS1_3repE0EEENS1_30default_config_static_selectorELNS0_4arch9wavefront6targetE1EEEvT1_,"axG",@progbits,_ZN7rocprim17ROCPRIM_400000_NS6detail17trampoline_kernelINS0_14default_configENS1_20scan_config_selectorIfEEZZNS1_9scan_implILNS1_25lookback_scan_determinismE0ELb0ELb0ES3_PKfPffZZZN2at6native31launch_logcumsumexp_cuda_kernelERKNSB_10TensorBaseESF_lENKUlvE_clEvENKUlvE0_clEvEUlffE_fEEDaPvRmT3_T4_T5_mT6_P12ihipStream_tbENKUlT_T0_E_clISt17integral_constantIbLb0EESW_EEDaSR_SS_EUlSR_E0_NS1_11comp_targetILNS1_3genE10ELNS1_11target_archE1200ELNS1_3gpuE4ELNS1_3repE0EEENS1_30default_config_static_selectorELNS0_4arch9wavefront6targetE1EEEvT1_,comdat
.Lfunc_end116:
	.size	_ZN7rocprim17ROCPRIM_400000_NS6detail17trampoline_kernelINS0_14default_configENS1_20scan_config_selectorIfEEZZNS1_9scan_implILNS1_25lookback_scan_determinismE0ELb0ELb0ES3_PKfPffZZZN2at6native31launch_logcumsumexp_cuda_kernelERKNSB_10TensorBaseESF_lENKUlvE_clEvENKUlvE0_clEvEUlffE_fEEDaPvRmT3_T4_T5_mT6_P12ihipStream_tbENKUlT_T0_E_clISt17integral_constantIbLb0EESW_EEDaSR_SS_EUlSR_E0_NS1_11comp_targetILNS1_3genE10ELNS1_11target_archE1200ELNS1_3gpuE4ELNS1_3repE0EEENS1_30default_config_static_selectorELNS0_4arch9wavefront6targetE1EEEvT1_, .Lfunc_end116-_ZN7rocprim17ROCPRIM_400000_NS6detail17trampoline_kernelINS0_14default_configENS1_20scan_config_selectorIfEEZZNS1_9scan_implILNS1_25lookback_scan_determinismE0ELb0ELb0ES3_PKfPffZZZN2at6native31launch_logcumsumexp_cuda_kernelERKNSB_10TensorBaseESF_lENKUlvE_clEvENKUlvE0_clEvEUlffE_fEEDaPvRmT3_T4_T5_mT6_P12ihipStream_tbENKUlT_T0_E_clISt17integral_constantIbLb0EESW_EEDaSR_SS_EUlSR_E0_NS1_11comp_targetILNS1_3genE10ELNS1_11target_archE1200ELNS1_3gpuE4ELNS1_3repE0EEENS1_30default_config_static_selectorELNS0_4arch9wavefront6targetE1EEEvT1_
                                        ; -- End function
	.section	.AMDGPU.csdata,"",@progbits
; Kernel info:
; codeLenInByte = 0
; NumSgprs: 6
; NumVgprs: 0
; NumAgprs: 0
; TotalNumVgprs: 0
; ScratchSize: 0
; MemoryBound: 0
; FloatMode: 240
; IeeeMode: 1
; LDSByteSize: 0 bytes/workgroup (compile time only)
; SGPRBlocks: 0
; VGPRBlocks: 0
; NumSGPRsForWavesPerEU: 6
; NumVGPRsForWavesPerEU: 1
; AccumOffset: 4
; Occupancy: 8
; WaveLimiterHint : 0
; COMPUTE_PGM_RSRC2:SCRATCH_EN: 0
; COMPUTE_PGM_RSRC2:USER_SGPR: 2
; COMPUTE_PGM_RSRC2:TRAP_HANDLER: 0
; COMPUTE_PGM_RSRC2:TGID_X_EN: 1
; COMPUTE_PGM_RSRC2:TGID_Y_EN: 0
; COMPUTE_PGM_RSRC2:TGID_Z_EN: 0
; COMPUTE_PGM_RSRC2:TIDIG_COMP_CNT: 0
; COMPUTE_PGM_RSRC3_GFX90A:ACCUM_OFFSET: 0
; COMPUTE_PGM_RSRC3_GFX90A:TG_SPLIT: 0
	.section	.text._ZN7rocprim17ROCPRIM_400000_NS6detail17trampoline_kernelINS0_14default_configENS1_20scan_config_selectorIfEEZZNS1_9scan_implILNS1_25lookback_scan_determinismE0ELb0ELb0ES3_PKfPffZZZN2at6native31launch_logcumsumexp_cuda_kernelERKNSB_10TensorBaseESF_lENKUlvE_clEvENKUlvE0_clEvEUlffE_fEEDaPvRmT3_T4_T5_mT6_P12ihipStream_tbENKUlT_T0_E_clISt17integral_constantIbLb0EESW_EEDaSR_SS_EUlSR_E0_NS1_11comp_targetILNS1_3genE9ELNS1_11target_archE1100ELNS1_3gpuE3ELNS1_3repE0EEENS1_30default_config_static_selectorELNS0_4arch9wavefront6targetE1EEEvT1_,"axG",@progbits,_ZN7rocprim17ROCPRIM_400000_NS6detail17trampoline_kernelINS0_14default_configENS1_20scan_config_selectorIfEEZZNS1_9scan_implILNS1_25lookback_scan_determinismE0ELb0ELb0ES3_PKfPffZZZN2at6native31launch_logcumsumexp_cuda_kernelERKNSB_10TensorBaseESF_lENKUlvE_clEvENKUlvE0_clEvEUlffE_fEEDaPvRmT3_T4_T5_mT6_P12ihipStream_tbENKUlT_T0_E_clISt17integral_constantIbLb0EESW_EEDaSR_SS_EUlSR_E0_NS1_11comp_targetILNS1_3genE9ELNS1_11target_archE1100ELNS1_3gpuE3ELNS1_3repE0EEENS1_30default_config_static_selectorELNS0_4arch9wavefront6targetE1EEEvT1_,comdat
	.globl	_ZN7rocprim17ROCPRIM_400000_NS6detail17trampoline_kernelINS0_14default_configENS1_20scan_config_selectorIfEEZZNS1_9scan_implILNS1_25lookback_scan_determinismE0ELb0ELb0ES3_PKfPffZZZN2at6native31launch_logcumsumexp_cuda_kernelERKNSB_10TensorBaseESF_lENKUlvE_clEvENKUlvE0_clEvEUlffE_fEEDaPvRmT3_T4_T5_mT6_P12ihipStream_tbENKUlT_T0_E_clISt17integral_constantIbLb0EESW_EEDaSR_SS_EUlSR_E0_NS1_11comp_targetILNS1_3genE9ELNS1_11target_archE1100ELNS1_3gpuE3ELNS1_3repE0EEENS1_30default_config_static_selectorELNS0_4arch9wavefront6targetE1EEEvT1_ ; -- Begin function _ZN7rocprim17ROCPRIM_400000_NS6detail17trampoline_kernelINS0_14default_configENS1_20scan_config_selectorIfEEZZNS1_9scan_implILNS1_25lookback_scan_determinismE0ELb0ELb0ES3_PKfPffZZZN2at6native31launch_logcumsumexp_cuda_kernelERKNSB_10TensorBaseESF_lENKUlvE_clEvENKUlvE0_clEvEUlffE_fEEDaPvRmT3_T4_T5_mT6_P12ihipStream_tbENKUlT_T0_E_clISt17integral_constantIbLb0EESW_EEDaSR_SS_EUlSR_E0_NS1_11comp_targetILNS1_3genE9ELNS1_11target_archE1100ELNS1_3gpuE3ELNS1_3repE0EEENS1_30default_config_static_selectorELNS0_4arch9wavefront6targetE1EEEvT1_
	.p2align	8
	.type	_ZN7rocprim17ROCPRIM_400000_NS6detail17trampoline_kernelINS0_14default_configENS1_20scan_config_selectorIfEEZZNS1_9scan_implILNS1_25lookback_scan_determinismE0ELb0ELb0ES3_PKfPffZZZN2at6native31launch_logcumsumexp_cuda_kernelERKNSB_10TensorBaseESF_lENKUlvE_clEvENKUlvE0_clEvEUlffE_fEEDaPvRmT3_T4_T5_mT6_P12ihipStream_tbENKUlT_T0_E_clISt17integral_constantIbLb0EESW_EEDaSR_SS_EUlSR_E0_NS1_11comp_targetILNS1_3genE9ELNS1_11target_archE1100ELNS1_3gpuE3ELNS1_3repE0EEENS1_30default_config_static_selectorELNS0_4arch9wavefront6targetE1EEEvT1_,@function
_ZN7rocprim17ROCPRIM_400000_NS6detail17trampoline_kernelINS0_14default_configENS1_20scan_config_selectorIfEEZZNS1_9scan_implILNS1_25lookback_scan_determinismE0ELb0ELb0ES3_PKfPffZZZN2at6native31launch_logcumsumexp_cuda_kernelERKNSB_10TensorBaseESF_lENKUlvE_clEvENKUlvE0_clEvEUlffE_fEEDaPvRmT3_T4_T5_mT6_P12ihipStream_tbENKUlT_T0_E_clISt17integral_constantIbLb0EESW_EEDaSR_SS_EUlSR_E0_NS1_11comp_targetILNS1_3genE9ELNS1_11target_archE1100ELNS1_3gpuE3ELNS1_3repE0EEENS1_30default_config_static_selectorELNS0_4arch9wavefront6targetE1EEEvT1_: ; @_ZN7rocprim17ROCPRIM_400000_NS6detail17trampoline_kernelINS0_14default_configENS1_20scan_config_selectorIfEEZZNS1_9scan_implILNS1_25lookback_scan_determinismE0ELb0ELb0ES3_PKfPffZZZN2at6native31launch_logcumsumexp_cuda_kernelERKNSB_10TensorBaseESF_lENKUlvE_clEvENKUlvE0_clEvEUlffE_fEEDaPvRmT3_T4_T5_mT6_P12ihipStream_tbENKUlT_T0_E_clISt17integral_constantIbLb0EESW_EEDaSR_SS_EUlSR_E0_NS1_11comp_targetILNS1_3genE9ELNS1_11target_archE1100ELNS1_3gpuE3ELNS1_3repE0EEENS1_30default_config_static_selectorELNS0_4arch9wavefront6targetE1EEEvT1_
; %bb.0:
	.section	.rodata,"a",@progbits
	.p2align	6, 0x0
	.amdhsa_kernel _ZN7rocprim17ROCPRIM_400000_NS6detail17trampoline_kernelINS0_14default_configENS1_20scan_config_selectorIfEEZZNS1_9scan_implILNS1_25lookback_scan_determinismE0ELb0ELb0ES3_PKfPffZZZN2at6native31launch_logcumsumexp_cuda_kernelERKNSB_10TensorBaseESF_lENKUlvE_clEvENKUlvE0_clEvEUlffE_fEEDaPvRmT3_T4_T5_mT6_P12ihipStream_tbENKUlT_T0_E_clISt17integral_constantIbLb0EESW_EEDaSR_SS_EUlSR_E0_NS1_11comp_targetILNS1_3genE9ELNS1_11target_archE1100ELNS1_3gpuE3ELNS1_3repE0EEENS1_30default_config_static_selectorELNS0_4arch9wavefront6targetE1EEEvT1_
		.amdhsa_group_segment_fixed_size 0
		.amdhsa_private_segment_fixed_size 0
		.amdhsa_kernarg_size 32
		.amdhsa_user_sgpr_count 2
		.amdhsa_user_sgpr_dispatch_ptr 0
		.amdhsa_user_sgpr_queue_ptr 0
		.amdhsa_user_sgpr_kernarg_segment_ptr 1
		.amdhsa_user_sgpr_dispatch_id 0
		.amdhsa_user_sgpr_kernarg_preload_length 0
		.amdhsa_user_sgpr_kernarg_preload_offset 0
		.amdhsa_user_sgpr_private_segment_size 0
		.amdhsa_uses_dynamic_stack 0
		.amdhsa_enable_private_segment 0
		.amdhsa_system_sgpr_workgroup_id_x 1
		.amdhsa_system_sgpr_workgroup_id_y 0
		.amdhsa_system_sgpr_workgroup_id_z 0
		.amdhsa_system_sgpr_workgroup_info 0
		.amdhsa_system_vgpr_workitem_id 0
		.amdhsa_next_free_vgpr 1
		.amdhsa_next_free_sgpr 0
		.amdhsa_accum_offset 4
		.amdhsa_reserve_vcc 0
		.amdhsa_float_round_mode_32 0
		.amdhsa_float_round_mode_16_64 0
		.amdhsa_float_denorm_mode_32 3
		.amdhsa_float_denorm_mode_16_64 3
		.amdhsa_dx10_clamp 1
		.amdhsa_ieee_mode 1
		.amdhsa_fp16_overflow 0
		.amdhsa_tg_split 0
		.amdhsa_exception_fp_ieee_invalid_op 0
		.amdhsa_exception_fp_denorm_src 0
		.amdhsa_exception_fp_ieee_div_zero 0
		.amdhsa_exception_fp_ieee_overflow 0
		.amdhsa_exception_fp_ieee_underflow 0
		.amdhsa_exception_fp_ieee_inexact 0
		.amdhsa_exception_int_div_zero 0
	.end_amdhsa_kernel
	.section	.text._ZN7rocprim17ROCPRIM_400000_NS6detail17trampoline_kernelINS0_14default_configENS1_20scan_config_selectorIfEEZZNS1_9scan_implILNS1_25lookback_scan_determinismE0ELb0ELb0ES3_PKfPffZZZN2at6native31launch_logcumsumexp_cuda_kernelERKNSB_10TensorBaseESF_lENKUlvE_clEvENKUlvE0_clEvEUlffE_fEEDaPvRmT3_T4_T5_mT6_P12ihipStream_tbENKUlT_T0_E_clISt17integral_constantIbLb0EESW_EEDaSR_SS_EUlSR_E0_NS1_11comp_targetILNS1_3genE9ELNS1_11target_archE1100ELNS1_3gpuE3ELNS1_3repE0EEENS1_30default_config_static_selectorELNS0_4arch9wavefront6targetE1EEEvT1_,"axG",@progbits,_ZN7rocprim17ROCPRIM_400000_NS6detail17trampoline_kernelINS0_14default_configENS1_20scan_config_selectorIfEEZZNS1_9scan_implILNS1_25lookback_scan_determinismE0ELb0ELb0ES3_PKfPffZZZN2at6native31launch_logcumsumexp_cuda_kernelERKNSB_10TensorBaseESF_lENKUlvE_clEvENKUlvE0_clEvEUlffE_fEEDaPvRmT3_T4_T5_mT6_P12ihipStream_tbENKUlT_T0_E_clISt17integral_constantIbLb0EESW_EEDaSR_SS_EUlSR_E0_NS1_11comp_targetILNS1_3genE9ELNS1_11target_archE1100ELNS1_3gpuE3ELNS1_3repE0EEENS1_30default_config_static_selectorELNS0_4arch9wavefront6targetE1EEEvT1_,comdat
.Lfunc_end117:
	.size	_ZN7rocprim17ROCPRIM_400000_NS6detail17trampoline_kernelINS0_14default_configENS1_20scan_config_selectorIfEEZZNS1_9scan_implILNS1_25lookback_scan_determinismE0ELb0ELb0ES3_PKfPffZZZN2at6native31launch_logcumsumexp_cuda_kernelERKNSB_10TensorBaseESF_lENKUlvE_clEvENKUlvE0_clEvEUlffE_fEEDaPvRmT3_T4_T5_mT6_P12ihipStream_tbENKUlT_T0_E_clISt17integral_constantIbLb0EESW_EEDaSR_SS_EUlSR_E0_NS1_11comp_targetILNS1_3genE9ELNS1_11target_archE1100ELNS1_3gpuE3ELNS1_3repE0EEENS1_30default_config_static_selectorELNS0_4arch9wavefront6targetE1EEEvT1_, .Lfunc_end117-_ZN7rocprim17ROCPRIM_400000_NS6detail17trampoline_kernelINS0_14default_configENS1_20scan_config_selectorIfEEZZNS1_9scan_implILNS1_25lookback_scan_determinismE0ELb0ELb0ES3_PKfPffZZZN2at6native31launch_logcumsumexp_cuda_kernelERKNSB_10TensorBaseESF_lENKUlvE_clEvENKUlvE0_clEvEUlffE_fEEDaPvRmT3_T4_T5_mT6_P12ihipStream_tbENKUlT_T0_E_clISt17integral_constantIbLb0EESW_EEDaSR_SS_EUlSR_E0_NS1_11comp_targetILNS1_3genE9ELNS1_11target_archE1100ELNS1_3gpuE3ELNS1_3repE0EEENS1_30default_config_static_selectorELNS0_4arch9wavefront6targetE1EEEvT1_
                                        ; -- End function
	.section	.AMDGPU.csdata,"",@progbits
; Kernel info:
; codeLenInByte = 0
; NumSgprs: 6
; NumVgprs: 0
; NumAgprs: 0
; TotalNumVgprs: 0
; ScratchSize: 0
; MemoryBound: 0
; FloatMode: 240
; IeeeMode: 1
; LDSByteSize: 0 bytes/workgroup (compile time only)
; SGPRBlocks: 0
; VGPRBlocks: 0
; NumSGPRsForWavesPerEU: 6
; NumVGPRsForWavesPerEU: 1
; AccumOffset: 4
; Occupancy: 8
; WaveLimiterHint : 0
; COMPUTE_PGM_RSRC2:SCRATCH_EN: 0
; COMPUTE_PGM_RSRC2:USER_SGPR: 2
; COMPUTE_PGM_RSRC2:TRAP_HANDLER: 0
; COMPUTE_PGM_RSRC2:TGID_X_EN: 1
; COMPUTE_PGM_RSRC2:TGID_Y_EN: 0
; COMPUTE_PGM_RSRC2:TGID_Z_EN: 0
; COMPUTE_PGM_RSRC2:TIDIG_COMP_CNT: 0
; COMPUTE_PGM_RSRC3_GFX90A:ACCUM_OFFSET: 0
; COMPUTE_PGM_RSRC3_GFX90A:TG_SPLIT: 0
	.section	.text._ZN7rocprim17ROCPRIM_400000_NS6detail17trampoline_kernelINS0_14default_configENS1_20scan_config_selectorIfEEZZNS1_9scan_implILNS1_25lookback_scan_determinismE0ELb0ELb0ES3_PKfPffZZZN2at6native31launch_logcumsumexp_cuda_kernelERKNSB_10TensorBaseESF_lENKUlvE_clEvENKUlvE0_clEvEUlffE_fEEDaPvRmT3_T4_T5_mT6_P12ihipStream_tbENKUlT_T0_E_clISt17integral_constantIbLb0EESW_EEDaSR_SS_EUlSR_E0_NS1_11comp_targetILNS1_3genE8ELNS1_11target_archE1030ELNS1_3gpuE2ELNS1_3repE0EEENS1_30default_config_static_selectorELNS0_4arch9wavefront6targetE1EEEvT1_,"axG",@progbits,_ZN7rocprim17ROCPRIM_400000_NS6detail17trampoline_kernelINS0_14default_configENS1_20scan_config_selectorIfEEZZNS1_9scan_implILNS1_25lookback_scan_determinismE0ELb0ELb0ES3_PKfPffZZZN2at6native31launch_logcumsumexp_cuda_kernelERKNSB_10TensorBaseESF_lENKUlvE_clEvENKUlvE0_clEvEUlffE_fEEDaPvRmT3_T4_T5_mT6_P12ihipStream_tbENKUlT_T0_E_clISt17integral_constantIbLb0EESW_EEDaSR_SS_EUlSR_E0_NS1_11comp_targetILNS1_3genE8ELNS1_11target_archE1030ELNS1_3gpuE2ELNS1_3repE0EEENS1_30default_config_static_selectorELNS0_4arch9wavefront6targetE1EEEvT1_,comdat
	.globl	_ZN7rocprim17ROCPRIM_400000_NS6detail17trampoline_kernelINS0_14default_configENS1_20scan_config_selectorIfEEZZNS1_9scan_implILNS1_25lookback_scan_determinismE0ELb0ELb0ES3_PKfPffZZZN2at6native31launch_logcumsumexp_cuda_kernelERKNSB_10TensorBaseESF_lENKUlvE_clEvENKUlvE0_clEvEUlffE_fEEDaPvRmT3_T4_T5_mT6_P12ihipStream_tbENKUlT_T0_E_clISt17integral_constantIbLb0EESW_EEDaSR_SS_EUlSR_E0_NS1_11comp_targetILNS1_3genE8ELNS1_11target_archE1030ELNS1_3gpuE2ELNS1_3repE0EEENS1_30default_config_static_selectorELNS0_4arch9wavefront6targetE1EEEvT1_ ; -- Begin function _ZN7rocprim17ROCPRIM_400000_NS6detail17trampoline_kernelINS0_14default_configENS1_20scan_config_selectorIfEEZZNS1_9scan_implILNS1_25lookback_scan_determinismE0ELb0ELb0ES3_PKfPffZZZN2at6native31launch_logcumsumexp_cuda_kernelERKNSB_10TensorBaseESF_lENKUlvE_clEvENKUlvE0_clEvEUlffE_fEEDaPvRmT3_T4_T5_mT6_P12ihipStream_tbENKUlT_T0_E_clISt17integral_constantIbLb0EESW_EEDaSR_SS_EUlSR_E0_NS1_11comp_targetILNS1_3genE8ELNS1_11target_archE1030ELNS1_3gpuE2ELNS1_3repE0EEENS1_30default_config_static_selectorELNS0_4arch9wavefront6targetE1EEEvT1_
	.p2align	8
	.type	_ZN7rocprim17ROCPRIM_400000_NS6detail17trampoline_kernelINS0_14default_configENS1_20scan_config_selectorIfEEZZNS1_9scan_implILNS1_25lookback_scan_determinismE0ELb0ELb0ES3_PKfPffZZZN2at6native31launch_logcumsumexp_cuda_kernelERKNSB_10TensorBaseESF_lENKUlvE_clEvENKUlvE0_clEvEUlffE_fEEDaPvRmT3_T4_T5_mT6_P12ihipStream_tbENKUlT_T0_E_clISt17integral_constantIbLb0EESW_EEDaSR_SS_EUlSR_E0_NS1_11comp_targetILNS1_3genE8ELNS1_11target_archE1030ELNS1_3gpuE2ELNS1_3repE0EEENS1_30default_config_static_selectorELNS0_4arch9wavefront6targetE1EEEvT1_,@function
_ZN7rocprim17ROCPRIM_400000_NS6detail17trampoline_kernelINS0_14default_configENS1_20scan_config_selectorIfEEZZNS1_9scan_implILNS1_25lookback_scan_determinismE0ELb0ELb0ES3_PKfPffZZZN2at6native31launch_logcumsumexp_cuda_kernelERKNSB_10TensorBaseESF_lENKUlvE_clEvENKUlvE0_clEvEUlffE_fEEDaPvRmT3_T4_T5_mT6_P12ihipStream_tbENKUlT_T0_E_clISt17integral_constantIbLb0EESW_EEDaSR_SS_EUlSR_E0_NS1_11comp_targetILNS1_3genE8ELNS1_11target_archE1030ELNS1_3gpuE2ELNS1_3repE0EEENS1_30default_config_static_selectorELNS0_4arch9wavefront6targetE1EEEvT1_: ; @_ZN7rocprim17ROCPRIM_400000_NS6detail17trampoline_kernelINS0_14default_configENS1_20scan_config_selectorIfEEZZNS1_9scan_implILNS1_25lookback_scan_determinismE0ELb0ELb0ES3_PKfPffZZZN2at6native31launch_logcumsumexp_cuda_kernelERKNSB_10TensorBaseESF_lENKUlvE_clEvENKUlvE0_clEvEUlffE_fEEDaPvRmT3_T4_T5_mT6_P12ihipStream_tbENKUlT_T0_E_clISt17integral_constantIbLb0EESW_EEDaSR_SS_EUlSR_E0_NS1_11comp_targetILNS1_3genE8ELNS1_11target_archE1030ELNS1_3gpuE2ELNS1_3repE0EEENS1_30default_config_static_selectorELNS0_4arch9wavefront6targetE1EEEvT1_
; %bb.0:
	.section	.rodata,"a",@progbits
	.p2align	6, 0x0
	.amdhsa_kernel _ZN7rocprim17ROCPRIM_400000_NS6detail17trampoline_kernelINS0_14default_configENS1_20scan_config_selectorIfEEZZNS1_9scan_implILNS1_25lookback_scan_determinismE0ELb0ELb0ES3_PKfPffZZZN2at6native31launch_logcumsumexp_cuda_kernelERKNSB_10TensorBaseESF_lENKUlvE_clEvENKUlvE0_clEvEUlffE_fEEDaPvRmT3_T4_T5_mT6_P12ihipStream_tbENKUlT_T0_E_clISt17integral_constantIbLb0EESW_EEDaSR_SS_EUlSR_E0_NS1_11comp_targetILNS1_3genE8ELNS1_11target_archE1030ELNS1_3gpuE2ELNS1_3repE0EEENS1_30default_config_static_selectorELNS0_4arch9wavefront6targetE1EEEvT1_
		.amdhsa_group_segment_fixed_size 0
		.amdhsa_private_segment_fixed_size 0
		.amdhsa_kernarg_size 32
		.amdhsa_user_sgpr_count 2
		.amdhsa_user_sgpr_dispatch_ptr 0
		.amdhsa_user_sgpr_queue_ptr 0
		.amdhsa_user_sgpr_kernarg_segment_ptr 1
		.amdhsa_user_sgpr_dispatch_id 0
		.amdhsa_user_sgpr_kernarg_preload_length 0
		.amdhsa_user_sgpr_kernarg_preload_offset 0
		.amdhsa_user_sgpr_private_segment_size 0
		.amdhsa_uses_dynamic_stack 0
		.amdhsa_enable_private_segment 0
		.amdhsa_system_sgpr_workgroup_id_x 1
		.amdhsa_system_sgpr_workgroup_id_y 0
		.amdhsa_system_sgpr_workgroup_id_z 0
		.amdhsa_system_sgpr_workgroup_info 0
		.amdhsa_system_vgpr_workitem_id 0
		.amdhsa_next_free_vgpr 1
		.amdhsa_next_free_sgpr 0
		.amdhsa_accum_offset 4
		.amdhsa_reserve_vcc 0
		.amdhsa_float_round_mode_32 0
		.amdhsa_float_round_mode_16_64 0
		.amdhsa_float_denorm_mode_32 3
		.amdhsa_float_denorm_mode_16_64 3
		.amdhsa_dx10_clamp 1
		.amdhsa_ieee_mode 1
		.amdhsa_fp16_overflow 0
		.amdhsa_tg_split 0
		.amdhsa_exception_fp_ieee_invalid_op 0
		.amdhsa_exception_fp_denorm_src 0
		.amdhsa_exception_fp_ieee_div_zero 0
		.amdhsa_exception_fp_ieee_overflow 0
		.amdhsa_exception_fp_ieee_underflow 0
		.amdhsa_exception_fp_ieee_inexact 0
		.amdhsa_exception_int_div_zero 0
	.end_amdhsa_kernel
	.section	.text._ZN7rocprim17ROCPRIM_400000_NS6detail17trampoline_kernelINS0_14default_configENS1_20scan_config_selectorIfEEZZNS1_9scan_implILNS1_25lookback_scan_determinismE0ELb0ELb0ES3_PKfPffZZZN2at6native31launch_logcumsumexp_cuda_kernelERKNSB_10TensorBaseESF_lENKUlvE_clEvENKUlvE0_clEvEUlffE_fEEDaPvRmT3_T4_T5_mT6_P12ihipStream_tbENKUlT_T0_E_clISt17integral_constantIbLb0EESW_EEDaSR_SS_EUlSR_E0_NS1_11comp_targetILNS1_3genE8ELNS1_11target_archE1030ELNS1_3gpuE2ELNS1_3repE0EEENS1_30default_config_static_selectorELNS0_4arch9wavefront6targetE1EEEvT1_,"axG",@progbits,_ZN7rocprim17ROCPRIM_400000_NS6detail17trampoline_kernelINS0_14default_configENS1_20scan_config_selectorIfEEZZNS1_9scan_implILNS1_25lookback_scan_determinismE0ELb0ELb0ES3_PKfPffZZZN2at6native31launch_logcumsumexp_cuda_kernelERKNSB_10TensorBaseESF_lENKUlvE_clEvENKUlvE0_clEvEUlffE_fEEDaPvRmT3_T4_T5_mT6_P12ihipStream_tbENKUlT_T0_E_clISt17integral_constantIbLb0EESW_EEDaSR_SS_EUlSR_E0_NS1_11comp_targetILNS1_3genE8ELNS1_11target_archE1030ELNS1_3gpuE2ELNS1_3repE0EEENS1_30default_config_static_selectorELNS0_4arch9wavefront6targetE1EEEvT1_,comdat
.Lfunc_end118:
	.size	_ZN7rocprim17ROCPRIM_400000_NS6detail17trampoline_kernelINS0_14default_configENS1_20scan_config_selectorIfEEZZNS1_9scan_implILNS1_25lookback_scan_determinismE0ELb0ELb0ES3_PKfPffZZZN2at6native31launch_logcumsumexp_cuda_kernelERKNSB_10TensorBaseESF_lENKUlvE_clEvENKUlvE0_clEvEUlffE_fEEDaPvRmT3_T4_T5_mT6_P12ihipStream_tbENKUlT_T0_E_clISt17integral_constantIbLb0EESW_EEDaSR_SS_EUlSR_E0_NS1_11comp_targetILNS1_3genE8ELNS1_11target_archE1030ELNS1_3gpuE2ELNS1_3repE0EEENS1_30default_config_static_selectorELNS0_4arch9wavefront6targetE1EEEvT1_, .Lfunc_end118-_ZN7rocprim17ROCPRIM_400000_NS6detail17trampoline_kernelINS0_14default_configENS1_20scan_config_selectorIfEEZZNS1_9scan_implILNS1_25lookback_scan_determinismE0ELb0ELb0ES3_PKfPffZZZN2at6native31launch_logcumsumexp_cuda_kernelERKNSB_10TensorBaseESF_lENKUlvE_clEvENKUlvE0_clEvEUlffE_fEEDaPvRmT3_T4_T5_mT6_P12ihipStream_tbENKUlT_T0_E_clISt17integral_constantIbLb0EESW_EEDaSR_SS_EUlSR_E0_NS1_11comp_targetILNS1_3genE8ELNS1_11target_archE1030ELNS1_3gpuE2ELNS1_3repE0EEENS1_30default_config_static_selectorELNS0_4arch9wavefront6targetE1EEEvT1_
                                        ; -- End function
	.section	.AMDGPU.csdata,"",@progbits
; Kernel info:
; codeLenInByte = 0
; NumSgprs: 6
; NumVgprs: 0
; NumAgprs: 0
; TotalNumVgprs: 0
; ScratchSize: 0
; MemoryBound: 0
; FloatMode: 240
; IeeeMode: 1
; LDSByteSize: 0 bytes/workgroup (compile time only)
; SGPRBlocks: 0
; VGPRBlocks: 0
; NumSGPRsForWavesPerEU: 6
; NumVGPRsForWavesPerEU: 1
; AccumOffset: 4
; Occupancy: 8
; WaveLimiterHint : 0
; COMPUTE_PGM_RSRC2:SCRATCH_EN: 0
; COMPUTE_PGM_RSRC2:USER_SGPR: 2
; COMPUTE_PGM_RSRC2:TRAP_HANDLER: 0
; COMPUTE_PGM_RSRC2:TGID_X_EN: 1
; COMPUTE_PGM_RSRC2:TGID_Y_EN: 0
; COMPUTE_PGM_RSRC2:TGID_Z_EN: 0
; COMPUTE_PGM_RSRC2:TIDIG_COMP_CNT: 0
; COMPUTE_PGM_RSRC3_GFX90A:ACCUM_OFFSET: 0
; COMPUTE_PGM_RSRC3_GFX90A:TG_SPLIT: 0
	.section	.text._ZN7rocprim17ROCPRIM_400000_NS6detail31init_lookback_scan_state_kernelINS1_19lookback_scan_stateIfLb1ELb1EEENS1_16block_id_wrapperIjLb1EEEEEvT_jT0_jPNS7_10value_typeE,"axG",@progbits,_ZN7rocprim17ROCPRIM_400000_NS6detail31init_lookback_scan_state_kernelINS1_19lookback_scan_stateIfLb1ELb1EEENS1_16block_id_wrapperIjLb1EEEEEvT_jT0_jPNS7_10value_typeE,comdat
	.protected	_ZN7rocprim17ROCPRIM_400000_NS6detail31init_lookback_scan_state_kernelINS1_19lookback_scan_stateIfLb1ELb1EEENS1_16block_id_wrapperIjLb1EEEEEvT_jT0_jPNS7_10value_typeE ; -- Begin function _ZN7rocprim17ROCPRIM_400000_NS6detail31init_lookback_scan_state_kernelINS1_19lookback_scan_stateIfLb1ELb1EEENS1_16block_id_wrapperIjLb1EEEEEvT_jT0_jPNS7_10value_typeE
	.globl	_ZN7rocprim17ROCPRIM_400000_NS6detail31init_lookback_scan_state_kernelINS1_19lookback_scan_stateIfLb1ELb1EEENS1_16block_id_wrapperIjLb1EEEEEvT_jT0_jPNS7_10value_typeE
	.p2align	8
	.type	_ZN7rocprim17ROCPRIM_400000_NS6detail31init_lookback_scan_state_kernelINS1_19lookback_scan_stateIfLb1ELb1EEENS1_16block_id_wrapperIjLb1EEEEEvT_jT0_jPNS7_10value_typeE,@function
_ZN7rocprim17ROCPRIM_400000_NS6detail31init_lookback_scan_state_kernelINS1_19lookback_scan_stateIfLb1ELb1EEENS1_16block_id_wrapperIjLb1EEEEEvT_jT0_jPNS7_10value_typeE: ; @_ZN7rocprim17ROCPRIM_400000_NS6detail31init_lookback_scan_state_kernelINS1_19lookback_scan_stateIfLb1ELb1EEENS1_16block_id_wrapperIjLb1EEEEEvT_jT0_jPNS7_10value_typeE
; %bb.0:
	s_load_dword s3, s[0:1], 0x34
	s_load_dwordx2 s[6:7], s[0:1], 0x20
	s_load_dwordx2 s[4:5], s[0:1], 0x0
	s_load_dword s10, s[0:1], 0x8
	s_waitcnt lgkmcnt(0)
	s_and_b32 s3, s3, 0xffff
	s_mul_i32 s2, s2, s3
	s_cmp_eq_u64 s[6:7], 0
	v_add_u32_e32 v0, s2, v0
	s_cbranch_scc1 .LBB119_9
; %bb.1:
	s_load_dword s8, s[0:1], 0x18
	s_mov_b32 s9, 0
	s_waitcnt lgkmcnt(0)
	s_cmp_lt_u32 s8, s10
	s_cselect_b32 s2, s8, 0
	v_cmp_eq_u32_e32 vcc, s2, v0
	s_and_saveexec_b64 s[2:3], vcc
	s_cbranch_execz .LBB119_8
; %bb.2:
	s_add_i32 s8, s8, 64
	s_lshl_b64 s[8:9], s[8:9], 3
	s_add_u32 s8, s4, s8
	s_addc_u32 s9, s5, s9
	v_mov_b32_e32 v2, 0
	global_load_dwordx2 v[4:5], v2, s[8:9] sc1
	s_waitcnt vmcnt(0)
	v_and_b32_e32 v3, 0xff, v5
	v_cmp_ne_u64_e32 vcc, 0, v[2:3]
	s_cbranch_vccnz .LBB119_7
; %bb.3:
	s_mov_b32 s11, 1
.LBB119_4:                              ; =>This Loop Header: Depth=1
                                        ;     Child Loop BB119_5 Depth 2
	s_max_u32 s12, s11, 1
.LBB119_5:                              ;   Parent Loop BB119_4 Depth=1
                                        ; =>  This Inner Loop Header: Depth=2
	s_add_i32 s12, s12, -1
	s_cmp_eq_u32 s12, 0
	s_sleep 1
	s_cbranch_scc0 .LBB119_5
; %bb.6:                                ;   in Loop: Header=BB119_4 Depth=1
	global_load_dwordx2 v[4:5], v2, s[8:9] sc1
	s_cmp_lt_u32 s11, 32
	s_cselect_b64 s[12:13], -1, 0
	s_cmp_lg_u64 s[12:13], 0
	s_addc_u32 s11, s11, 0
	s_waitcnt vmcnt(0)
	v_and_b32_e32 v3, 0xff, v5
	v_cmp_ne_u64_e32 vcc, 0, v[2:3]
	s_cbranch_vccz .LBB119_4
.LBB119_7:
	v_mov_b32_e32 v1, 0
	global_store_dword v1, v4, s[6:7]
.LBB119_8:
	s_or_b64 exec, exec, s[2:3]
.LBB119_9:
	v_cmp_eq_u32_e32 vcc, 0, v0
	s_and_saveexec_b64 s[2:3], vcc
	s_cbranch_execnz .LBB119_13
; %bb.10:
	s_or_b64 exec, exec, s[2:3]
	v_cmp_gt_u32_e32 vcc, s10, v0
	s_and_saveexec_b64 s[0:1], vcc
	s_cbranch_execnz .LBB119_14
.LBB119_11:
	s_or_b64 exec, exec, s[0:1]
	v_cmp_gt_u32_e32 vcc, 64, v0
	s_and_saveexec_b64 s[0:1], vcc
	s_cbranch_execnz .LBB119_15
.LBB119_12:
	s_endpgm
.LBB119_13:
	s_load_dwordx2 s[0:1], s[0:1], 0x10
	v_mov_b32_e32 v1, 0
	s_waitcnt lgkmcnt(0)
	global_store_dword v1, v1, s[0:1]
	s_or_b64 exec, exec, s[2:3]
	v_cmp_gt_u32_e32 vcc, s10, v0
	s_and_saveexec_b64 s[0:1], vcc
	s_cbranch_execz .LBB119_11
.LBB119_14:
	v_add_u32_e32 v2, 64, v0
	v_mov_b32_e32 v3, 0
	v_lshl_add_u64 v[4:5], v[2:3], 3, s[4:5]
	v_mov_b32_e32 v2, v3
	global_store_dwordx2 v[4:5], v[2:3], off
	s_or_b64 exec, exec, s[0:1]
	v_cmp_gt_u32_e32 vcc, 64, v0
	s_and_saveexec_b64 s[0:1], vcc
	s_cbranch_execz .LBB119_12
.LBB119_15:
	v_mov_b32_e32 v1, 0
	v_lshl_add_u64 v[2:3], v[0:1], 3, s[4:5]
	v_mov_b32_e32 v5, 0xff
	v_mov_b32_e32 v4, v1
	global_store_dwordx2 v[2:3], v[4:5], off
	s_endpgm
	.section	.rodata,"a",@progbits
	.p2align	6, 0x0
	.amdhsa_kernel _ZN7rocprim17ROCPRIM_400000_NS6detail31init_lookback_scan_state_kernelINS1_19lookback_scan_stateIfLb1ELb1EEENS1_16block_id_wrapperIjLb1EEEEEvT_jT0_jPNS7_10value_typeE
		.amdhsa_group_segment_fixed_size 0
		.amdhsa_private_segment_fixed_size 0
		.amdhsa_kernarg_size 296
		.amdhsa_user_sgpr_count 2
		.amdhsa_user_sgpr_dispatch_ptr 0
		.amdhsa_user_sgpr_queue_ptr 0
		.amdhsa_user_sgpr_kernarg_segment_ptr 1
		.amdhsa_user_sgpr_dispatch_id 0
		.amdhsa_user_sgpr_kernarg_preload_length 0
		.amdhsa_user_sgpr_kernarg_preload_offset 0
		.amdhsa_user_sgpr_private_segment_size 0
		.amdhsa_uses_dynamic_stack 0
		.amdhsa_enable_private_segment 0
		.amdhsa_system_sgpr_workgroup_id_x 1
		.amdhsa_system_sgpr_workgroup_id_y 0
		.amdhsa_system_sgpr_workgroup_id_z 0
		.amdhsa_system_sgpr_workgroup_info 0
		.amdhsa_system_vgpr_workitem_id 0
		.amdhsa_next_free_vgpr 6
		.amdhsa_next_free_sgpr 14
		.amdhsa_accum_offset 8
		.amdhsa_reserve_vcc 1
		.amdhsa_float_round_mode_32 0
		.amdhsa_float_round_mode_16_64 0
		.amdhsa_float_denorm_mode_32 3
		.amdhsa_float_denorm_mode_16_64 3
		.amdhsa_dx10_clamp 1
		.amdhsa_ieee_mode 1
		.amdhsa_fp16_overflow 0
		.amdhsa_tg_split 0
		.amdhsa_exception_fp_ieee_invalid_op 0
		.amdhsa_exception_fp_denorm_src 0
		.amdhsa_exception_fp_ieee_div_zero 0
		.amdhsa_exception_fp_ieee_overflow 0
		.amdhsa_exception_fp_ieee_underflow 0
		.amdhsa_exception_fp_ieee_inexact 0
		.amdhsa_exception_int_div_zero 0
	.end_amdhsa_kernel
	.section	.text._ZN7rocprim17ROCPRIM_400000_NS6detail31init_lookback_scan_state_kernelINS1_19lookback_scan_stateIfLb1ELb1EEENS1_16block_id_wrapperIjLb1EEEEEvT_jT0_jPNS7_10value_typeE,"axG",@progbits,_ZN7rocprim17ROCPRIM_400000_NS6detail31init_lookback_scan_state_kernelINS1_19lookback_scan_stateIfLb1ELb1EEENS1_16block_id_wrapperIjLb1EEEEEvT_jT0_jPNS7_10value_typeE,comdat
.Lfunc_end119:
	.size	_ZN7rocprim17ROCPRIM_400000_NS6detail31init_lookback_scan_state_kernelINS1_19lookback_scan_stateIfLb1ELb1EEENS1_16block_id_wrapperIjLb1EEEEEvT_jT0_jPNS7_10value_typeE, .Lfunc_end119-_ZN7rocprim17ROCPRIM_400000_NS6detail31init_lookback_scan_state_kernelINS1_19lookback_scan_stateIfLb1ELb1EEENS1_16block_id_wrapperIjLb1EEEEEvT_jT0_jPNS7_10value_typeE
                                        ; -- End function
	.section	.AMDGPU.csdata,"",@progbits
; Kernel info:
; codeLenInByte = 396
; NumSgprs: 20
; NumVgprs: 6
; NumAgprs: 0
; TotalNumVgprs: 6
; ScratchSize: 0
; MemoryBound: 0
; FloatMode: 240
; IeeeMode: 1
; LDSByteSize: 0 bytes/workgroup (compile time only)
; SGPRBlocks: 2
; VGPRBlocks: 0
; NumSGPRsForWavesPerEU: 20
; NumVGPRsForWavesPerEU: 6
; AccumOffset: 8
; Occupancy: 8
; WaveLimiterHint : 0
; COMPUTE_PGM_RSRC2:SCRATCH_EN: 0
; COMPUTE_PGM_RSRC2:USER_SGPR: 2
; COMPUTE_PGM_RSRC2:TRAP_HANDLER: 0
; COMPUTE_PGM_RSRC2:TGID_X_EN: 1
; COMPUTE_PGM_RSRC2:TGID_Y_EN: 0
; COMPUTE_PGM_RSRC2:TGID_Z_EN: 0
; COMPUTE_PGM_RSRC2:TIDIG_COMP_CNT: 0
; COMPUTE_PGM_RSRC3_GFX90A:ACCUM_OFFSET: 1
; COMPUTE_PGM_RSRC3_GFX90A:TG_SPLIT: 0
	.section	.text._ZN7rocprim17ROCPRIM_400000_NS6detail17trampoline_kernelINS0_14default_configENS1_20scan_config_selectorIfEEZZNS1_9scan_implILNS1_25lookback_scan_determinismE0ELb0ELb0ES3_PKfPffZZZN2at6native31launch_logcumsumexp_cuda_kernelERKNSB_10TensorBaseESF_lENKUlvE_clEvENKUlvE0_clEvEUlffE_fEEDaPvRmT3_T4_T5_mT6_P12ihipStream_tbENKUlT_T0_E_clISt17integral_constantIbLb1EESW_EEDaSR_SS_EUlSR_E_NS1_11comp_targetILNS1_3genE0ELNS1_11target_archE4294967295ELNS1_3gpuE0ELNS1_3repE0EEENS1_30default_config_static_selectorELNS0_4arch9wavefront6targetE1EEEvT1_,"axG",@progbits,_ZN7rocprim17ROCPRIM_400000_NS6detail17trampoline_kernelINS0_14default_configENS1_20scan_config_selectorIfEEZZNS1_9scan_implILNS1_25lookback_scan_determinismE0ELb0ELb0ES3_PKfPffZZZN2at6native31launch_logcumsumexp_cuda_kernelERKNSB_10TensorBaseESF_lENKUlvE_clEvENKUlvE0_clEvEUlffE_fEEDaPvRmT3_T4_T5_mT6_P12ihipStream_tbENKUlT_T0_E_clISt17integral_constantIbLb1EESW_EEDaSR_SS_EUlSR_E_NS1_11comp_targetILNS1_3genE0ELNS1_11target_archE4294967295ELNS1_3gpuE0ELNS1_3repE0EEENS1_30default_config_static_selectorELNS0_4arch9wavefront6targetE1EEEvT1_,comdat
	.globl	_ZN7rocprim17ROCPRIM_400000_NS6detail17trampoline_kernelINS0_14default_configENS1_20scan_config_selectorIfEEZZNS1_9scan_implILNS1_25lookback_scan_determinismE0ELb0ELb0ES3_PKfPffZZZN2at6native31launch_logcumsumexp_cuda_kernelERKNSB_10TensorBaseESF_lENKUlvE_clEvENKUlvE0_clEvEUlffE_fEEDaPvRmT3_T4_T5_mT6_P12ihipStream_tbENKUlT_T0_E_clISt17integral_constantIbLb1EESW_EEDaSR_SS_EUlSR_E_NS1_11comp_targetILNS1_3genE0ELNS1_11target_archE4294967295ELNS1_3gpuE0ELNS1_3repE0EEENS1_30default_config_static_selectorELNS0_4arch9wavefront6targetE1EEEvT1_ ; -- Begin function _ZN7rocprim17ROCPRIM_400000_NS6detail17trampoline_kernelINS0_14default_configENS1_20scan_config_selectorIfEEZZNS1_9scan_implILNS1_25lookback_scan_determinismE0ELb0ELb0ES3_PKfPffZZZN2at6native31launch_logcumsumexp_cuda_kernelERKNSB_10TensorBaseESF_lENKUlvE_clEvENKUlvE0_clEvEUlffE_fEEDaPvRmT3_T4_T5_mT6_P12ihipStream_tbENKUlT_T0_E_clISt17integral_constantIbLb1EESW_EEDaSR_SS_EUlSR_E_NS1_11comp_targetILNS1_3genE0ELNS1_11target_archE4294967295ELNS1_3gpuE0ELNS1_3repE0EEENS1_30default_config_static_selectorELNS0_4arch9wavefront6targetE1EEEvT1_
	.p2align	8
	.type	_ZN7rocprim17ROCPRIM_400000_NS6detail17trampoline_kernelINS0_14default_configENS1_20scan_config_selectorIfEEZZNS1_9scan_implILNS1_25lookback_scan_determinismE0ELb0ELb0ES3_PKfPffZZZN2at6native31launch_logcumsumexp_cuda_kernelERKNSB_10TensorBaseESF_lENKUlvE_clEvENKUlvE0_clEvEUlffE_fEEDaPvRmT3_T4_T5_mT6_P12ihipStream_tbENKUlT_T0_E_clISt17integral_constantIbLb1EESW_EEDaSR_SS_EUlSR_E_NS1_11comp_targetILNS1_3genE0ELNS1_11target_archE4294967295ELNS1_3gpuE0ELNS1_3repE0EEENS1_30default_config_static_selectorELNS0_4arch9wavefront6targetE1EEEvT1_,@function
_ZN7rocprim17ROCPRIM_400000_NS6detail17trampoline_kernelINS0_14default_configENS1_20scan_config_selectorIfEEZZNS1_9scan_implILNS1_25lookback_scan_determinismE0ELb0ELb0ES3_PKfPffZZZN2at6native31launch_logcumsumexp_cuda_kernelERKNSB_10TensorBaseESF_lENKUlvE_clEvENKUlvE0_clEvEUlffE_fEEDaPvRmT3_T4_T5_mT6_P12ihipStream_tbENKUlT_T0_E_clISt17integral_constantIbLb1EESW_EEDaSR_SS_EUlSR_E_NS1_11comp_targetILNS1_3genE0ELNS1_11target_archE4294967295ELNS1_3gpuE0ELNS1_3repE0EEENS1_30default_config_static_selectorELNS0_4arch9wavefront6targetE1EEEvT1_: ; @_ZN7rocprim17ROCPRIM_400000_NS6detail17trampoline_kernelINS0_14default_configENS1_20scan_config_selectorIfEEZZNS1_9scan_implILNS1_25lookback_scan_determinismE0ELb0ELb0ES3_PKfPffZZZN2at6native31launch_logcumsumexp_cuda_kernelERKNSB_10TensorBaseESF_lENKUlvE_clEvENKUlvE0_clEvEUlffE_fEEDaPvRmT3_T4_T5_mT6_P12ihipStream_tbENKUlT_T0_E_clISt17integral_constantIbLb1EESW_EEDaSR_SS_EUlSR_E_NS1_11comp_targetILNS1_3genE0ELNS1_11target_archE4294967295ELNS1_3gpuE0ELNS1_3repE0EEENS1_30default_config_static_selectorELNS0_4arch9wavefront6targetE1EEEvT1_
; %bb.0:
	.section	.rodata,"a",@progbits
	.p2align	6, 0x0
	.amdhsa_kernel _ZN7rocprim17ROCPRIM_400000_NS6detail17trampoline_kernelINS0_14default_configENS1_20scan_config_selectorIfEEZZNS1_9scan_implILNS1_25lookback_scan_determinismE0ELb0ELb0ES3_PKfPffZZZN2at6native31launch_logcumsumexp_cuda_kernelERKNSB_10TensorBaseESF_lENKUlvE_clEvENKUlvE0_clEvEUlffE_fEEDaPvRmT3_T4_T5_mT6_P12ihipStream_tbENKUlT_T0_E_clISt17integral_constantIbLb1EESW_EEDaSR_SS_EUlSR_E_NS1_11comp_targetILNS1_3genE0ELNS1_11target_archE4294967295ELNS1_3gpuE0ELNS1_3repE0EEENS1_30default_config_static_selectorELNS0_4arch9wavefront6targetE1EEEvT1_
		.amdhsa_group_segment_fixed_size 0
		.amdhsa_private_segment_fixed_size 0
		.amdhsa_kernarg_size 96
		.amdhsa_user_sgpr_count 2
		.amdhsa_user_sgpr_dispatch_ptr 0
		.amdhsa_user_sgpr_queue_ptr 0
		.amdhsa_user_sgpr_kernarg_segment_ptr 1
		.amdhsa_user_sgpr_dispatch_id 0
		.amdhsa_user_sgpr_kernarg_preload_length 0
		.amdhsa_user_sgpr_kernarg_preload_offset 0
		.amdhsa_user_sgpr_private_segment_size 0
		.amdhsa_uses_dynamic_stack 0
		.amdhsa_enable_private_segment 0
		.amdhsa_system_sgpr_workgroup_id_x 1
		.amdhsa_system_sgpr_workgroup_id_y 0
		.amdhsa_system_sgpr_workgroup_id_z 0
		.amdhsa_system_sgpr_workgroup_info 0
		.amdhsa_system_vgpr_workitem_id 0
		.amdhsa_next_free_vgpr 1
		.amdhsa_next_free_sgpr 0
		.amdhsa_accum_offset 4
		.amdhsa_reserve_vcc 0
		.amdhsa_float_round_mode_32 0
		.amdhsa_float_round_mode_16_64 0
		.amdhsa_float_denorm_mode_32 3
		.amdhsa_float_denorm_mode_16_64 3
		.amdhsa_dx10_clamp 1
		.amdhsa_ieee_mode 1
		.amdhsa_fp16_overflow 0
		.amdhsa_tg_split 0
		.amdhsa_exception_fp_ieee_invalid_op 0
		.amdhsa_exception_fp_denorm_src 0
		.amdhsa_exception_fp_ieee_div_zero 0
		.amdhsa_exception_fp_ieee_overflow 0
		.amdhsa_exception_fp_ieee_underflow 0
		.amdhsa_exception_fp_ieee_inexact 0
		.amdhsa_exception_int_div_zero 0
	.end_amdhsa_kernel
	.section	.text._ZN7rocprim17ROCPRIM_400000_NS6detail17trampoline_kernelINS0_14default_configENS1_20scan_config_selectorIfEEZZNS1_9scan_implILNS1_25lookback_scan_determinismE0ELb0ELb0ES3_PKfPffZZZN2at6native31launch_logcumsumexp_cuda_kernelERKNSB_10TensorBaseESF_lENKUlvE_clEvENKUlvE0_clEvEUlffE_fEEDaPvRmT3_T4_T5_mT6_P12ihipStream_tbENKUlT_T0_E_clISt17integral_constantIbLb1EESW_EEDaSR_SS_EUlSR_E_NS1_11comp_targetILNS1_3genE0ELNS1_11target_archE4294967295ELNS1_3gpuE0ELNS1_3repE0EEENS1_30default_config_static_selectorELNS0_4arch9wavefront6targetE1EEEvT1_,"axG",@progbits,_ZN7rocprim17ROCPRIM_400000_NS6detail17trampoline_kernelINS0_14default_configENS1_20scan_config_selectorIfEEZZNS1_9scan_implILNS1_25lookback_scan_determinismE0ELb0ELb0ES3_PKfPffZZZN2at6native31launch_logcumsumexp_cuda_kernelERKNSB_10TensorBaseESF_lENKUlvE_clEvENKUlvE0_clEvEUlffE_fEEDaPvRmT3_T4_T5_mT6_P12ihipStream_tbENKUlT_T0_E_clISt17integral_constantIbLb1EESW_EEDaSR_SS_EUlSR_E_NS1_11comp_targetILNS1_3genE0ELNS1_11target_archE4294967295ELNS1_3gpuE0ELNS1_3repE0EEENS1_30default_config_static_selectorELNS0_4arch9wavefront6targetE1EEEvT1_,comdat
.Lfunc_end120:
	.size	_ZN7rocprim17ROCPRIM_400000_NS6detail17trampoline_kernelINS0_14default_configENS1_20scan_config_selectorIfEEZZNS1_9scan_implILNS1_25lookback_scan_determinismE0ELb0ELb0ES3_PKfPffZZZN2at6native31launch_logcumsumexp_cuda_kernelERKNSB_10TensorBaseESF_lENKUlvE_clEvENKUlvE0_clEvEUlffE_fEEDaPvRmT3_T4_T5_mT6_P12ihipStream_tbENKUlT_T0_E_clISt17integral_constantIbLb1EESW_EEDaSR_SS_EUlSR_E_NS1_11comp_targetILNS1_3genE0ELNS1_11target_archE4294967295ELNS1_3gpuE0ELNS1_3repE0EEENS1_30default_config_static_selectorELNS0_4arch9wavefront6targetE1EEEvT1_, .Lfunc_end120-_ZN7rocprim17ROCPRIM_400000_NS6detail17trampoline_kernelINS0_14default_configENS1_20scan_config_selectorIfEEZZNS1_9scan_implILNS1_25lookback_scan_determinismE0ELb0ELb0ES3_PKfPffZZZN2at6native31launch_logcumsumexp_cuda_kernelERKNSB_10TensorBaseESF_lENKUlvE_clEvENKUlvE0_clEvEUlffE_fEEDaPvRmT3_T4_T5_mT6_P12ihipStream_tbENKUlT_T0_E_clISt17integral_constantIbLb1EESW_EEDaSR_SS_EUlSR_E_NS1_11comp_targetILNS1_3genE0ELNS1_11target_archE4294967295ELNS1_3gpuE0ELNS1_3repE0EEENS1_30default_config_static_selectorELNS0_4arch9wavefront6targetE1EEEvT1_
                                        ; -- End function
	.section	.AMDGPU.csdata,"",@progbits
; Kernel info:
; codeLenInByte = 0
; NumSgprs: 6
; NumVgprs: 0
; NumAgprs: 0
; TotalNumVgprs: 0
; ScratchSize: 0
; MemoryBound: 0
; FloatMode: 240
; IeeeMode: 1
; LDSByteSize: 0 bytes/workgroup (compile time only)
; SGPRBlocks: 0
; VGPRBlocks: 0
; NumSGPRsForWavesPerEU: 6
; NumVGPRsForWavesPerEU: 1
; AccumOffset: 4
; Occupancy: 8
; WaveLimiterHint : 0
; COMPUTE_PGM_RSRC2:SCRATCH_EN: 0
; COMPUTE_PGM_RSRC2:USER_SGPR: 2
; COMPUTE_PGM_RSRC2:TRAP_HANDLER: 0
; COMPUTE_PGM_RSRC2:TGID_X_EN: 1
; COMPUTE_PGM_RSRC2:TGID_Y_EN: 0
; COMPUTE_PGM_RSRC2:TGID_Z_EN: 0
; COMPUTE_PGM_RSRC2:TIDIG_COMP_CNT: 0
; COMPUTE_PGM_RSRC3_GFX90A:ACCUM_OFFSET: 0
; COMPUTE_PGM_RSRC3_GFX90A:TG_SPLIT: 0
	.text
	.p2align	2                               ; -- Begin function _ZZZN7rocprim17ROCPRIM_400000_NS6detail9scan_implILNS1_25lookback_scan_determinismE0ELb0ELb0ENS0_14default_configEPKfPffZZZN2at6native31launch_logcumsumexp_cuda_kernelERKNS8_10TensorBaseESC_lENKUlvE_clEvENKUlvE0_clEvEUlffE_fEEDaPvRmT3_T4_T5_mT6_P12ihipStream_tbENKUlT_T0_E_clISt17integral_constantIbLb1EEST_EEDaSO_SP_ENKUlSO_E_clINS1_13target_configIS4_NS1_20scan_config_selectorIfEENS1_11comp_targetILNS1_3genE5ELNS1_11target_archE942ELNS1_3gpuE9ELNS1_3repE0EEELNS0_4arch9wavefront6targetE1EEEEEDaSO_
	.type	_ZZZN7rocprim17ROCPRIM_400000_NS6detail9scan_implILNS1_25lookback_scan_determinismE0ELb0ELb0ENS0_14default_configEPKfPffZZZN2at6native31launch_logcumsumexp_cuda_kernelERKNS8_10TensorBaseESC_lENKUlvE_clEvENKUlvE0_clEvEUlffE_fEEDaPvRmT3_T4_T5_mT6_P12ihipStream_tbENKUlT_T0_E_clISt17integral_constantIbLb1EEST_EEDaSO_SP_ENKUlSO_E_clINS1_13target_configIS4_NS1_20scan_config_selectorIfEENS1_11comp_targetILNS1_3genE5ELNS1_11target_archE942ELNS1_3gpuE9ELNS1_3repE0EEELNS0_4arch9wavefront6targetE1EEEEEDaSO_,@function
_ZZZN7rocprim17ROCPRIM_400000_NS6detail9scan_implILNS1_25lookback_scan_determinismE0ELb0ELb0ENS0_14default_configEPKfPffZZZN2at6native31launch_logcumsumexp_cuda_kernelERKNS8_10TensorBaseESC_lENKUlvE_clEvENKUlvE0_clEvEUlffE_fEEDaPvRmT3_T4_T5_mT6_P12ihipStream_tbENKUlT_T0_E_clISt17integral_constantIbLb1EEST_EEDaSO_SP_ENKUlSO_E_clINS1_13target_configIS4_NS1_20scan_config_selectorIfEENS1_11comp_targetILNS1_3genE5ELNS1_11target_archE942ELNS1_3gpuE9ELNS1_3repE0EEELNS0_4arch9wavefront6targetE1EEEEEDaSO_: ; @_ZZZN7rocprim17ROCPRIM_400000_NS6detail9scan_implILNS1_25lookback_scan_determinismE0ELb0ELb0ENS0_14default_configEPKfPffZZZN2at6native31launch_logcumsumexp_cuda_kernelERKNS8_10TensorBaseESC_lENKUlvE_clEvENKUlvE0_clEvEUlffE_fEEDaPvRmT3_T4_T5_mT6_P12ihipStream_tbENKUlT_T0_E_clISt17integral_constantIbLb1EEST_EEDaSO_SP_ENKUlSO_E_clINS1_13target_configIS4_NS1_20scan_config_selectorIfEENS1_11comp_targetILNS1_3genE5ELNS1_11target_archE942ELNS1_3gpuE9ELNS1_3repE0EEELNS0_4arch9wavefront6targetE1EEEEEDaSO_
; %bb.0:
	s_waitcnt vmcnt(0) expcnt(0) lgkmcnt(0)
	s_or_saveexec_b64 s[0:1], -1
	scratch_store_dword off, v40, s32       ; 4-byte Folded Spill
	s_mov_b64 exec, s[0:1]
	v_writelane_b32 v40, s30, 0
	s_nop 1
	v_writelane_b32 v40, s31, 1
	flat_load_dwordx4 v[10:13], v[0:1]
	flat_load_dwordx4 v[14:17], v[0:1] offset:16
	flat_load_dwordx3 v[96:98], v[0:1] offset:40
	flat_load_dwordx4 v[2:5], v[0:1] offset:56
	flat_load_dwordx4 v[6:9], v[0:1] offset:72
	v_and_b32_e32 v100, 0x3ff, v31
	v_cmp_ne_u32_e64 s[2:3], 0, v100
	v_cmp_eq_u32_e64 s[4:5], 0, v100
	s_and_saveexec_b64 s[0:1], s[4:5]
	s_cbranch_execz .LBB121_2
; %bb.1:
	flat_load_dwordx2 v[0:1], v[0:1] offset:88
	v_mov_b32_e32 v18, 1
	s_waitcnt vmcnt(0) lgkmcnt(0)
	flat_atomic_add v0, v[0:1], v18 sc0
	v_mov_b32_e32 v1, 0
	s_waitcnt vmcnt(0) lgkmcnt(0)
	ds_write_b32 v1, v0
.LBB121_2:
	s_or_b64 exec, exec, s[0:1]
	v_mov_b32_e32 v103, 0
	s_waitcnt lgkmcnt(0)
	s_barrier
	ds_read_b32 v52, v103
	s_movk_i32 s0, 0x1800
	s_waitcnt vmcnt(0)
	v_add_u32_e32 v18, -1, v98
	v_lshl_add_u64 v[0:1], v[12:13], 2, v[10:11]
	v_mul_lo_u32 v10, v18, s0
	s_waitcnt lgkmcnt(0)
	v_mul_lo_u32 v102, v52, s0
	v_sub_co_u32_e32 v10, vcc, v16, v10
	v_cmp_ne_u32_e64 s[0:1], v52, v18
	s_nop 0
	v_subbrev_co_u32_e32 v11, vcc, 0, v17, vcc
	v_lshl_add_u64 v[16:17], v[102:103], 2, v[0:1]
	v_lshlrev_b32_e32 v0, 2, v100
	s_barrier
	s_and_saveexec_b64 s[6:7], s[0:1]
	s_xor_b64 s[6:7], exec, s[6:7]
	s_cbranch_execz .LBB121_4
; %bb.3:
	v_mov_b32_e32 v1, v103
	v_lshl_add_u64 v[16:17], v[16:17], 0, v[0:1]
	v_add_co_u32_e32 v18, vcc, 0x1000, v16
	s_nop 1
	v_addc_co_u32_e32 v19, vcc, 0, v17, vcc
	flat_load_dword v1, v[16:17]
	flat_load_dword v22, v[16:17] offset:1024
	flat_load_dword v23, v[16:17] offset:2048
	;; [unrolled: 1-line block ×3, first 2 shown]
	flat_load_dword v25, v[18:19]
	flat_load_dword v26, v[18:19] offset:1024
	flat_load_dword v27, v[18:19] offset:2048
	;; [unrolled: 1-line block ×3, first 2 shown]
	v_add_co_u32_e32 v18, vcc, 0x2000, v16
	s_nop 1
	v_addc_co_u32_e32 v19, vcc, 0, v17, vcc
	v_add_co_u32_e32 v20, vcc, 0x3000, v16
	s_nop 1
	v_addc_co_u32_e32 v21, vcc, 0, v17, vcc
	flat_load_dword v29, v[18:19]
	flat_load_dword v30, v[18:19] offset:1024
	flat_load_dword v31, v[18:19] offset:2048
	;; [unrolled: 1-line block ×3, first 2 shown]
	flat_load_dword v33, v[20:21]
	flat_load_dword v34, v[20:21] offset:1024
	flat_load_dword v35, v[20:21] offset:2048
	;; [unrolled: 1-line block ×3, first 2 shown]
	v_add_co_u32_e32 v18, vcc, 0x4000, v16
	s_nop 1
	v_addc_co_u32_e32 v19, vcc, 0, v17, vcc
	v_add_co_u32_e32 v16, vcc, 0x5000, v16
	s_nop 1
	v_addc_co_u32_e32 v17, vcc, 0, v17, vcc
	flat_load_dword v20, v[18:19]
	flat_load_dword v21, v[18:19] offset:1024
	flat_load_dword v37, v[18:19] offset:2048
	;; [unrolled: 1-line block ×3, first 2 shown]
	flat_load_dword v39, v[16:17]
	flat_load_dword v48, v[16:17] offset:1024
	flat_load_dword v49, v[16:17] offset:2048
	;; [unrolled: 1-line block ×3, first 2 shown]
                                        ; implicit-def: $vgpr16_vgpr17
	s_waitcnt vmcnt(0) lgkmcnt(0)
	ds_write2st64_b32 v0, v1, v22 offset1:4
	ds_write2st64_b32 v0, v23, v24 offset0:8 offset1:12
	ds_write2st64_b32 v0, v25, v26 offset0:16 offset1:20
	;; [unrolled: 1-line block ×11, first 2 shown]
	s_waitcnt lgkmcnt(0)
	s_barrier
.LBB121_4:
	s_andn2_saveexec_b64 s[6:7], s[6:7]
	s_cbranch_execz .LBB121_54
; %bb.5:
	flat_load_dword v18, v[16:17]
	v_cmp_lt_u32_e32 vcc, v100, v10
	s_waitcnt vmcnt(0) lgkmcnt(0)
	v_mov_b32_e32 v19, v18
	s_and_saveexec_b64 s[8:9], vcc
	s_cbranch_execz .LBB121_7
; %bb.6:
	v_mov_b32_e32 v1, 0
	v_lshl_add_u64 v[20:21], v[16:17], 0, v[0:1]
	flat_load_dword v19, v[20:21]
.LBB121_7:
	s_or_b64 exec, exec, s[8:9]
	v_add_u32_e32 v1, 0x100, v100
	v_cmp_lt_u32_e32 vcc, v1, v10
	v_mov_b32_e32 v20, v18
	s_and_saveexec_b64 s[8:9], vcc
	s_cbranch_execz .LBB121_9
; %bb.8:
	v_mov_b32_e32 v1, 0
	v_lshl_add_u64 v[20:21], v[16:17], 0, v[0:1]
	flat_load_dword v20, v[20:21] offset:1024
.LBB121_9:
	s_or_b64 exec, exec, s[8:9]
	v_add_u32_e32 v1, 0x200, v100
	v_cmp_lt_u32_e32 vcc, v1, v10
	v_mov_b32_e32 v21, v18
	s_and_saveexec_b64 s[8:9], vcc
	s_cbranch_execz .LBB121_11
; %bb.10:
	v_mov_b32_e32 v1, 0
	v_lshl_add_u64 v[22:23], v[16:17], 0, v[0:1]
	flat_load_dword v21, v[22:23] offset:2048
.LBB121_11:
	;; [unrolled: 11-line block ×3, first 2 shown]
	s_or_b64 exec, exec, s[8:9]
	v_or_b32_e32 v23, 0x400, v100
	v_cmp_lt_u32_e32 vcc, v23, v10
	v_mov_b32_e32 v22, v18
	s_and_saveexec_b64 s[8:9], vcc
	s_cbranch_execz .LBB121_15
; %bb.14:
	v_lshlrev_b32_e32 v22, 2, v23
	v_mov_b32_e32 v23, 0
	v_lshl_add_u64 v[22:23], v[16:17], 0, v[22:23]
	flat_load_dword v22, v[22:23]
.LBB121_15:
	s_or_b64 exec, exec, s[8:9]
	v_add_u32_e32 v24, 0x500, v100
	v_cmp_lt_u32_e32 vcc, v24, v10
	v_mov_b32_e32 v23, v18
	s_and_saveexec_b64 s[8:9], vcc
	s_cbranch_execz .LBB121_17
; %bb.16:
	v_lshlrev_b32_e32 v24, 2, v24
	v_mov_b32_e32 v25, 0
	v_lshl_add_u64 v[24:25], v[16:17], 0, v[24:25]
	flat_load_dword v23, v[24:25]
.LBB121_17:
	s_or_b64 exec, exec, s[8:9]
	v_add_u32_e32 v25, 0x600, v100
	v_cmp_lt_u32_e32 vcc, v25, v10
	v_mov_b32_e32 v24, v18
	s_and_saveexec_b64 s[8:9], vcc
	s_cbranch_execz .LBB121_19
; %bb.18:
	v_lshlrev_b32_e32 v24, 2, v25
	v_mov_b32_e32 v25, 0
	v_lshl_add_u64 v[24:25], v[16:17], 0, v[24:25]
	flat_load_dword v24, v[24:25]
.LBB121_19:
	s_or_b64 exec, exec, s[8:9]
	v_add_u32_e32 v26, 0x700, v100
	v_cmp_lt_u32_e32 vcc, v26, v10
	v_mov_b32_e32 v25, v18
	s_and_saveexec_b64 s[8:9], vcc
	s_cbranch_execz .LBB121_21
; %bb.20:
	v_lshlrev_b32_e32 v26, 2, v26
	v_mov_b32_e32 v27, 0
	v_lshl_add_u64 v[26:27], v[16:17], 0, v[26:27]
	flat_load_dword v25, v[26:27]
.LBB121_21:
	s_or_b64 exec, exec, s[8:9]
	v_or_b32_e32 v27, 0x800, v100
	v_cmp_lt_u32_e32 vcc, v27, v10
	v_mov_b32_e32 v26, v18
	s_and_saveexec_b64 s[8:9], vcc
	s_cbranch_execz .LBB121_23
; %bb.22:
	v_lshlrev_b32_e32 v26, 2, v27
	v_mov_b32_e32 v27, 0
	v_lshl_add_u64 v[26:27], v[16:17], 0, v[26:27]
	flat_load_dword v26, v[26:27]
.LBB121_23:
	s_or_b64 exec, exec, s[8:9]
	v_add_u32_e32 v28, 0x900, v100
	v_cmp_lt_u32_e32 vcc, v28, v10
	v_mov_b32_e32 v27, v18
	s_and_saveexec_b64 s[8:9], vcc
	s_cbranch_execz .LBB121_25
; %bb.24:
	v_lshlrev_b32_e32 v28, 2, v28
	v_mov_b32_e32 v29, 0
	v_lshl_add_u64 v[28:29], v[16:17], 0, v[28:29]
	flat_load_dword v27, v[28:29]
.LBB121_25:
	s_or_b64 exec, exec, s[8:9]
	v_add_u32_e32 v29, 0xa00, v100
	v_cmp_lt_u32_e32 vcc, v29, v10
	v_mov_b32_e32 v28, v18
	s_and_saveexec_b64 s[8:9], vcc
	s_cbranch_execz .LBB121_27
; %bb.26:
	v_lshlrev_b32_e32 v28, 2, v29
	v_mov_b32_e32 v29, 0
	v_lshl_add_u64 v[28:29], v[16:17], 0, v[28:29]
	flat_load_dword v28, v[28:29]
.LBB121_27:
	s_or_b64 exec, exec, s[8:9]
	v_add_u32_e32 v30, 0xb00, v100
	v_cmp_lt_u32_e32 vcc, v30, v10
	v_mov_b32_e32 v29, v18
	s_and_saveexec_b64 s[8:9], vcc
	s_cbranch_execz .LBB121_29
; %bb.28:
	v_lshlrev_b32_e32 v30, 2, v30
	v_mov_b32_e32 v31, 0
	v_lshl_add_u64 v[30:31], v[16:17], 0, v[30:31]
	flat_load_dword v29, v[30:31]
.LBB121_29:
	;; [unrolled: 48-line block ×4, first 2 shown]
	s_or_b64 exec, exec, s[8:9]
	v_or_b32_e32 v39, 0x1400, v100
	v_cmp_lt_u32_e32 vcc, v39, v10
	v_mov_b32_e32 v38, v18
	s_and_saveexec_b64 s[8:9], vcc
	s_cbranch_execz .LBB121_47
; %bb.46:
	v_lshlrev_b32_e32 v38, 2, v39
	v_mov_b32_e32 v39, 0
	v_lshl_add_u64 v[38:39], v[16:17], 0, v[38:39]
	flat_load_dword v38, v[38:39]
.LBB121_47:
	s_or_b64 exec, exec, s[8:9]
	v_add_u32_e32 v48, 0x1500, v100
	v_cmp_lt_u32_e32 vcc, v48, v10
	v_mov_b32_e32 v39, v18
	s_and_saveexec_b64 s[8:9], vcc
	s_cbranch_execz .LBB121_49
; %bb.48:
	v_lshlrev_b32_e32 v48, 2, v48
	v_mov_b32_e32 v49, 0
	v_lshl_add_u64 v[48:49], v[16:17], 0, v[48:49]
	flat_load_dword v39, v[48:49]
.LBB121_49:
	s_or_b64 exec, exec, s[8:9]
	v_add_u32_e32 v49, 0x1600, v100
	;; [unrolled: 12-line block ×3, first 2 shown]
	v_cmp_lt_u32_e32 vcc, v49, v10
	s_and_saveexec_b64 s[8:9], vcc
	s_cbranch_execz .LBB121_53
; %bb.52:
	v_lshlrev_b32_e32 v50, 2, v49
	v_mov_b32_e32 v51, 0
	v_lshl_add_u64 v[16:17], v[16:17], 0, v[50:51]
	flat_load_dword v18, v[16:17]
.LBB121_53:
	s_or_b64 exec, exec, s[8:9]
	s_waitcnt vmcnt(0) lgkmcnt(0)
	ds_write2st64_b32 v0, v19, v20 offset1:4
	ds_write2st64_b32 v0, v21, v1 offset0:8 offset1:12
	ds_write2st64_b32 v0, v22, v23 offset0:16 offset1:20
	;; [unrolled: 1-line block ×11, first 2 shown]
	s_waitcnt lgkmcnt(0)
	s_barrier
.LBB121_54:
	s_or_b64 exec, exec, s[6:7]
	v_mul_u32_u24_e32 v98, 24, v100
	v_lshlrev_b32_e32 v1, 2, v98
	v_cmp_ne_u32_e32 vcc, 0, v52
	ds_read_b128 v[16:19], v1
	ds_read_b128 v[36:39], v1 offset:16
	ds_read_b128 v[32:35], v1 offset:32
	ds_read_b128 v[28:31], v1 offset:48
	ds_read_b128 v[24:27], v1 offset:64
	ds_read_b128 v[20:23], v1 offset:80
	s_and_b64 vcc, exec, vcc
	s_waitcnt lgkmcnt(5)
	v_cmp_u_f32_e64 s[6:7], v17, v17
	v_max_f32_e32 v99, v17, v17
	s_waitcnt lgkmcnt(0)
	s_barrier
	s_cbranch_vccz .LBB121_271
; %bb.55:
	v_max_f32_e32 v131, v16, v16
	v_min_f32_e32 v48, v131, v99
	v_cmp_u_f32_e64 s[54:55], v16, v16
	s_movk_i32 s10, 0x1f8
	v_mov_b32_e32 v132, v16
	v_cndmask_b32_e64 v48, v48, v16, s[54:55]
	v_cndmask_b32_e64 v49, v48, v17, s[6:7]
	v_max_f32_e32 v48, v131, v99
	v_cndmask_b32_e64 v48, v48, v16, s[54:55]
	v_cndmask_b32_e64 v48, v48, v17, s[6:7]
	v_cmp_neq_f32_e32 vcc, v49, v48
	v_cmp_class_f32_e64 s[8:9], v49, s10
	s_or_b64 s[12:13], vcc, s[8:9]
	s_and_saveexec_b64 s[8:9], s[12:13]
	s_cbranch_execz .LBB121_57
; %bb.56:
	v_sub_f32_e32 v49, v49, v48
	s_mov_b32 s11, 0x3fb8aa3b
	v_mul_f32_e32 v50, 0x3fb8aa3b, v49
	v_fma_f32 v51, v49, s11, -v50
	v_rndne_f32_e32 v53, v50
	v_fmamk_f32 v51, v49, 0x32a5705f, v51
	v_sub_f32_e32 v50, v50, v53
	v_add_f32_e32 v50, v50, v51
	v_exp_f32_e32 v50, v50
	v_cvt_i32_f32_e32 v51, v53
	s_mov_b32 s11, 0xc2ce8ed0
	v_cmp_ngt_f32_e32 vcc, s11, v49
	s_mov_b32 s11, 0x42b17218
	v_ldexp_f32 v50, v50, v51
	v_cndmask_b32_e32 v50, 0, v50, vcc
	v_mov_b32_e32 v51, 0x7f800000
	v_cmp_nlt_f32_e32 vcc, s11, v49
	s_mov_b32 s11, 0x3f2aaaab
	s_mov_b32 s12, 0x7f800000
	v_cndmask_b32_e32 v53, v51, v50, vcc
	v_add_f32_e32 v49, 1.0, v53
	v_add_f32_e32 v50, -1.0, v49
	v_sub_f32_e32 v51, v50, v49
	v_add_f32_e32 v51, 1.0, v51
	v_sub_f32_e32 v50, v53, v50
	v_add_f32_e32 v54, v50, v51
	v_frexp_mant_f32_e32 v55, v49
	v_cvt_f64_f32_e32 v[50:51], v49
	v_frexp_exp_i32_f64_e32 v50, v[50:51]
	v_cmp_gt_f32_e32 vcc, s11, v55
	s_mov_b32 s11, 0x3f317218
	s_nop 0
	v_subbrev_co_u32_e32 v68, vcc, 0, v50, vcc
	v_sub_u32_e32 v50, 0, v68
	v_ldexp_f32 v49, v49, v50
	v_ldexp_f32 v50, v54, v50
	v_add_f32_e32 v54, -1.0, v49
	v_add_f32_e32 v51, 1.0, v54
	v_sub_f32_e32 v51, v49, v51
	v_add_f32_e32 v55, v50, v51
	v_add_f32_e32 v51, 1.0, v49
	v_add_f32_e32 v64, -1.0, v51
	v_sub_f32_e32 v49, v49, v64
	v_add_f32_e32 v49, v50, v49
	v_add_f32_e32 v69, v51, v49
	v_rcp_f32_e32 v70, v69
	v_sub_f32_e32 v50, v51, v69
	v_add_f32_e32 v51, v54, v55
	v_add_f32_e32 v49, v49, v50
	v_mul_f32_e32 v80, v51, v70
	v_sub_f32_e32 v50, v54, v51
	v_mul_f32_e32 v54, v69, v80
	v_fma_f32 v64, v80, v69, -v54
	v_fmac_f32_e32 v64, v80, v49
	v_add_f32_e32 v71, v55, v50
	v_add_f32_e32 v50, v54, v64
	v_sub_f32_e32 v55, v51, v50
	v_pk_add_f32 v[66:67], v[50:51], v[54:55] neg_lo:[0,1] neg_hi:[0,1]
	v_mov_b32_e32 v65, v50
	v_pk_add_f32 v[50:51], v[66:67], v[64:65] neg_lo:[0,1] neg_hi:[0,1]
	v_cmp_eq_f32_e32 vcc, s12, v53
	v_add_f32_e32 v51, v71, v51
	v_add_f32_e32 v50, v50, v51
	;; [unrolled: 1-line block ×3, first 2 shown]
	v_mul_f32_e32 v71, v70, v51
	v_mul_f32_e32 v54, v69, v71
	v_fma_f32 v64, v71, v69, -v54
	v_fmac_f32_e32 v64, v71, v49
	v_sub_f32_e32 v49, v55, v51
	v_add_f32_e32 v49, v50, v49
	v_add_f32_e32 v50, v54, v64
	v_sub_f32_e32 v55, v51, v50
	v_pk_add_f32 v[66:67], v[50:51], v[54:55] neg_lo:[0,1] neg_hi:[0,1]
	v_mov_b32_e32 v65, v50
	v_pk_add_f32 v[50:51], v[66:67], v[64:65] neg_lo:[0,1] neg_hi:[0,1]
	v_cvt_f32_i32_e32 v54, v68
	v_add_f32_e32 v49, v49, v51
	v_add_f32_e32 v49, v50, v49
	;; [unrolled: 1-line block ×4, first 2 shown]
	v_sub_f32_e32 v51, v50, v80
	v_mul_f32_e32 v49, v70, v49
	v_sub_f32_e32 v51, v71, v51
	v_add_f32_e32 v49, v51, v49
	v_add_f32_e32 v55, v50, v49
	v_mul_f32_e32 v64, v55, v55
	v_mov_b32_e32 v51, 0x3ecc95a3
	v_fmac_f32_e32 v51, 0x3e9b6dac, v64
	v_sub_f32_e32 v50, v55, v50
	v_fmaak_f32 v51, v64, v51, 0x3f2aaada
	v_sub_f32_e32 v49, v49, v50
	v_ldexp_f32 v65, v55, 1
	v_mul_f32_e32 v55, v55, v64
	v_mov_b32_e32 v50, 0x3f317218
	v_pk_mul_f32 v[50:51], v[54:55], v[50:51]
	v_ldexp_f32 v49, v49, 1
	v_fma_f32 v55, v54, s11, -v50
	v_fmamk_f32 v64, v54, 0xb102e308, v55
	v_pk_add_f32 v[54:55], v[50:51], v[64:65]
	v_mov_b32_e32 v66, v50
	v_sub_f32_e32 v65, v55, v65
	v_sub_f32_e32 v65, v51, v65
	v_add_f32_e32 v67, v49, v65
	v_pk_add_f32 v[50:51], v[54:55], v[50:51] neg_lo:[0,1] neg_hi:[0,1]
	v_pk_add_f32 v[68:69], v[54:55], v[66:67]
	v_mov_b32_e32 v65, v54
	v_mov_b32_e32 v51, v69
	v_pk_add_f32 v[70:71], v[64:65], v[50:51] neg_lo:[0,1] neg_hi:[0,1]
	v_pk_add_f32 v[50:51], v[64:65], v[50:51]
	v_mov_b32_e32 v66, v67
	v_mov_b32_e32 v64, v51
	v_pk_add_f32 v[80:81], v[64:65], v[54:55] neg_lo:[0,1] neg_hi:[0,1]
	v_mov_b32_e32 v50, v69
	v_mov_b32_e32 v49, v80
	v_pk_add_f32 v[82:83], v[68:69], v[48:49] neg_lo:[0,1] neg_hi:[0,1]
	v_mov_b32_e32 v68, v55
	v_mov_b32_e32 v69, v80
	;; [unrolled: 1-line block ×3, first 2 shown]
	v_pk_add_f32 v[50:51], v[50:51], v[68:69] neg_lo:[0,1] neg_hi:[0,1]
	v_mov_b32_e32 v67, v54
	v_pk_add_f32 v[50:51], v[66:67], v[50:51] neg_lo:[0,1] neg_hi:[0,1]
	v_mov_b32_e32 v82, v70
	v_pk_add_f32 v[54:55], v[82:83], v[50:51]
	s_mov_b32 s11, 0x33800000
	v_mov_b32_e32 v66, v55
	v_pk_add_f32 v[66:67], v[54:55], v[66:67]
	v_cmp_lt_f32_e64 s[12:13], |v53|, s11
	v_pk_add_f32 v[64:65], v[64:65], v[66:67]
	v_mov_b32_e32 v51, v66
	v_mov_b32_e32 v55, v64
	v_pk_add_f32 v[68:69], v[54:55], v[70:71] neg_lo:[0,1] neg_hi:[0,1]
	s_or_b64 vcc, vcc, s[12:13]
	v_sub_f32_e32 v49, v54, v68
	v_pk_add_f32 v[50:51], v[50:51], v[68:69] neg_lo:[0,1] neg_hi:[0,1]
	v_sub_f32_e32 v49, v70, v49
	v_add_f32_e32 v49, v50, v49
	v_add_f32_e32 v49, v49, v51
	;; [unrolled: 1-line block ×3, first 2 shown]
	v_cndmask_b32_e32 v49, v49, v53, vcc
	v_add_f32_e32 v132, v48, v49
.LBB121_57:
	s_or_b64 exec, exec, s[8:9]
	v_max_f32_e32 v70, v18, v18
	v_max_f32_e32 v48, v132, v132
	v_min_f32_e32 v49, v48, v70
	v_cmp_u_f32_e32 vcc, v132, v132
	v_max_f32_e32 v48, v48, v70
	v_cmp_u_f32_e64 s[8:9], v18, v18
	v_cndmask_b32_e32 v49, v49, v132, vcc
	v_cndmask_b32_e32 v48, v48, v132, vcc
	v_cndmask_b32_e64 v49, v49, v18, s[8:9]
	v_cndmask_b32_e64 v48, v48, v18, s[8:9]
	v_cmp_neq_f32_e32 vcc, v49, v48
	v_cmp_class_f32_e64 s[10:11], v49, s10
	s_or_b64 s[12:13], vcc, s[10:11]
	s_and_saveexec_b64 s[10:11], s[12:13]
	s_cbranch_execz .LBB121_59
; %bb.58:
	v_sub_f32_e32 v49, v49, v48
	s_mov_b32 s12, 0x3fb8aa3b
	v_mul_f32_e32 v50, 0x3fb8aa3b, v49
	v_fma_f32 v51, v49, s12, -v50
	v_rndne_f32_e32 v53, v50
	v_fmamk_f32 v51, v49, 0x32a5705f, v51
	v_sub_f32_e32 v50, v50, v53
	v_add_f32_e32 v50, v50, v51
	v_exp_f32_e32 v50, v50
	v_cvt_i32_f32_e32 v51, v53
	s_mov_b32 s12, 0xc2ce8ed0
	v_cmp_ngt_f32_e32 vcc, s12, v49
	s_mov_b32 s12, 0x42b17218
	v_ldexp_f32 v50, v50, v51
	v_cndmask_b32_e32 v50, 0, v50, vcc
	v_mov_b32_e32 v51, 0x7f800000
	v_cmp_nlt_f32_e32 vcc, s12, v49
	s_mov_b32 s12, 0x3f2aaaab
	s_mov_b32 s13, 0x7f800000
	v_cndmask_b32_e32 v53, v51, v50, vcc
	v_add_f32_e32 v49, 1.0, v53
	v_add_f32_e32 v50, -1.0, v49
	v_sub_f32_e32 v51, v50, v49
	v_add_f32_e32 v51, 1.0, v51
	v_sub_f32_e32 v50, v53, v50
	v_add_f32_e32 v54, v50, v51
	v_frexp_mant_f32_e32 v55, v49
	v_cvt_f64_f32_e32 v[50:51], v49
	v_frexp_exp_i32_f64_e32 v50, v[50:51]
	v_cmp_gt_f32_e32 vcc, s12, v55
	s_mov_b32 s12, 0x3f317218
	s_nop 0
	v_subbrev_co_u32_e32 v68, vcc, 0, v50, vcc
	v_sub_u32_e32 v50, 0, v68
	v_ldexp_f32 v49, v49, v50
	v_ldexp_f32 v50, v54, v50
	v_add_f32_e32 v54, -1.0, v49
	v_add_f32_e32 v51, 1.0, v54
	v_sub_f32_e32 v51, v49, v51
	v_add_f32_e32 v55, v50, v51
	v_add_f32_e32 v51, 1.0, v49
	v_add_f32_e32 v64, -1.0, v51
	v_sub_f32_e32 v49, v49, v64
	v_add_f32_e32 v49, v50, v49
	v_add_f32_e32 v69, v51, v49
	v_rcp_f32_e32 v71, v69
	v_sub_f32_e32 v50, v51, v69
	v_add_f32_e32 v51, v54, v55
	v_add_f32_e32 v49, v49, v50
	v_mul_f32_e32 v81, v51, v71
	v_sub_f32_e32 v50, v54, v51
	v_mul_f32_e32 v54, v69, v81
	v_fma_f32 v64, v81, v69, -v54
	v_fmac_f32_e32 v64, v81, v49
	v_add_f32_e32 v80, v55, v50
	v_add_f32_e32 v50, v54, v64
	v_sub_f32_e32 v55, v51, v50
	v_pk_add_f32 v[66:67], v[50:51], v[54:55] neg_lo:[0,1] neg_hi:[0,1]
	v_mov_b32_e32 v65, v50
	v_pk_add_f32 v[50:51], v[66:67], v[64:65] neg_lo:[0,1] neg_hi:[0,1]
	v_cmp_eq_f32_e32 vcc, s13, v53
	v_add_f32_e32 v51, v80, v51
	v_add_f32_e32 v50, v50, v51
	v_add_f32_e32 v51, v55, v50
	v_mul_f32_e32 v80, v71, v51
	v_mul_f32_e32 v54, v69, v80
	v_fma_f32 v64, v80, v69, -v54
	v_fmac_f32_e32 v64, v80, v49
	v_sub_f32_e32 v49, v55, v51
	v_add_f32_e32 v49, v50, v49
	v_add_f32_e32 v50, v54, v64
	v_sub_f32_e32 v55, v51, v50
	v_pk_add_f32 v[66:67], v[50:51], v[54:55] neg_lo:[0,1] neg_hi:[0,1]
	v_mov_b32_e32 v65, v50
	v_pk_add_f32 v[50:51], v[66:67], v[64:65] neg_lo:[0,1] neg_hi:[0,1]
	v_cvt_f32_i32_e32 v54, v68
	v_add_f32_e32 v49, v49, v51
	v_add_f32_e32 v49, v50, v49
	;; [unrolled: 1-line block ×4, first 2 shown]
	v_sub_f32_e32 v51, v50, v81
	v_mul_f32_e32 v49, v71, v49
	v_sub_f32_e32 v51, v80, v51
	v_add_f32_e32 v49, v51, v49
	v_add_f32_e32 v55, v50, v49
	v_mul_f32_e32 v64, v55, v55
	v_mov_b32_e32 v51, 0x3ecc95a3
	v_fmac_f32_e32 v51, 0x3e9b6dac, v64
	v_sub_f32_e32 v50, v55, v50
	v_fmaak_f32 v51, v64, v51, 0x3f2aaada
	v_sub_f32_e32 v49, v49, v50
	v_ldexp_f32 v65, v55, 1
	v_mul_f32_e32 v55, v55, v64
	v_mov_b32_e32 v50, 0x3f317218
	v_pk_mul_f32 v[50:51], v[54:55], v[50:51]
	v_ldexp_f32 v49, v49, 1
	v_fma_f32 v55, v54, s12, -v50
	v_fmamk_f32 v64, v54, 0xb102e308, v55
	v_pk_add_f32 v[54:55], v[50:51], v[64:65]
	v_mov_b32_e32 v66, v50
	v_sub_f32_e32 v65, v55, v65
	v_sub_f32_e32 v65, v51, v65
	v_add_f32_e32 v67, v49, v65
	v_pk_add_f32 v[50:51], v[54:55], v[50:51] neg_lo:[0,1] neg_hi:[0,1]
	v_pk_add_f32 v[68:69], v[54:55], v[66:67]
	v_mov_b32_e32 v65, v54
	v_mov_b32_e32 v51, v69
	v_pk_add_f32 v[80:81], v[64:65], v[50:51] neg_lo:[0,1] neg_hi:[0,1]
	v_pk_add_f32 v[50:51], v[64:65], v[50:51]
	v_mov_b32_e32 v66, v67
	v_mov_b32_e32 v64, v51
	v_pk_add_f32 v[82:83], v[64:65], v[54:55] neg_lo:[0,1] neg_hi:[0,1]
	v_mov_b32_e32 v50, v69
	v_mov_b32_e32 v49, v82
	v_pk_add_f32 v[84:85], v[68:69], v[48:49] neg_lo:[0,1] neg_hi:[0,1]
	v_mov_b32_e32 v68, v55
	v_mov_b32_e32 v69, v82
	;; [unrolled: 1-line block ×3, first 2 shown]
	v_pk_add_f32 v[50:51], v[50:51], v[68:69] neg_lo:[0,1] neg_hi:[0,1]
	v_mov_b32_e32 v67, v54
	v_pk_add_f32 v[50:51], v[66:67], v[50:51] neg_lo:[0,1] neg_hi:[0,1]
	v_mov_b32_e32 v84, v80
	v_pk_add_f32 v[54:55], v[84:85], v[50:51]
	s_mov_b32 s12, 0x33800000
	v_mov_b32_e32 v66, v55
	v_pk_add_f32 v[66:67], v[54:55], v[66:67]
	v_cmp_lt_f32_e64 s[12:13], |v53|, s12
	v_pk_add_f32 v[64:65], v[64:65], v[66:67]
	v_mov_b32_e32 v51, v66
	v_mov_b32_e32 v55, v64
	v_pk_add_f32 v[68:69], v[54:55], v[80:81] neg_lo:[0,1] neg_hi:[0,1]
	s_or_b64 vcc, vcc, s[12:13]
	v_sub_f32_e32 v49, v54, v68
	v_pk_add_f32 v[50:51], v[50:51], v[68:69] neg_lo:[0,1] neg_hi:[0,1]
	v_sub_f32_e32 v49, v80, v49
	v_add_f32_e32 v49, v50, v49
	v_add_f32_e32 v49, v49, v51
	;; [unrolled: 1-line block ×3, first 2 shown]
	v_cndmask_b32_e32 v49, v49, v53, vcc
	v_add_f32_e32 v132, v48, v49
.LBB121_59:
	s_or_b64 exec, exec, s[10:11]
	v_max_f32_e32 v71, v19, v19
	v_max_f32_e32 v48, v132, v132
	v_min_f32_e32 v49, v48, v71
	v_cmp_u_f32_e32 vcc, v132, v132
	v_max_f32_e32 v48, v48, v71
	v_cmp_u_f32_e64 s[10:11], v19, v19
	v_cndmask_b32_e32 v49, v49, v132, vcc
	v_cndmask_b32_e32 v48, v48, v132, vcc
	v_cndmask_b32_e64 v49, v49, v19, s[10:11]
	v_cndmask_b32_e64 v48, v48, v19, s[10:11]
	s_movk_i32 s14, 0x1f8
	v_cmp_neq_f32_e32 vcc, v49, v48
	v_cmp_class_f32_e64 s[12:13], v49, s14
	s_or_b64 s[16:17], vcc, s[12:13]
	s_and_saveexec_b64 s[12:13], s[16:17]
	s_cbranch_execz .LBB121_61
; %bb.60:
	v_sub_f32_e32 v49, v49, v48
	s_mov_b32 s15, 0x3fb8aa3b
	v_mul_f32_e32 v50, 0x3fb8aa3b, v49
	v_fma_f32 v51, v49, s15, -v50
	v_rndne_f32_e32 v53, v50
	v_fmamk_f32 v51, v49, 0x32a5705f, v51
	v_sub_f32_e32 v50, v50, v53
	v_add_f32_e32 v50, v50, v51
	v_exp_f32_e32 v50, v50
	v_cvt_i32_f32_e32 v51, v53
	s_mov_b32 s15, 0xc2ce8ed0
	v_cmp_ngt_f32_e32 vcc, s15, v49
	s_mov_b32 s15, 0x42b17218
	v_ldexp_f32 v50, v50, v51
	v_cndmask_b32_e32 v50, 0, v50, vcc
	v_mov_b32_e32 v51, 0x7f800000
	v_cmp_nlt_f32_e32 vcc, s15, v49
	s_mov_b32 s15, 0x3f2aaaab
	s_mov_b32 s16, 0x7f800000
	v_cndmask_b32_e32 v53, v51, v50, vcc
	v_add_f32_e32 v49, 1.0, v53
	v_add_f32_e32 v50, -1.0, v49
	v_sub_f32_e32 v51, v50, v49
	v_add_f32_e32 v51, 1.0, v51
	v_sub_f32_e32 v50, v53, v50
	v_add_f32_e32 v54, v50, v51
	v_frexp_mant_f32_e32 v55, v49
	v_cvt_f64_f32_e32 v[50:51], v49
	v_frexp_exp_i32_f64_e32 v50, v[50:51]
	v_cmp_gt_f32_e32 vcc, s15, v55
	s_mov_b32 s15, 0x3f317218
	s_nop 0
	v_subbrev_co_u32_e32 v68, vcc, 0, v50, vcc
	v_sub_u32_e32 v50, 0, v68
	v_ldexp_f32 v49, v49, v50
	v_ldexp_f32 v50, v54, v50
	v_add_f32_e32 v54, -1.0, v49
	v_add_f32_e32 v51, 1.0, v54
	v_sub_f32_e32 v51, v49, v51
	v_add_f32_e32 v55, v50, v51
	v_add_f32_e32 v51, 1.0, v49
	v_add_f32_e32 v64, -1.0, v51
	v_sub_f32_e32 v49, v49, v64
	v_add_f32_e32 v49, v50, v49
	v_add_f32_e32 v69, v51, v49
	v_rcp_f32_e32 v80, v69
	v_sub_f32_e32 v50, v51, v69
	v_add_f32_e32 v51, v54, v55
	v_add_f32_e32 v49, v49, v50
	v_mul_f32_e32 v82, v51, v80
	v_sub_f32_e32 v50, v54, v51
	v_mul_f32_e32 v54, v69, v82
	v_fma_f32 v64, v82, v69, -v54
	v_fmac_f32_e32 v64, v82, v49
	v_add_f32_e32 v81, v55, v50
	v_add_f32_e32 v50, v54, v64
	v_sub_f32_e32 v55, v51, v50
	v_pk_add_f32 v[66:67], v[50:51], v[54:55] neg_lo:[0,1] neg_hi:[0,1]
	v_mov_b32_e32 v65, v50
	v_pk_add_f32 v[50:51], v[66:67], v[64:65] neg_lo:[0,1] neg_hi:[0,1]
	v_cmp_eq_f32_e32 vcc, s16, v53
	v_add_f32_e32 v51, v81, v51
	v_add_f32_e32 v50, v50, v51
	;; [unrolled: 1-line block ×3, first 2 shown]
	v_mul_f32_e32 v81, v80, v51
	v_mul_f32_e32 v54, v69, v81
	v_fma_f32 v64, v81, v69, -v54
	v_fmac_f32_e32 v64, v81, v49
	v_sub_f32_e32 v49, v55, v51
	v_add_f32_e32 v49, v50, v49
	v_add_f32_e32 v50, v54, v64
	v_sub_f32_e32 v55, v51, v50
	v_pk_add_f32 v[66:67], v[50:51], v[54:55] neg_lo:[0,1] neg_hi:[0,1]
	v_mov_b32_e32 v65, v50
	v_pk_add_f32 v[50:51], v[66:67], v[64:65] neg_lo:[0,1] neg_hi:[0,1]
	v_cvt_f32_i32_e32 v54, v68
	v_add_f32_e32 v49, v49, v51
	v_add_f32_e32 v49, v50, v49
	;; [unrolled: 1-line block ×4, first 2 shown]
	v_sub_f32_e32 v51, v50, v82
	v_mul_f32_e32 v49, v80, v49
	v_sub_f32_e32 v51, v81, v51
	v_add_f32_e32 v49, v51, v49
	v_add_f32_e32 v55, v50, v49
	v_mul_f32_e32 v64, v55, v55
	v_mov_b32_e32 v51, 0x3ecc95a3
	v_fmac_f32_e32 v51, 0x3e9b6dac, v64
	v_sub_f32_e32 v50, v55, v50
	v_fmaak_f32 v51, v64, v51, 0x3f2aaada
	v_sub_f32_e32 v49, v49, v50
	v_ldexp_f32 v65, v55, 1
	v_mul_f32_e32 v55, v55, v64
	v_mov_b32_e32 v50, 0x3f317218
	v_pk_mul_f32 v[50:51], v[54:55], v[50:51]
	v_ldexp_f32 v49, v49, 1
	v_fma_f32 v55, v54, s15, -v50
	v_fmamk_f32 v64, v54, 0xb102e308, v55
	v_pk_add_f32 v[54:55], v[50:51], v[64:65]
	v_mov_b32_e32 v66, v50
	v_sub_f32_e32 v65, v55, v65
	v_sub_f32_e32 v65, v51, v65
	v_add_f32_e32 v67, v49, v65
	v_pk_add_f32 v[50:51], v[54:55], v[50:51] neg_lo:[0,1] neg_hi:[0,1]
	v_pk_add_f32 v[68:69], v[54:55], v[66:67]
	v_mov_b32_e32 v65, v54
	v_mov_b32_e32 v51, v69
	v_pk_add_f32 v[80:81], v[64:65], v[50:51] neg_lo:[0,1] neg_hi:[0,1]
	v_pk_add_f32 v[50:51], v[64:65], v[50:51]
	v_mov_b32_e32 v66, v67
	v_mov_b32_e32 v64, v51
	v_pk_add_f32 v[82:83], v[64:65], v[54:55] neg_lo:[0,1] neg_hi:[0,1]
	v_mov_b32_e32 v50, v69
	v_mov_b32_e32 v49, v82
	v_pk_add_f32 v[84:85], v[68:69], v[48:49] neg_lo:[0,1] neg_hi:[0,1]
	v_mov_b32_e32 v68, v55
	v_mov_b32_e32 v69, v82
	;; [unrolled: 1-line block ×3, first 2 shown]
	v_pk_add_f32 v[50:51], v[50:51], v[68:69] neg_lo:[0,1] neg_hi:[0,1]
	v_mov_b32_e32 v67, v54
	v_pk_add_f32 v[50:51], v[66:67], v[50:51] neg_lo:[0,1] neg_hi:[0,1]
	v_mov_b32_e32 v84, v80
	v_pk_add_f32 v[54:55], v[84:85], v[50:51]
	s_mov_b32 s15, 0x33800000
	v_mov_b32_e32 v66, v55
	v_pk_add_f32 v[66:67], v[54:55], v[66:67]
	v_cmp_lt_f32_e64 s[16:17], |v53|, s15
	v_pk_add_f32 v[64:65], v[64:65], v[66:67]
	v_mov_b32_e32 v51, v66
	v_mov_b32_e32 v55, v64
	v_pk_add_f32 v[68:69], v[54:55], v[80:81] neg_lo:[0,1] neg_hi:[0,1]
	s_or_b64 vcc, vcc, s[16:17]
	v_sub_f32_e32 v49, v54, v68
	v_pk_add_f32 v[50:51], v[50:51], v[68:69] neg_lo:[0,1] neg_hi:[0,1]
	v_sub_f32_e32 v49, v80, v49
	v_add_f32_e32 v49, v50, v49
	v_add_f32_e32 v49, v49, v51
	;; [unrolled: 1-line block ×3, first 2 shown]
	v_cndmask_b32_e32 v49, v49, v53, vcc
	v_add_f32_e32 v132, v48, v49
.LBB121_61:
	s_or_b64 exec, exec, s[12:13]
	v_max_f32_e32 v80, v36, v36
	v_max_f32_e32 v48, v132, v132
	v_min_f32_e32 v49, v48, v80
	v_cmp_u_f32_e32 vcc, v132, v132
	v_max_f32_e32 v48, v48, v80
	v_cmp_u_f32_e64 s[12:13], v36, v36
	v_cndmask_b32_e32 v49, v49, v132, vcc
	v_cndmask_b32_e32 v48, v48, v132, vcc
	v_cndmask_b32_e64 v49, v49, v36, s[12:13]
	v_cndmask_b32_e64 v48, v48, v36, s[12:13]
	v_cmp_neq_f32_e32 vcc, v49, v48
	v_cmp_class_f32_e64 s[14:15], v49, s14
	s_or_b64 s[16:17], vcc, s[14:15]
	s_and_saveexec_b64 s[14:15], s[16:17]
	s_cbranch_execz .LBB121_63
; %bb.62:
	v_sub_f32_e32 v49, v49, v48
	s_mov_b32 s16, 0x3fb8aa3b
	v_mul_f32_e32 v50, 0x3fb8aa3b, v49
	v_fma_f32 v51, v49, s16, -v50
	v_rndne_f32_e32 v53, v50
	v_fmamk_f32 v51, v49, 0x32a5705f, v51
	v_sub_f32_e32 v50, v50, v53
	v_add_f32_e32 v50, v50, v51
	v_exp_f32_e32 v50, v50
	v_cvt_i32_f32_e32 v51, v53
	s_mov_b32 s16, 0xc2ce8ed0
	v_cmp_ngt_f32_e32 vcc, s16, v49
	s_mov_b32 s16, 0x42b17218
	v_ldexp_f32 v50, v50, v51
	v_cndmask_b32_e32 v50, 0, v50, vcc
	v_mov_b32_e32 v51, 0x7f800000
	v_cmp_nlt_f32_e32 vcc, s16, v49
	s_mov_b32 s16, 0x3f2aaaab
	s_mov_b32 s17, 0x7f800000
	v_cndmask_b32_e32 v53, v51, v50, vcc
	v_add_f32_e32 v49, 1.0, v53
	v_add_f32_e32 v50, -1.0, v49
	v_sub_f32_e32 v51, v50, v49
	v_add_f32_e32 v51, 1.0, v51
	v_sub_f32_e32 v50, v53, v50
	v_add_f32_e32 v54, v50, v51
	v_frexp_mant_f32_e32 v55, v49
	v_cvt_f64_f32_e32 v[50:51], v49
	v_frexp_exp_i32_f64_e32 v50, v[50:51]
	v_cmp_gt_f32_e32 vcc, s16, v55
	s_mov_b32 s16, 0x3f317218
	s_nop 0
	v_subbrev_co_u32_e32 v68, vcc, 0, v50, vcc
	v_sub_u32_e32 v50, 0, v68
	v_ldexp_f32 v49, v49, v50
	v_ldexp_f32 v50, v54, v50
	v_add_f32_e32 v54, -1.0, v49
	v_add_f32_e32 v51, 1.0, v54
	v_sub_f32_e32 v51, v49, v51
	v_add_f32_e32 v55, v50, v51
	v_add_f32_e32 v51, 1.0, v49
	v_add_f32_e32 v64, -1.0, v51
	v_sub_f32_e32 v49, v49, v64
	v_add_f32_e32 v49, v50, v49
	v_add_f32_e32 v69, v51, v49
	v_rcp_f32_e32 v81, v69
	v_sub_f32_e32 v50, v51, v69
	v_add_f32_e32 v51, v54, v55
	v_add_f32_e32 v49, v49, v50
	v_mul_f32_e32 v83, v51, v81
	v_sub_f32_e32 v50, v54, v51
	v_mul_f32_e32 v54, v69, v83
	v_fma_f32 v64, v83, v69, -v54
	v_fmac_f32_e32 v64, v83, v49
	v_add_f32_e32 v82, v55, v50
	v_add_f32_e32 v50, v54, v64
	v_sub_f32_e32 v55, v51, v50
	v_pk_add_f32 v[66:67], v[50:51], v[54:55] neg_lo:[0,1] neg_hi:[0,1]
	v_mov_b32_e32 v65, v50
	v_pk_add_f32 v[50:51], v[66:67], v[64:65] neg_lo:[0,1] neg_hi:[0,1]
	v_cmp_eq_f32_e32 vcc, s17, v53
	v_add_f32_e32 v51, v82, v51
	v_add_f32_e32 v50, v50, v51
	;; [unrolled: 1-line block ×3, first 2 shown]
	v_mul_f32_e32 v82, v81, v51
	v_mul_f32_e32 v54, v69, v82
	v_fma_f32 v64, v82, v69, -v54
	v_fmac_f32_e32 v64, v82, v49
	v_sub_f32_e32 v49, v55, v51
	v_add_f32_e32 v49, v50, v49
	v_add_f32_e32 v50, v54, v64
	v_sub_f32_e32 v55, v51, v50
	v_pk_add_f32 v[66:67], v[50:51], v[54:55] neg_lo:[0,1] neg_hi:[0,1]
	v_mov_b32_e32 v65, v50
	v_pk_add_f32 v[50:51], v[66:67], v[64:65] neg_lo:[0,1] neg_hi:[0,1]
	v_cvt_f32_i32_e32 v54, v68
	v_add_f32_e32 v49, v49, v51
	v_add_f32_e32 v49, v50, v49
	;; [unrolled: 1-line block ×4, first 2 shown]
	v_sub_f32_e32 v51, v50, v83
	v_mul_f32_e32 v49, v81, v49
	v_sub_f32_e32 v51, v82, v51
	v_add_f32_e32 v49, v51, v49
	v_add_f32_e32 v55, v50, v49
	v_mul_f32_e32 v64, v55, v55
	v_mov_b32_e32 v51, 0x3ecc95a3
	v_fmac_f32_e32 v51, 0x3e9b6dac, v64
	v_sub_f32_e32 v50, v55, v50
	v_fmaak_f32 v51, v64, v51, 0x3f2aaada
	v_sub_f32_e32 v49, v49, v50
	v_ldexp_f32 v65, v55, 1
	v_mul_f32_e32 v55, v55, v64
	v_mov_b32_e32 v50, 0x3f317218
	v_pk_mul_f32 v[50:51], v[54:55], v[50:51]
	v_ldexp_f32 v49, v49, 1
	v_fma_f32 v55, v54, s16, -v50
	v_fmamk_f32 v64, v54, 0xb102e308, v55
	v_pk_add_f32 v[54:55], v[50:51], v[64:65]
	v_mov_b32_e32 v66, v50
	v_sub_f32_e32 v65, v55, v65
	v_sub_f32_e32 v65, v51, v65
	v_add_f32_e32 v67, v49, v65
	v_pk_add_f32 v[50:51], v[54:55], v[50:51] neg_lo:[0,1] neg_hi:[0,1]
	v_pk_add_f32 v[68:69], v[54:55], v[66:67]
	v_mov_b32_e32 v65, v54
	v_mov_b32_e32 v51, v69
	v_pk_add_f32 v[82:83], v[64:65], v[50:51] neg_lo:[0,1] neg_hi:[0,1]
	v_pk_add_f32 v[50:51], v[64:65], v[50:51]
	v_mov_b32_e32 v66, v67
	v_mov_b32_e32 v64, v51
	v_pk_add_f32 v[84:85], v[64:65], v[54:55] neg_lo:[0,1] neg_hi:[0,1]
	v_mov_b32_e32 v50, v69
	v_mov_b32_e32 v49, v84
	v_pk_add_f32 v[86:87], v[68:69], v[48:49] neg_lo:[0,1] neg_hi:[0,1]
	v_mov_b32_e32 v68, v55
	v_mov_b32_e32 v69, v84
	;; [unrolled: 1-line block ×3, first 2 shown]
	v_pk_add_f32 v[50:51], v[50:51], v[68:69] neg_lo:[0,1] neg_hi:[0,1]
	v_mov_b32_e32 v67, v54
	v_pk_add_f32 v[50:51], v[66:67], v[50:51] neg_lo:[0,1] neg_hi:[0,1]
	v_mov_b32_e32 v86, v82
	v_pk_add_f32 v[54:55], v[86:87], v[50:51]
	s_mov_b32 s16, 0x33800000
	v_mov_b32_e32 v66, v55
	v_pk_add_f32 v[66:67], v[54:55], v[66:67]
	v_cmp_lt_f32_e64 s[16:17], |v53|, s16
	v_pk_add_f32 v[64:65], v[64:65], v[66:67]
	v_mov_b32_e32 v51, v66
	v_mov_b32_e32 v55, v64
	v_pk_add_f32 v[68:69], v[54:55], v[82:83] neg_lo:[0,1] neg_hi:[0,1]
	s_or_b64 vcc, vcc, s[16:17]
	v_sub_f32_e32 v49, v54, v68
	v_pk_add_f32 v[50:51], v[50:51], v[68:69] neg_lo:[0,1] neg_hi:[0,1]
	v_sub_f32_e32 v49, v82, v49
	v_add_f32_e32 v49, v50, v49
	v_add_f32_e32 v49, v49, v51
	v_add_f32_e32 v49, v64, v49
	v_cndmask_b32_e32 v49, v49, v53, vcc
	v_add_f32_e32 v132, v48, v49
.LBB121_63:
	s_or_b64 exec, exec, s[14:15]
	v_max_f32_e32 v81, v37, v37
	v_max_f32_e32 v48, v132, v132
	v_min_f32_e32 v49, v48, v81
	v_cmp_u_f32_e32 vcc, v132, v132
	v_max_f32_e32 v48, v48, v81
	v_cmp_u_f32_e64 s[14:15], v37, v37
	v_cndmask_b32_e32 v49, v49, v132, vcc
	v_cndmask_b32_e32 v48, v48, v132, vcc
	v_cndmask_b32_e64 v49, v49, v37, s[14:15]
	v_cndmask_b32_e64 v48, v48, v37, s[14:15]
	s_movk_i32 s18, 0x1f8
	v_cmp_neq_f32_e32 vcc, v49, v48
	v_cmp_class_f32_e64 s[16:17], v49, s18
	s_or_b64 s[20:21], vcc, s[16:17]
	s_and_saveexec_b64 s[16:17], s[20:21]
	s_cbranch_execz .LBB121_65
; %bb.64:
	v_sub_f32_e32 v49, v49, v48
	s_mov_b32 s19, 0x3fb8aa3b
	v_mul_f32_e32 v50, 0x3fb8aa3b, v49
	v_fma_f32 v51, v49, s19, -v50
	v_rndne_f32_e32 v53, v50
	v_fmamk_f32 v51, v49, 0x32a5705f, v51
	v_sub_f32_e32 v50, v50, v53
	v_add_f32_e32 v50, v50, v51
	v_exp_f32_e32 v50, v50
	v_cvt_i32_f32_e32 v51, v53
	s_mov_b32 s19, 0xc2ce8ed0
	v_cmp_ngt_f32_e32 vcc, s19, v49
	s_mov_b32 s19, 0x42b17218
	v_ldexp_f32 v50, v50, v51
	v_cndmask_b32_e32 v50, 0, v50, vcc
	v_mov_b32_e32 v51, 0x7f800000
	v_cmp_nlt_f32_e32 vcc, s19, v49
	s_mov_b32 s19, 0x3f2aaaab
	s_mov_b32 s20, 0x7f800000
	v_cndmask_b32_e32 v53, v51, v50, vcc
	v_add_f32_e32 v49, 1.0, v53
	v_add_f32_e32 v50, -1.0, v49
	v_sub_f32_e32 v51, v50, v49
	v_add_f32_e32 v51, 1.0, v51
	v_sub_f32_e32 v50, v53, v50
	v_add_f32_e32 v54, v50, v51
	v_frexp_mant_f32_e32 v55, v49
	v_cvt_f64_f32_e32 v[50:51], v49
	v_frexp_exp_i32_f64_e32 v50, v[50:51]
	v_cmp_gt_f32_e32 vcc, s19, v55
	s_mov_b32 s19, 0x3f317218
	s_nop 0
	v_subbrev_co_u32_e32 v68, vcc, 0, v50, vcc
	v_sub_u32_e32 v50, 0, v68
	v_ldexp_f32 v49, v49, v50
	v_ldexp_f32 v50, v54, v50
	v_add_f32_e32 v54, -1.0, v49
	v_add_f32_e32 v51, 1.0, v54
	v_sub_f32_e32 v51, v49, v51
	v_add_f32_e32 v55, v50, v51
	v_add_f32_e32 v51, 1.0, v49
	v_add_f32_e32 v64, -1.0, v51
	v_sub_f32_e32 v49, v49, v64
	v_add_f32_e32 v49, v50, v49
	v_add_f32_e32 v69, v51, v49
	v_rcp_f32_e32 v82, v69
	v_sub_f32_e32 v50, v51, v69
	v_add_f32_e32 v51, v54, v55
	v_add_f32_e32 v49, v49, v50
	v_mul_f32_e32 v84, v51, v82
	v_sub_f32_e32 v50, v54, v51
	v_mul_f32_e32 v54, v69, v84
	v_fma_f32 v64, v84, v69, -v54
	v_fmac_f32_e32 v64, v84, v49
	v_add_f32_e32 v83, v55, v50
	v_add_f32_e32 v50, v54, v64
	v_sub_f32_e32 v55, v51, v50
	v_pk_add_f32 v[66:67], v[50:51], v[54:55] neg_lo:[0,1] neg_hi:[0,1]
	v_mov_b32_e32 v65, v50
	v_pk_add_f32 v[50:51], v[66:67], v[64:65] neg_lo:[0,1] neg_hi:[0,1]
	v_cmp_eq_f32_e32 vcc, s20, v53
	v_add_f32_e32 v51, v83, v51
	v_add_f32_e32 v50, v50, v51
	;; [unrolled: 1-line block ×3, first 2 shown]
	v_mul_f32_e32 v83, v82, v51
	v_mul_f32_e32 v54, v69, v83
	v_fma_f32 v64, v83, v69, -v54
	v_fmac_f32_e32 v64, v83, v49
	v_sub_f32_e32 v49, v55, v51
	v_add_f32_e32 v49, v50, v49
	v_add_f32_e32 v50, v54, v64
	v_sub_f32_e32 v55, v51, v50
	v_pk_add_f32 v[66:67], v[50:51], v[54:55] neg_lo:[0,1] neg_hi:[0,1]
	v_mov_b32_e32 v65, v50
	v_pk_add_f32 v[50:51], v[66:67], v[64:65] neg_lo:[0,1] neg_hi:[0,1]
	v_cvt_f32_i32_e32 v54, v68
	v_add_f32_e32 v49, v49, v51
	v_add_f32_e32 v49, v50, v49
	;; [unrolled: 1-line block ×4, first 2 shown]
	v_sub_f32_e32 v51, v50, v84
	v_mul_f32_e32 v49, v82, v49
	v_sub_f32_e32 v51, v83, v51
	v_add_f32_e32 v49, v51, v49
	v_add_f32_e32 v55, v50, v49
	v_mul_f32_e32 v64, v55, v55
	v_mov_b32_e32 v51, 0x3ecc95a3
	v_fmac_f32_e32 v51, 0x3e9b6dac, v64
	v_sub_f32_e32 v50, v55, v50
	v_fmaak_f32 v51, v64, v51, 0x3f2aaada
	v_sub_f32_e32 v49, v49, v50
	v_ldexp_f32 v65, v55, 1
	v_mul_f32_e32 v55, v55, v64
	v_mov_b32_e32 v50, 0x3f317218
	v_pk_mul_f32 v[50:51], v[54:55], v[50:51]
	v_ldexp_f32 v49, v49, 1
	v_fma_f32 v55, v54, s19, -v50
	v_fmamk_f32 v64, v54, 0xb102e308, v55
	v_pk_add_f32 v[54:55], v[50:51], v[64:65]
	v_mov_b32_e32 v66, v50
	v_sub_f32_e32 v65, v55, v65
	v_sub_f32_e32 v65, v51, v65
	v_add_f32_e32 v67, v49, v65
	v_pk_add_f32 v[50:51], v[54:55], v[50:51] neg_lo:[0,1] neg_hi:[0,1]
	v_pk_add_f32 v[68:69], v[54:55], v[66:67]
	v_mov_b32_e32 v65, v54
	v_mov_b32_e32 v51, v69
	v_pk_add_f32 v[82:83], v[64:65], v[50:51] neg_lo:[0,1] neg_hi:[0,1]
	v_pk_add_f32 v[50:51], v[64:65], v[50:51]
	v_mov_b32_e32 v66, v67
	v_mov_b32_e32 v64, v51
	v_pk_add_f32 v[84:85], v[64:65], v[54:55] neg_lo:[0,1] neg_hi:[0,1]
	v_mov_b32_e32 v50, v69
	v_mov_b32_e32 v49, v84
	v_pk_add_f32 v[86:87], v[68:69], v[48:49] neg_lo:[0,1] neg_hi:[0,1]
	v_mov_b32_e32 v68, v55
	v_mov_b32_e32 v69, v84
	;; [unrolled: 1-line block ×3, first 2 shown]
	v_pk_add_f32 v[50:51], v[50:51], v[68:69] neg_lo:[0,1] neg_hi:[0,1]
	v_mov_b32_e32 v67, v54
	v_pk_add_f32 v[50:51], v[66:67], v[50:51] neg_lo:[0,1] neg_hi:[0,1]
	v_mov_b32_e32 v86, v82
	v_pk_add_f32 v[54:55], v[86:87], v[50:51]
	s_mov_b32 s19, 0x33800000
	v_mov_b32_e32 v66, v55
	v_pk_add_f32 v[66:67], v[54:55], v[66:67]
	v_cmp_lt_f32_e64 s[20:21], |v53|, s19
	v_pk_add_f32 v[64:65], v[64:65], v[66:67]
	v_mov_b32_e32 v51, v66
	v_mov_b32_e32 v55, v64
	v_pk_add_f32 v[68:69], v[54:55], v[82:83] neg_lo:[0,1] neg_hi:[0,1]
	s_or_b64 vcc, vcc, s[20:21]
	v_sub_f32_e32 v49, v54, v68
	v_pk_add_f32 v[50:51], v[50:51], v[68:69] neg_lo:[0,1] neg_hi:[0,1]
	v_sub_f32_e32 v49, v82, v49
	v_add_f32_e32 v49, v50, v49
	v_add_f32_e32 v49, v49, v51
	;; [unrolled: 1-line block ×3, first 2 shown]
	v_cndmask_b32_e32 v49, v49, v53, vcc
	v_add_f32_e32 v132, v48, v49
.LBB121_65:
	s_or_b64 exec, exec, s[16:17]
	v_max_f32_e32 v82, v38, v38
	v_max_f32_e32 v48, v132, v132
	v_min_f32_e32 v49, v48, v82
	v_cmp_u_f32_e32 vcc, v132, v132
	v_max_f32_e32 v48, v48, v82
	v_cmp_u_f32_e64 s[16:17], v38, v38
	v_cndmask_b32_e32 v49, v49, v132, vcc
	v_cndmask_b32_e32 v48, v48, v132, vcc
	v_cndmask_b32_e64 v49, v49, v38, s[16:17]
	v_cndmask_b32_e64 v48, v48, v38, s[16:17]
	v_cmp_neq_f32_e32 vcc, v49, v48
	v_cmp_class_f32_e64 s[18:19], v49, s18
	s_or_b64 s[20:21], vcc, s[18:19]
	s_and_saveexec_b64 s[18:19], s[20:21]
	s_cbranch_execz .LBB121_67
; %bb.66:
	v_sub_f32_e32 v49, v49, v48
	s_mov_b32 s20, 0x3fb8aa3b
	v_mul_f32_e32 v50, 0x3fb8aa3b, v49
	v_fma_f32 v51, v49, s20, -v50
	v_rndne_f32_e32 v53, v50
	v_fmamk_f32 v51, v49, 0x32a5705f, v51
	v_sub_f32_e32 v50, v50, v53
	v_add_f32_e32 v50, v50, v51
	v_exp_f32_e32 v50, v50
	v_cvt_i32_f32_e32 v51, v53
	s_mov_b32 s20, 0xc2ce8ed0
	v_cmp_ngt_f32_e32 vcc, s20, v49
	s_mov_b32 s20, 0x42b17218
	v_ldexp_f32 v50, v50, v51
	v_cndmask_b32_e32 v50, 0, v50, vcc
	v_mov_b32_e32 v51, 0x7f800000
	v_cmp_nlt_f32_e32 vcc, s20, v49
	s_mov_b32 s20, 0x3f2aaaab
	s_mov_b32 s21, 0x7f800000
	v_cndmask_b32_e32 v53, v51, v50, vcc
	v_add_f32_e32 v49, 1.0, v53
	v_add_f32_e32 v50, -1.0, v49
	v_sub_f32_e32 v51, v50, v49
	v_add_f32_e32 v51, 1.0, v51
	v_sub_f32_e32 v50, v53, v50
	v_add_f32_e32 v54, v50, v51
	v_frexp_mant_f32_e32 v55, v49
	v_cvt_f64_f32_e32 v[50:51], v49
	v_frexp_exp_i32_f64_e32 v50, v[50:51]
	v_cmp_gt_f32_e32 vcc, s20, v55
	s_mov_b32 s20, 0x3f317218
	s_nop 0
	v_subbrev_co_u32_e32 v68, vcc, 0, v50, vcc
	v_sub_u32_e32 v50, 0, v68
	v_ldexp_f32 v49, v49, v50
	v_ldexp_f32 v50, v54, v50
	v_add_f32_e32 v54, -1.0, v49
	v_add_f32_e32 v51, 1.0, v54
	v_sub_f32_e32 v51, v49, v51
	v_add_f32_e32 v55, v50, v51
	v_add_f32_e32 v51, 1.0, v49
	v_add_f32_e32 v64, -1.0, v51
	v_sub_f32_e32 v49, v49, v64
	v_add_f32_e32 v49, v50, v49
	v_add_f32_e32 v69, v51, v49
	v_rcp_f32_e32 v83, v69
	v_sub_f32_e32 v50, v51, v69
	v_add_f32_e32 v51, v54, v55
	v_add_f32_e32 v49, v49, v50
	v_mul_f32_e32 v85, v51, v83
	v_sub_f32_e32 v50, v54, v51
	v_mul_f32_e32 v54, v69, v85
	v_fma_f32 v64, v85, v69, -v54
	v_fmac_f32_e32 v64, v85, v49
	v_add_f32_e32 v84, v55, v50
	v_add_f32_e32 v50, v54, v64
	v_sub_f32_e32 v55, v51, v50
	v_pk_add_f32 v[66:67], v[50:51], v[54:55] neg_lo:[0,1] neg_hi:[0,1]
	v_mov_b32_e32 v65, v50
	v_pk_add_f32 v[50:51], v[66:67], v[64:65] neg_lo:[0,1] neg_hi:[0,1]
	v_cmp_eq_f32_e32 vcc, s21, v53
	v_add_f32_e32 v51, v84, v51
	v_add_f32_e32 v50, v50, v51
	;; [unrolled: 1-line block ×3, first 2 shown]
	v_mul_f32_e32 v84, v83, v51
	v_mul_f32_e32 v54, v69, v84
	v_fma_f32 v64, v84, v69, -v54
	v_fmac_f32_e32 v64, v84, v49
	v_sub_f32_e32 v49, v55, v51
	v_add_f32_e32 v49, v50, v49
	v_add_f32_e32 v50, v54, v64
	v_sub_f32_e32 v55, v51, v50
	v_pk_add_f32 v[66:67], v[50:51], v[54:55] neg_lo:[0,1] neg_hi:[0,1]
	v_mov_b32_e32 v65, v50
	v_pk_add_f32 v[50:51], v[66:67], v[64:65] neg_lo:[0,1] neg_hi:[0,1]
	v_cvt_f32_i32_e32 v54, v68
	v_add_f32_e32 v49, v49, v51
	v_add_f32_e32 v49, v50, v49
	;; [unrolled: 1-line block ×4, first 2 shown]
	v_sub_f32_e32 v51, v50, v85
	v_mul_f32_e32 v49, v83, v49
	v_sub_f32_e32 v51, v84, v51
	v_add_f32_e32 v49, v51, v49
	v_add_f32_e32 v55, v50, v49
	v_mul_f32_e32 v64, v55, v55
	v_mov_b32_e32 v51, 0x3ecc95a3
	v_fmac_f32_e32 v51, 0x3e9b6dac, v64
	v_sub_f32_e32 v50, v55, v50
	v_fmaak_f32 v51, v64, v51, 0x3f2aaada
	v_sub_f32_e32 v49, v49, v50
	v_ldexp_f32 v65, v55, 1
	v_mul_f32_e32 v55, v55, v64
	v_mov_b32_e32 v50, 0x3f317218
	v_pk_mul_f32 v[50:51], v[54:55], v[50:51]
	v_ldexp_f32 v49, v49, 1
	v_fma_f32 v55, v54, s20, -v50
	v_fmamk_f32 v64, v54, 0xb102e308, v55
	v_pk_add_f32 v[54:55], v[50:51], v[64:65]
	v_mov_b32_e32 v66, v50
	v_sub_f32_e32 v65, v55, v65
	v_sub_f32_e32 v65, v51, v65
	v_add_f32_e32 v67, v49, v65
	v_pk_add_f32 v[50:51], v[54:55], v[50:51] neg_lo:[0,1] neg_hi:[0,1]
	v_pk_add_f32 v[68:69], v[54:55], v[66:67]
	v_mov_b32_e32 v65, v54
	v_mov_b32_e32 v51, v69
	v_pk_add_f32 v[84:85], v[64:65], v[50:51] neg_lo:[0,1] neg_hi:[0,1]
	v_pk_add_f32 v[50:51], v[64:65], v[50:51]
	v_mov_b32_e32 v66, v67
	v_mov_b32_e32 v64, v51
	v_pk_add_f32 v[86:87], v[64:65], v[54:55] neg_lo:[0,1] neg_hi:[0,1]
	v_mov_b32_e32 v50, v69
	v_mov_b32_e32 v49, v86
	v_pk_add_f32 v[112:113], v[68:69], v[48:49] neg_lo:[0,1] neg_hi:[0,1]
	v_mov_b32_e32 v68, v55
	v_mov_b32_e32 v69, v86
	;; [unrolled: 1-line block ×3, first 2 shown]
	v_pk_add_f32 v[50:51], v[50:51], v[68:69] neg_lo:[0,1] neg_hi:[0,1]
	v_mov_b32_e32 v67, v54
	v_pk_add_f32 v[50:51], v[66:67], v[50:51] neg_lo:[0,1] neg_hi:[0,1]
	v_mov_b32_e32 v112, v84
	v_pk_add_f32 v[54:55], v[112:113], v[50:51]
	s_mov_b32 s20, 0x33800000
	v_mov_b32_e32 v66, v55
	v_pk_add_f32 v[66:67], v[54:55], v[66:67]
	v_cmp_lt_f32_e64 s[20:21], |v53|, s20
	v_pk_add_f32 v[64:65], v[64:65], v[66:67]
	v_mov_b32_e32 v51, v66
	v_mov_b32_e32 v55, v64
	v_pk_add_f32 v[68:69], v[54:55], v[84:85] neg_lo:[0,1] neg_hi:[0,1]
	s_or_b64 vcc, vcc, s[20:21]
	v_sub_f32_e32 v49, v54, v68
	v_pk_add_f32 v[50:51], v[50:51], v[68:69] neg_lo:[0,1] neg_hi:[0,1]
	v_sub_f32_e32 v49, v84, v49
	v_add_f32_e32 v49, v50, v49
	v_add_f32_e32 v49, v49, v51
	;; [unrolled: 1-line block ×3, first 2 shown]
	v_cndmask_b32_e32 v49, v49, v53, vcc
	v_add_f32_e32 v132, v48, v49
.LBB121_67:
	s_or_b64 exec, exec, s[18:19]
	v_max_f32_e32 v83, v39, v39
	v_max_f32_e32 v48, v132, v132
	v_min_f32_e32 v49, v48, v83
	v_cmp_u_f32_e32 vcc, v132, v132
	v_max_f32_e32 v48, v48, v83
	v_cmp_u_f32_e64 s[18:19], v39, v39
	v_cndmask_b32_e32 v49, v49, v132, vcc
	v_cndmask_b32_e32 v48, v48, v132, vcc
	v_cndmask_b32_e64 v49, v49, v39, s[18:19]
	v_cndmask_b32_e64 v48, v48, v39, s[18:19]
	s_movk_i32 s22, 0x1f8
	v_cmp_neq_f32_e32 vcc, v49, v48
	v_cmp_class_f32_e64 s[20:21], v49, s22
	s_or_b64 s[24:25], vcc, s[20:21]
	s_and_saveexec_b64 s[20:21], s[24:25]
	s_cbranch_execz .LBB121_69
; %bb.68:
	v_sub_f32_e32 v49, v49, v48
	s_mov_b32 s23, 0x3fb8aa3b
	v_mul_f32_e32 v50, 0x3fb8aa3b, v49
	v_fma_f32 v51, v49, s23, -v50
	v_rndne_f32_e32 v53, v50
	v_fmamk_f32 v51, v49, 0x32a5705f, v51
	v_sub_f32_e32 v50, v50, v53
	v_add_f32_e32 v50, v50, v51
	v_exp_f32_e32 v50, v50
	v_cvt_i32_f32_e32 v51, v53
	s_mov_b32 s23, 0xc2ce8ed0
	v_cmp_ngt_f32_e32 vcc, s23, v49
	s_mov_b32 s23, 0x42b17218
	v_ldexp_f32 v50, v50, v51
	v_cndmask_b32_e32 v50, 0, v50, vcc
	v_mov_b32_e32 v51, 0x7f800000
	v_cmp_nlt_f32_e32 vcc, s23, v49
	s_mov_b32 s23, 0x3f2aaaab
	s_mov_b32 s24, 0x7f800000
	v_cndmask_b32_e32 v53, v51, v50, vcc
	v_add_f32_e32 v49, 1.0, v53
	v_add_f32_e32 v50, -1.0, v49
	v_sub_f32_e32 v51, v50, v49
	v_add_f32_e32 v51, 1.0, v51
	v_sub_f32_e32 v50, v53, v50
	v_add_f32_e32 v54, v50, v51
	v_frexp_mant_f32_e32 v55, v49
	v_cvt_f64_f32_e32 v[50:51], v49
	v_frexp_exp_i32_f64_e32 v50, v[50:51]
	v_cmp_gt_f32_e32 vcc, s23, v55
	s_mov_b32 s23, 0x3f317218
	s_nop 0
	v_subbrev_co_u32_e32 v68, vcc, 0, v50, vcc
	v_sub_u32_e32 v50, 0, v68
	v_ldexp_f32 v49, v49, v50
	v_ldexp_f32 v50, v54, v50
	v_add_f32_e32 v54, -1.0, v49
	v_add_f32_e32 v51, 1.0, v54
	v_sub_f32_e32 v51, v49, v51
	v_add_f32_e32 v55, v50, v51
	v_add_f32_e32 v51, 1.0, v49
	v_add_f32_e32 v64, -1.0, v51
	v_sub_f32_e32 v49, v49, v64
	v_add_f32_e32 v49, v50, v49
	v_add_f32_e32 v69, v51, v49
	v_rcp_f32_e32 v84, v69
	v_sub_f32_e32 v50, v51, v69
	v_add_f32_e32 v51, v54, v55
	v_add_f32_e32 v49, v49, v50
	v_mul_f32_e32 v86, v51, v84
	v_sub_f32_e32 v50, v54, v51
	v_mul_f32_e32 v54, v69, v86
	v_fma_f32 v64, v86, v69, -v54
	v_fmac_f32_e32 v64, v86, v49
	v_add_f32_e32 v85, v55, v50
	v_add_f32_e32 v50, v54, v64
	v_sub_f32_e32 v55, v51, v50
	v_pk_add_f32 v[66:67], v[50:51], v[54:55] neg_lo:[0,1] neg_hi:[0,1]
	v_mov_b32_e32 v65, v50
	v_pk_add_f32 v[50:51], v[66:67], v[64:65] neg_lo:[0,1] neg_hi:[0,1]
	v_cmp_eq_f32_e32 vcc, s24, v53
	v_add_f32_e32 v51, v85, v51
	v_add_f32_e32 v50, v50, v51
	;; [unrolled: 1-line block ×3, first 2 shown]
	v_mul_f32_e32 v85, v84, v51
	v_mul_f32_e32 v54, v69, v85
	v_fma_f32 v64, v85, v69, -v54
	v_fmac_f32_e32 v64, v85, v49
	v_sub_f32_e32 v49, v55, v51
	v_add_f32_e32 v49, v50, v49
	v_add_f32_e32 v50, v54, v64
	v_sub_f32_e32 v55, v51, v50
	v_pk_add_f32 v[66:67], v[50:51], v[54:55] neg_lo:[0,1] neg_hi:[0,1]
	v_mov_b32_e32 v65, v50
	v_pk_add_f32 v[50:51], v[66:67], v[64:65] neg_lo:[0,1] neg_hi:[0,1]
	v_cvt_f32_i32_e32 v54, v68
	v_add_f32_e32 v49, v49, v51
	v_add_f32_e32 v49, v50, v49
	;; [unrolled: 1-line block ×4, first 2 shown]
	v_sub_f32_e32 v51, v50, v86
	v_mul_f32_e32 v49, v84, v49
	v_sub_f32_e32 v51, v85, v51
	v_add_f32_e32 v49, v51, v49
	v_add_f32_e32 v55, v50, v49
	v_mul_f32_e32 v64, v55, v55
	v_mov_b32_e32 v51, 0x3ecc95a3
	v_fmac_f32_e32 v51, 0x3e9b6dac, v64
	v_sub_f32_e32 v50, v55, v50
	v_fmaak_f32 v51, v64, v51, 0x3f2aaada
	v_sub_f32_e32 v49, v49, v50
	v_ldexp_f32 v65, v55, 1
	v_mul_f32_e32 v55, v55, v64
	v_mov_b32_e32 v50, 0x3f317218
	v_pk_mul_f32 v[50:51], v[54:55], v[50:51]
	v_ldexp_f32 v49, v49, 1
	v_fma_f32 v55, v54, s23, -v50
	v_fmamk_f32 v64, v54, 0xb102e308, v55
	v_pk_add_f32 v[54:55], v[50:51], v[64:65]
	v_mov_b32_e32 v66, v50
	v_sub_f32_e32 v65, v55, v65
	v_sub_f32_e32 v65, v51, v65
	v_add_f32_e32 v67, v49, v65
	v_pk_add_f32 v[50:51], v[54:55], v[50:51] neg_lo:[0,1] neg_hi:[0,1]
	v_pk_add_f32 v[68:69], v[54:55], v[66:67]
	v_mov_b32_e32 v65, v54
	v_mov_b32_e32 v51, v69
	v_pk_add_f32 v[84:85], v[64:65], v[50:51] neg_lo:[0,1] neg_hi:[0,1]
	v_pk_add_f32 v[50:51], v[64:65], v[50:51]
	v_mov_b32_e32 v66, v67
	v_mov_b32_e32 v64, v51
	v_pk_add_f32 v[86:87], v[64:65], v[54:55] neg_lo:[0,1] neg_hi:[0,1]
	v_mov_b32_e32 v50, v69
	v_mov_b32_e32 v49, v86
	v_pk_add_f32 v[112:113], v[68:69], v[48:49] neg_lo:[0,1] neg_hi:[0,1]
	v_mov_b32_e32 v68, v55
	v_mov_b32_e32 v69, v86
	;; [unrolled: 1-line block ×3, first 2 shown]
	v_pk_add_f32 v[50:51], v[50:51], v[68:69] neg_lo:[0,1] neg_hi:[0,1]
	v_mov_b32_e32 v67, v54
	v_pk_add_f32 v[50:51], v[66:67], v[50:51] neg_lo:[0,1] neg_hi:[0,1]
	v_mov_b32_e32 v112, v84
	v_pk_add_f32 v[54:55], v[112:113], v[50:51]
	s_mov_b32 s23, 0x33800000
	v_mov_b32_e32 v66, v55
	v_pk_add_f32 v[66:67], v[54:55], v[66:67]
	v_cmp_lt_f32_e64 s[24:25], |v53|, s23
	v_pk_add_f32 v[64:65], v[64:65], v[66:67]
	v_mov_b32_e32 v51, v66
	v_mov_b32_e32 v55, v64
	v_pk_add_f32 v[68:69], v[54:55], v[84:85] neg_lo:[0,1] neg_hi:[0,1]
	s_or_b64 vcc, vcc, s[24:25]
	v_sub_f32_e32 v49, v54, v68
	v_pk_add_f32 v[50:51], v[50:51], v[68:69] neg_lo:[0,1] neg_hi:[0,1]
	v_sub_f32_e32 v49, v84, v49
	v_add_f32_e32 v49, v50, v49
	v_add_f32_e32 v49, v49, v51
	;; [unrolled: 1-line block ×3, first 2 shown]
	v_cndmask_b32_e32 v49, v49, v53, vcc
	v_add_f32_e32 v132, v48, v49
.LBB121_69:
	s_or_b64 exec, exec, s[20:21]
	v_max_f32_e32 v84, v32, v32
	v_max_f32_e32 v48, v132, v132
	v_min_f32_e32 v49, v48, v84
	v_cmp_u_f32_e32 vcc, v132, v132
	v_max_f32_e32 v48, v48, v84
	v_cmp_u_f32_e64 s[20:21], v32, v32
	v_cndmask_b32_e32 v49, v49, v132, vcc
	v_cndmask_b32_e32 v48, v48, v132, vcc
	v_cndmask_b32_e64 v49, v49, v32, s[20:21]
	v_cndmask_b32_e64 v48, v48, v32, s[20:21]
	v_cmp_neq_f32_e32 vcc, v49, v48
	v_cmp_class_f32_e64 s[22:23], v49, s22
	s_or_b64 s[24:25], vcc, s[22:23]
	s_and_saveexec_b64 s[22:23], s[24:25]
	s_cbranch_execz .LBB121_71
; %bb.70:
	v_sub_f32_e32 v49, v49, v48
	s_mov_b32 s24, 0x3fb8aa3b
	v_mul_f32_e32 v50, 0x3fb8aa3b, v49
	v_fma_f32 v51, v49, s24, -v50
	v_rndne_f32_e32 v53, v50
	v_fmamk_f32 v51, v49, 0x32a5705f, v51
	v_sub_f32_e32 v50, v50, v53
	v_add_f32_e32 v50, v50, v51
	v_exp_f32_e32 v50, v50
	v_cvt_i32_f32_e32 v51, v53
	s_mov_b32 s24, 0xc2ce8ed0
	v_cmp_ngt_f32_e32 vcc, s24, v49
	s_mov_b32 s24, 0x42b17218
	v_ldexp_f32 v50, v50, v51
	v_cndmask_b32_e32 v50, 0, v50, vcc
	v_mov_b32_e32 v51, 0x7f800000
	v_cmp_nlt_f32_e32 vcc, s24, v49
	s_mov_b32 s24, 0x3f2aaaab
	s_mov_b32 s25, 0x7f800000
	v_cndmask_b32_e32 v53, v51, v50, vcc
	v_add_f32_e32 v49, 1.0, v53
	v_add_f32_e32 v50, -1.0, v49
	v_sub_f32_e32 v51, v50, v49
	v_add_f32_e32 v51, 1.0, v51
	v_sub_f32_e32 v50, v53, v50
	v_add_f32_e32 v54, v50, v51
	v_frexp_mant_f32_e32 v55, v49
	v_cvt_f64_f32_e32 v[50:51], v49
	v_frexp_exp_i32_f64_e32 v50, v[50:51]
	v_cmp_gt_f32_e32 vcc, s24, v55
	s_mov_b32 s24, 0x3f317218
	s_nop 0
	v_subbrev_co_u32_e32 v68, vcc, 0, v50, vcc
	v_sub_u32_e32 v50, 0, v68
	v_ldexp_f32 v49, v49, v50
	v_ldexp_f32 v50, v54, v50
	v_add_f32_e32 v54, -1.0, v49
	v_add_f32_e32 v51, 1.0, v54
	v_sub_f32_e32 v51, v49, v51
	v_add_f32_e32 v55, v50, v51
	v_add_f32_e32 v51, 1.0, v49
	v_add_f32_e32 v64, -1.0, v51
	v_sub_f32_e32 v49, v49, v64
	v_add_f32_e32 v49, v50, v49
	v_add_f32_e32 v69, v51, v49
	v_rcp_f32_e32 v85, v69
	v_sub_f32_e32 v50, v51, v69
	v_add_f32_e32 v51, v54, v55
	v_add_f32_e32 v49, v49, v50
	v_mul_f32_e32 v87, v51, v85
	v_sub_f32_e32 v50, v54, v51
	v_mul_f32_e32 v54, v69, v87
	v_fma_f32 v64, v87, v69, -v54
	v_fmac_f32_e32 v64, v87, v49
	v_add_f32_e32 v86, v55, v50
	v_add_f32_e32 v50, v54, v64
	v_sub_f32_e32 v55, v51, v50
	v_pk_add_f32 v[66:67], v[50:51], v[54:55] neg_lo:[0,1] neg_hi:[0,1]
	v_mov_b32_e32 v65, v50
	v_pk_add_f32 v[50:51], v[66:67], v[64:65] neg_lo:[0,1] neg_hi:[0,1]
	v_cmp_eq_f32_e32 vcc, s25, v53
	v_add_f32_e32 v51, v86, v51
	v_add_f32_e32 v50, v50, v51
	;; [unrolled: 1-line block ×3, first 2 shown]
	v_mul_f32_e32 v86, v85, v51
	v_mul_f32_e32 v54, v69, v86
	v_fma_f32 v64, v86, v69, -v54
	v_fmac_f32_e32 v64, v86, v49
	v_sub_f32_e32 v49, v55, v51
	v_add_f32_e32 v49, v50, v49
	v_add_f32_e32 v50, v54, v64
	v_sub_f32_e32 v55, v51, v50
	v_pk_add_f32 v[66:67], v[50:51], v[54:55] neg_lo:[0,1] neg_hi:[0,1]
	v_mov_b32_e32 v65, v50
	v_pk_add_f32 v[50:51], v[66:67], v[64:65] neg_lo:[0,1] neg_hi:[0,1]
	v_cvt_f32_i32_e32 v54, v68
	v_add_f32_e32 v49, v49, v51
	v_add_f32_e32 v49, v50, v49
	;; [unrolled: 1-line block ×4, first 2 shown]
	v_sub_f32_e32 v51, v50, v87
	v_mul_f32_e32 v49, v85, v49
	v_sub_f32_e32 v51, v86, v51
	v_add_f32_e32 v49, v51, v49
	v_add_f32_e32 v55, v50, v49
	v_mul_f32_e32 v64, v55, v55
	v_mov_b32_e32 v51, 0x3ecc95a3
	v_fmac_f32_e32 v51, 0x3e9b6dac, v64
	v_sub_f32_e32 v50, v55, v50
	v_fmaak_f32 v51, v64, v51, 0x3f2aaada
	v_sub_f32_e32 v49, v49, v50
	v_ldexp_f32 v65, v55, 1
	v_mul_f32_e32 v55, v55, v64
	v_mov_b32_e32 v50, 0x3f317218
	v_pk_mul_f32 v[50:51], v[54:55], v[50:51]
	v_ldexp_f32 v49, v49, 1
	v_fma_f32 v55, v54, s24, -v50
	v_fmamk_f32 v64, v54, 0xb102e308, v55
	v_pk_add_f32 v[54:55], v[50:51], v[64:65]
	v_mov_b32_e32 v66, v50
	v_sub_f32_e32 v65, v55, v65
	v_sub_f32_e32 v65, v51, v65
	v_add_f32_e32 v67, v49, v65
	v_pk_add_f32 v[50:51], v[54:55], v[50:51] neg_lo:[0,1] neg_hi:[0,1]
	v_pk_add_f32 v[68:69], v[54:55], v[66:67]
	v_mov_b32_e32 v65, v54
	v_mov_b32_e32 v51, v69
	v_pk_add_f32 v[86:87], v[64:65], v[50:51] neg_lo:[0,1] neg_hi:[0,1]
	v_pk_add_f32 v[50:51], v[64:65], v[50:51]
	v_mov_b32_e32 v66, v67
	v_mov_b32_e32 v64, v51
	v_pk_add_f32 v[112:113], v[64:65], v[54:55] neg_lo:[0,1] neg_hi:[0,1]
	v_mov_b32_e32 v50, v69
	v_mov_b32_e32 v49, v112
	v_pk_add_f32 v[114:115], v[68:69], v[48:49] neg_lo:[0,1] neg_hi:[0,1]
	v_mov_b32_e32 v68, v55
	v_mov_b32_e32 v69, v112
	v_mov_b32_e32 v87, v51
	v_pk_add_f32 v[50:51], v[50:51], v[68:69] neg_lo:[0,1] neg_hi:[0,1]
	v_mov_b32_e32 v67, v54
	v_pk_add_f32 v[50:51], v[66:67], v[50:51] neg_lo:[0,1] neg_hi:[0,1]
	v_mov_b32_e32 v114, v86
	v_pk_add_f32 v[54:55], v[114:115], v[50:51]
	s_mov_b32 s24, 0x33800000
	v_mov_b32_e32 v66, v55
	v_pk_add_f32 v[66:67], v[54:55], v[66:67]
	v_cmp_lt_f32_e64 s[24:25], |v53|, s24
	v_pk_add_f32 v[64:65], v[64:65], v[66:67]
	v_mov_b32_e32 v51, v66
	v_mov_b32_e32 v55, v64
	v_pk_add_f32 v[68:69], v[54:55], v[86:87] neg_lo:[0,1] neg_hi:[0,1]
	s_or_b64 vcc, vcc, s[24:25]
	v_sub_f32_e32 v49, v54, v68
	v_pk_add_f32 v[50:51], v[50:51], v[68:69] neg_lo:[0,1] neg_hi:[0,1]
	v_sub_f32_e32 v49, v86, v49
	v_add_f32_e32 v49, v50, v49
	v_add_f32_e32 v49, v49, v51
	;; [unrolled: 1-line block ×3, first 2 shown]
	v_cndmask_b32_e32 v49, v49, v53, vcc
	v_add_f32_e32 v132, v48, v49
.LBB121_71:
	s_or_b64 exec, exec, s[22:23]
	v_max_f32_e32 v85, v33, v33
	v_max_f32_e32 v48, v132, v132
	v_min_f32_e32 v49, v48, v85
	v_cmp_u_f32_e32 vcc, v132, v132
	v_max_f32_e32 v48, v48, v85
	v_cmp_u_f32_e64 s[22:23], v33, v33
	v_cndmask_b32_e32 v49, v49, v132, vcc
	v_cndmask_b32_e32 v48, v48, v132, vcc
	v_cndmask_b32_e64 v49, v49, v33, s[22:23]
	v_cndmask_b32_e64 v48, v48, v33, s[22:23]
	s_movk_i32 s26, 0x1f8
	v_cmp_neq_f32_e32 vcc, v49, v48
	v_cmp_class_f32_e64 s[24:25], v49, s26
	s_or_b64 s[28:29], vcc, s[24:25]
	s_and_saveexec_b64 s[24:25], s[28:29]
	s_cbranch_execz .LBB121_73
; %bb.72:
	v_sub_f32_e32 v49, v49, v48
	s_mov_b32 s27, 0x3fb8aa3b
	v_mul_f32_e32 v50, 0x3fb8aa3b, v49
	v_fma_f32 v51, v49, s27, -v50
	v_rndne_f32_e32 v53, v50
	v_fmamk_f32 v51, v49, 0x32a5705f, v51
	v_sub_f32_e32 v50, v50, v53
	v_add_f32_e32 v50, v50, v51
	v_exp_f32_e32 v50, v50
	v_cvt_i32_f32_e32 v51, v53
	s_mov_b32 s27, 0xc2ce8ed0
	v_cmp_ngt_f32_e32 vcc, s27, v49
	s_mov_b32 s27, 0x42b17218
	v_ldexp_f32 v50, v50, v51
	v_cndmask_b32_e32 v50, 0, v50, vcc
	v_mov_b32_e32 v51, 0x7f800000
	v_cmp_nlt_f32_e32 vcc, s27, v49
	s_mov_b32 s27, 0x3f2aaaab
	s_mov_b32 s28, 0x7f800000
	v_cndmask_b32_e32 v53, v51, v50, vcc
	v_add_f32_e32 v49, 1.0, v53
	v_add_f32_e32 v50, -1.0, v49
	v_sub_f32_e32 v51, v50, v49
	v_add_f32_e32 v51, 1.0, v51
	v_sub_f32_e32 v50, v53, v50
	v_add_f32_e32 v54, v50, v51
	v_frexp_mant_f32_e32 v55, v49
	v_cvt_f64_f32_e32 v[50:51], v49
	v_frexp_exp_i32_f64_e32 v50, v[50:51]
	v_cmp_gt_f32_e32 vcc, s27, v55
	s_mov_b32 s27, 0x3f317218
	s_nop 0
	v_subbrev_co_u32_e32 v68, vcc, 0, v50, vcc
	v_sub_u32_e32 v50, 0, v68
	v_ldexp_f32 v49, v49, v50
	v_ldexp_f32 v50, v54, v50
	v_add_f32_e32 v54, -1.0, v49
	v_add_f32_e32 v51, 1.0, v54
	v_sub_f32_e32 v51, v49, v51
	v_add_f32_e32 v55, v50, v51
	v_add_f32_e32 v51, 1.0, v49
	v_add_f32_e32 v64, -1.0, v51
	v_sub_f32_e32 v49, v49, v64
	v_add_f32_e32 v49, v50, v49
	v_add_f32_e32 v69, v51, v49
	v_rcp_f32_e32 v86, v69
	v_sub_f32_e32 v50, v51, v69
	v_add_f32_e32 v51, v54, v55
	v_add_f32_e32 v49, v49, v50
	v_mul_f32_e32 v101, v51, v86
	v_sub_f32_e32 v50, v54, v51
	v_mul_f32_e32 v54, v69, v101
	v_fma_f32 v64, v101, v69, -v54
	v_fmac_f32_e32 v64, v101, v49
	v_add_f32_e32 v87, v55, v50
	v_add_f32_e32 v50, v54, v64
	v_sub_f32_e32 v55, v51, v50
	v_pk_add_f32 v[66:67], v[50:51], v[54:55] neg_lo:[0,1] neg_hi:[0,1]
	v_mov_b32_e32 v65, v50
	v_pk_add_f32 v[50:51], v[66:67], v[64:65] neg_lo:[0,1] neg_hi:[0,1]
	v_cmp_eq_f32_e32 vcc, s28, v53
	v_add_f32_e32 v51, v87, v51
	v_add_f32_e32 v50, v50, v51
	;; [unrolled: 1-line block ×3, first 2 shown]
	v_mul_f32_e32 v87, v86, v51
	v_mul_f32_e32 v54, v69, v87
	v_fma_f32 v64, v87, v69, -v54
	v_fmac_f32_e32 v64, v87, v49
	v_sub_f32_e32 v49, v55, v51
	v_add_f32_e32 v49, v50, v49
	v_add_f32_e32 v50, v54, v64
	v_sub_f32_e32 v55, v51, v50
	v_pk_add_f32 v[66:67], v[50:51], v[54:55] neg_lo:[0,1] neg_hi:[0,1]
	v_mov_b32_e32 v65, v50
	v_pk_add_f32 v[50:51], v[66:67], v[64:65] neg_lo:[0,1] neg_hi:[0,1]
	v_cvt_f32_i32_e32 v54, v68
	v_add_f32_e32 v49, v49, v51
	v_add_f32_e32 v49, v50, v49
	;; [unrolled: 1-line block ×4, first 2 shown]
	v_sub_f32_e32 v51, v50, v101
	v_mul_f32_e32 v49, v86, v49
	v_sub_f32_e32 v51, v87, v51
	v_add_f32_e32 v49, v51, v49
	v_add_f32_e32 v55, v50, v49
	v_mul_f32_e32 v64, v55, v55
	v_mov_b32_e32 v51, 0x3ecc95a3
	v_fmac_f32_e32 v51, 0x3e9b6dac, v64
	v_sub_f32_e32 v50, v55, v50
	v_fmaak_f32 v51, v64, v51, 0x3f2aaada
	v_sub_f32_e32 v49, v49, v50
	v_ldexp_f32 v65, v55, 1
	v_mul_f32_e32 v55, v55, v64
	v_mov_b32_e32 v50, 0x3f317218
	v_pk_mul_f32 v[50:51], v[54:55], v[50:51]
	v_ldexp_f32 v49, v49, 1
	v_fma_f32 v55, v54, s27, -v50
	v_fmamk_f32 v64, v54, 0xb102e308, v55
	v_pk_add_f32 v[54:55], v[50:51], v[64:65]
	v_mov_b32_e32 v66, v50
	v_sub_f32_e32 v65, v55, v65
	v_sub_f32_e32 v65, v51, v65
	v_add_f32_e32 v67, v49, v65
	v_pk_add_f32 v[50:51], v[54:55], v[50:51] neg_lo:[0,1] neg_hi:[0,1]
	v_pk_add_f32 v[68:69], v[54:55], v[66:67]
	v_mov_b32_e32 v65, v54
	v_mov_b32_e32 v51, v69
	v_pk_add_f32 v[86:87], v[64:65], v[50:51] neg_lo:[0,1] neg_hi:[0,1]
	v_pk_add_f32 v[50:51], v[64:65], v[50:51]
	v_mov_b32_e32 v66, v67
	v_mov_b32_e32 v64, v51
	v_pk_add_f32 v[112:113], v[64:65], v[54:55] neg_lo:[0,1] neg_hi:[0,1]
	v_mov_b32_e32 v50, v69
	v_mov_b32_e32 v49, v112
	v_pk_add_f32 v[114:115], v[68:69], v[48:49] neg_lo:[0,1] neg_hi:[0,1]
	v_mov_b32_e32 v68, v55
	v_mov_b32_e32 v69, v112
	;; [unrolled: 1-line block ×3, first 2 shown]
	v_pk_add_f32 v[50:51], v[50:51], v[68:69] neg_lo:[0,1] neg_hi:[0,1]
	v_mov_b32_e32 v67, v54
	v_pk_add_f32 v[50:51], v[66:67], v[50:51] neg_lo:[0,1] neg_hi:[0,1]
	v_mov_b32_e32 v114, v86
	v_pk_add_f32 v[54:55], v[114:115], v[50:51]
	s_mov_b32 s27, 0x33800000
	v_mov_b32_e32 v66, v55
	v_pk_add_f32 v[66:67], v[54:55], v[66:67]
	v_cmp_lt_f32_e64 s[28:29], |v53|, s27
	v_pk_add_f32 v[64:65], v[64:65], v[66:67]
	v_mov_b32_e32 v51, v66
	v_mov_b32_e32 v55, v64
	v_pk_add_f32 v[68:69], v[54:55], v[86:87] neg_lo:[0,1] neg_hi:[0,1]
	s_or_b64 vcc, vcc, s[28:29]
	v_sub_f32_e32 v49, v54, v68
	v_pk_add_f32 v[50:51], v[50:51], v[68:69] neg_lo:[0,1] neg_hi:[0,1]
	v_sub_f32_e32 v49, v86, v49
	v_add_f32_e32 v49, v50, v49
	v_add_f32_e32 v49, v49, v51
	;; [unrolled: 1-line block ×3, first 2 shown]
	v_cndmask_b32_e32 v49, v49, v53, vcc
	v_add_f32_e32 v132, v48, v49
.LBB121_73:
	s_or_b64 exec, exec, s[24:25]
	v_max_f32_e32 v86, v34, v34
	v_max_f32_e32 v48, v132, v132
	v_min_f32_e32 v49, v48, v86
	v_cmp_u_f32_e32 vcc, v132, v132
	v_max_f32_e32 v48, v48, v86
	v_cmp_u_f32_e64 s[24:25], v34, v34
	v_cndmask_b32_e32 v49, v49, v132, vcc
	v_cndmask_b32_e32 v48, v48, v132, vcc
	v_cndmask_b32_e64 v49, v49, v34, s[24:25]
	v_cndmask_b32_e64 v48, v48, v34, s[24:25]
	v_cmp_neq_f32_e32 vcc, v49, v48
	v_cmp_class_f32_e64 s[26:27], v49, s26
	s_or_b64 s[28:29], vcc, s[26:27]
	s_and_saveexec_b64 s[26:27], s[28:29]
	s_cbranch_execz .LBB121_75
; %bb.74:
	v_sub_f32_e32 v49, v49, v48
	s_mov_b32 s28, 0x3fb8aa3b
	v_mul_f32_e32 v50, 0x3fb8aa3b, v49
	v_fma_f32 v51, v49, s28, -v50
	v_rndne_f32_e32 v53, v50
	v_fmamk_f32 v51, v49, 0x32a5705f, v51
	v_sub_f32_e32 v50, v50, v53
	v_add_f32_e32 v50, v50, v51
	v_exp_f32_e32 v50, v50
	v_cvt_i32_f32_e32 v51, v53
	s_mov_b32 s28, 0xc2ce8ed0
	v_cmp_ngt_f32_e32 vcc, s28, v49
	s_mov_b32 s28, 0x42b17218
	v_ldexp_f32 v50, v50, v51
	v_cndmask_b32_e32 v50, 0, v50, vcc
	v_mov_b32_e32 v51, 0x7f800000
	v_cmp_nlt_f32_e32 vcc, s28, v49
	s_mov_b32 s28, 0x3f2aaaab
	s_mov_b32 s29, 0x7f800000
	v_cndmask_b32_e32 v53, v51, v50, vcc
	v_add_f32_e32 v49, 1.0, v53
	v_add_f32_e32 v50, -1.0, v49
	v_sub_f32_e32 v51, v50, v49
	v_add_f32_e32 v51, 1.0, v51
	v_sub_f32_e32 v50, v53, v50
	v_add_f32_e32 v54, v50, v51
	v_frexp_mant_f32_e32 v55, v49
	v_cvt_f64_f32_e32 v[50:51], v49
	v_frexp_exp_i32_f64_e32 v50, v[50:51]
	v_cmp_gt_f32_e32 vcc, s28, v55
	s_mov_b32 s28, 0x3f317218
	s_nop 0
	v_subbrev_co_u32_e32 v68, vcc, 0, v50, vcc
	v_sub_u32_e32 v50, 0, v68
	v_ldexp_f32 v49, v49, v50
	v_ldexp_f32 v50, v54, v50
	v_add_f32_e32 v54, -1.0, v49
	v_add_f32_e32 v51, 1.0, v54
	v_sub_f32_e32 v51, v49, v51
	v_add_f32_e32 v55, v50, v51
	v_add_f32_e32 v51, 1.0, v49
	v_add_f32_e32 v64, -1.0, v51
	v_sub_f32_e32 v49, v49, v64
	v_add_f32_e32 v49, v50, v49
	v_add_f32_e32 v69, v51, v49
	v_rcp_f32_e32 v87, v69
	v_sub_f32_e32 v50, v51, v69
	v_add_f32_e32 v51, v54, v55
	v_add_f32_e32 v49, v49, v50
	v_mul_f32_e32 v112, v51, v87
	v_sub_f32_e32 v50, v54, v51
	v_mul_f32_e32 v54, v69, v112
	v_fma_f32 v64, v112, v69, -v54
	v_fmac_f32_e32 v64, v112, v49
	v_add_f32_e32 v101, v55, v50
	v_add_f32_e32 v50, v54, v64
	v_sub_f32_e32 v55, v51, v50
	v_pk_add_f32 v[66:67], v[50:51], v[54:55] neg_lo:[0,1] neg_hi:[0,1]
	v_mov_b32_e32 v65, v50
	v_pk_add_f32 v[50:51], v[66:67], v[64:65] neg_lo:[0,1] neg_hi:[0,1]
	v_cmp_eq_f32_e32 vcc, s29, v53
	v_add_f32_e32 v51, v101, v51
	v_add_f32_e32 v50, v50, v51
	;; [unrolled: 1-line block ×3, first 2 shown]
	v_mul_f32_e32 v101, v87, v51
	v_mul_f32_e32 v54, v69, v101
	v_fma_f32 v64, v101, v69, -v54
	v_fmac_f32_e32 v64, v101, v49
	v_sub_f32_e32 v49, v55, v51
	v_add_f32_e32 v49, v50, v49
	v_add_f32_e32 v50, v54, v64
	v_sub_f32_e32 v55, v51, v50
	v_pk_add_f32 v[66:67], v[50:51], v[54:55] neg_lo:[0,1] neg_hi:[0,1]
	v_mov_b32_e32 v65, v50
	v_pk_add_f32 v[50:51], v[66:67], v[64:65] neg_lo:[0,1] neg_hi:[0,1]
	v_cvt_f32_i32_e32 v54, v68
	v_add_f32_e32 v49, v49, v51
	v_add_f32_e32 v49, v50, v49
	;; [unrolled: 1-line block ×4, first 2 shown]
	v_sub_f32_e32 v51, v50, v112
	v_mul_f32_e32 v49, v87, v49
	v_sub_f32_e32 v51, v101, v51
	v_add_f32_e32 v49, v51, v49
	v_add_f32_e32 v55, v50, v49
	v_mul_f32_e32 v64, v55, v55
	v_mov_b32_e32 v51, 0x3ecc95a3
	v_fmac_f32_e32 v51, 0x3e9b6dac, v64
	v_sub_f32_e32 v50, v55, v50
	v_fmaak_f32 v51, v64, v51, 0x3f2aaada
	v_sub_f32_e32 v49, v49, v50
	v_ldexp_f32 v65, v55, 1
	v_mul_f32_e32 v55, v55, v64
	v_mov_b32_e32 v50, 0x3f317218
	v_pk_mul_f32 v[50:51], v[54:55], v[50:51]
	v_ldexp_f32 v49, v49, 1
	v_fma_f32 v55, v54, s28, -v50
	v_fmamk_f32 v64, v54, 0xb102e308, v55
	v_pk_add_f32 v[54:55], v[50:51], v[64:65]
	v_mov_b32_e32 v66, v50
	v_sub_f32_e32 v65, v55, v65
	v_sub_f32_e32 v65, v51, v65
	v_add_f32_e32 v67, v49, v65
	v_pk_add_f32 v[50:51], v[54:55], v[50:51] neg_lo:[0,1] neg_hi:[0,1]
	v_pk_add_f32 v[68:69], v[54:55], v[66:67]
	v_mov_b32_e32 v65, v54
	v_mov_b32_e32 v51, v69
	v_pk_add_f32 v[112:113], v[64:65], v[50:51] neg_lo:[0,1] neg_hi:[0,1]
	v_pk_add_f32 v[50:51], v[64:65], v[50:51]
	v_mov_b32_e32 v66, v67
	v_mov_b32_e32 v64, v51
	v_pk_add_f32 v[114:115], v[64:65], v[54:55] neg_lo:[0,1] neg_hi:[0,1]
	v_mov_b32_e32 v50, v69
	v_mov_b32_e32 v49, v114
	v_pk_add_f32 v[116:117], v[68:69], v[48:49] neg_lo:[0,1] neg_hi:[0,1]
	v_mov_b32_e32 v68, v55
	v_mov_b32_e32 v69, v114
	v_mov_b32_e32 v113, v51
	v_pk_add_f32 v[50:51], v[50:51], v[68:69] neg_lo:[0,1] neg_hi:[0,1]
	v_mov_b32_e32 v67, v54
	v_pk_add_f32 v[50:51], v[66:67], v[50:51] neg_lo:[0,1] neg_hi:[0,1]
	v_mov_b32_e32 v116, v112
	v_pk_add_f32 v[54:55], v[116:117], v[50:51]
	s_mov_b32 s28, 0x33800000
	v_mov_b32_e32 v66, v55
	v_pk_add_f32 v[66:67], v[54:55], v[66:67]
	v_cmp_lt_f32_e64 s[28:29], |v53|, s28
	v_pk_add_f32 v[64:65], v[64:65], v[66:67]
	v_mov_b32_e32 v51, v66
	v_mov_b32_e32 v55, v64
	v_pk_add_f32 v[68:69], v[54:55], v[112:113] neg_lo:[0,1] neg_hi:[0,1]
	s_or_b64 vcc, vcc, s[28:29]
	v_sub_f32_e32 v49, v54, v68
	v_pk_add_f32 v[50:51], v[50:51], v[68:69] neg_lo:[0,1] neg_hi:[0,1]
	v_sub_f32_e32 v49, v112, v49
	v_add_f32_e32 v49, v50, v49
	v_add_f32_e32 v49, v49, v51
	;; [unrolled: 1-line block ×3, first 2 shown]
	v_cndmask_b32_e32 v49, v49, v53, vcc
	v_add_f32_e32 v132, v48, v49
.LBB121_75:
	s_or_b64 exec, exec, s[26:27]
	v_max_f32_e32 v87, v35, v35
	v_max_f32_e32 v48, v132, v132
	v_min_f32_e32 v49, v48, v87
	v_cmp_u_f32_e32 vcc, v132, v132
	v_max_f32_e32 v48, v48, v87
	v_cmp_u_f32_e64 s[26:27], v35, v35
	v_cndmask_b32_e32 v49, v49, v132, vcc
	v_cndmask_b32_e32 v48, v48, v132, vcc
	v_cndmask_b32_e64 v49, v49, v35, s[26:27]
	v_cndmask_b32_e64 v48, v48, v35, s[26:27]
	s_movk_i32 s30, 0x1f8
	v_cmp_neq_f32_e32 vcc, v49, v48
	v_cmp_class_f32_e64 s[28:29], v49, s30
	s_or_b64 vcc, vcc, s[28:29]
	s_and_saveexec_b64 s[28:29], vcc
	s_cbranch_execz .LBB121_77
; %bb.76:
	v_sub_f32_e32 v49, v49, v48
	s_mov_b32 s31, 0x3fb8aa3b
	v_mul_f32_e32 v50, 0x3fb8aa3b, v49
	v_fma_f32 v51, v49, s31, -v50
	v_rndne_f32_e32 v53, v50
	v_fmamk_f32 v51, v49, 0x32a5705f, v51
	v_sub_f32_e32 v50, v50, v53
	v_add_f32_e32 v50, v50, v51
	v_exp_f32_e32 v50, v50
	v_cvt_i32_f32_e32 v51, v53
	s_mov_b32 s31, 0xc2ce8ed0
	v_cmp_ngt_f32_e32 vcc, s31, v49
	s_mov_b32 s31, 0x42b17218
	v_ldexp_f32 v50, v50, v51
	v_cndmask_b32_e32 v50, 0, v50, vcc
	v_mov_b32_e32 v51, 0x7f800000
	v_cmp_nlt_f32_e32 vcc, s31, v49
	s_mov_b32 s31, 0x3f2aaaab
	s_mov_b32 s34, 0x7f800000
	v_cndmask_b32_e32 v53, v51, v50, vcc
	v_add_f32_e32 v49, 1.0, v53
	v_add_f32_e32 v50, -1.0, v49
	v_sub_f32_e32 v51, v50, v49
	v_add_f32_e32 v51, 1.0, v51
	v_sub_f32_e32 v50, v53, v50
	v_add_f32_e32 v54, v50, v51
	v_frexp_mant_f32_e32 v55, v49
	v_cvt_f64_f32_e32 v[50:51], v49
	v_frexp_exp_i32_f64_e32 v50, v[50:51]
	v_cmp_gt_f32_e32 vcc, s31, v55
	s_mov_b32 s31, 0x3f317218
	s_nop 0
	v_subbrev_co_u32_e32 v68, vcc, 0, v50, vcc
	v_sub_u32_e32 v50, 0, v68
	v_ldexp_f32 v49, v49, v50
	v_ldexp_f32 v50, v54, v50
	v_add_f32_e32 v54, -1.0, v49
	v_add_f32_e32 v51, 1.0, v54
	v_sub_f32_e32 v51, v49, v51
	v_add_f32_e32 v55, v50, v51
	v_add_f32_e32 v51, 1.0, v49
	v_add_f32_e32 v64, -1.0, v51
	v_sub_f32_e32 v49, v49, v64
	v_add_f32_e32 v49, v50, v49
	v_add_f32_e32 v69, v51, v49
	v_rcp_f32_e32 v101, v69
	v_sub_f32_e32 v50, v51, v69
	v_add_f32_e32 v51, v54, v55
	v_add_f32_e32 v49, v49, v50
	v_mul_f32_e32 v113, v51, v101
	v_sub_f32_e32 v50, v54, v51
	v_mul_f32_e32 v54, v69, v113
	v_fma_f32 v64, v113, v69, -v54
	v_fmac_f32_e32 v64, v113, v49
	v_add_f32_e32 v112, v55, v50
	v_add_f32_e32 v50, v54, v64
	v_sub_f32_e32 v55, v51, v50
	v_pk_add_f32 v[66:67], v[50:51], v[54:55] neg_lo:[0,1] neg_hi:[0,1]
	v_mov_b32_e32 v65, v50
	v_pk_add_f32 v[50:51], v[66:67], v[64:65] neg_lo:[0,1] neg_hi:[0,1]
	v_cmp_eq_f32_e32 vcc, s34, v53
	v_add_f32_e32 v51, v112, v51
	v_add_f32_e32 v50, v50, v51
	;; [unrolled: 1-line block ×3, first 2 shown]
	v_mul_f32_e32 v112, v101, v51
	v_mul_f32_e32 v54, v69, v112
	v_fma_f32 v64, v112, v69, -v54
	v_fmac_f32_e32 v64, v112, v49
	v_sub_f32_e32 v49, v55, v51
	v_add_f32_e32 v49, v50, v49
	v_add_f32_e32 v50, v54, v64
	v_sub_f32_e32 v55, v51, v50
	v_pk_add_f32 v[66:67], v[50:51], v[54:55] neg_lo:[0,1] neg_hi:[0,1]
	v_mov_b32_e32 v65, v50
	v_pk_add_f32 v[50:51], v[66:67], v[64:65] neg_lo:[0,1] neg_hi:[0,1]
	v_cvt_f32_i32_e32 v54, v68
	v_add_f32_e32 v49, v49, v51
	v_add_f32_e32 v49, v50, v49
	;; [unrolled: 1-line block ×4, first 2 shown]
	v_sub_f32_e32 v51, v50, v113
	v_mul_f32_e32 v49, v101, v49
	v_sub_f32_e32 v51, v112, v51
	v_add_f32_e32 v49, v51, v49
	v_add_f32_e32 v55, v50, v49
	v_mul_f32_e32 v64, v55, v55
	v_mov_b32_e32 v51, 0x3ecc95a3
	v_fmac_f32_e32 v51, 0x3e9b6dac, v64
	v_sub_f32_e32 v50, v55, v50
	v_fmaak_f32 v51, v64, v51, 0x3f2aaada
	v_sub_f32_e32 v49, v49, v50
	v_ldexp_f32 v65, v55, 1
	v_mul_f32_e32 v55, v55, v64
	v_mov_b32_e32 v50, 0x3f317218
	v_pk_mul_f32 v[50:51], v[54:55], v[50:51]
	v_ldexp_f32 v49, v49, 1
	v_fma_f32 v55, v54, s31, -v50
	v_fmamk_f32 v64, v54, 0xb102e308, v55
	v_pk_add_f32 v[54:55], v[50:51], v[64:65]
	v_mov_b32_e32 v66, v50
	v_sub_f32_e32 v65, v55, v65
	v_sub_f32_e32 v65, v51, v65
	v_add_f32_e32 v67, v49, v65
	v_pk_add_f32 v[50:51], v[54:55], v[50:51] neg_lo:[0,1] neg_hi:[0,1]
	v_pk_add_f32 v[68:69], v[54:55], v[66:67]
	v_mov_b32_e32 v65, v54
	v_mov_b32_e32 v51, v69
	v_pk_add_f32 v[112:113], v[64:65], v[50:51] neg_lo:[0,1] neg_hi:[0,1]
	v_pk_add_f32 v[50:51], v[64:65], v[50:51]
	v_mov_b32_e32 v66, v67
	v_mov_b32_e32 v64, v51
	v_pk_add_f32 v[114:115], v[64:65], v[54:55] neg_lo:[0,1] neg_hi:[0,1]
	v_mov_b32_e32 v50, v69
	v_mov_b32_e32 v49, v114
	v_pk_add_f32 v[116:117], v[68:69], v[48:49] neg_lo:[0,1] neg_hi:[0,1]
	v_mov_b32_e32 v68, v55
	v_mov_b32_e32 v69, v114
	;; [unrolled: 1-line block ×3, first 2 shown]
	v_pk_add_f32 v[50:51], v[50:51], v[68:69] neg_lo:[0,1] neg_hi:[0,1]
	v_mov_b32_e32 v67, v54
	v_pk_add_f32 v[50:51], v[66:67], v[50:51] neg_lo:[0,1] neg_hi:[0,1]
	v_mov_b32_e32 v116, v112
	v_pk_add_f32 v[54:55], v[116:117], v[50:51]
	s_mov_b32 s31, 0x33800000
	v_mov_b32_e32 v66, v55
	v_pk_add_f32 v[66:67], v[54:55], v[66:67]
	v_cmp_lt_f32_e64 s[34:35], |v53|, s31
	v_pk_add_f32 v[64:65], v[64:65], v[66:67]
	v_mov_b32_e32 v51, v66
	v_mov_b32_e32 v55, v64
	v_pk_add_f32 v[68:69], v[54:55], v[112:113] neg_lo:[0,1] neg_hi:[0,1]
	s_or_b64 vcc, vcc, s[34:35]
	v_sub_f32_e32 v49, v54, v68
	v_pk_add_f32 v[50:51], v[50:51], v[68:69] neg_lo:[0,1] neg_hi:[0,1]
	v_sub_f32_e32 v49, v112, v49
	v_add_f32_e32 v49, v50, v49
	v_add_f32_e32 v49, v49, v51
	;; [unrolled: 1-line block ×3, first 2 shown]
	v_cndmask_b32_e32 v49, v49, v53, vcc
	v_add_f32_e32 v132, v48, v49
.LBB121_77:
	s_or_b64 exec, exec, s[28:29]
	v_max_f32_e32 v101, v28, v28
	v_max_f32_e32 v48, v132, v132
	v_min_f32_e32 v49, v48, v101
	v_cmp_u_f32_e32 vcc, v132, v132
	v_max_f32_e32 v48, v48, v101
	v_cmp_u_f32_e64 s[28:29], v28, v28
	v_cndmask_b32_e32 v49, v49, v132, vcc
	v_cndmask_b32_e32 v48, v48, v132, vcc
	v_cndmask_b32_e64 v49, v49, v28, s[28:29]
	v_cndmask_b32_e64 v48, v48, v28, s[28:29]
	v_cmp_neq_f32_e32 vcc, v49, v48
	v_cmp_class_f32_e64 s[30:31], v49, s30
	s_or_b64 vcc, vcc, s[30:31]
	s_and_saveexec_b64 s[30:31], vcc
	s_cbranch_execz .LBB121_79
; %bb.78:
	v_sub_f32_e32 v49, v49, v48
	s_mov_b32 s34, 0x3fb8aa3b
	v_mul_f32_e32 v50, 0x3fb8aa3b, v49
	v_fma_f32 v51, v49, s34, -v50
	v_rndne_f32_e32 v53, v50
	v_fmamk_f32 v51, v49, 0x32a5705f, v51
	v_sub_f32_e32 v50, v50, v53
	v_add_f32_e32 v50, v50, v51
	v_exp_f32_e32 v50, v50
	v_cvt_i32_f32_e32 v51, v53
	s_mov_b32 s34, 0xc2ce8ed0
	v_cmp_ngt_f32_e32 vcc, s34, v49
	s_mov_b32 s34, 0x42b17218
	v_ldexp_f32 v50, v50, v51
	v_cndmask_b32_e32 v50, 0, v50, vcc
	v_mov_b32_e32 v51, 0x7f800000
	v_cmp_nlt_f32_e32 vcc, s34, v49
	s_mov_b32 s34, 0x3f2aaaab
	s_mov_b32 s35, 0x7f800000
	v_cndmask_b32_e32 v53, v51, v50, vcc
	v_add_f32_e32 v49, 1.0, v53
	v_add_f32_e32 v50, -1.0, v49
	v_sub_f32_e32 v51, v50, v49
	v_add_f32_e32 v51, 1.0, v51
	v_sub_f32_e32 v50, v53, v50
	v_add_f32_e32 v54, v50, v51
	v_frexp_mant_f32_e32 v55, v49
	v_cvt_f64_f32_e32 v[50:51], v49
	v_frexp_exp_i32_f64_e32 v50, v[50:51]
	v_cmp_gt_f32_e32 vcc, s34, v55
	s_mov_b32 s34, 0x3f317218
	s_nop 0
	v_subbrev_co_u32_e32 v68, vcc, 0, v50, vcc
	v_sub_u32_e32 v50, 0, v68
	v_ldexp_f32 v49, v49, v50
	v_ldexp_f32 v50, v54, v50
	v_add_f32_e32 v54, -1.0, v49
	v_add_f32_e32 v51, 1.0, v54
	v_sub_f32_e32 v51, v49, v51
	v_add_f32_e32 v55, v50, v51
	v_add_f32_e32 v51, 1.0, v49
	v_add_f32_e32 v64, -1.0, v51
	v_sub_f32_e32 v49, v49, v64
	v_add_f32_e32 v49, v50, v49
	v_add_f32_e32 v69, v51, v49
	v_rcp_f32_e32 v112, v69
	v_sub_f32_e32 v50, v51, v69
	v_add_f32_e32 v51, v54, v55
	v_add_f32_e32 v49, v49, v50
	v_mul_f32_e32 v114, v51, v112
	v_sub_f32_e32 v50, v54, v51
	v_mul_f32_e32 v54, v69, v114
	v_fma_f32 v64, v114, v69, -v54
	v_fmac_f32_e32 v64, v114, v49
	v_add_f32_e32 v113, v55, v50
	v_add_f32_e32 v50, v54, v64
	v_sub_f32_e32 v55, v51, v50
	v_pk_add_f32 v[66:67], v[50:51], v[54:55] neg_lo:[0,1] neg_hi:[0,1]
	v_mov_b32_e32 v65, v50
	v_pk_add_f32 v[50:51], v[66:67], v[64:65] neg_lo:[0,1] neg_hi:[0,1]
	v_cmp_eq_f32_e32 vcc, s35, v53
	v_add_f32_e32 v51, v113, v51
	v_add_f32_e32 v50, v50, v51
	;; [unrolled: 1-line block ×3, first 2 shown]
	v_mul_f32_e32 v113, v112, v51
	v_mul_f32_e32 v54, v69, v113
	v_fma_f32 v64, v113, v69, -v54
	v_fmac_f32_e32 v64, v113, v49
	v_sub_f32_e32 v49, v55, v51
	v_add_f32_e32 v49, v50, v49
	v_add_f32_e32 v50, v54, v64
	v_sub_f32_e32 v55, v51, v50
	v_pk_add_f32 v[66:67], v[50:51], v[54:55] neg_lo:[0,1] neg_hi:[0,1]
	v_mov_b32_e32 v65, v50
	v_pk_add_f32 v[50:51], v[66:67], v[64:65] neg_lo:[0,1] neg_hi:[0,1]
	v_cvt_f32_i32_e32 v54, v68
	v_add_f32_e32 v49, v49, v51
	v_add_f32_e32 v49, v50, v49
	;; [unrolled: 1-line block ×4, first 2 shown]
	v_sub_f32_e32 v51, v50, v114
	v_mul_f32_e32 v49, v112, v49
	v_sub_f32_e32 v51, v113, v51
	v_add_f32_e32 v49, v51, v49
	v_add_f32_e32 v55, v50, v49
	v_mul_f32_e32 v64, v55, v55
	v_mov_b32_e32 v51, 0x3ecc95a3
	v_fmac_f32_e32 v51, 0x3e9b6dac, v64
	v_sub_f32_e32 v50, v55, v50
	v_fmaak_f32 v51, v64, v51, 0x3f2aaada
	v_sub_f32_e32 v49, v49, v50
	v_ldexp_f32 v65, v55, 1
	v_mul_f32_e32 v55, v55, v64
	v_mov_b32_e32 v50, 0x3f317218
	v_pk_mul_f32 v[50:51], v[54:55], v[50:51]
	v_ldexp_f32 v49, v49, 1
	v_fma_f32 v55, v54, s34, -v50
	v_fmamk_f32 v64, v54, 0xb102e308, v55
	v_pk_add_f32 v[54:55], v[50:51], v[64:65]
	v_mov_b32_e32 v66, v50
	v_sub_f32_e32 v65, v55, v65
	v_sub_f32_e32 v65, v51, v65
	v_add_f32_e32 v67, v49, v65
	v_pk_add_f32 v[50:51], v[54:55], v[50:51] neg_lo:[0,1] neg_hi:[0,1]
	v_pk_add_f32 v[68:69], v[54:55], v[66:67]
	v_mov_b32_e32 v65, v54
	v_mov_b32_e32 v51, v69
	v_pk_add_f32 v[112:113], v[64:65], v[50:51] neg_lo:[0,1] neg_hi:[0,1]
	v_pk_add_f32 v[50:51], v[64:65], v[50:51]
	v_mov_b32_e32 v66, v67
	v_mov_b32_e32 v64, v51
	v_pk_add_f32 v[114:115], v[64:65], v[54:55] neg_lo:[0,1] neg_hi:[0,1]
	v_mov_b32_e32 v50, v69
	v_mov_b32_e32 v49, v114
	v_pk_add_f32 v[116:117], v[68:69], v[48:49] neg_lo:[0,1] neg_hi:[0,1]
	v_mov_b32_e32 v68, v55
	v_mov_b32_e32 v69, v114
	;; [unrolled: 1-line block ×3, first 2 shown]
	v_pk_add_f32 v[50:51], v[50:51], v[68:69] neg_lo:[0,1] neg_hi:[0,1]
	v_mov_b32_e32 v67, v54
	v_pk_add_f32 v[50:51], v[66:67], v[50:51] neg_lo:[0,1] neg_hi:[0,1]
	v_mov_b32_e32 v116, v112
	v_pk_add_f32 v[54:55], v[116:117], v[50:51]
	s_mov_b32 s34, 0x33800000
	v_mov_b32_e32 v66, v55
	v_pk_add_f32 v[66:67], v[54:55], v[66:67]
	v_cmp_lt_f32_e64 s[34:35], |v53|, s34
	v_pk_add_f32 v[64:65], v[64:65], v[66:67]
	v_mov_b32_e32 v51, v66
	v_mov_b32_e32 v55, v64
	v_pk_add_f32 v[68:69], v[54:55], v[112:113] neg_lo:[0,1] neg_hi:[0,1]
	s_or_b64 vcc, vcc, s[34:35]
	v_sub_f32_e32 v49, v54, v68
	v_pk_add_f32 v[50:51], v[50:51], v[68:69] neg_lo:[0,1] neg_hi:[0,1]
	v_sub_f32_e32 v49, v112, v49
	v_add_f32_e32 v49, v50, v49
	v_add_f32_e32 v49, v49, v51
	;; [unrolled: 1-line block ×3, first 2 shown]
	v_cndmask_b32_e32 v49, v49, v53, vcc
	v_add_f32_e32 v132, v48, v49
.LBB121_79:
	s_or_b64 exec, exec, s[30:31]
	v_max_f32_e32 v112, v29, v29
	v_max_f32_e32 v48, v132, v132
	v_min_f32_e32 v49, v48, v112
	v_cmp_u_f32_e32 vcc, v132, v132
	v_max_f32_e32 v48, v48, v112
	v_cmp_u_f32_e64 s[30:31], v29, v29
	v_cndmask_b32_e32 v49, v49, v132, vcc
	v_cndmask_b32_e32 v48, v48, v132, vcc
	v_cndmask_b32_e64 v49, v49, v29, s[30:31]
	v_cndmask_b32_e64 v48, v48, v29, s[30:31]
	s_movk_i32 s36, 0x1f8
	v_cmp_neq_f32_e32 vcc, v49, v48
	v_cmp_class_f32_e64 s[34:35], v49, s36
	s_or_b64 vcc, vcc, s[34:35]
	s_and_saveexec_b64 s[34:35], vcc
	s_cbranch_execz .LBB121_81
; %bb.80:
	v_sub_f32_e32 v49, v49, v48
	s_mov_b32 s37, 0x3fb8aa3b
	v_mul_f32_e32 v50, 0x3fb8aa3b, v49
	v_fma_f32 v51, v49, s37, -v50
	v_rndne_f32_e32 v53, v50
	v_fmamk_f32 v51, v49, 0x32a5705f, v51
	v_sub_f32_e32 v50, v50, v53
	v_add_f32_e32 v50, v50, v51
	v_exp_f32_e32 v50, v50
	v_cvt_i32_f32_e32 v51, v53
	s_mov_b32 s37, 0xc2ce8ed0
	v_cmp_ngt_f32_e32 vcc, s37, v49
	s_mov_b32 s37, 0x42b17218
	v_ldexp_f32 v50, v50, v51
	v_cndmask_b32_e32 v50, 0, v50, vcc
	v_mov_b32_e32 v51, 0x7f800000
	v_cmp_nlt_f32_e32 vcc, s37, v49
	s_mov_b32 s37, 0x3f2aaaab
	s_mov_b32 s38, 0x7f800000
	v_cndmask_b32_e32 v53, v51, v50, vcc
	v_add_f32_e32 v49, 1.0, v53
	v_add_f32_e32 v50, -1.0, v49
	v_sub_f32_e32 v51, v50, v49
	v_add_f32_e32 v51, 1.0, v51
	v_sub_f32_e32 v50, v53, v50
	v_add_f32_e32 v54, v50, v51
	v_frexp_mant_f32_e32 v55, v49
	v_cvt_f64_f32_e32 v[50:51], v49
	v_frexp_exp_i32_f64_e32 v50, v[50:51]
	v_cmp_gt_f32_e32 vcc, s37, v55
	s_mov_b32 s37, 0x3f317218
	s_nop 0
	v_subbrev_co_u32_e32 v68, vcc, 0, v50, vcc
	v_sub_u32_e32 v50, 0, v68
	v_ldexp_f32 v49, v49, v50
	v_ldexp_f32 v50, v54, v50
	v_add_f32_e32 v54, -1.0, v49
	v_add_f32_e32 v51, 1.0, v54
	v_sub_f32_e32 v51, v49, v51
	v_add_f32_e32 v55, v50, v51
	v_add_f32_e32 v51, 1.0, v49
	v_add_f32_e32 v64, -1.0, v51
	v_sub_f32_e32 v49, v49, v64
	v_add_f32_e32 v49, v50, v49
	v_add_f32_e32 v69, v51, v49
	v_rcp_f32_e32 v113, v69
	v_sub_f32_e32 v50, v51, v69
	v_add_f32_e32 v51, v54, v55
	v_add_f32_e32 v49, v49, v50
	v_mul_f32_e32 v115, v51, v113
	v_sub_f32_e32 v50, v54, v51
	v_mul_f32_e32 v54, v69, v115
	v_fma_f32 v64, v115, v69, -v54
	v_fmac_f32_e32 v64, v115, v49
	v_add_f32_e32 v114, v55, v50
	v_add_f32_e32 v50, v54, v64
	v_sub_f32_e32 v55, v51, v50
	v_pk_add_f32 v[66:67], v[50:51], v[54:55] neg_lo:[0,1] neg_hi:[0,1]
	v_mov_b32_e32 v65, v50
	v_pk_add_f32 v[50:51], v[66:67], v[64:65] neg_lo:[0,1] neg_hi:[0,1]
	v_cmp_eq_f32_e32 vcc, s38, v53
	v_add_f32_e32 v51, v114, v51
	v_add_f32_e32 v50, v50, v51
	;; [unrolled: 1-line block ×3, first 2 shown]
	v_mul_f32_e32 v114, v113, v51
	v_mul_f32_e32 v54, v69, v114
	v_fma_f32 v64, v114, v69, -v54
	v_fmac_f32_e32 v64, v114, v49
	v_sub_f32_e32 v49, v55, v51
	v_add_f32_e32 v49, v50, v49
	v_add_f32_e32 v50, v54, v64
	v_sub_f32_e32 v55, v51, v50
	v_pk_add_f32 v[66:67], v[50:51], v[54:55] neg_lo:[0,1] neg_hi:[0,1]
	v_mov_b32_e32 v65, v50
	v_pk_add_f32 v[50:51], v[66:67], v[64:65] neg_lo:[0,1] neg_hi:[0,1]
	v_cvt_f32_i32_e32 v54, v68
	v_add_f32_e32 v49, v49, v51
	v_add_f32_e32 v49, v50, v49
	;; [unrolled: 1-line block ×4, first 2 shown]
	v_sub_f32_e32 v51, v50, v115
	v_mul_f32_e32 v49, v113, v49
	v_sub_f32_e32 v51, v114, v51
	v_add_f32_e32 v49, v51, v49
	v_add_f32_e32 v55, v50, v49
	v_mul_f32_e32 v64, v55, v55
	v_mov_b32_e32 v51, 0x3ecc95a3
	v_fmac_f32_e32 v51, 0x3e9b6dac, v64
	v_sub_f32_e32 v50, v55, v50
	v_fmaak_f32 v51, v64, v51, 0x3f2aaada
	v_sub_f32_e32 v49, v49, v50
	v_ldexp_f32 v65, v55, 1
	v_mul_f32_e32 v55, v55, v64
	v_mov_b32_e32 v50, 0x3f317218
	v_pk_mul_f32 v[50:51], v[54:55], v[50:51]
	v_ldexp_f32 v49, v49, 1
	v_fma_f32 v55, v54, s37, -v50
	v_fmamk_f32 v64, v54, 0xb102e308, v55
	v_pk_add_f32 v[54:55], v[50:51], v[64:65]
	v_mov_b32_e32 v66, v50
	v_sub_f32_e32 v65, v55, v65
	v_sub_f32_e32 v65, v51, v65
	v_add_f32_e32 v67, v49, v65
	v_pk_add_f32 v[50:51], v[54:55], v[50:51] neg_lo:[0,1] neg_hi:[0,1]
	v_pk_add_f32 v[68:69], v[54:55], v[66:67]
	v_mov_b32_e32 v65, v54
	v_mov_b32_e32 v51, v69
	v_pk_add_f32 v[114:115], v[64:65], v[50:51] neg_lo:[0,1] neg_hi:[0,1]
	v_pk_add_f32 v[50:51], v[64:65], v[50:51]
	v_mov_b32_e32 v66, v67
	v_mov_b32_e32 v64, v51
	v_pk_add_f32 v[116:117], v[64:65], v[54:55] neg_lo:[0,1] neg_hi:[0,1]
	v_mov_b32_e32 v50, v69
	v_mov_b32_e32 v49, v116
	v_pk_add_f32 v[118:119], v[68:69], v[48:49] neg_lo:[0,1] neg_hi:[0,1]
	v_mov_b32_e32 v68, v55
	v_mov_b32_e32 v69, v116
	;; [unrolled: 1-line block ×3, first 2 shown]
	v_pk_add_f32 v[50:51], v[50:51], v[68:69] neg_lo:[0,1] neg_hi:[0,1]
	v_mov_b32_e32 v67, v54
	v_pk_add_f32 v[50:51], v[66:67], v[50:51] neg_lo:[0,1] neg_hi:[0,1]
	v_mov_b32_e32 v118, v114
	v_pk_add_f32 v[54:55], v[118:119], v[50:51]
	s_mov_b32 s37, 0x33800000
	v_mov_b32_e32 v66, v55
	v_pk_add_f32 v[66:67], v[54:55], v[66:67]
	v_cmp_lt_f32_e64 s[38:39], |v53|, s37
	v_pk_add_f32 v[64:65], v[64:65], v[66:67]
	v_mov_b32_e32 v51, v66
	v_mov_b32_e32 v55, v64
	v_pk_add_f32 v[68:69], v[54:55], v[114:115] neg_lo:[0,1] neg_hi:[0,1]
	s_or_b64 vcc, vcc, s[38:39]
	v_sub_f32_e32 v49, v54, v68
	v_pk_add_f32 v[50:51], v[50:51], v[68:69] neg_lo:[0,1] neg_hi:[0,1]
	v_sub_f32_e32 v49, v114, v49
	v_add_f32_e32 v49, v50, v49
	v_add_f32_e32 v49, v49, v51
	;; [unrolled: 1-line block ×3, first 2 shown]
	v_cndmask_b32_e32 v49, v49, v53, vcc
	v_add_f32_e32 v132, v48, v49
.LBB121_81:
	s_or_b64 exec, exec, s[34:35]
	v_max_f32_e32 v113, v30, v30
	v_max_f32_e32 v48, v132, v132
	v_min_f32_e32 v49, v48, v113
	v_cmp_u_f32_e32 vcc, v132, v132
	v_max_f32_e32 v48, v48, v113
	v_cmp_u_f32_e64 s[34:35], v30, v30
	v_cndmask_b32_e32 v49, v49, v132, vcc
	v_cndmask_b32_e32 v48, v48, v132, vcc
	v_cndmask_b32_e64 v49, v49, v30, s[34:35]
	v_cndmask_b32_e64 v48, v48, v30, s[34:35]
	v_cmp_neq_f32_e32 vcc, v49, v48
	v_cmp_class_f32_e64 s[36:37], v49, s36
	s_or_b64 vcc, vcc, s[36:37]
	s_and_saveexec_b64 s[36:37], vcc
	s_cbranch_execz .LBB121_83
; %bb.82:
	v_sub_f32_e32 v49, v49, v48
	s_mov_b32 s38, 0x3fb8aa3b
	v_mul_f32_e32 v50, 0x3fb8aa3b, v49
	v_fma_f32 v51, v49, s38, -v50
	v_rndne_f32_e32 v53, v50
	v_fmamk_f32 v51, v49, 0x32a5705f, v51
	v_sub_f32_e32 v50, v50, v53
	v_add_f32_e32 v50, v50, v51
	v_exp_f32_e32 v50, v50
	v_cvt_i32_f32_e32 v51, v53
	s_mov_b32 s38, 0xc2ce8ed0
	v_cmp_ngt_f32_e32 vcc, s38, v49
	s_mov_b32 s38, 0x42b17218
	v_ldexp_f32 v50, v50, v51
	v_cndmask_b32_e32 v50, 0, v50, vcc
	v_mov_b32_e32 v51, 0x7f800000
	v_cmp_nlt_f32_e32 vcc, s38, v49
	s_mov_b32 s38, 0x3f2aaaab
	s_mov_b32 s39, 0x7f800000
	v_cndmask_b32_e32 v53, v51, v50, vcc
	v_add_f32_e32 v49, 1.0, v53
	v_add_f32_e32 v50, -1.0, v49
	v_sub_f32_e32 v51, v50, v49
	v_add_f32_e32 v51, 1.0, v51
	v_sub_f32_e32 v50, v53, v50
	v_add_f32_e32 v54, v50, v51
	v_frexp_mant_f32_e32 v55, v49
	v_cvt_f64_f32_e32 v[50:51], v49
	v_frexp_exp_i32_f64_e32 v50, v[50:51]
	v_cmp_gt_f32_e32 vcc, s38, v55
	s_mov_b32 s38, 0x3f317218
	s_nop 0
	v_subbrev_co_u32_e32 v68, vcc, 0, v50, vcc
	v_sub_u32_e32 v50, 0, v68
	v_ldexp_f32 v49, v49, v50
	v_ldexp_f32 v50, v54, v50
	v_add_f32_e32 v54, -1.0, v49
	v_add_f32_e32 v51, 1.0, v54
	v_sub_f32_e32 v51, v49, v51
	v_add_f32_e32 v55, v50, v51
	v_add_f32_e32 v51, 1.0, v49
	v_add_f32_e32 v64, -1.0, v51
	v_sub_f32_e32 v49, v49, v64
	v_add_f32_e32 v49, v50, v49
	v_add_f32_e32 v69, v51, v49
	v_rcp_f32_e32 v114, v69
	v_sub_f32_e32 v50, v51, v69
	v_add_f32_e32 v51, v54, v55
	v_add_f32_e32 v49, v49, v50
	v_mul_f32_e32 v116, v51, v114
	v_sub_f32_e32 v50, v54, v51
	v_mul_f32_e32 v54, v69, v116
	v_fma_f32 v64, v116, v69, -v54
	v_fmac_f32_e32 v64, v116, v49
	v_add_f32_e32 v115, v55, v50
	v_add_f32_e32 v50, v54, v64
	v_sub_f32_e32 v55, v51, v50
	v_pk_add_f32 v[66:67], v[50:51], v[54:55] neg_lo:[0,1] neg_hi:[0,1]
	v_mov_b32_e32 v65, v50
	v_pk_add_f32 v[50:51], v[66:67], v[64:65] neg_lo:[0,1] neg_hi:[0,1]
	v_cmp_eq_f32_e32 vcc, s39, v53
	v_add_f32_e32 v51, v115, v51
	v_add_f32_e32 v50, v50, v51
	;; [unrolled: 1-line block ×3, first 2 shown]
	v_mul_f32_e32 v115, v114, v51
	v_mul_f32_e32 v54, v69, v115
	v_fma_f32 v64, v115, v69, -v54
	v_fmac_f32_e32 v64, v115, v49
	v_sub_f32_e32 v49, v55, v51
	v_add_f32_e32 v49, v50, v49
	v_add_f32_e32 v50, v54, v64
	v_sub_f32_e32 v55, v51, v50
	v_pk_add_f32 v[66:67], v[50:51], v[54:55] neg_lo:[0,1] neg_hi:[0,1]
	v_mov_b32_e32 v65, v50
	v_pk_add_f32 v[50:51], v[66:67], v[64:65] neg_lo:[0,1] neg_hi:[0,1]
	v_cvt_f32_i32_e32 v54, v68
	v_add_f32_e32 v49, v49, v51
	v_add_f32_e32 v49, v50, v49
	;; [unrolled: 1-line block ×4, first 2 shown]
	v_sub_f32_e32 v51, v50, v116
	v_mul_f32_e32 v49, v114, v49
	v_sub_f32_e32 v51, v115, v51
	v_add_f32_e32 v49, v51, v49
	v_add_f32_e32 v55, v50, v49
	v_mul_f32_e32 v64, v55, v55
	v_mov_b32_e32 v51, 0x3ecc95a3
	v_fmac_f32_e32 v51, 0x3e9b6dac, v64
	v_sub_f32_e32 v50, v55, v50
	v_fmaak_f32 v51, v64, v51, 0x3f2aaada
	v_sub_f32_e32 v49, v49, v50
	v_ldexp_f32 v65, v55, 1
	v_mul_f32_e32 v55, v55, v64
	v_mov_b32_e32 v50, 0x3f317218
	v_pk_mul_f32 v[50:51], v[54:55], v[50:51]
	v_ldexp_f32 v49, v49, 1
	v_fma_f32 v55, v54, s38, -v50
	v_fmamk_f32 v64, v54, 0xb102e308, v55
	v_pk_add_f32 v[54:55], v[50:51], v[64:65]
	v_mov_b32_e32 v66, v50
	v_sub_f32_e32 v65, v55, v65
	v_sub_f32_e32 v65, v51, v65
	v_add_f32_e32 v67, v49, v65
	v_pk_add_f32 v[50:51], v[54:55], v[50:51] neg_lo:[0,1] neg_hi:[0,1]
	v_pk_add_f32 v[68:69], v[54:55], v[66:67]
	v_mov_b32_e32 v65, v54
	v_mov_b32_e32 v51, v69
	v_pk_add_f32 v[114:115], v[64:65], v[50:51] neg_lo:[0,1] neg_hi:[0,1]
	v_pk_add_f32 v[50:51], v[64:65], v[50:51]
	v_mov_b32_e32 v66, v67
	v_mov_b32_e32 v64, v51
	v_pk_add_f32 v[116:117], v[64:65], v[54:55] neg_lo:[0,1] neg_hi:[0,1]
	v_mov_b32_e32 v50, v69
	v_mov_b32_e32 v49, v116
	v_pk_add_f32 v[118:119], v[68:69], v[48:49] neg_lo:[0,1] neg_hi:[0,1]
	v_mov_b32_e32 v68, v55
	v_mov_b32_e32 v69, v116
	;; [unrolled: 1-line block ×3, first 2 shown]
	v_pk_add_f32 v[50:51], v[50:51], v[68:69] neg_lo:[0,1] neg_hi:[0,1]
	v_mov_b32_e32 v67, v54
	v_pk_add_f32 v[50:51], v[66:67], v[50:51] neg_lo:[0,1] neg_hi:[0,1]
	v_mov_b32_e32 v118, v114
	v_pk_add_f32 v[54:55], v[118:119], v[50:51]
	s_mov_b32 s38, 0x33800000
	v_mov_b32_e32 v66, v55
	v_pk_add_f32 v[66:67], v[54:55], v[66:67]
	v_cmp_lt_f32_e64 s[38:39], |v53|, s38
	v_pk_add_f32 v[64:65], v[64:65], v[66:67]
	v_mov_b32_e32 v51, v66
	v_mov_b32_e32 v55, v64
	v_pk_add_f32 v[68:69], v[54:55], v[114:115] neg_lo:[0,1] neg_hi:[0,1]
	s_or_b64 vcc, vcc, s[38:39]
	v_sub_f32_e32 v49, v54, v68
	v_pk_add_f32 v[50:51], v[50:51], v[68:69] neg_lo:[0,1] neg_hi:[0,1]
	v_sub_f32_e32 v49, v114, v49
	v_add_f32_e32 v49, v50, v49
	v_add_f32_e32 v49, v49, v51
	;; [unrolled: 1-line block ×3, first 2 shown]
	v_cndmask_b32_e32 v49, v49, v53, vcc
	v_add_f32_e32 v132, v48, v49
.LBB121_83:
	s_or_b64 exec, exec, s[36:37]
	v_max_f32_e32 v114, v31, v31
	v_max_f32_e32 v48, v132, v132
	v_min_f32_e32 v49, v48, v114
	v_cmp_u_f32_e32 vcc, v132, v132
	v_max_f32_e32 v48, v48, v114
	v_cmp_u_f32_e64 s[36:37], v31, v31
	v_cndmask_b32_e32 v49, v49, v132, vcc
	v_cndmask_b32_e32 v48, v48, v132, vcc
	v_cndmask_b32_e64 v49, v49, v31, s[36:37]
	v_cndmask_b32_e64 v48, v48, v31, s[36:37]
	s_movk_i32 s40, 0x1f8
	v_cmp_neq_f32_e32 vcc, v49, v48
	v_cmp_class_f32_e64 s[38:39], v49, s40
	s_or_b64 vcc, vcc, s[38:39]
	s_and_saveexec_b64 s[38:39], vcc
	s_cbranch_execz .LBB121_85
; %bb.84:
	v_sub_f32_e32 v49, v49, v48
	s_mov_b32 s41, 0x3fb8aa3b
	v_mul_f32_e32 v50, 0x3fb8aa3b, v49
	v_fma_f32 v51, v49, s41, -v50
	v_rndne_f32_e32 v53, v50
	v_fmamk_f32 v51, v49, 0x32a5705f, v51
	v_sub_f32_e32 v50, v50, v53
	v_add_f32_e32 v50, v50, v51
	v_exp_f32_e32 v50, v50
	v_cvt_i32_f32_e32 v51, v53
	s_mov_b32 s41, 0xc2ce8ed0
	v_cmp_ngt_f32_e32 vcc, s41, v49
	s_mov_b32 s41, 0x42b17218
	v_ldexp_f32 v50, v50, v51
	v_cndmask_b32_e32 v50, 0, v50, vcc
	v_mov_b32_e32 v51, 0x7f800000
	v_cmp_nlt_f32_e32 vcc, s41, v49
	s_mov_b32 s41, 0x3f2aaaab
	s_mov_b32 s42, 0x7f800000
	v_cndmask_b32_e32 v53, v51, v50, vcc
	v_add_f32_e32 v49, 1.0, v53
	v_add_f32_e32 v50, -1.0, v49
	v_sub_f32_e32 v51, v50, v49
	v_add_f32_e32 v51, 1.0, v51
	v_sub_f32_e32 v50, v53, v50
	v_add_f32_e32 v54, v50, v51
	v_frexp_mant_f32_e32 v55, v49
	v_cvt_f64_f32_e32 v[50:51], v49
	v_frexp_exp_i32_f64_e32 v50, v[50:51]
	v_cmp_gt_f32_e32 vcc, s41, v55
	s_mov_b32 s41, 0x3f317218
	s_nop 0
	v_subbrev_co_u32_e32 v68, vcc, 0, v50, vcc
	v_sub_u32_e32 v50, 0, v68
	v_ldexp_f32 v49, v49, v50
	v_ldexp_f32 v50, v54, v50
	v_add_f32_e32 v54, -1.0, v49
	v_add_f32_e32 v51, 1.0, v54
	v_sub_f32_e32 v51, v49, v51
	v_add_f32_e32 v55, v50, v51
	v_add_f32_e32 v51, 1.0, v49
	v_add_f32_e32 v64, -1.0, v51
	v_sub_f32_e32 v49, v49, v64
	v_add_f32_e32 v49, v50, v49
	v_add_f32_e32 v69, v51, v49
	v_rcp_f32_e32 v115, v69
	v_sub_f32_e32 v50, v51, v69
	v_add_f32_e32 v51, v54, v55
	v_add_f32_e32 v49, v49, v50
	v_mul_f32_e32 v117, v51, v115
	v_sub_f32_e32 v50, v54, v51
	v_mul_f32_e32 v54, v69, v117
	v_fma_f32 v64, v117, v69, -v54
	v_fmac_f32_e32 v64, v117, v49
	v_add_f32_e32 v116, v55, v50
	v_add_f32_e32 v50, v54, v64
	v_sub_f32_e32 v55, v51, v50
	v_pk_add_f32 v[66:67], v[50:51], v[54:55] neg_lo:[0,1] neg_hi:[0,1]
	v_mov_b32_e32 v65, v50
	v_pk_add_f32 v[50:51], v[66:67], v[64:65] neg_lo:[0,1] neg_hi:[0,1]
	v_cmp_eq_f32_e32 vcc, s42, v53
	v_add_f32_e32 v51, v116, v51
	v_add_f32_e32 v50, v50, v51
	;; [unrolled: 1-line block ×3, first 2 shown]
	v_mul_f32_e32 v116, v115, v51
	v_mul_f32_e32 v54, v69, v116
	v_fma_f32 v64, v116, v69, -v54
	v_fmac_f32_e32 v64, v116, v49
	v_sub_f32_e32 v49, v55, v51
	v_add_f32_e32 v49, v50, v49
	v_add_f32_e32 v50, v54, v64
	v_sub_f32_e32 v55, v51, v50
	v_pk_add_f32 v[66:67], v[50:51], v[54:55] neg_lo:[0,1] neg_hi:[0,1]
	v_mov_b32_e32 v65, v50
	v_pk_add_f32 v[50:51], v[66:67], v[64:65] neg_lo:[0,1] neg_hi:[0,1]
	v_cvt_f32_i32_e32 v54, v68
	v_add_f32_e32 v49, v49, v51
	v_add_f32_e32 v49, v50, v49
	;; [unrolled: 1-line block ×4, first 2 shown]
	v_sub_f32_e32 v51, v50, v117
	v_mul_f32_e32 v49, v115, v49
	v_sub_f32_e32 v51, v116, v51
	v_add_f32_e32 v49, v51, v49
	v_add_f32_e32 v55, v50, v49
	v_mul_f32_e32 v64, v55, v55
	v_mov_b32_e32 v51, 0x3ecc95a3
	v_fmac_f32_e32 v51, 0x3e9b6dac, v64
	v_sub_f32_e32 v50, v55, v50
	v_fmaak_f32 v51, v64, v51, 0x3f2aaada
	v_sub_f32_e32 v49, v49, v50
	v_ldexp_f32 v65, v55, 1
	v_mul_f32_e32 v55, v55, v64
	v_mov_b32_e32 v50, 0x3f317218
	v_pk_mul_f32 v[50:51], v[54:55], v[50:51]
	v_ldexp_f32 v49, v49, 1
	v_fma_f32 v55, v54, s41, -v50
	v_fmamk_f32 v64, v54, 0xb102e308, v55
	v_pk_add_f32 v[54:55], v[50:51], v[64:65]
	v_mov_b32_e32 v66, v50
	v_sub_f32_e32 v65, v55, v65
	v_sub_f32_e32 v65, v51, v65
	v_add_f32_e32 v67, v49, v65
	v_pk_add_f32 v[50:51], v[54:55], v[50:51] neg_lo:[0,1] neg_hi:[0,1]
	v_pk_add_f32 v[68:69], v[54:55], v[66:67]
	v_mov_b32_e32 v65, v54
	v_mov_b32_e32 v51, v69
	v_pk_add_f32 v[116:117], v[64:65], v[50:51] neg_lo:[0,1] neg_hi:[0,1]
	v_pk_add_f32 v[50:51], v[64:65], v[50:51]
	v_mov_b32_e32 v66, v67
	v_mov_b32_e32 v64, v51
	v_pk_add_f32 v[118:119], v[64:65], v[54:55] neg_lo:[0,1] neg_hi:[0,1]
	v_mov_b32_e32 v50, v69
	v_mov_b32_e32 v49, v118
	v_pk_add_f32 v[128:129], v[68:69], v[48:49] neg_lo:[0,1] neg_hi:[0,1]
	v_mov_b32_e32 v68, v55
	v_mov_b32_e32 v69, v118
	;; [unrolled: 1-line block ×3, first 2 shown]
	v_pk_add_f32 v[50:51], v[50:51], v[68:69] neg_lo:[0,1] neg_hi:[0,1]
	v_mov_b32_e32 v67, v54
	v_pk_add_f32 v[50:51], v[66:67], v[50:51] neg_lo:[0,1] neg_hi:[0,1]
	v_mov_b32_e32 v128, v116
	v_pk_add_f32 v[54:55], v[128:129], v[50:51]
	s_mov_b32 s41, 0x33800000
	v_mov_b32_e32 v66, v55
	v_pk_add_f32 v[66:67], v[54:55], v[66:67]
	v_cmp_lt_f32_e64 s[42:43], |v53|, s41
	v_pk_add_f32 v[64:65], v[64:65], v[66:67]
	v_mov_b32_e32 v51, v66
	v_mov_b32_e32 v55, v64
	v_pk_add_f32 v[68:69], v[54:55], v[116:117] neg_lo:[0,1] neg_hi:[0,1]
	s_or_b64 vcc, vcc, s[42:43]
	v_sub_f32_e32 v49, v54, v68
	v_pk_add_f32 v[50:51], v[50:51], v[68:69] neg_lo:[0,1] neg_hi:[0,1]
	v_sub_f32_e32 v49, v116, v49
	v_add_f32_e32 v49, v50, v49
	v_add_f32_e32 v49, v49, v51
	;; [unrolled: 1-line block ×3, first 2 shown]
	v_cndmask_b32_e32 v49, v49, v53, vcc
	v_add_f32_e32 v132, v48, v49
.LBB121_85:
	s_or_b64 exec, exec, s[38:39]
	v_max_f32_e32 v115, v24, v24
	v_max_f32_e32 v48, v132, v132
	v_min_f32_e32 v49, v48, v115
	v_cmp_u_f32_e32 vcc, v132, v132
	v_max_f32_e32 v48, v48, v115
	v_cmp_u_f32_e64 s[38:39], v24, v24
	v_cndmask_b32_e32 v49, v49, v132, vcc
	v_cndmask_b32_e32 v48, v48, v132, vcc
	v_cndmask_b32_e64 v49, v49, v24, s[38:39]
	v_cndmask_b32_e64 v48, v48, v24, s[38:39]
	v_cmp_neq_f32_e32 vcc, v49, v48
	v_cmp_class_f32_e64 s[40:41], v49, s40
	s_or_b64 vcc, vcc, s[40:41]
	s_and_saveexec_b64 s[40:41], vcc
	s_cbranch_execz .LBB121_87
; %bb.86:
	v_sub_f32_e32 v49, v49, v48
	s_mov_b32 s42, 0x3fb8aa3b
	v_mul_f32_e32 v50, 0x3fb8aa3b, v49
	v_fma_f32 v51, v49, s42, -v50
	v_rndne_f32_e32 v53, v50
	v_fmamk_f32 v51, v49, 0x32a5705f, v51
	v_sub_f32_e32 v50, v50, v53
	v_add_f32_e32 v50, v50, v51
	v_exp_f32_e32 v50, v50
	v_cvt_i32_f32_e32 v51, v53
	s_mov_b32 s42, 0xc2ce8ed0
	v_cmp_ngt_f32_e32 vcc, s42, v49
	s_mov_b32 s42, 0x42b17218
	v_ldexp_f32 v50, v50, v51
	v_cndmask_b32_e32 v50, 0, v50, vcc
	v_mov_b32_e32 v51, 0x7f800000
	v_cmp_nlt_f32_e32 vcc, s42, v49
	s_mov_b32 s42, 0x3f2aaaab
	s_mov_b32 s43, 0x7f800000
	v_cndmask_b32_e32 v53, v51, v50, vcc
	v_add_f32_e32 v49, 1.0, v53
	v_add_f32_e32 v50, -1.0, v49
	v_sub_f32_e32 v51, v50, v49
	v_add_f32_e32 v51, 1.0, v51
	v_sub_f32_e32 v50, v53, v50
	v_add_f32_e32 v54, v50, v51
	v_frexp_mant_f32_e32 v55, v49
	v_cvt_f64_f32_e32 v[50:51], v49
	v_frexp_exp_i32_f64_e32 v50, v[50:51]
	v_cmp_gt_f32_e32 vcc, s42, v55
	s_mov_b32 s42, 0x3f317218
	s_nop 0
	v_subbrev_co_u32_e32 v68, vcc, 0, v50, vcc
	v_sub_u32_e32 v50, 0, v68
	v_ldexp_f32 v49, v49, v50
	v_ldexp_f32 v50, v54, v50
	v_add_f32_e32 v54, -1.0, v49
	v_add_f32_e32 v51, 1.0, v54
	v_sub_f32_e32 v51, v49, v51
	v_add_f32_e32 v55, v50, v51
	v_add_f32_e32 v51, 1.0, v49
	v_add_f32_e32 v64, -1.0, v51
	v_sub_f32_e32 v49, v49, v64
	v_add_f32_e32 v49, v50, v49
	v_add_f32_e32 v69, v51, v49
	v_rcp_f32_e32 v116, v69
	v_sub_f32_e32 v50, v51, v69
	v_add_f32_e32 v51, v54, v55
	v_add_f32_e32 v49, v49, v50
	v_mul_f32_e32 v118, v51, v116
	v_sub_f32_e32 v50, v54, v51
	v_mul_f32_e32 v54, v69, v118
	v_fma_f32 v64, v118, v69, -v54
	v_fmac_f32_e32 v64, v118, v49
	v_add_f32_e32 v117, v55, v50
	v_add_f32_e32 v50, v54, v64
	v_sub_f32_e32 v55, v51, v50
	v_pk_add_f32 v[66:67], v[50:51], v[54:55] neg_lo:[0,1] neg_hi:[0,1]
	v_mov_b32_e32 v65, v50
	v_pk_add_f32 v[50:51], v[66:67], v[64:65] neg_lo:[0,1] neg_hi:[0,1]
	v_cmp_eq_f32_e32 vcc, s43, v53
	v_add_f32_e32 v51, v117, v51
	v_add_f32_e32 v50, v50, v51
	;; [unrolled: 1-line block ×3, first 2 shown]
	v_mul_f32_e32 v117, v116, v51
	v_mul_f32_e32 v54, v69, v117
	v_fma_f32 v64, v117, v69, -v54
	v_fmac_f32_e32 v64, v117, v49
	v_sub_f32_e32 v49, v55, v51
	v_add_f32_e32 v49, v50, v49
	v_add_f32_e32 v50, v54, v64
	v_sub_f32_e32 v55, v51, v50
	v_pk_add_f32 v[66:67], v[50:51], v[54:55] neg_lo:[0,1] neg_hi:[0,1]
	v_mov_b32_e32 v65, v50
	v_pk_add_f32 v[50:51], v[66:67], v[64:65] neg_lo:[0,1] neg_hi:[0,1]
	v_cvt_f32_i32_e32 v54, v68
	v_add_f32_e32 v49, v49, v51
	v_add_f32_e32 v49, v50, v49
	;; [unrolled: 1-line block ×4, first 2 shown]
	v_sub_f32_e32 v51, v50, v118
	v_mul_f32_e32 v49, v116, v49
	v_sub_f32_e32 v51, v117, v51
	v_add_f32_e32 v49, v51, v49
	v_add_f32_e32 v55, v50, v49
	v_mul_f32_e32 v64, v55, v55
	v_mov_b32_e32 v51, 0x3ecc95a3
	v_fmac_f32_e32 v51, 0x3e9b6dac, v64
	v_sub_f32_e32 v50, v55, v50
	v_fmaak_f32 v51, v64, v51, 0x3f2aaada
	v_sub_f32_e32 v49, v49, v50
	v_ldexp_f32 v65, v55, 1
	v_mul_f32_e32 v55, v55, v64
	v_mov_b32_e32 v50, 0x3f317218
	v_pk_mul_f32 v[50:51], v[54:55], v[50:51]
	v_ldexp_f32 v49, v49, 1
	v_fma_f32 v55, v54, s42, -v50
	v_fmamk_f32 v64, v54, 0xb102e308, v55
	v_pk_add_f32 v[54:55], v[50:51], v[64:65]
	v_mov_b32_e32 v66, v50
	v_sub_f32_e32 v65, v55, v65
	v_sub_f32_e32 v65, v51, v65
	v_add_f32_e32 v67, v49, v65
	v_pk_add_f32 v[50:51], v[54:55], v[50:51] neg_lo:[0,1] neg_hi:[0,1]
	v_pk_add_f32 v[68:69], v[54:55], v[66:67]
	v_mov_b32_e32 v65, v54
	v_mov_b32_e32 v51, v69
	v_pk_add_f32 v[116:117], v[64:65], v[50:51] neg_lo:[0,1] neg_hi:[0,1]
	v_pk_add_f32 v[50:51], v[64:65], v[50:51]
	v_mov_b32_e32 v66, v67
	v_mov_b32_e32 v64, v51
	v_pk_add_f32 v[118:119], v[64:65], v[54:55] neg_lo:[0,1] neg_hi:[0,1]
	v_mov_b32_e32 v50, v69
	v_mov_b32_e32 v49, v118
	v_pk_add_f32 v[128:129], v[68:69], v[48:49] neg_lo:[0,1] neg_hi:[0,1]
	v_mov_b32_e32 v68, v55
	v_mov_b32_e32 v69, v118
	;; [unrolled: 1-line block ×3, first 2 shown]
	v_pk_add_f32 v[50:51], v[50:51], v[68:69] neg_lo:[0,1] neg_hi:[0,1]
	v_mov_b32_e32 v67, v54
	v_pk_add_f32 v[50:51], v[66:67], v[50:51] neg_lo:[0,1] neg_hi:[0,1]
	v_mov_b32_e32 v128, v116
	v_pk_add_f32 v[54:55], v[128:129], v[50:51]
	s_mov_b32 s42, 0x33800000
	v_mov_b32_e32 v66, v55
	v_pk_add_f32 v[66:67], v[54:55], v[66:67]
	v_cmp_lt_f32_e64 s[42:43], |v53|, s42
	v_pk_add_f32 v[64:65], v[64:65], v[66:67]
	v_mov_b32_e32 v51, v66
	v_mov_b32_e32 v55, v64
	v_pk_add_f32 v[68:69], v[54:55], v[116:117] neg_lo:[0,1] neg_hi:[0,1]
	s_or_b64 vcc, vcc, s[42:43]
	v_sub_f32_e32 v49, v54, v68
	v_pk_add_f32 v[50:51], v[50:51], v[68:69] neg_lo:[0,1] neg_hi:[0,1]
	v_sub_f32_e32 v49, v116, v49
	v_add_f32_e32 v49, v50, v49
	v_add_f32_e32 v49, v49, v51
	;; [unrolled: 1-line block ×3, first 2 shown]
	v_cndmask_b32_e32 v49, v49, v53, vcc
	v_add_f32_e32 v132, v48, v49
.LBB121_87:
	s_or_b64 exec, exec, s[40:41]
	v_max_f32_e32 v116, v25, v25
	v_max_f32_e32 v48, v132, v132
	v_min_f32_e32 v49, v48, v116
	v_cmp_u_f32_e32 vcc, v132, v132
	v_max_f32_e32 v48, v48, v116
	v_cmp_u_f32_e64 s[40:41], v25, v25
	v_cndmask_b32_e32 v49, v49, v132, vcc
	v_cndmask_b32_e32 v48, v48, v132, vcc
	v_cndmask_b32_e64 v49, v49, v25, s[40:41]
	v_cndmask_b32_e64 v48, v48, v25, s[40:41]
	s_movk_i32 s44, 0x1f8
	v_cmp_neq_f32_e32 vcc, v49, v48
	v_cmp_class_f32_e64 s[42:43], v49, s44
	s_or_b64 vcc, vcc, s[42:43]
	s_and_saveexec_b64 s[42:43], vcc
	s_cbranch_execz .LBB121_89
; %bb.88:
	v_sub_f32_e32 v49, v49, v48
	s_mov_b32 s45, 0x3fb8aa3b
	v_mul_f32_e32 v50, 0x3fb8aa3b, v49
	v_fma_f32 v51, v49, s45, -v50
	v_rndne_f32_e32 v53, v50
	v_fmamk_f32 v51, v49, 0x32a5705f, v51
	v_sub_f32_e32 v50, v50, v53
	v_add_f32_e32 v50, v50, v51
	v_exp_f32_e32 v50, v50
	v_cvt_i32_f32_e32 v51, v53
	s_mov_b32 s45, 0xc2ce8ed0
	v_cmp_ngt_f32_e32 vcc, s45, v49
	s_mov_b32 s45, 0x42b17218
	v_ldexp_f32 v50, v50, v51
	v_cndmask_b32_e32 v50, 0, v50, vcc
	v_mov_b32_e32 v51, 0x7f800000
	v_cmp_nlt_f32_e32 vcc, s45, v49
	s_mov_b32 s45, 0x3f2aaaab
	s_mov_b32 s46, 0x7f800000
	v_cndmask_b32_e32 v53, v51, v50, vcc
	v_add_f32_e32 v49, 1.0, v53
	v_add_f32_e32 v50, -1.0, v49
	v_sub_f32_e32 v51, v50, v49
	v_add_f32_e32 v51, 1.0, v51
	v_sub_f32_e32 v50, v53, v50
	v_add_f32_e32 v54, v50, v51
	v_frexp_mant_f32_e32 v55, v49
	v_cvt_f64_f32_e32 v[50:51], v49
	v_frexp_exp_i32_f64_e32 v50, v[50:51]
	v_cmp_gt_f32_e32 vcc, s45, v55
	s_mov_b32 s45, 0x3f317218
	s_nop 0
	v_subbrev_co_u32_e32 v68, vcc, 0, v50, vcc
	v_sub_u32_e32 v50, 0, v68
	v_ldexp_f32 v49, v49, v50
	v_ldexp_f32 v50, v54, v50
	v_add_f32_e32 v54, -1.0, v49
	v_add_f32_e32 v51, 1.0, v54
	v_sub_f32_e32 v51, v49, v51
	v_add_f32_e32 v55, v50, v51
	v_add_f32_e32 v51, 1.0, v49
	v_add_f32_e32 v64, -1.0, v51
	v_sub_f32_e32 v49, v49, v64
	v_add_f32_e32 v49, v50, v49
	v_add_f32_e32 v69, v51, v49
	v_rcp_f32_e32 v117, v69
	v_sub_f32_e32 v50, v51, v69
	v_add_f32_e32 v51, v54, v55
	v_add_f32_e32 v49, v49, v50
	v_mul_f32_e32 v119, v51, v117
	v_sub_f32_e32 v50, v54, v51
	v_mul_f32_e32 v54, v69, v119
	v_fma_f32 v64, v119, v69, -v54
	v_fmac_f32_e32 v64, v119, v49
	v_add_f32_e32 v118, v55, v50
	v_add_f32_e32 v50, v54, v64
	v_sub_f32_e32 v55, v51, v50
	v_pk_add_f32 v[66:67], v[50:51], v[54:55] neg_lo:[0,1] neg_hi:[0,1]
	v_mov_b32_e32 v65, v50
	v_pk_add_f32 v[50:51], v[66:67], v[64:65] neg_lo:[0,1] neg_hi:[0,1]
	v_cmp_eq_f32_e32 vcc, s46, v53
	v_add_f32_e32 v51, v118, v51
	v_add_f32_e32 v50, v50, v51
	;; [unrolled: 1-line block ×3, first 2 shown]
	v_mul_f32_e32 v118, v117, v51
	v_mul_f32_e32 v54, v69, v118
	v_fma_f32 v64, v118, v69, -v54
	v_fmac_f32_e32 v64, v118, v49
	v_sub_f32_e32 v49, v55, v51
	v_add_f32_e32 v49, v50, v49
	v_add_f32_e32 v50, v54, v64
	v_sub_f32_e32 v55, v51, v50
	v_pk_add_f32 v[66:67], v[50:51], v[54:55] neg_lo:[0,1] neg_hi:[0,1]
	v_mov_b32_e32 v65, v50
	v_pk_add_f32 v[50:51], v[66:67], v[64:65] neg_lo:[0,1] neg_hi:[0,1]
	v_cvt_f32_i32_e32 v54, v68
	v_add_f32_e32 v49, v49, v51
	v_add_f32_e32 v49, v50, v49
	;; [unrolled: 1-line block ×4, first 2 shown]
	v_sub_f32_e32 v51, v50, v119
	v_mul_f32_e32 v49, v117, v49
	v_sub_f32_e32 v51, v118, v51
	v_add_f32_e32 v49, v51, v49
	v_add_f32_e32 v55, v50, v49
	v_mul_f32_e32 v64, v55, v55
	v_mov_b32_e32 v51, 0x3ecc95a3
	v_fmac_f32_e32 v51, 0x3e9b6dac, v64
	v_sub_f32_e32 v50, v55, v50
	v_fmaak_f32 v51, v64, v51, 0x3f2aaada
	v_sub_f32_e32 v49, v49, v50
	v_ldexp_f32 v65, v55, 1
	v_mul_f32_e32 v55, v55, v64
	v_mov_b32_e32 v50, 0x3f317218
	v_pk_mul_f32 v[50:51], v[54:55], v[50:51]
	v_ldexp_f32 v49, v49, 1
	v_fma_f32 v55, v54, s45, -v50
	v_fmamk_f32 v64, v54, 0xb102e308, v55
	v_pk_add_f32 v[54:55], v[50:51], v[64:65]
	v_mov_b32_e32 v66, v50
	v_sub_f32_e32 v65, v55, v65
	v_sub_f32_e32 v65, v51, v65
	v_add_f32_e32 v67, v49, v65
	v_pk_add_f32 v[50:51], v[54:55], v[50:51] neg_lo:[0,1] neg_hi:[0,1]
	v_pk_add_f32 v[68:69], v[54:55], v[66:67]
	v_mov_b32_e32 v65, v54
	v_mov_b32_e32 v51, v69
	v_pk_add_f32 v[118:119], v[64:65], v[50:51] neg_lo:[0,1] neg_hi:[0,1]
	v_pk_add_f32 v[50:51], v[64:65], v[50:51]
	v_mov_b32_e32 v66, v67
	v_mov_b32_e32 v64, v51
	v_pk_add_f32 v[128:129], v[64:65], v[54:55] neg_lo:[0,1] neg_hi:[0,1]
	v_mov_b32_e32 v50, v69
	v_mov_b32_e32 v49, v128
	v_pk_add_f32 v[132:133], v[68:69], v[48:49] neg_lo:[0,1] neg_hi:[0,1]
	v_mov_b32_e32 v68, v55
	v_mov_b32_e32 v69, v128
	v_mov_b32_e32 v119, v51
	v_pk_add_f32 v[50:51], v[50:51], v[68:69] neg_lo:[0,1] neg_hi:[0,1]
	v_mov_b32_e32 v67, v54
	v_pk_add_f32 v[50:51], v[66:67], v[50:51] neg_lo:[0,1] neg_hi:[0,1]
	v_mov_b32_e32 v132, v118
	v_pk_add_f32 v[54:55], v[132:133], v[50:51]
	s_mov_b32 s45, 0x33800000
	v_mov_b32_e32 v66, v55
	v_pk_add_f32 v[66:67], v[54:55], v[66:67]
	v_cmp_lt_f32_e64 s[46:47], |v53|, s45
	v_pk_add_f32 v[64:65], v[64:65], v[66:67]
	v_mov_b32_e32 v51, v66
	v_mov_b32_e32 v55, v64
	v_pk_add_f32 v[68:69], v[54:55], v[118:119] neg_lo:[0,1] neg_hi:[0,1]
	s_or_b64 vcc, vcc, s[46:47]
	v_sub_f32_e32 v49, v54, v68
	v_pk_add_f32 v[50:51], v[50:51], v[68:69] neg_lo:[0,1] neg_hi:[0,1]
	v_sub_f32_e32 v49, v118, v49
	v_add_f32_e32 v49, v50, v49
	v_add_f32_e32 v49, v49, v51
	;; [unrolled: 1-line block ×3, first 2 shown]
	v_cndmask_b32_e32 v49, v49, v53, vcc
	v_add_f32_e32 v132, v48, v49
.LBB121_89:
	s_or_b64 exec, exec, s[42:43]
	v_max_f32_e32 v117, v26, v26
	v_max_f32_e32 v48, v132, v132
	v_min_f32_e32 v49, v48, v117
	v_cmp_u_f32_e32 vcc, v132, v132
	v_max_f32_e32 v48, v48, v117
	v_cmp_u_f32_e64 s[42:43], v26, v26
	v_cndmask_b32_e32 v49, v49, v132, vcc
	v_cndmask_b32_e32 v48, v48, v132, vcc
	v_cndmask_b32_e64 v49, v49, v26, s[42:43]
	v_cndmask_b32_e64 v48, v48, v26, s[42:43]
	v_cmp_neq_f32_e32 vcc, v49, v48
	v_cmp_class_f32_e64 s[44:45], v49, s44
	s_or_b64 vcc, vcc, s[44:45]
	s_and_saveexec_b64 s[44:45], vcc
	s_cbranch_execz .LBB121_91
; %bb.90:
	v_sub_f32_e32 v49, v49, v48
	s_mov_b32 s46, 0x3fb8aa3b
	v_mul_f32_e32 v50, 0x3fb8aa3b, v49
	v_fma_f32 v51, v49, s46, -v50
	v_rndne_f32_e32 v53, v50
	v_fmamk_f32 v51, v49, 0x32a5705f, v51
	v_sub_f32_e32 v50, v50, v53
	v_add_f32_e32 v50, v50, v51
	v_exp_f32_e32 v50, v50
	v_cvt_i32_f32_e32 v51, v53
	s_mov_b32 s46, 0xc2ce8ed0
	v_cmp_ngt_f32_e32 vcc, s46, v49
	s_mov_b32 s46, 0x42b17218
	v_ldexp_f32 v50, v50, v51
	v_cndmask_b32_e32 v50, 0, v50, vcc
	v_mov_b32_e32 v51, 0x7f800000
	v_cmp_nlt_f32_e32 vcc, s46, v49
	s_mov_b32 s46, 0x3f2aaaab
	s_mov_b32 s47, 0x7f800000
	v_cndmask_b32_e32 v53, v51, v50, vcc
	v_add_f32_e32 v49, 1.0, v53
	v_add_f32_e32 v50, -1.0, v49
	v_sub_f32_e32 v51, v50, v49
	v_add_f32_e32 v51, 1.0, v51
	v_sub_f32_e32 v50, v53, v50
	v_add_f32_e32 v54, v50, v51
	v_frexp_mant_f32_e32 v55, v49
	v_cvt_f64_f32_e32 v[50:51], v49
	v_frexp_exp_i32_f64_e32 v50, v[50:51]
	v_cmp_gt_f32_e32 vcc, s46, v55
	s_mov_b32 s46, 0x3f317218
	s_nop 0
	v_subbrev_co_u32_e32 v68, vcc, 0, v50, vcc
	v_sub_u32_e32 v50, 0, v68
	v_ldexp_f32 v49, v49, v50
	v_ldexp_f32 v50, v54, v50
	v_add_f32_e32 v54, -1.0, v49
	v_add_f32_e32 v51, 1.0, v54
	v_sub_f32_e32 v51, v49, v51
	v_add_f32_e32 v55, v50, v51
	v_add_f32_e32 v51, 1.0, v49
	v_add_f32_e32 v64, -1.0, v51
	v_sub_f32_e32 v49, v49, v64
	v_add_f32_e32 v49, v50, v49
	v_add_f32_e32 v69, v51, v49
	v_rcp_f32_e32 v118, v69
	v_sub_f32_e32 v50, v51, v69
	v_add_f32_e32 v51, v54, v55
	v_add_f32_e32 v49, v49, v50
	v_mul_f32_e32 v128, v51, v118
	v_sub_f32_e32 v50, v54, v51
	v_mul_f32_e32 v54, v69, v128
	v_fma_f32 v64, v128, v69, -v54
	v_fmac_f32_e32 v64, v128, v49
	v_add_f32_e32 v119, v55, v50
	v_add_f32_e32 v50, v54, v64
	v_sub_f32_e32 v55, v51, v50
	v_pk_add_f32 v[66:67], v[50:51], v[54:55] neg_lo:[0,1] neg_hi:[0,1]
	v_mov_b32_e32 v65, v50
	v_pk_add_f32 v[50:51], v[66:67], v[64:65] neg_lo:[0,1] neg_hi:[0,1]
	v_cmp_eq_f32_e32 vcc, s47, v53
	v_add_f32_e32 v51, v119, v51
	v_add_f32_e32 v50, v50, v51
	;; [unrolled: 1-line block ×3, first 2 shown]
	v_mul_f32_e32 v119, v118, v51
	v_mul_f32_e32 v54, v69, v119
	v_fma_f32 v64, v119, v69, -v54
	v_fmac_f32_e32 v64, v119, v49
	v_sub_f32_e32 v49, v55, v51
	v_add_f32_e32 v49, v50, v49
	v_add_f32_e32 v50, v54, v64
	v_sub_f32_e32 v55, v51, v50
	v_pk_add_f32 v[66:67], v[50:51], v[54:55] neg_lo:[0,1] neg_hi:[0,1]
	v_mov_b32_e32 v65, v50
	v_pk_add_f32 v[50:51], v[66:67], v[64:65] neg_lo:[0,1] neg_hi:[0,1]
	v_cvt_f32_i32_e32 v54, v68
	v_add_f32_e32 v49, v49, v51
	v_add_f32_e32 v49, v50, v49
	;; [unrolled: 1-line block ×4, first 2 shown]
	v_sub_f32_e32 v51, v50, v128
	v_mul_f32_e32 v49, v118, v49
	v_sub_f32_e32 v51, v119, v51
	v_add_f32_e32 v49, v51, v49
	v_add_f32_e32 v55, v50, v49
	v_mul_f32_e32 v64, v55, v55
	v_mov_b32_e32 v51, 0x3ecc95a3
	v_fmac_f32_e32 v51, 0x3e9b6dac, v64
	v_sub_f32_e32 v50, v55, v50
	v_fmaak_f32 v51, v64, v51, 0x3f2aaada
	v_sub_f32_e32 v49, v49, v50
	v_ldexp_f32 v65, v55, 1
	v_mul_f32_e32 v55, v55, v64
	v_mov_b32_e32 v50, 0x3f317218
	v_pk_mul_f32 v[50:51], v[54:55], v[50:51]
	v_ldexp_f32 v49, v49, 1
	v_fma_f32 v55, v54, s46, -v50
	v_fmamk_f32 v64, v54, 0xb102e308, v55
	v_pk_add_f32 v[54:55], v[50:51], v[64:65]
	v_mov_b32_e32 v66, v50
	v_sub_f32_e32 v65, v55, v65
	v_sub_f32_e32 v65, v51, v65
	v_add_f32_e32 v67, v49, v65
	v_pk_add_f32 v[50:51], v[54:55], v[50:51] neg_lo:[0,1] neg_hi:[0,1]
	v_pk_add_f32 v[68:69], v[54:55], v[66:67]
	v_mov_b32_e32 v65, v54
	v_mov_b32_e32 v51, v69
	v_pk_add_f32 v[118:119], v[64:65], v[50:51] neg_lo:[0,1] neg_hi:[0,1]
	v_pk_add_f32 v[50:51], v[64:65], v[50:51]
	v_mov_b32_e32 v66, v67
	v_mov_b32_e32 v64, v51
	v_pk_add_f32 v[128:129], v[64:65], v[54:55] neg_lo:[0,1] neg_hi:[0,1]
	v_mov_b32_e32 v50, v69
	v_mov_b32_e32 v49, v128
	v_pk_add_f32 v[132:133], v[68:69], v[48:49] neg_lo:[0,1] neg_hi:[0,1]
	v_mov_b32_e32 v68, v55
	v_mov_b32_e32 v69, v128
	;; [unrolled: 1-line block ×3, first 2 shown]
	v_pk_add_f32 v[50:51], v[50:51], v[68:69] neg_lo:[0,1] neg_hi:[0,1]
	v_mov_b32_e32 v67, v54
	v_pk_add_f32 v[50:51], v[66:67], v[50:51] neg_lo:[0,1] neg_hi:[0,1]
	v_mov_b32_e32 v132, v118
	v_pk_add_f32 v[54:55], v[132:133], v[50:51]
	s_mov_b32 s46, 0x33800000
	v_mov_b32_e32 v66, v55
	v_pk_add_f32 v[66:67], v[54:55], v[66:67]
	v_cmp_lt_f32_e64 s[46:47], |v53|, s46
	v_pk_add_f32 v[64:65], v[64:65], v[66:67]
	v_mov_b32_e32 v51, v66
	v_mov_b32_e32 v55, v64
	v_pk_add_f32 v[68:69], v[54:55], v[118:119] neg_lo:[0,1] neg_hi:[0,1]
	s_or_b64 vcc, vcc, s[46:47]
	v_sub_f32_e32 v49, v54, v68
	v_pk_add_f32 v[50:51], v[50:51], v[68:69] neg_lo:[0,1] neg_hi:[0,1]
	v_sub_f32_e32 v49, v118, v49
	v_add_f32_e32 v49, v50, v49
	v_add_f32_e32 v49, v49, v51
	;; [unrolled: 1-line block ×3, first 2 shown]
	v_cndmask_b32_e32 v49, v49, v53, vcc
	v_add_f32_e32 v132, v48, v49
.LBB121_91:
	s_or_b64 exec, exec, s[44:45]
	v_max_f32_e32 v118, v27, v27
	v_max_f32_e32 v48, v132, v132
	v_min_f32_e32 v49, v48, v118
	v_cmp_u_f32_e32 vcc, v132, v132
	v_max_f32_e32 v48, v48, v118
	v_cmp_u_f32_e64 s[44:45], v27, v27
	v_cndmask_b32_e32 v49, v49, v132, vcc
	v_cndmask_b32_e32 v48, v48, v132, vcc
	v_cndmask_b32_e64 v49, v49, v27, s[44:45]
	v_cndmask_b32_e64 v48, v48, v27, s[44:45]
	s_movk_i32 s48, 0x1f8
	v_cmp_neq_f32_e32 vcc, v49, v48
	v_cmp_class_f32_e64 s[46:47], v49, s48
	s_or_b64 vcc, vcc, s[46:47]
	s_and_saveexec_b64 s[46:47], vcc
	s_cbranch_execz .LBB121_93
; %bb.92:
	v_sub_f32_e32 v49, v49, v48
	s_mov_b32 s49, 0x3fb8aa3b
	v_mul_f32_e32 v50, 0x3fb8aa3b, v49
	v_fma_f32 v51, v49, s49, -v50
	v_rndne_f32_e32 v53, v50
	v_fmamk_f32 v51, v49, 0x32a5705f, v51
	v_sub_f32_e32 v50, v50, v53
	v_add_f32_e32 v50, v50, v51
	v_exp_f32_e32 v50, v50
	v_cvt_i32_f32_e32 v51, v53
	s_mov_b32 s49, 0xc2ce8ed0
	v_cmp_ngt_f32_e32 vcc, s49, v49
	s_mov_b32 s49, 0x42b17218
	v_ldexp_f32 v50, v50, v51
	v_cndmask_b32_e32 v50, 0, v50, vcc
	v_mov_b32_e32 v51, 0x7f800000
	v_cmp_nlt_f32_e32 vcc, s49, v49
	s_mov_b32 s49, 0x3f2aaaab
	s_mov_b32 s50, 0x7f800000
	v_cndmask_b32_e32 v53, v51, v50, vcc
	v_add_f32_e32 v49, 1.0, v53
	v_add_f32_e32 v50, -1.0, v49
	v_sub_f32_e32 v51, v50, v49
	v_add_f32_e32 v51, 1.0, v51
	v_sub_f32_e32 v50, v53, v50
	v_add_f32_e32 v54, v50, v51
	v_frexp_mant_f32_e32 v55, v49
	v_cvt_f64_f32_e32 v[50:51], v49
	v_frexp_exp_i32_f64_e32 v50, v[50:51]
	v_cmp_gt_f32_e32 vcc, s49, v55
	s_mov_b32 s49, 0x3f317218
	s_nop 0
	v_subbrev_co_u32_e32 v68, vcc, 0, v50, vcc
	v_sub_u32_e32 v50, 0, v68
	v_ldexp_f32 v49, v49, v50
	v_ldexp_f32 v50, v54, v50
	v_add_f32_e32 v54, -1.0, v49
	v_add_f32_e32 v51, 1.0, v54
	v_sub_f32_e32 v51, v49, v51
	v_add_f32_e32 v55, v50, v51
	v_add_f32_e32 v51, 1.0, v49
	v_add_f32_e32 v64, -1.0, v51
	v_sub_f32_e32 v49, v49, v64
	v_add_f32_e32 v49, v50, v49
	v_add_f32_e32 v69, v51, v49
	v_rcp_f32_e32 v119, v69
	v_sub_f32_e32 v50, v51, v69
	v_add_f32_e32 v51, v54, v55
	v_add_f32_e32 v49, v49, v50
	v_mul_f32_e32 v129, v51, v119
	v_sub_f32_e32 v50, v54, v51
	v_mul_f32_e32 v54, v69, v129
	v_fma_f32 v64, v129, v69, -v54
	v_fmac_f32_e32 v64, v129, v49
	v_add_f32_e32 v128, v55, v50
	v_add_f32_e32 v50, v54, v64
	v_sub_f32_e32 v55, v51, v50
	v_pk_add_f32 v[66:67], v[50:51], v[54:55] neg_lo:[0,1] neg_hi:[0,1]
	v_mov_b32_e32 v65, v50
	v_pk_add_f32 v[50:51], v[66:67], v[64:65] neg_lo:[0,1] neg_hi:[0,1]
	v_cmp_eq_f32_e32 vcc, s50, v53
	v_add_f32_e32 v51, v128, v51
	v_add_f32_e32 v50, v50, v51
	;; [unrolled: 1-line block ×3, first 2 shown]
	v_mul_f32_e32 v128, v119, v51
	v_mul_f32_e32 v54, v69, v128
	v_fma_f32 v64, v128, v69, -v54
	v_fmac_f32_e32 v64, v128, v49
	v_sub_f32_e32 v49, v55, v51
	v_add_f32_e32 v49, v50, v49
	v_add_f32_e32 v50, v54, v64
	v_sub_f32_e32 v55, v51, v50
	v_pk_add_f32 v[66:67], v[50:51], v[54:55] neg_lo:[0,1] neg_hi:[0,1]
	v_mov_b32_e32 v65, v50
	v_pk_add_f32 v[50:51], v[66:67], v[64:65] neg_lo:[0,1] neg_hi:[0,1]
	v_cvt_f32_i32_e32 v54, v68
	v_add_f32_e32 v49, v49, v51
	v_add_f32_e32 v49, v50, v49
	;; [unrolled: 1-line block ×4, first 2 shown]
	v_sub_f32_e32 v51, v50, v129
	v_mul_f32_e32 v49, v119, v49
	v_sub_f32_e32 v51, v128, v51
	v_add_f32_e32 v49, v51, v49
	v_add_f32_e32 v55, v50, v49
	v_mul_f32_e32 v64, v55, v55
	v_mov_b32_e32 v51, 0x3ecc95a3
	v_fmac_f32_e32 v51, 0x3e9b6dac, v64
	v_sub_f32_e32 v50, v55, v50
	v_fmaak_f32 v51, v64, v51, 0x3f2aaada
	v_sub_f32_e32 v49, v49, v50
	v_ldexp_f32 v65, v55, 1
	v_mul_f32_e32 v55, v55, v64
	v_mov_b32_e32 v50, 0x3f317218
	v_pk_mul_f32 v[50:51], v[54:55], v[50:51]
	v_ldexp_f32 v49, v49, 1
	v_fma_f32 v55, v54, s49, -v50
	v_fmamk_f32 v64, v54, 0xb102e308, v55
	v_pk_add_f32 v[54:55], v[50:51], v[64:65]
	v_mov_b32_e32 v66, v50
	v_sub_f32_e32 v65, v55, v65
	v_sub_f32_e32 v65, v51, v65
	v_add_f32_e32 v67, v49, v65
	v_pk_add_f32 v[50:51], v[54:55], v[50:51] neg_lo:[0,1] neg_hi:[0,1]
	v_pk_add_f32 v[68:69], v[54:55], v[66:67]
	v_mov_b32_e32 v65, v54
	v_mov_b32_e32 v51, v69
	v_pk_add_f32 v[128:129], v[64:65], v[50:51] neg_lo:[0,1] neg_hi:[0,1]
	v_pk_add_f32 v[50:51], v[64:65], v[50:51]
	v_mov_b32_e32 v66, v67
	v_mov_b32_e32 v64, v51
	v_pk_add_f32 v[132:133], v[64:65], v[54:55] neg_lo:[0,1] neg_hi:[0,1]
	v_mov_b32_e32 v50, v69
	v_mov_b32_e32 v49, v132
	v_pk_add_f32 v[134:135], v[68:69], v[48:49] neg_lo:[0,1] neg_hi:[0,1]
	v_mov_b32_e32 v68, v55
	v_mov_b32_e32 v69, v132
	;; [unrolled: 1-line block ×3, first 2 shown]
	v_pk_add_f32 v[50:51], v[50:51], v[68:69] neg_lo:[0,1] neg_hi:[0,1]
	v_mov_b32_e32 v67, v54
	v_pk_add_f32 v[50:51], v[66:67], v[50:51] neg_lo:[0,1] neg_hi:[0,1]
	v_mov_b32_e32 v134, v128
	v_pk_add_f32 v[54:55], v[134:135], v[50:51]
	s_mov_b32 s49, 0x33800000
	v_mov_b32_e32 v66, v55
	v_pk_add_f32 v[66:67], v[54:55], v[66:67]
	v_cmp_lt_f32_e64 s[50:51], |v53|, s49
	v_pk_add_f32 v[64:65], v[64:65], v[66:67]
	v_mov_b32_e32 v51, v66
	v_mov_b32_e32 v55, v64
	v_pk_add_f32 v[68:69], v[54:55], v[128:129] neg_lo:[0,1] neg_hi:[0,1]
	s_or_b64 vcc, vcc, s[50:51]
	v_sub_f32_e32 v49, v54, v68
	v_pk_add_f32 v[50:51], v[50:51], v[68:69] neg_lo:[0,1] neg_hi:[0,1]
	v_sub_f32_e32 v49, v128, v49
	v_add_f32_e32 v49, v50, v49
	v_add_f32_e32 v49, v49, v51
	;; [unrolled: 1-line block ×3, first 2 shown]
	v_cndmask_b32_e32 v49, v49, v53, vcc
	v_add_f32_e32 v132, v48, v49
.LBB121_93:
	s_or_b64 exec, exec, s[46:47]
	v_max_f32_e32 v119, v20, v20
	v_max_f32_e32 v48, v132, v132
	v_min_f32_e32 v49, v48, v119
	v_cmp_u_f32_e32 vcc, v132, v132
	v_max_f32_e32 v48, v48, v119
	v_cmp_u_f32_e64 s[46:47], v20, v20
	v_cndmask_b32_e32 v49, v49, v132, vcc
	v_cndmask_b32_e32 v48, v48, v132, vcc
	v_cndmask_b32_e64 v49, v49, v20, s[46:47]
	v_cndmask_b32_e64 v48, v48, v20, s[46:47]
	v_cmp_neq_f32_e32 vcc, v49, v48
	v_cmp_class_f32_e64 s[48:49], v49, s48
	s_or_b64 vcc, vcc, s[48:49]
	s_and_saveexec_b64 s[48:49], vcc
	s_cbranch_execz .LBB121_95
; %bb.94:
	v_sub_f32_e32 v49, v49, v48
	s_mov_b32 s50, 0x3fb8aa3b
	v_mul_f32_e32 v50, 0x3fb8aa3b, v49
	v_fma_f32 v51, v49, s50, -v50
	v_rndne_f32_e32 v53, v50
	v_fmamk_f32 v51, v49, 0x32a5705f, v51
	v_sub_f32_e32 v50, v50, v53
	v_add_f32_e32 v50, v50, v51
	v_exp_f32_e32 v50, v50
	v_cvt_i32_f32_e32 v51, v53
	s_mov_b32 s50, 0xc2ce8ed0
	v_cmp_ngt_f32_e32 vcc, s50, v49
	s_mov_b32 s50, 0x42b17218
	v_ldexp_f32 v50, v50, v51
	v_cndmask_b32_e32 v50, 0, v50, vcc
	v_mov_b32_e32 v51, 0x7f800000
	v_cmp_nlt_f32_e32 vcc, s50, v49
	s_mov_b32 s50, 0x3f2aaaab
	s_mov_b32 s51, 0x7f800000
	v_cndmask_b32_e32 v53, v51, v50, vcc
	v_add_f32_e32 v49, 1.0, v53
	v_add_f32_e32 v50, -1.0, v49
	v_sub_f32_e32 v51, v50, v49
	v_add_f32_e32 v51, 1.0, v51
	v_sub_f32_e32 v50, v53, v50
	v_add_f32_e32 v54, v50, v51
	v_frexp_mant_f32_e32 v55, v49
	v_cvt_f64_f32_e32 v[50:51], v49
	v_frexp_exp_i32_f64_e32 v50, v[50:51]
	v_cmp_gt_f32_e32 vcc, s50, v55
	s_mov_b32 s50, 0x3f317218
	s_nop 0
	v_subbrev_co_u32_e32 v68, vcc, 0, v50, vcc
	v_sub_u32_e32 v50, 0, v68
	v_ldexp_f32 v49, v49, v50
	v_ldexp_f32 v50, v54, v50
	v_add_f32_e32 v54, -1.0, v49
	v_add_f32_e32 v51, 1.0, v54
	v_sub_f32_e32 v51, v49, v51
	v_add_f32_e32 v55, v50, v51
	v_add_f32_e32 v51, 1.0, v49
	v_add_f32_e32 v64, -1.0, v51
	v_sub_f32_e32 v49, v49, v64
	v_add_f32_e32 v49, v50, v49
	v_add_f32_e32 v69, v51, v49
	v_rcp_f32_e32 v128, v69
	v_sub_f32_e32 v50, v51, v69
	v_add_f32_e32 v51, v54, v55
	v_add_f32_e32 v49, v49, v50
	v_mul_f32_e32 v130, v51, v128
	v_sub_f32_e32 v50, v54, v51
	v_mul_f32_e32 v54, v69, v130
	v_fma_f32 v64, v130, v69, -v54
	v_fmac_f32_e32 v64, v130, v49
	v_add_f32_e32 v129, v55, v50
	v_add_f32_e32 v50, v54, v64
	v_sub_f32_e32 v55, v51, v50
	v_pk_add_f32 v[66:67], v[50:51], v[54:55] neg_lo:[0,1] neg_hi:[0,1]
	v_mov_b32_e32 v65, v50
	v_pk_add_f32 v[50:51], v[66:67], v[64:65] neg_lo:[0,1] neg_hi:[0,1]
	v_cmp_eq_f32_e32 vcc, s51, v53
	v_add_f32_e32 v51, v129, v51
	v_add_f32_e32 v50, v50, v51
	v_add_f32_e32 v51, v55, v50
	v_mul_f32_e32 v129, v128, v51
	v_mul_f32_e32 v54, v69, v129
	v_fma_f32 v64, v129, v69, -v54
	v_fmac_f32_e32 v64, v129, v49
	v_sub_f32_e32 v49, v55, v51
	v_add_f32_e32 v49, v50, v49
	v_add_f32_e32 v50, v54, v64
	v_sub_f32_e32 v55, v51, v50
	v_pk_add_f32 v[66:67], v[50:51], v[54:55] neg_lo:[0,1] neg_hi:[0,1]
	v_mov_b32_e32 v65, v50
	v_pk_add_f32 v[50:51], v[66:67], v[64:65] neg_lo:[0,1] neg_hi:[0,1]
	v_cvt_f32_i32_e32 v54, v68
	v_add_f32_e32 v49, v49, v51
	v_add_f32_e32 v49, v50, v49
	;; [unrolled: 1-line block ×4, first 2 shown]
	v_sub_f32_e32 v51, v50, v130
	v_mul_f32_e32 v49, v128, v49
	v_sub_f32_e32 v51, v129, v51
	v_add_f32_e32 v49, v51, v49
	v_add_f32_e32 v55, v50, v49
	v_mul_f32_e32 v64, v55, v55
	v_mov_b32_e32 v51, 0x3ecc95a3
	v_fmac_f32_e32 v51, 0x3e9b6dac, v64
	v_sub_f32_e32 v50, v55, v50
	v_fmaak_f32 v51, v64, v51, 0x3f2aaada
	v_sub_f32_e32 v49, v49, v50
	v_ldexp_f32 v65, v55, 1
	v_mul_f32_e32 v55, v55, v64
	v_mov_b32_e32 v50, 0x3f317218
	v_pk_mul_f32 v[50:51], v[54:55], v[50:51]
	v_ldexp_f32 v49, v49, 1
	v_fma_f32 v55, v54, s50, -v50
	v_fmamk_f32 v64, v54, 0xb102e308, v55
	v_pk_add_f32 v[54:55], v[50:51], v[64:65]
	v_mov_b32_e32 v66, v50
	v_sub_f32_e32 v65, v55, v65
	v_sub_f32_e32 v65, v51, v65
	v_add_f32_e32 v67, v49, v65
	v_pk_add_f32 v[50:51], v[54:55], v[50:51] neg_lo:[0,1] neg_hi:[0,1]
	v_pk_add_f32 v[68:69], v[54:55], v[66:67]
	v_mov_b32_e32 v65, v54
	v_mov_b32_e32 v51, v69
	v_pk_add_f32 v[128:129], v[64:65], v[50:51] neg_lo:[0,1] neg_hi:[0,1]
	v_pk_add_f32 v[50:51], v[64:65], v[50:51]
	v_mov_b32_e32 v66, v67
	v_mov_b32_e32 v64, v51
	v_pk_add_f32 v[132:133], v[64:65], v[54:55] neg_lo:[0,1] neg_hi:[0,1]
	v_mov_b32_e32 v50, v69
	v_mov_b32_e32 v49, v132
	v_pk_add_f32 v[134:135], v[68:69], v[48:49] neg_lo:[0,1] neg_hi:[0,1]
	v_mov_b32_e32 v68, v55
	v_mov_b32_e32 v69, v132
	;; [unrolled: 1-line block ×3, first 2 shown]
	v_pk_add_f32 v[50:51], v[50:51], v[68:69] neg_lo:[0,1] neg_hi:[0,1]
	v_mov_b32_e32 v67, v54
	v_pk_add_f32 v[50:51], v[66:67], v[50:51] neg_lo:[0,1] neg_hi:[0,1]
	v_mov_b32_e32 v134, v128
	v_pk_add_f32 v[54:55], v[134:135], v[50:51]
	s_mov_b32 s50, 0x33800000
	v_mov_b32_e32 v66, v55
	v_pk_add_f32 v[66:67], v[54:55], v[66:67]
	v_cmp_lt_f32_e64 s[50:51], |v53|, s50
	v_pk_add_f32 v[64:65], v[64:65], v[66:67]
	v_mov_b32_e32 v51, v66
	v_mov_b32_e32 v55, v64
	v_pk_add_f32 v[68:69], v[54:55], v[128:129] neg_lo:[0,1] neg_hi:[0,1]
	s_or_b64 vcc, vcc, s[50:51]
	v_sub_f32_e32 v49, v54, v68
	v_pk_add_f32 v[50:51], v[50:51], v[68:69] neg_lo:[0,1] neg_hi:[0,1]
	v_sub_f32_e32 v49, v128, v49
	v_add_f32_e32 v49, v50, v49
	v_add_f32_e32 v49, v49, v51
	;; [unrolled: 1-line block ×3, first 2 shown]
	v_cndmask_b32_e32 v49, v49, v53, vcc
	v_add_f32_e32 v132, v48, v49
.LBB121_95:
	s_or_b64 exec, exec, s[48:49]
	v_max_f32_e32 v128, v21, v21
	v_max_f32_e32 v48, v132, v132
	v_min_f32_e32 v49, v48, v128
	v_cmp_u_f32_e32 vcc, v132, v132
	v_max_f32_e32 v48, v48, v128
	v_cmp_u_f32_e64 s[48:49], v21, v21
	v_cndmask_b32_e32 v49, v49, v132, vcc
	v_cndmask_b32_e32 v48, v48, v132, vcc
	v_cndmask_b32_e64 v49, v49, v21, s[48:49]
	v_cndmask_b32_e64 v48, v48, v21, s[48:49]
	s_movk_i32 s52, 0x1f8
	v_cmp_neq_f32_e32 vcc, v49, v48
	v_cmp_class_f32_e64 s[50:51], v49, s52
	s_or_b64 vcc, vcc, s[50:51]
	s_and_saveexec_b64 s[50:51], vcc
	s_cbranch_execz .LBB121_97
; %bb.96:
	v_sub_f32_e32 v49, v49, v48
	s_mov_b32 s53, 0x3fb8aa3b
	v_mul_f32_e32 v50, 0x3fb8aa3b, v49
	v_fma_f32 v51, v49, s53, -v50
	v_rndne_f32_e32 v53, v50
	v_fmamk_f32 v51, v49, 0x32a5705f, v51
	v_sub_f32_e32 v50, v50, v53
	v_add_f32_e32 v50, v50, v51
	v_exp_f32_e32 v50, v50
	v_cvt_i32_f32_e32 v51, v53
	s_mov_b32 s53, 0xc2ce8ed0
	v_cmp_ngt_f32_e32 vcc, s53, v49
	s_mov_b32 s53, 0x42b17218
	v_ldexp_f32 v50, v50, v51
	v_cndmask_b32_e32 v50, 0, v50, vcc
	v_mov_b32_e32 v51, 0x7f800000
	v_cmp_nlt_f32_e32 vcc, s53, v49
	s_mov_b32 s53, 0x3f2aaaab
	s_mov_b32 s56, 0x7f800000
	v_cndmask_b32_e32 v53, v51, v50, vcc
	v_add_f32_e32 v49, 1.0, v53
	v_add_f32_e32 v50, -1.0, v49
	v_sub_f32_e32 v51, v50, v49
	v_add_f32_e32 v51, 1.0, v51
	v_sub_f32_e32 v50, v53, v50
	v_add_f32_e32 v54, v50, v51
	v_frexp_mant_f32_e32 v55, v49
	v_cvt_f64_f32_e32 v[50:51], v49
	v_frexp_exp_i32_f64_e32 v50, v[50:51]
	v_cmp_gt_f32_e32 vcc, s53, v55
	s_mov_b32 s53, 0x3f317218
	s_nop 0
	v_subbrev_co_u32_e32 v68, vcc, 0, v50, vcc
	v_sub_u32_e32 v50, 0, v68
	v_ldexp_f32 v49, v49, v50
	v_ldexp_f32 v50, v54, v50
	v_add_f32_e32 v54, -1.0, v49
	v_add_f32_e32 v51, 1.0, v54
	v_sub_f32_e32 v51, v49, v51
	v_add_f32_e32 v55, v50, v51
	v_add_f32_e32 v51, 1.0, v49
	v_add_f32_e32 v64, -1.0, v51
	v_sub_f32_e32 v49, v49, v64
	v_add_f32_e32 v49, v50, v49
	v_add_f32_e32 v69, v51, v49
	v_rcp_f32_e32 v129, v69
	v_sub_f32_e32 v50, v51, v69
	v_add_f32_e32 v51, v54, v55
	v_add_f32_e32 v49, v49, v50
	v_mul_f32_e32 v132, v51, v129
	v_sub_f32_e32 v50, v54, v51
	v_mul_f32_e32 v54, v69, v132
	v_fma_f32 v64, v132, v69, -v54
	v_fmac_f32_e32 v64, v132, v49
	v_add_f32_e32 v130, v55, v50
	v_add_f32_e32 v50, v54, v64
	v_sub_f32_e32 v55, v51, v50
	v_pk_add_f32 v[66:67], v[50:51], v[54:55] neg_lo:[0,1] neg_hi:[0,1]
	v_mov_b32_e32 v65, v50
	v_pk_add_f32 v[50:51], v[66:67], v[64:65] neg_lo:[0,1] neg_hi:[0,1]
	v_cmp_eq_f32_e32 vcc, s56, v53
	v_add_f32_e32 v51, v130, v51
	v_add_f32_e32 v50, v50, v51
	;; [unrolled: 1-line block ×3, first 2 shown]
	v_mul_f32_e32 v130, v129, v51
	v_mul_f32_e32 v54, v69, v130
	v_fma_f32 v64, v130, v69, -v54
	v_fmac_f32_e32 v64, v130, v49
	v_sub_f32_e32 v49, v55, v51
	v_add_f32_e32 v49, v50, v49
	v_add_f32_e32 v50, v54, v64
	v_sub_f32_e32 v55, v51, v50
	v_pk_add_f32 v[66:67], v[50:51], v[54:55] neg_lo:[0,1] neg_hi:[0,1]
	v_mov_b32_e32 v65, v50
	v_pk_add_f32 v[50:51], v[66:67], v[64:65] neg_lo:[0,1] neg_hi:[0,1]
	v_cvt_f32_i32_e32 v54, v68
	v_add_f32_e32 v49, v49, v51
	v_add_f32_e32 v49, v50, v49
	;; [unrolled: 1-line block ×4, first 2 shown]
	v_sub_f32_e32 v51, v50, v132
	v_mul_f32_e32 v49, v129, v49
	v_sub_f32_e32 v51, v130, v51
	v_add_f32_e32 v49, v51, v49
	v_add_f32_e32 v55, v50, v49
	v_mul_f32_e32 v64, v55, v55
	v_mov_b32_e32 v51, 0x3ecc95a3
	v_fmac_f32_e32 v51, 0x3e9b6dac, v64
	v_sub_f32_e32 v50, v55, v50
	v_fmaak_f32 v51, v64, v51, 0x3f2aaada
	v_sub_f32_e32 v49, v49, v50
	v_ldexp_f32 v65, v55, 1
	v_mul_f32_e32 v55, v55, v64
	v_mov_b32_e32 v50, 0x3f317218
	v_pk_mul_f32 v[50:51], v[54:55], v[50:51]
	v_ldexp_f32 v49, v49, 1
	v_fma_f32 v55, v54, s53, -v50
	v_fmamk_f32 v64, v54, 0xb102e308, v55
	v_pk_add_f32 v[54:55], v[50:51], v[64:65]
	v_mov_b32_e32 v66, v50
	v_sub_f32_e32 v65, v55, v65
	v_sub_f32_e32 v65, v51, v65
	v_add_f32_e32 v67, v49, v65
	v_pk_add_f32 v[50:51], v[54:55], v[50:51] neg_lo:[0,1] neg_hi:[0,1]
	v_pk_add_f32 v[68:69], v[54:55], v[66:67]
	v_mov_b32_e32 v65, v54
	v_mov_b32_e32 v51, v69
	v_pk_add_f32 v[132:133], v[64:65], v[50:51] neg_lo:[0,1] neg_hi:[0,1]
	v_pk_add_f32 v[50:51], v[64:65], v[50:51]
	v_mov_b32_e32 v66, v67
	v_mov_b32_e32 v64, v51
	v_pk_add_f32 v[134:135], v[64:65], v[54:55] neg_lo:[0,1] neg_hi:[0,1]
	v_mov_b32_e32 v50, v69
	v_mov_b32_e32 v49, v134
	v_pk_add_f32 v[144:145], v[68:69], v[48:49] neg_lo:[0,1] neg_hi:[0,1]
	v_mov_b32_e32 v68, v55
	v_mov_b32_e32 v69, v134
	;; [unrolled: 1-line block ×3, first 2 shown]
	v_pk_add_f32 v[50:51], v[50:51], v[68:69] neg_lo:[0,1] neg_hi:[0,1]
	v_mov_b32_e32 v67, v54
	v_pk_add_f32 v[50:51], v[66:67], v[50:51] neg_lo:[0,1] neg_hi:[0,1]
	v_mov_b32_e32 v144, v132
	v_pk_add_f32 v[54:55], v[144:145], v[50:51]
	s_mov_b32 s53, 0x33800000
	v_mov_b32_e32 v66, v55
	v_pk_add_f32 v[66:67], v[54:55], v[66:67]
	v_cmp_lt_f32_e64 s[56:57], |v53|, s53
	v_pk_add_f32 v[64:65], v[64:65], v[66:67]
	v_mov_b32_e32 v51, v66
	v_mov_b32_e32 v55, v64
	v_pk_add_f32 v[68:69], v[54:55], v[132:133] neg_lo:[0,1] neg_hi:[0,1]
	s_or_b64 vcc, vcc, s[56:57]
	v_sub_f32_e32 v49, v54, v68
	v_pk_add_f32 v[50:51], v[50:51], v[68:69] neg_lo:[0,1] neg_hi:[0,1]
	v_sub_f32_e32 v49, v132, v49
	v_add_f32_e32 v49, v50, v49
	v_add_f32_e32 v49, v49, v51
	;; [unrolled: 1-line block ×3, first 2 shown]
	v_cndmask_b32_e32 v49, v49, v53, vcc
	v_add_f32_e32 v132, v48, v49
.LBB121_97:
	s_or_b64 exec, exec, s[50:51]
	v_max_f32_e32 v129, v22, v22
	v_max_f32_e32 v48, v132, v132
	v_min_f32_e32 v49, v48, v129
	v_cmp_u_f32_e32 vcc, v132, v132
	v_max_f32_e32 v48, v48, v129
	v_cmp_u_f32_e64 s[50:51], v22, v22
	v_cndmask_b32_e32 v49, v49, v132, vcc
	v_cndmask_b32_e32 v48, v48, v132, vcc
	v_cndmask_b32_e64 v49, v49, v22, s[50:51]
	v_cndmask_b32_e64 v48, v48, v22, s[50:51]
	v_cmp_neq_f32_e32 vcc, v49, v48
	v_cmp_class_f32_e64 s[52:53], v49, s52
	s_or_b64 vcc, vcc, s[52:53]
	s_and_saveexec_b64 s[52:53], vcc
	s_cbranch_execz .LBB121_99
; %bb.98:
	v_sub_f32_e32 v49, v49, v48
	s_mov_b32 s56, 0x3fb8aa3b
	v_mul_f32_e32 v50, 0x3fb8aa3b, v49
	v_fma_f32 v51, v49, s56, -v50
	v_rndne_f32_e32 v53, v50
	v_fmamk_f32 v51, v49, 0x32a5705f, v51
	v_sub_f32_e32 v50, v50, v53
	v_add_f32_e32 v50, v50, v51
	v_exp_f32_e32 v50, v50
	v_cvt_i32_f32_e32 v51, v53
	s_mov_b32 s56, 0xc2ce8ed0
	v_cmp_ngt_f32_e32 vcc, s56, v49
	s_mov_b32 s56, 0x42b17218
	v_ldexp_f32 v50, v50, v51
	v_cndmask_b32_e32 v50, 0, v50, vcc
	v_mov_b32_e32 v51, 0x7f800000
	v_cmp_nlt_f32_e32 vcc, s56, v49
	s_mov_b32 s56, 0x3f2aaaab
	s_mov_b32 s57, 0x7f800000
	v_cndmask_b32_e32 v53, v51, v50, vcc
	v_add_f32_e32 v49, 1.0, v53
	v_add_f32_e32 v50, -1.0, v49
	v_sub_f32_e32 v51, v50, v49
	v_add_f32_e32 v51, 1.0, v51
	v_sub_f32_e32 v50, v53, v50
	v_add_f32_e32 v54, v50, v51
	v_frexp_mant_f32_e32 v55, v49
	v_cvt_f64_f32_e32 v[50:51], v49
	v_frexp_exp_i32_f64_e32 v50, v[50:51]
	v_cmp_gt_f32_e32 vcc, s56, v55
	s_mov_b32 s56, 0x3f317218
	s_nop 0
	v_subbrev_co_u32_e32 v68, vcc, 0, v50, vcc
	v_sub_u32_e32 v50, 0, v68
	v_ldexp_f32 v49, v49, v50
	v_ldexp_f32 v50, v54, v50
	v_add_f32_e32 v54, -1.0, v49
	v_add_f32_e32 v51, 1.0, v54
	v_sub_f32_e32 v51, v49, v51
	v_add_f32_e32 v55, v50, v51
	v_add_f32_e32 v51, 1.0, v49
	v_add_f32_e32 v64, -1.0, v51
	v_sub_f32_e32 v49, v49, v64
	v_add_f32_e32 v49, v50, v49
	v_add_f32_e32 v69, v51, v49
	v_rcp_f32_e32 v130, v69
	v_sub_f32_e32 v50, v51, v69
	v_add_f32_e32 v51, v54, v55
	v_add_f32_e32 v49, v49, v50
	v_mul_f32_e32 v133, v51, v130
	v_sub_f32_e32 v50, v54, v51
	v_mul_f32_e32 v54, v69, v133
	v_fma_f32 v64, v133, v69, -v54
	v_fmac_f32_e32 v64, v133, v49
	v_add_f32_e32 v132, v55, v50
	v_add_f32_e32 v50, v54, v64
	v_sub_f32_e32 v55, v51, v50
	v_pk_add_f32 v[66:67], v[50:51], v[54:55] neg_lo:[0,1] neg_hi:[0,1]
	v_mov_b32_e32 v65, v50
	v_pk_add_f32 v[50:51], v[66:67], v[64:65] neg_lo:[0,1] neg_hi:[0,1]
	v_cmp_eq_f32_e32 vcc, s57, v53
	v_add_f32_e32 v51, v132, v51
	v_add_f32_e32 v50, v50, v51
	v_add_f32_e32 v51, v55, v50
	v_mul_f32_e32 v132, v130, v51
	v_mul_f32_e32 v54, v69, v132
	v_fma_f32 v64, v132, v69, -v54
	v_fmac_f32_e32 v64, v132, v49
	v_sub_f32_e32 v49, v55, v51
	v_add_f32_e32 v49, v50, v49
	v_add_f32_e32 v50, v54, v64
	v_sub_f32_e32 v55, v51, v50
	v_pk_add_f32 v[66:67], v[50:51], v[54:55] neg_lo:[0,1] neg_hi:[0,1]
	v_mov_b32_e32 v65, v50
	v_pk_add_f32 v[50:51], v[66:67], v[64:65] neg_lo:[0,1] neg_hi:[0,1]
	v_cvt_f32_i32_e32 v54, v68
	v_add_f32_e32 v49, v49, v51
	v_add_f32_e32 v49, v50, v49
	;; [unrolled: 1-line block ×4, first 2 shown]
	v_sub_f32_e32 v51, v50, v133
	v_mul_f32_e32 v49, v130, v49
	v_sub_f32_e32 v51, v132, v51
	v_add_f32_e32 v49, v51, v49
	v_add_f32_e32 v55, v50, v49
	v_mul_f32_e32 v64, v55, v55
	v_mov_b32_e32 v51, 0x3ecc95a3
	v_fmac_f32_e32 v51, 0x3e9b6dac, v64
	v_sub_f32_e32 v50, v55, v50
	v_fmaak_f32 v51, v64, v51, 0x3f2aaada
	v_sub_f32_e32 v49, v49, v50
	v_ldexp_f32 v65, v55, 1
	v_mul_f32_e32 v55, v55, v64
	v_mov_b32_e32 v50, 0x3f317218
	v_pk_mul_f32 v[50:51], v[54:55], v[50:51]
	v_ldexp_f32 v49, v49, 1
	v_fma_f32 v55, v54, s56, -v50
	v_fmamk_f32 v64, v54, 0xb102e308, v55
	v_pk_add_f32 v[54:55], v[50:51], v[64:65]
	v_mov_b32_e32 v66, v50
	v_sub_f32_e32 v65, v55, v65
	v_sub_f32_e32 v65, v51, v65
	v_add_f32_e32 v67, v49, v65
	v_pk_add_f32 v[50:51], v[54:55], v[50:51] neg_lo:[0,1] neg_hi:[0,1]
	v_pk_add_f32 v[68:69], v[54:55], v[66:67]
	v_mov_b32_e32 v65, v54
	v_mov_b32_e32 v51, v69
	v_pk_add_f32 v[132:133], v[64:65], v[50:51] neg_lo:[0,1] neg_hi:[0,1]
	v_pk_add_f32 v[50:51], v[64:65], v[50:51]
	v_mov_b32_e32 v66, v67
	v_mov_b32_e32 v64, v51
	v_pk_add_f32 v[134:135], v[64:65], v[54:55] neg_lo:[0,1] neg_hi:[0,1]
	v_mov_b32_e32 v50, v69
	v_mov_b32_e32 v49, v134
	v_pk_add_f32 v[144:145], v[68:69], v[48:49] neg_lo:[0,1] neg_hi:[0,1]
	v_mov_b32_e32 v68, v55
	v_mov_b32_e32 v69, v134
	;; [unrolled: 1-line block ×3, first 2 shown]
	v_pk_add_f32 v[50:51], v[50:51], v[68:69] neg_lo:[0,1] neg_hi:[0,1]
	v_mov_b32_e32 v67, v54
	v_pk_add_f32 v[50:51], v[66:67], v[50:51] neg_lo:[0,1] neg_hi:[0,1]
	v_mov_b32_e32 v144, v132
	v_pk_add_f32 v[54:55], v[144:145], v[50:51]
	s_mov_b32 s56, 0x33800000
	v_mov_b32_e32 v66, v55
	v_pk_add_f32 v[66:67], v[54:55], v[66:67]
	v_cmp_lt_f32_e64 s[56:57], |v53|, s56
	v_pk_add_f32 v[64:65], v[64:65], v[66:67]
	v_mov_b32_e32 v51, v66
	v_mov_b32_e32 v55, v64
	v_pk_add_f32 v[68:69], v[54:55], v[132:133] neg_lo:[0,1] neg_hi:[0,1]
	s_or_b64 vcc, vcc, s[56:57]
	v_sub_f32_e32 v49, v54, v68
	v_pk_add_f32 v[50:51], v[50:51], v[68:69] neg_lo:[0,1] neg_hi:[0,1]
	v_sub_f32_e32 v49, v132, v49
	v_add_f32_e32 v49, v50, v49
	v_add_f32_e32 v49, v49, v51
	;; [unrolled: 1-line block ×3, first 2 shown]
	v_cndmask_b32_e32 v49, v49, v53, vcc
	v_add_f32_e32 v132, v48, v49
.LBB121_99:
	s_or_b64 exec, exec, s[52:53]
	v_max_f32_e32 v130, v23, v23
	v_max_f32_e32 v48, v132, v132
	v_min_f32_e32 v49, v48, v130
	v_cmp_u_f32_e32 vcc, v132, v132
	v_max_f32_e32 v48, v48, v130
	v_cmp_u_f32_e64 s[52:53], v23, v23
	v_cndmask_b32_e32 v49, v49, v132, vcc
	v_cndmask_b32_e32 v48, v48, v132, vcc
	v_cndmask_b32_e64 v49, v49, v23, s[52:53]
	v_cndmask_b32_e64 v48, v48, v23, s[52:53]
	s_movk_i32 s56, 0x1f8
	v_cmp_neq_f32_e32 vcc, v49, v48
	v_cmp_class_f32_e64 s[56:57], v49, s56
	s_or_b64 vcc, vcc, s[56:57]
	s_and_saveexec_b64 s[56:57], vcc
	s_cbranch_execz .LBB121_101
; %bb.100:
	v_sub_f32_e32 v49, v49, v48
	s_mov_b32 s58, 0x3fb8aa3b
	v_mul_f32_e32 v50, 0x3fb8aa3b, v49
	v_fma_f32 v51, v49, s58, -v50
	v_rndne_f32_e32 v53, v50
	v_fmamk_f32 v51, v49, 0x32a5705f, v51
	v_sub_f32_e32 v50, v50, v53
	v_add_f32_e32 v50, v50, v51
	v_exp_f32_e32 v50, v50
	v_cvt_i32_f32_e32 v51, v53
	s_mov_b32 s58, 0xc2ce8ed0
	v_cmp_ngt_f32_e32 vcc, s58, v49
	s_mov_b32 s58, 0x42b17218
	v_ldexp_f32 v50, v50, v51
	v_cndmask_b32_e32 v50, 0, v50, vcc
	v_mov_b32_e32 v51, 0x7f800000
	v_cmp_nlt_f32_e32 vcc, s58, v49
	s_mov_b32 s58, 0x3f2aaaab
	s_mov_b32 s59, 0x7f800000
	v_cndmask_b32_e32 v53, v51, v50, vcc
	v_add_f32_e32 v49, 1.0, v53
	v_add_f32_e32 v50, -1.0, v49
	v_sub_f32_e32 v51, v50, v49
	v_add_f32_e32 v51, 1.0, v51
	v_sub_f32_e32 v50, v53, v50
	v_add_f32_e32 v54, v50, v51
	v_frexp_mant_f32_e32 v55, v49
	v_cvt_f64_f32_e32 v[50:51], v49
	v_frexp_exp_i32_f64_e32 v50, v[50:51]
	v_cmp_gt_f32_e32 vcc, s58, v55
	s_mov_b32 s58, 0x3f317218
	s_nop 0
	v_subbrev_co_u32_e32 v68, vcc, 0, v50, vcc
	v_sub_u32_e32 v50, 0, v68
	v_ldexp_f32 v49, v49, v50
	v_ldexp_f32 v50, v54, v50
	v_add_f32_e32 v54, -1.0, v49
	v_add_f32_e32 v51, 1.0, v54
	v_sub_f32_e32 v51, v49, v51
	v_add_f32_e32 v55, v50, v51
	v_add_f32_e32 v51, 1.0, v49
	v_add_f32_e32 v64, -1.0, v51
	v_sub_f32_e32 v49, v49, v64
	v_add_f32_e32 v49, v50, v49
	v_add_f32_e32 v69, v51, v49
	v_rcp_f32_e32 v132, v69
	v_sub_f32_e32 v50, v51, v69
	v_add_f32_e32 v51, v54, v55
	v_add_f32_e32 v49, v49, v50
	v_mul_f32_e32 v134, v51, v132
	v_sub_f32_e32 v50, v54, v51
	v_mul_f32_e32 v54, v69, v134
	v_fma_f32 v64, v134, v69, -v54
	v_fmac_f32_e32 v64, v134, v49
	v_add_f32_e32 v133, v55, v50
	v_add_f32_e32 v50, v54, v64
	v_sub_f32_e32 v55, v51, v50
	v_pk_add_f32 v[66:67], v[50:51], v[54:55] neg_lo:[0,1] neg_hi:[0,1]
	v_mov_b32_e32 v65, v50
	v_pk_add_f32 v[50:51], v[66:67], v[64:65] neg_lo:[0,1] neg_hi:[0,1]
	v_cmp_eq_f32_e32 vcc, s59, v53
	v_add_f32_e32 v51, v133, v51
	v_add_f32_e32 v50, v50, v51
	;; [unrolled: 1-line block ×3, first 2 shown]
	v_mul_f32_e32 v133, v132, v51
	v_mul_f32_e32 v54, v69, v133
	v_fma_f32 v64, v133, v69, -v54
	v_fmac_f32_e32 v64, v133, v49
	v_sub_f32_e32 v49, v55, v51
	v_add_f32_e32 v49, v50, v49
	v_add_f32_e32 v50, v54, v64
	v_sub_f32_e32 v55, v51, v50
	v_pk_add_f32 v[66:67], v[50:51], v[54:55] neg_lo:[0,1] neg_hi:[0,1]
	v_mov_b32_e32 v65, v50
	v_pk_add_f32 v[50:51], v[66:67], v[64:65] neg_lo:[0,1] neg_hi:[0,1]
	v_cvt_f32_i32_e32 v54, v68
	v_add_f32_e32 v49, v49, v51
	v_add_f32_e32 v49, v50, v49
	;; [unrolled: 1-line block ×4, first 2 shown]
	v_sub_f32_e32 v51, v50, v134
	v_mul_f32_e32 v49, v132, v49
	v_sub_f32_e32 v51, v133, v51
	v_add_f32_e32 v49, v51, v49
	v_add_f32_e32 v55, v50, v49
	v_mul_f32_e32 v64, v55, v55
	v_mov_b32_e32 v51, 0x3ecc95a3
	v_fmac_f32_e32 v51, 0x3e9b6dac, v64
	v_sub_f32_e32 v50, v55, v50
	v_fmaak_f32 v51, v64, v51, 0x3f2aaada
	v_sub_f32_e32 v49, v49, v50
	v_ldexp_f32 v65, v55, 1
	v_mul_f32_e32 v55, v55, v64
	v_mov_b32_e32 v50, 0x3f317218
	v_pk_mul_f32 v[50:51], v[54:55], v[50:51]
	v_ldexp_f32 v49, v49, 1
	v_fma_f32 v55, v54, s58, -v50
	v_fmamk_f32 v64, v54, 0xb102e308, v55
	v_pk_add_f32 v[54:55], v[50:51], v[64:65]
	v_mov_b32_e32 v66, v50
	v_sub_f32_e32 v65, v55, v65
	v_sub_f32_e32 v65, v51, v65
	v_add_f32_e32 v67, v49, v65
	v_pk_add_f32 v[50:51], v[54:55], v[50:51] neg_lo:[0,1] neg_hi:[0,1]
	v_pk_add_f32 v[68:69], v[54:55], v[66:67]
	v_mov_b32_e32 v65, v54
	v_mov_b32_e32 v51, v69
	v_pk_add_f32 v[132:133], v[64:65], v[50:51] neg_lo:[0,1] neg_hi:[0,1]
	v_pk_add_f32 v[50:51], v[64:65], v[50:51]
	v_mov_b32_e32 v66, v67
	v_mov_b32_e32 v64, v51
	v_pk_add_f32 v[134:135], v[64:65], v[54:55] neg_lo:[0,1] neg_hi:[0,1]
	v_mov_b32_e32 v50, v69
	v_mov_b32_e32 v49, v134
	v_pk_add_f32 v[144:145], v[68:69], v[48:49] neg_lo:[0,1] neg_hi:[0,1]
	v_mov_b32_e32 v68, v55
	v_mov_b32_e32 v69, v134
	;; [unrolled: 1-line block ×3, first 2 shown]
	v_pk_add_f32 v[50:51], v[50:51], v[68:69] neg_lo:[0,1] neg_hi:[0,1]
	v_mov_b32_e32 v67, v54
	v_pk_add_f32 v[50:51], v[66:67], v[50:51] neg_lo:[0,1] neg_hi:[0,1]
	v_mov_b32_e32 v144, v132
	v_pk_add_f32 v[54:55], v[144:145], v[50:51]
	s_mov_b32 s58, 0x33800000
	v_mov_b32_e32 v66, v55
	v_pk_add_f32 v[66:67], v[54:55], v[66:67]
	v_cmp_lt_f32_e64 s[58:59], |v53|, s58
	v_pk_add_f32 v[64:65], v[64:65], v[66:67]
	v_mov_b32_e32 v51, v66
	v_mov_b32_e32 v55, v64
	v_pk_add_f32 v[68:69], v[54:55], v[132:133] neg_lo:[0,1] neg_hi:[0,1]
	s_or_b64 vcc, vcc, s[58:59]
	v_sub_f32_e32 v49, v54, v68
	v_pk_add_f32 v[50:51], v[50:51], v[68:69] neg_lo:[0,1] neg_hi:[0,1]
	v_sub_f32_e32 v49, v132, v49
	v_add_f32_e32 v49, v50, v49
	v_add_f32_e32 v49, v49, v51
	;; [unrolled: 1-line block ×3, first 2 shown]
	v_cndmask_b32_e32 v49, v49, v53, vcc
	v_add_f32_e32 v132, v48, v49
.LBB121_101:
	s_or_b64 exec, exec, s[56:57]
	v_lshrrev_b32_e32 v48, 5, v100
	v_add_lshl_u32 v48, v48, v100, 2
	v_cmp_gt_u32_e32 vcc, 64, v100
	ds_write_b32 v48, v132
	s_waitcnt lgkmcnt(0)
	s_barrier
	s_and_saveexec_b64 s[62:63], vcc
	s_cbranch_execz .LBB121_141
; %bb.102:
	v_lshrrev_b32_e32 v48, 3, v100
	v_add_lshl_u32 v50, v48, v0, 2
	ds_read2_b32 v[48:49], v50 offset1:1
	s_movk_i32 s64, 0x1f8
	s_waitcnt lgkmcnt(0)
	v_max_f32_e32 v53, v49, v49
	v_max_f32_e32 v51, v48, v48
	v_min_f32_e32 v54, v51, v53
	v_max_f32_e32 v55, v51, v53
	v_cmp_u_f32_e64 s[56:57], v48, v48
	v_cmp_u_f32_e64 s[58:59], v49, v49
	s_nop 0
	v_cndmask_b32_e64 v53, v54, v48, s[56:57]
	v_cndmask_b32_e64 v54, v55, v48, s[56:57]
	;; [unrolled: 1-line block ×4, first 2 shown]
	v_cmp_neq_f32_e64 s[58:59], v53, v49
	v_cmp_class_f32_e64 s[60:61], v53, s64
	s_or_b64 s[58:59], s[58:59], s[60:61]
	v_mov_b32_e32 v54, v48
	s_and_saveexec_b64 s[60:61], s[58:59]
	s_cbranch_execz .LBB121_104
; %bb.103:
	v_sub_f32_e32 v53, v53, v49
	s_mov_b32 s58, 0x3fb8aa3b
	v_mul_f32_e32 v54, 0x3fb8aa3b, v53
	v_fma_f32 v55, v53, s58, -v54
	v_rndne_f32_e32 v64, v54
	v_fmamk_f32 v55, v53, 0x32a5705f, v55
	v_sub_f32_e32 v54, v54, v64
	v_add_f32_e32 v54, v54, v55
	v_exp_f32_e32 v54, v54
	v_cvt_i32_f32_e32 v55, v64
	s_mov_b32 s58, 0xc2ce8ed0
	v_cmp_ngt_f32_e64 s[58:59], s58, v53
	s_mov_b32 s65, 0x7f800000
	v_ldexp_f32 v54, v54, v55
	v_cndmask_b32_e64 v54, 0, v54, s[58:59]
	s_mov_b32 s58, 0x42b17218
	v_mov_b32_e32 v55, 0x7f800000
	v_cmp_nlt_f32_e64 s[58:59], s58, v53
	s_nop 1
	v_cndmask_b32_e64 v133, v55, v54, s[58:59]
	v_add_f32_e32 v53, 1.0, v133
	v_add_f32_e32 v54, -1.0, v53
	v_sub_f32_e32 v55, v54, v53
	v_add_f32_e32 v55, 1.0, v55
	v_sub_f32_e32 v54, v133, v54
	v_add_f32_e32 v64, v54, v55
	v_frexp_mant_f32_e32 v65, v53
	s_mov_b32 s58, 0x3f2aaaab
	v_cvt_f64_f32_e32 v[54:55], v53
	v_frexp_exp_i32_f64_e32 v54, v[54:55]
	v_cmp_gt_f32_e64 s[58:59], s58, v65
	s_nop 1
	v_subbrev_co_u32_e64 v134, s[58:59], 0, v54, s[58:59]
	v_sub_u32_e32 v54, 0, v134
	v_ldexp_f32 v53, v53, v54
	v_ldexp_f32 v54, v64, v54
	v_add_f32_e32 v64, -1.0, v53
	v_add_f32_e32 v55, 1.0, v64
	v_sub_f32_e32 v55, v53, v55
	v_add_f32_e32 v65, v54, v55
	v_add_f32_e32 v55, 1.0, v53
	v_add_f32_e32 v66, -1.0, v55
	v_sub_f32_e32 v53, v53, v66
	v_add_f32_e32 v53, v54, v53
	v_add_f32_e32 v135, v55, v53
	v_rcp_f32_e32 v144, v135
	v_sub_f32_e32 v54, v55, v135
	v_add_f32_e32 v55, v64, v65
	v_add_f32_e32 v53, v53, v54
	v_mul_f32_e32 v146, v55, v144
	v_sub_f32_e32 v54, v64, v55
	v_mul_f32_e32 v64, v135, v146
	v_fma_f32 v66, v146, v135, -v64
	v_fmac_f32_e32 v66, v146, v53
	v_add_f32_e32 v145, v65, v54
	v_add_f32_e32 v54, v64, v66
	v_sub_f32_e32 v65, v55, v54
	v_pk_add_f32 v[68:69], v[54:55], v[64:65] neg_lo:[0,1] neg_hi:[0,1]
	v_mov_b32_e32 v67, v54
	v_pk_add_f32 v[54:55], v[68:69], v[66:67] neg_lo:[0,1] neg_hi:[0,1]
	s_mov_b32 s58, 0x3f317218
	v_add_f32_e32 v55, v145, v55
	v_add_f32_e32 v54, v54, v55
	;; [unrolled: 1-line block ×3, first 2 shown]
	v_mul_f32_e32 v145, v144, v55
	v_mul_f32_e32 v64, v135, v145
	v_fma_f32 v66, v145, v135, -v64
	v_fmac_f32_e32 v66, v145, v53
	v_sub_f32_e32 v53, v65, v55
	v_add_f32_e32 v53, v54, v53
	v_add_f32_e32 v54, v64, v66
	v_sub_f32_e32 v65, v55, v54
	v_pk_add_f32 v[68:69], v[54:55], v[64:65] neg_lo:[0,1] neg_hi:[0,1]
	v_mov_b32_e32 v67, v54
	v_pk_add_f32 v[54:55], v[68:69], v[66:67] neg_lo:[0,1] neg_hi:[0,1]
	v_cvt_f32_i32_e32 v64, v134
	v_add_f32_e32 v53, v53, v55
	v_add_f32_e32 v53, v54, v53
	;; [unrolled: 1-line block ×4, first 2 shown]
	v_sub_f32_e32 v55, v54, v146
	v_mul_f32_e32 v53, v144, v53
	v_sub_f32_e32 v55, v145, v55
	v_add_f32_e32 v53, v55, v53
	v_add_f32_e32 v65, v54, v53
	v_mul_f32_e32 v66, v65, v65
	v_mov_b32_e32 v55, 0x3ecc95a3
	v_fmac_f32_e32 v55, 0x3e9b6dac, v66
	v_sub_f32_e32 v54, v65, v54
	v_fmaak_f32 v55, v66, v55, 0x3f2aaada
	v_sub_f32_e32 v53, v53, v54
	v_ldexp_f32 v67, v65, 1
	v_mul_f32_e32 v65, v65, v66
	v_mov_b32_e32 v54, 0x3f317218
	v_pk_mul_f32 v[54:55], v[64:65], v[54:55]
	v_ldexp_f32 v53, v53, 1
	v_fma_f32 v65, v64, s58, -v54
	v_fmamk_f32 v66, v64, 0xb102e308, v65
	v_pk_add_f32 v[64:65], v[54:55], v[66:67]
	v_mov_b32_e32 v68, v54
	v_sub_f32_e32 v67, v65, v67
	v_sub_f32_e32 v67, v55, v67
	v_add_f32_e32 v69, v53, v67
	v_pk_add_f32 v[54:55], v[64:65], v[54:55] neg_lo:[0,1] neg_hi:[0,1]
	v_pk_add_f32 v[134:135], v[64:65], v[68:69]
	v_mov_b32_e32 v67, v64
	v_mov_b32_e32 v55, v135
	v_pk_add_f32 v[144:145], v[66:67], v[54:55] neg_lo:[0,1] neg_hi:[0,1]
	v_pk_add_f32 v[54:55], v[66:67], v[54:55]
	v_mov_b32_e32 v68, v69
	v_mov_b32_e32 v66, v55
	v_pk_add_f32 v[146:147], v[66:67], v[64:65] neg_lo:[0,1] neg_hi:[0,1]
	v_mov_b32_e32 v54, v135
	v_mov_b32_e32 v53, v146
	v_pk_add_f32 v[148:149], v[134:135], v[52:53] neg_lo:[0,1] neg_hi:[0,1]
	v_mov_b32_e32 v134, v65
	v_mov_b32_e32 v135, v146
	;; [unrolled: 1-line block ×3, first 2 shown]
	v_pk_add_f32 v[54:55], v[54:55], v[134:135] neg_lo:[0,1] neg_hi:[0,1]
	v_mov_b32_e32 v69, v64
	v_pk_add_f32 v[54:55], v[68:69], v[54:55] neg_lo:[0,1] neg_hi:[0,1]
	v_mov_b32_e32 v148, v144
	v_pk_add_f32 v[64:65], v[148:149], v[54:55]
	v_cmp_eq_f32_e64 s[58:59], s65, v133
	v_mov_b32_e32 v68, v65
	v_pk_add_f32 v[68:69], v[64:65], v[68:69]
	s_mov_b32 s65, 0x33800000
	v_pk_add_f32 v[66:67], v[66:67], v[68:69]
	v_mov_b32_e32 v55, v68
	v_mov_b32_e32 v65, v66
	v_pk_add_f32 v[134:135], v[64:65], v[144:145] neg_lo:[0,1] neg_hi:[0,1]
	v_cmp_lt_f32_e64 s[66:67], |v133|, s65
	v_sub_f32_e32 v53, v64, v134
	v_pk_add_f32 v[54:55], v[54:55], v[134:135] neg_lo:[0,1] neg_hi:[0,1]
	v_sub_f32_e32 v53, v144, v53
	v_add_f32_e32 v53, v54, v53
	v_add_f32_e32 v53, v53, v55
	;; [unrolled: 1-line block ×3, first 2 shown]
	s_or_b64 s[58:59], s[58:59], s[66:67]
	v_cndmask_b32_e64 v53, v53, v133, s[58:59]
	v_add_f32_e32 v54, v49, v53
.LBB121_104:
	s_or_b64 exec, exec, s[60:61]
	ds_read_b32 v49, v50 offset:8
	v_max_f32_e32 v53, v54, v54
	v_cmp_u_f32_e64 s[58:59], v54, v54
	s_waitcnt lgkmcnt(0)
	v_max_f32_e32 v55, v49, v49
	v_min_f32_e32 v64, v53, v55
	v_max_f32_e32 v55, v53, v55
	v_cndmask_b32_e64 v53, v64, v54, s[58:59]
	v_cmp_u_f32_e64 s[60:61], v49, v49
	v_cndmask_b32_e64 v55, v55, v54, s[58:59]
	s_nop 0
	v_cndmask_b32_e64 v53, v53, v49, s[60:61]
	v_cndmask_b32_e64 v49, v55, v49, s[60:61]
	v_cmp_neq_f32_e64 s[58:59], v53, v49
	v_cmp_class_f32_e64 s[60:61], v53, s64
	s_or_b64 s[58:59], s[58:59], s[60:61]
	s_and_saveexec_b64 s[60:61], s[58:59]
	s_cbranch_execz .LBB121_106
; %bb.105:
	v_sub_f32_e32 v53, v53, v49
	s_mov_b32 s58, 0x3fb8aa3b
	v_mul_f32_e32 v54, 0x3fb8aa3b, v53
	v_fma_f32 v55, v53, s58, -v54
	v_rndne_f32_e32 v64, v54
	v_fmamk_f32 v55, v53, 0x32a5705f, v55
	v_sub_f32_e32 v54, v54, v64
	v_add_f32_e32 v54, v54, v55
	v_exp_f32_e32 v54, v54
	v_cvt_i32_f32_e32 v55, v64
	s_mov_b32 s58, 0xc2ce8ed0
	v_cmp_ngt_f32_e64 s[58:59], s58, v53
	s_mov_b32 s64, 0x7f800000
	v_ldexp_f32 v54, v54, v55
	v_cndmask_b32_e64 v54, 0, v54, s[58:59]
	s_mov_b32 s58, 0x42b17218
	v_mov_b32_e32 v55, 0x7f800000
	v_cmp_nlt_f32_e64 s[58:59], s58, v53
	s_nop 1
	v_cndmask_b32_e64 v133, v55, v54, s[58:59]
	v_add_f32_e32 v53, 1.0, v133
	v_add_f32_e32 v54, -1.0, v53
	v_sub_f32_e32 v55, v54, v53
	v_add_f32_e32 v55, 1.0, v55
	v_sub_f32_e32 v54, v133, v54
	v_add_f32_e32 v64, v54, v55
	v_frexp_mant_f32_e32 v65, v53
	s_mov_b32 s58, 0x3f2aaaab
	v_cvt_f64_f32_e32 v[54:55], v53
	v_frexp_exp_i32_f64_e32 v54, v[54:55]
	v_cmp_gt_f32_e64 s[58:59], s58, v65
	s_nop 1
	v_subbrev_co_u32_e64 v134, s[58:59], 0, v54, s[58:59]
	v_sub_u32_e32 v54, 0, v134
	v_ldexp_f32 v53, v53, v54
	v_ldexp_f32 v54, v64, v54
	v_add_f32_e32 v64, -1.0, v53
	v_add_f32_e32 v55, 1.0, v64
	v_sub_f32_e32 v55, v53, v55
	v_add_f32_e32 v65, v54, v55
	v_add_f32_e32 v55, 1.0, v53
	v_add_f32_e32 v66, -1.0, v55
	v_sub_f32_e32 v53, v53, v66
	v_add_f32_e32 v53, v54, v53
	v_add_f32_e32 v135, v55, v53
	v_rcp_f32_e32 v144, v135
	v_sub_f32_e32 v54, v55, v135
	v_add_f32_e32 v55, v64, v65
	v_add_f32_e32 v53, v53, v54
	v_mul_f32_e32 v146, v55, v144
	v_sub_f32_e32 v54, v64, v55
	v_mul_f32_e32 v64, v135, v146
	v_fma_f32 v66, v146, v135, -v64
	v_fmac_f32_e32 v66, v146, v53
	v_add_f32_e32 v145, v65, v54
	v_add_f32_e32 v54, v64, v66
	v_sub_f32_e32 v65, v55, v54
	v_pk_add_f32 v[68:69], v[54:55], v[64:65] neg_lo:[0,1] neg_hi:[0,1]
	v_mov_b32_e32 v67, v54
	v_pk_add_f32 v[54:55], v[68:69], v[66:67] neg_lo:[0,1] neg_hi:[0,1]
	s_mov_b32 s58, 0x3f317218
	v_add_f32_e32 v55, v145, v55
	v_add_f32_e32 v54, v54, v55
	;; [unrolled: 1-line block ×3, first 2 shown]
	v_mul_f32_e32 v145, v144, v55
	v_mul_f32_e32 v64, v135, v145
	v_fma_f32 v66, v145, v135, -v64
	v_fmac_f32_e32 v66, v145, v53
	v_sub_f32_e32 v53, v65, v55
	v_add_f32_e32 v53, v54, v53
	v_add_f32_e32 v54, v64, v66
	v_sub_f32_e32 v65, v55, v54
	v_pk_add_f32 v[68:69], v[54:55], v[64:65] neg_lo:[0,1] neg_hi:[0,1]
	v_mov_b32_e32 v67, v54
	v_pk_add_f32 v[54:55], v[68:69], v[66:67] neg_lo:[0,1] neg_hi:[0,1]
	v_cvt_f32_i32_e32 v64, v134
	v_add_f32_e32 v53, v53, v55
	v_add_f32_e32 v53, v54, v53
	;; [unrolled: 1-line block ×4, first 2 shown]
	v_sub_f32_e32 v55, v54, v146
	v_mul_f32_e32 v53, v144, v53
	v_sub_f32_e32 v55, v145, v55
	v_add_f32_e32 v53, v55, v53
	v_add_f32_e32 v65, v54, v53
	v_mul_f32_e32 v66, v65, v65
	v_mov_b32_e32 v55, 0x3ecc95a3
	v_fmac_f32_e32 v55, 0x3e9b6dac, v66
	v_sub_f32_e32 v54, v65, v54
	v_fmaak_f32 v55, v66, v55, 0x3f2aaada
	v_sub_f32_e32 v53, v53, v54
	v_ldexp_f32 v67, v65, 1
	v_mul_f32_e32 v65, v65, v66
	v_mov_b32_e32 v54, 0x3f317218
	v_pk_mul_f32 v[54:55], v[64:65], v[54:55]
	v_ldexp_f32 v53, v53, 1
	v_fma_f32 v65, v64, s58, -v54
	v_fmamk_f32 v66, v64, 0xb102e308, v65
	v_pk_add_f32 v[64:65], v[54:55], v[66:67]
	v_mov_b32_e32 v68, v54
	v_sub_f32_e32 v67, v65, v67
	v_sub_f32_e32 v67, v55, v67
	v_add_f32_e32 v69, v53, v67
	v_pk_add_f32 v[54:55], v[64:65], v[54:55] neg_lo:[0,1] neg_hi:[0,1]
	v_pk_add_f32 v[134:135], v[64:65], v[68:69]
	v_mov_b32_e32 v67, v64
	v_mov_b32_e32 v55, v135
	v_pk_add_f32 v[144:145], v[66:67], v[54:55] neg_lo:[0,1] neg_hi:[0,1]
	v_pk_add_f32 v[54:55], v[66:67], v[54:55]
	v_mov_b32_e32 v68, v69
	v_mov_b32_e32 v66, v55
	v_pk_add_f32 v[146:147], v[66:67], v[64:65] neg_lo:[0,1] neg_hi:[0,1]
	v_mov_b32_e32 v54, v135
	v_mov_b32_e32 v53, v146
	v_pk_add_f32 v[148:149], v[134:135], v[52:53] neg_lo:[0,1] neg_hi:[0,1]
	v_mov_b32_e32 v134, v65
	v_mov_b32_e32 v135, v146
	;; [unrolled: 1-line block ×3, first 2 shown]
	v_pk_add_f32 v[54:55], v[54:55], v[134:135] neg_lo:[0,1] neg_hi:[0,1]
	v_mov_b32_e32 v69, v64
	v_pk_add_f32 v[54:55], v[68:69], v[54:55] neg_lo:[0,1] neg_hi:[0,1]
	v_mov_b32_e32 v148, v144
	v_pk_add_f32 v[64:65], v[148:149], v[54:55]
	v_cmp_eq_f32_e64 s[58:59], s64, v133
	v_mov_b32_e32 v68, v65
	v_pk_add_f32 v[68:69], v[64:65], v[68:69]
	s_mov_b32 s64, 0x33800000
	v_pk_add_f32 v[66:67], v[66:67], v[68:69]
	v_mov_b32_e32 v55, v68
	v_mov_b32_e32 v65, v66
	v_pk_add_f32 v[134:135], v[64:65], v[144:145] neg_lo:[0,1] neg_hi:[0,1]
	v_cmp_lt_f32_e64 s[64:65], |v133|, s64
	v_sub_f32_e32 v53, v64, v134
	v_pk_add_f32 v[54:55], v[54:55], v[134:135] neg_lo:[0,1] neg_hi:[0,1]
	v_sub_f32_e32 v53, v144, v53
	v_add_f32_e32 v53, v54, v53
	v_add_f32_e32 v53, v53, v55
	;; [unrolled: 1-line block ×3, first 2 shown]
	s_or_b64 s[58:59], s[58:59], s[64:65]
	v_cndmask_b32_e64 v53, v53, v133, s[58:59]
	v_add_f32_e32 v54, v49, v53
.LBB121_106:
	s_or_b64 exec, exec, s[60:61]
	ds_read_b32 v49, v50 offset:12
	v_max_f32_e32 v53, v54, v54
	v_cmp_u_f32_e64 s[58:59], v54, v54
	s_waitcnt lgkmcnt(0)
	v_max_f32_e32 v55, v49, v49
	v_min_f32_e32 v64, v53, v55
	v_max_f32_e32 v55, v53, v55
	v_cndmask_b32_e64 v53, v64, v54, s[58:59]
	v_cmp_u_f32_e64 s[60:61], v49, v49
	v_cndmask_b32_e64 v55, v55, v54, s[58:59]
	s_nop 0
	v_cndmask_b32_e64 v53, v53, v49, s[60:61]
	v_cndmask_b32_e64 v49, v55, v49, s[60:61]
	s_movk_i32 s60, 0x1f8
	v_cmp_neq_f32_e64 s[58:59], v53, v49
	v_cmp_class_f32_e64 s[60:61], v53, s60
	s_or_b64 s[58:59], s[58:59], s[60:61]
	s_and_saveexec_b64 s[60:61], s[58:59]
	s_cbranch_execz .LBB121_108
; %bb.107:
	v_sub_f32_e32 v53, v53, v49
	s_mov_b32 s58, 0x3fb8aa3b
	v_mul_f32_e32 v54, 0x3fb8aa3b, v53
	v_fma_f32 v55, v53, s58, -v54
	v_rndne_f32_e32 v64, v54
	v_fmamk_f32 v55, v53, 0x32a5705f, v55
	v_sub_f32_e32 v54, v54, v64
	v_add_f32_e32 v54, v54, v55
	v_exp_f32_e32 v54, v54
	v_cvt_i32_f32_e32 v55, v64
	s_mov_b32 s58, 0xc2ce8ed0
	v_cmp_ngt_f32_e64 s[58:59], s58, v53
	s_mov_b32 s64, 0x7f800000
	v_ldexp_f32 v54, v54, v55
	v_cndmask_b32_e64 v54, 0, v54, s[58:59]
	s_mov_b32 s58, 0x42b17218
	v_mov_b32_e32 v55, 0x7f800000
	v_cmp_nlt_f32_e64 s[58:59], s58, v53
	s_nop 1
	v_cndmask_b32_e64 v133, v55, v54, s[58:59]
	v_add_f32_e32 v53, 1.0, v133
	v_add_f32_e32 v54, -1.0, v53
	v_sub_f32_e32 v55, v54, v53
	v_add_f32_e32 v55, 1.0, v55
	v_sub_f32_e32 v54, v133, v54
	v_add_f32_e32 v64, v54, v55
	v_frexp_mant_f32_e32 v65, v53
	s_mov_b32 s58, 0x3f2aaaab
	v_cvt_f64_f32_e32 v[54:55], v53
	v_frexp_exp_i32_f64_e32 v54, v[54:55]
	v_cmp_gt_f32_e64 s[58:59], s58, v65
	s_nop 1
	v_subbrev_co_u32_e64 v134, s[58:59], 0, v54, s[58:59]
	v_sub_u32_e32 v54, 0, v134
	v_ldexp_f32 v53, v53, v54
	v_ldexp_f32 v54, v64, v54
	v_add_f32_e32 v64, -1.0, v53
	v_add_f32_e32 v55, 1.0, v64
	v_sub_f32_e32 v55, v53, v55
	v_add_f32_e32 v65, v54, v55
	v_add_f32_e32 v55, 1.0, v53
	v_add_f32_e32 v66, -1.0, v55
	v_sub_f32_e32 v53, v53, v66
	v_add_f32_e32 v53, v54, v53
	v_add_f32_e32 v135, v55, v53
	v_rcp_f32_e32 v144, v135
	v_sub_f32_e32 v54, v55, v135
	v_add_f32_e32 v55, v64, v65
	v_add_f32_e32 v53, v53, v54
	v_mul_f32_e32 v146, v55, v144
	v_sub_f32_e32 v54, v64, v55
	v_mul_f32_e32 v64, v135, v146
	v_fma_f32 v66, v146, v135, -v64
	v_fmac_f32_e32 v66, v146, v53
	v_add_f32_e32 v145, v65, v54
	v_add_f32_e32 v54, v64, v66
	v_sub_f32_e32 v65, v55, v54
	v_pk_add_f32 v[68:69], v[54:55], v[64:65] neg_lo:[0,1] neg_hi:[0,1]
	v_mov_b32_e32 v67, v54
	v_pk_add_f32 v[54:55], v[68:69], v[66:67] neg_lo:[0,1] neg_hi:[0,1]
	s_mov_b32 s58, 0x3f317218
	v_add_f32_e32 v55, v145, v55
	v_add_f32_e32 v54, v54, v55
	v_add_f32_e32 v55, v65, v54
	v_mul_f32_e32 v145, v144, v55
	v_mul_f32_e32 v64, v135, v145
	v_fma_f32 v66, v145, v135, -v64
	v_fmac_f32_e32 v66, v145, v53
	v_sub_f32_e32 v53, v65, v55
	v_add_f32_e32 v53, v54, v53
	v_add_f32_e32 v54, v64, v66
	v_sub_f32_e32 v65, v55, v54
	v_pk_add_f32 v[68:69], v[54:55], v[64:65] neg_lo:[0,1] neg_hi:[0,1]
	v_mov_b32_e32 v67, v54
	v_pk_add_f32 v[54:55], v[68:69], v[66:67] neg_lo:[0,1] neg_hi:[0,1]
	v_cvt_f32_i32_e32 v64, v134
	v_add_f32_e32 v53, v53, v55
	v_add_f32_e32 v53, v54, v53
	;; [unrolled: 1-line block ×4, first 2 shown]
	v_sub_f32_e32 v55, v54, v146
	v_mul_f32_e32 v53, v144, v53
	v_sub_f32_e32 v55, v145, v55
	v_add_f32_e32 v53, v55, v53
	v_add_f32_e32 v65, v54, v53
	v_mul_f32_e32 v66, v65, v65
	v_mov_b32_e32 v55, 0x3ecc95a3
	v_fmac_f32_e32 v55, 0x3e9b6dac, v66
	v_sub_f32_e32 v54, v65, v54
	v_fmaak_f32 v55, v66, v55, 0x3f2aaada
	v_sub_f32_e32 v53, v53, v54
	v_ldexp_f32 v67, v65, 1
	v_mul_f32_e32 v65, v65, v66
	v_mov_b32_e32 v54, 0x3f317218
	v_pk_mul_f32 v[54:55], v[64:65], v[54:55]
	v_ldexp_f32 v53, v53, 1
	v_fma_f32 v65, v64, s58, -v54
	v_fmamk_f32 v66, v64, 0xb102e308, v65
	v_pk_add_f32 v[64:65], v[54:55], v[66:67]
	v_mov_b32_e32 v68, v54
	v_sub_f32_e32 v67, v65, v67
	v_sub_f32_e32 v67, v55, v67
	v_add_f32_e32 v69, v53, v67
	v_pk_add_f32 v[54:55], v[64:65], v[54:55] neg_lo:[0,1] neg_hi:[0,1]
	v_pk_add_f32 v[134:135], v[64:65], v[68:69]
	v_mov_b32_e32 v67, v64
	v_mov_b32_e32 v55, v135
	v_pk_add_f32 v[144:145], v[66:67], v[54:55] neg_lo:[0,1] neg_hi:[0,1]
	v_pk_add_f32 v[54:55], v[66:67], v[54:55]
	v_mov_b32_e32 v68, v69
	v_mov_b32_e32 v66, v55
	v_pk_add_f32 v[146:147], v[66:67], v[64:65] neg_lo:[0,1] neg_hi:[0,1]
	v_mov_b32_e32 v54, v135
	v_mov_b32_e32 v53, v146
	v_pk_add_f32 v[148:149], v[134:135], v[52:53] neg_lo:[0,1] neg_hi:[0,1]
	v_mov_b32_e32 v134, v65
	v_mov_b32_e32 v135, v146
	;; [unrolled: 1-line block ×3, first 2 shown]
	v_pk_add_f32 v[54:55], v[54:55], v[134:135] neg_lo:[0,1] neg_hi:[0,1]
	v_mov_b32_e32 v69, v64
	v_pk_add_f32 v[54:55], v[68:69], v[54:55] neg_lo:[0,1] neg_hi:[0,1]
	v_mov_b32_e32 v148, v144
	v_pk_add_f32 v[64:65], v[148:149], v[54:55]
	v_cmp_eq_f32_e64 s[58:59], s64, v133
	v_mov_b32_e32 v68, v65
	v_pk_add_f32 v[68:69], v[64:65], v[68:69]
	s_mov_b32 s64, 0x33800000
	v_pk_add_f32 v[66:67], v[66:67], v[68:69]
	v_mov_b32_e32 v55, v68
	v_mov_b32_e32 v65, v66
	v_pk_add_f32 v[134:135], v[64:65], v[144:145] neg_lo:[0,1] neg_hi:[0,1]
	v_cmp_lt_f32_e64 s[64:65], |v133|, s64
	v_sub_f32_e32 v53, v64, v134
	v_pk_add_f32 v[54:55], v[54:55], v[134:135] neg_lo:[0,1] neg_hi:[0,1]
	v_sub_f32_e32 v53, v144, v53
	v_add_f32_e32 v53, v54, v53
	v_add_f32_e32 v53, v53, v55
	;; [unrolled: 1-line block ×3, first 2 shown]
	s_or_b64 s[58:59], s[58:59], s[64:65]
	v_cndmask_b32_e64 v53, v53, v133, s[58:59]
	v_add_f32_e32 v54, v49, v53
.LBB121_108:
	s_or_b64 exec, exec, s[60:61]
	v_mbcnt_lo_u32_b32 v49, -1, 0
	v_mbcnt_hi_u32_b32 v49, -1, v49
	v_and_b32_e32 v53, 15, v49
	v_mov_b32_dpp v55, v54 row_shr:1 row_mask:0xf bank_mask:0xf
	v_cmp_ne_u32_e64 s[58:59], 0, v53
	s_and_saveexec_b64 s[60:61], s[58:59]
	s_xor_b64 s[64:65], exec, s[60:61]
	s_cbranch_execz .LBB121_112
; %bb.109:
	v_max_f32_e32 v65, v54, v54
	v_max_f32_e32 v66, v55, v55
	v_min_f32_e32 v64, v66, v65
	v_cmp_u_f32_e64 s[58:59], v55, v55
	v_max_f32_e32 v65, v66, v65
	v_cmp_u_f32_e64 s[60:61], v54, v54
	v_cndmask_b32_e64 v64, v64, v55, s[58:59]
	v_cndmask_b32_e64 v65, v65, v55, s[58:59]
	v_cndmask_b32_e64 v64, v64, v54, s[60:61]
	v_cndmask_b32_e64 v54, v65, v54, s[60:61]
	s_movk_i32 s60, 0x1f8
	v_cmp_neq_f32_e64 s[58:59], v64, v54
	v_cmp_class_f32_e64 s[60:61], v64, s60
	s_or_b64 s[58:59], s[58:59], s[60:61]
	s_and_saveexec_b64 s[60:61], s[58:59]
	s_cbranch_execz .LBB121_111
; %bb.110:
	v_sub_f32_e32 v55, v64, v54
	s_mov_b32 s58, 0x3fb8aa3b
	v_mul_f32_e32 v64, 0x3fb8aa3b, v55
	v_fma_f32 v65, v55, s58, -v64
	v_rndne_f32_e32 v66, v64
	v_fmamk_f32 v65, v55, 0x32a5705f, v65
	v_sub_f32_e32 v64, v64, v66
	v_add_f32_e32 v64, v64, v65
	v_exp_f32_e32 v64, v64
	v_cvt_i32_f32_e32 v65, v66
	s_mov_b32 s58, 0xc2ce8ed0
	v_cmp_ngt_f32_e64 s[58:59], s58, v55
	s_mov_b32 s66, 0x7f800000
	v_ldexp_f32 v64, v64, v65
	v_cndmask_b32_e64 v64, 0, v64, s[58:59]
	s_mov_b32 s58, 0x42b17218
	v_mov_b32_e32 v65, 0x7f800000
	v_cmp_nlt_f32_e64 s[58:59], s58, v55
	s_nop 1
	v_cndmask_b32_e64 v133, v65, v64, s[58:59]
	v_add_f32_e32 v55, 1.0, v133
	v_add_f32_e32 v64, -1.0, v55
	v_sub_f32_e32 v65, v64, v55
	v_add_f32_e32 v65, 1.0, v65
	v_sub_f32_e32 v64, v133, v64
	v_add_f32_e32 v66, v64, v65
	v_frexp_mant_f32_e32 v67, v55
	s_mov_b32 s58, 0x3f2aaaab
	v_cvt_f64_f32_e32 v[64:65], v55
	v_frexp_exp_i32_f64_e32 v64, v[64:65]
	v_cmp_gt_f32_e64 s[58:59], s58, v67
	s_nop 1
	v_subbrev_co_u32_e64 v144, s[58:59], 0, v64, s[58:59]
	v_sub_u32_e32 v64, 0, v144
	v_ldexp_f32 v55, v55, v64
	v_ldexp_f32 v64, v66, v64
	v_add_f32_e32 v66, -1.0, v55
	v_add_f32_e32 v65, 1.0, v66
	v_sub_f32_e32 v65, v55, v65
	v_add_f32_e32 v67, v64, v65
	v_add_f32_e32 v65, 1.0, v55
	v_add_f32_e32 v68, -1.0, v65
	v_sub_f32_e32 v55, v55, v68
	v_add_f32_e32 v55, v64, v55
	v_add_f32_e32 v145, v65, v55
	v_rcp_f32_e32 v146, v145
	v_sub_f32_e32 v64, v65, v145
	v_add_f32_e32 v65, v66, v67
	v_add_f32_e32 v55, v55, v64
	v_mul_f32_e32 v148, v65, v146
	v_sub_f32_e32 v64, v66, v65
	v_mul_f32_e32 v66, v145, v148
	v_fma_f32 v68, v148, v145, -v66
	v_fmac_f32_e32 v68, v148, v55
	v_add_f32_e32 v147, v67, v64
	v_add_f32_e32 v64, v66, v68
	v_sub_f32_e32 v67, v65, v64
	v_pk_add_f32 v[134:135], v[64:65], v[66:67] neg_lo:[0,1] neg_hi:[0,1]
	v_mov_b32_e32 v69, v64
	v_pk_add_f32 v[64:65], v[134:135], v[68:69] neg_lo:[0,1] neg_hi:[0,1]
	s_mov_b32 s58, 0x3f317218
	v_add_f32_e32 v65, v147, v65
	v_add_f32_e32 v64, v64, v65
	;; [unrolled: 1-line block ×3, first 2 shown]
	v_mul_f32_e32 v147, v146, v65
	v_mul_f32_e32 v66, v145, v147
	v_fma_f32 v68, v147, v145, -v66
	v_fmac_f32_e32 v68, v147, v55
	v_sub_f32_e32 v55, v67, v65
	v_add_f32_e32 v55, v64, v55
	v_add_f32_e32 v64, v66, v68
	v_sub_f32_e32 v67, v65, v64
	v_pk_add_f32 v[134:135], v[64:65], v[66:67] neg_lo:[0,1] neg_hi:[0,1]
	v_mov_b32_e32 v69, v64
	v_pk_add_f32 v[64:65], v[134:135], v[68:69] neg_lo:[0,1] neg_hi:[0,1]
	v_cvt_f32_i32_e32 v66, v144
	v_add_f32_e32 v55, v55, v65
	v_add_f32_e32 v55, v64, v55
	;; [unrolled: 1-line block ×4, first 2 shown]
	v_sub_f32_e32 v65, v64, v148
	v_mul_f32_e32 v55, v146, v55
	v_sub_f32_e32 v65, v147, v65
	v_add_f32_e32 v55, v65, v55
	v_add_f32_e32 v67, v64, v55
	v_mul_f32_e32 v68, v67, v67
	v_mov_b32_e32 v65, 0x3ecc95a3
	v_fmac_f32_e32 v65, 0x3e9b6dac, v68
	v_sub_f32_e32 v64, v67, v64
	v_fmaak_f32 v65, v68, v65, 0x3f2aaada
	v_sub_f32_e32 v55, v55, v64
	v_ldexp_f32 v69, v67, 1
	v_mul_f32_e32 v67, v67, v68
	v_mov_b32_e32 v64, 0x3f317218
	v_pk_mul_f32 v[64:65], v[66:67], v[64:65]
	v_ldexp_f32 v55, v55, 1
	v_fma_f32 v67, v66, s58, -v64
	v_fmamk_f32 v68, v66, 0xb102e308, v67
	v_pk_add_f32 v[66:67], v[64:65], v[68:69]
	v_mov_b32_e32 v134, v64
	v_sub_f32_e32 v69, v67, v69
	v_sub_f32_e32 v69, v65, v69
	v_add_f32_e32 v135, v55, v69
	v_pk_add_f32 v[64:65], v[66:67], v[64:65] neg_lo:[0,1] neg_hi:[0,1]
	v_pk_add_f32 v[144:145], v[66:67], v[134:135]
	v_mov_b32_e32 v69, v66
	v_mov_b32_e32 v65, v145
	v_pk_add_f32 v[146:147], v[68:69], v[64:65] neg_lo:[0,1] neg_hi:[0,1]
	v_pk_add_f32 v[64:65], v[68:69], v[64:65]
	v_mov_b32_e32 v134, v135
	v_mov_b32_e32 v68, v65
	v_pk_add_f32 v[148:149], v[68:69], v[66:67] neg_lo:[0,1] neg_hi:[0,1]
	v_mov_b32_e32 v64, v145
	v_mov_b32_e32 v55, v148
	v_pk_add_f32 v[150:151], v[144:145], v[54:55] neg_lo:[0,1] neg_hi:[0,1]
	v_mov_b32_e32 v144, v67
	v_mov_b32_e32 v145, v148
	;; [unrolled: 1-line block ×3, first 2 shown]
	v_pk_add_f32 v[64:65], v[64:65], v[144:145] neg_lo:[0,1] neg_hi:[0,1]
	v_mov_b32_e32 v135, v66
	v_pk_add_f32 v[64:65], v[134:135], v[64:65] neg_lo:[0,1] neg_hi:[0,1]
	v_mov_b32_e32 v150, v146
	v_pk_add_f32 v[66:67], v[150:151], v[64:65]
	v_cmp_eq_f32_e64 s[58:59], s66, v133
	v_mov_b32_e32 v134, v67
	v_pk_add_f32 v[134:135], v[66:67], v[134:135]
	s_mov_b32 s66, 0x33800000
	v_pk_add_f32 v[68:69], v[68:69], v[134:135]
	v_mov_b32_e32 v65, v134
	v_mov_b32_e32 v67, v68
	v_pk_add_f32 v[144:145], v[66:67], v[146:147] neg_lo:[0,1] neg_hi:[0,1]
	v_cmp_lt_f32_e64 s[66:67], |v133|, s66
	v_sub_f32_e32 v55, v66, v144
	v_pk_add_f32 v[64:65], v[64:65], v[144:145] neg_lo:[0,1] neg_hi:[0,1]
	v_sub_f32_e32 v55, v146, v55
	v_add_f32_e32 v55, v64, v55
	v_add_f32_e32 v55, v55, v65
	;; [unrolled: 1-line block ×3, first 2 shown]
	s_or_b64 s[58:59], s[58:59], s[66:67]
	v_cndmask_b32_e64 v55, v55, v133, s[58:59]
	v_add_f32_e32 v55, v54, v55
.LBB121_111:
	s_or_b64 exec, exec, s[60:61]
	v_mov_b32_e32 v54, v55
.LBB121_112:
	s_or_b64 exec, exec, s[64:65]
	s_nop 0
	v_mov_b32_dpp v55, v54 row_shr:2 row_mask:0xf bank_mask:0xf
	v_cmp_lt_u32_e64 s[58:59], 1, v53
	s_and_saveexec_b64 s[64:65], s[58:59]
	s_cbranch_execz .LBB121_116
; %bb.113:
	v_max_f32_e32 v65, v54, v54
	v_max_f32_e32 v66, v55, v55
	v_min_f32_e32 v64, v66, v65
	v_cmp_u_f32_e64 s[58:59], v55, v55
	v_max_f32_e32 v65, v66, v65
	v_cmp_u_f32_e64 s[60:61], v54, v54
	v_cndmask_b32_e64 v64, v64, v55, s[58:59]
	v_cndmask_b32_e64 v65, v65, v55, s[58:59]
	;; [unrolled: 1-line block ×4, first 2 shown]
	s_movk_i32 s60, 0x1f8
	v_cmp_neq_f32_e64 s[58:59], v64, v54
	v_cmp_class_f32_e64 s[60:61], v64, s60
	s_or_b64 s[58:59], s[58:59], s[60:61]
	s_and_saveexec_b64 s[60:61], s[58:59]
	s_cbranch_execz .LBB121_115
; %bb.114:
	v_sub_f32_e32 v55, v64, v54
	s_mov_b32 s58, 0x3fb8aa3b
	v_mul_f32_e32 v64, 0x3fb8aa3b, v55
	v_fma_f32 v65, v55, s58, -v64
	v_rndne_f32_e32 v66, v64
	v_fmamk_f32 v65, v55, 0x32a5705f, v65
	v_sub_f32_e32 v64, v64, v66
	v_add_f32_e32 v64, v64, v65
	v_exp_f32_e32 v64, v64
	v_cvt_i32_f32_e32 v65, v66
	s_mov_b32 s58, 0xc2ce8ed0
	v_cmp_ngt_f32_e64 s[58:59], s58, v55
	s_mov_b32 s66, 0x7f800000
	v_ldexp_f32 v64, v64, v65
	v_cndmask_b32_e64 v64, 0, v64, s[58:59]
	s_mov_b32 s58, 0x42b17218
	v_mov_b32_e32 v65, 0x7f800000
	v_cmp_nlt_f32_e64 s[58:59], s58, v55
	s_nop 1
	v_cndmask_b32_e64 v133, v65, v64, s[58:59]
	v_add_f32_e32 v55, 1.0, v133
	v_add_f32_e32 v64, -1.0, v55
	v_sub_f32_e32 v65, v64, v55
	v_add_f32_e32 v65, 1.0, v65
	v_sub_f32_e32 v64, v133, v64
	v_add_f32_e32 v66, v64, v65
	v_frexp_mant_f32_e32 v67, v55
	s_mov_b32 s58, 0x3f2aaaab
	v_cvt_f64_f32_e32 v[64:65], v55
	v_frexp_exp_i32_f64_e32 v64, v[64:65]
	v_cmp_gt_f32_e64 s[58:59], s58, v67
	s_nop 1
	v_subbrev_co_u32_e64 v144, s[58:59], 0, v64, s[58:59]
	v_sub_u32_e32 v64, 0, v144
	v_ldexp_f32 v55, v55, v64
	v_ldexp_f32 v64, v66, v64
	v_add_f32_e32 v66, -1.0, v55
	v_add_f32_e32 v65, 1.0, v66
	v_sub_f32_e32 v65, v55, v65
	v_add_f32_e32 v67, v64, v65
	v_add_f32_e32 v65, 1.0, v55
	v_add_f32_e32 v68, -1.0, v65
	v_sub_f32_e32 v55, v55, v68
	v_add_f32_e32 v55, v64, v55
	v_add_f32_e32 v145, v65, v55
	v_rcp_f32_e32 v146, v145
	v_sub_f32_e32 v64, v65, v145
	v_add_f32_e32 v65, v66, v67
	v_add_f32_e32 v55, v55, v64
	v_mul_f32_e32 v148, v65, v146
	v_sub_f32_e32 v64, v66, v65
	v_mul_f32_e32 v66, v145, v148
	v_fma_f32 v68, v148, v145, -v66
	v_fmac_f32_e32 v68, v148, v55
	v_add_f32_e32 v147, v67, v64
	v_add_f32_e32 v64, v66, v68
	v_sub_f32_e32 v67, v65, v64
	v_pk_add_f32 v[134:135], v[64:65], v[66:67] neg_lo:[0,1] neg_hi:[0,1]
	v_mov_b32_e32 v69, v64
	v_pk_add_f32 v[64:65], v[134:135], v[68:69] neg_lo:[0,1] neg_hi:[0,1]
	s_mov_b32 s58, 0x3f317218
	v_add_f32_e32 v65, v147, v65
	v_add_f32_e32 v64, v64, v65
	;; [unrolled: 1-line block ×3, first 2 shown]
	v_mul_f32_e32 v147, v146, v65
	v_mul_f32_e32 v66, v145, v147
	v_fma_f32 v68, v147, v145, -v66
	v_fmac_f32_e32 v68, v147, v55
	v_sub_f32_e32 v55, v67, v65
	v_add_f32_e32 v55, v64, v55
	v_add_f32_e32 v64, v66, v68
	v_sub_f32_e32 v67, v65, v64
	v_pk_add_f32 v[134:135], v[64:65], v[66:67] neg_lo:[0,1] neg_hi:[0,1]
	v_mov_b32_e32 v69, v64
	v_pk_add_f32 v[64:65], v[134:135], v[68:69] neg_lo:[0,1] neg_hi:[0,1]
	v_cvt_f32_i32_e32 v66, v144
	v_add_f32_e32 v55, v55, v65
	v_add_f32_e32 v55, v64, v55
	;; [unrolled: 1-line block ×4, first 2 shown]
	v_sub_f32_e32 v65, v64, v148
	v_mul_f32_e32 v55, v146, v55
	v_sub_f32_e32 v65, v147, v65
	v_add_f32_e32 v55, v65, v55
	v_add_f32_e32 v67, v64, v55
	v_mul_f32_e32 v68, v67, v67
	v_mov_b32_e32 v65, 0x3ecc95a3
	v_fmac_f32_e32 v65, 0x3e9b6dac, v68
	v_sub_f32_e32 v64, v67, v64
	v_fmaak_f32 v65, v68, v65, 0x3f2aaada
	v_sub_f32_e32 v55, v55, v64
	v_ldexp_f32 v69, v67, 1
	v_mul_f32_e32 v67, v67, v68
	v_mov_b32_e32 v64, 0x3f317218
	v_pk_mul_f32 v[64:65], v[66:67], v[64:65]
	v_ldexp_f32 v55, v55, 1
	v_fma_f32 v67, v66, s58, -v64
	v_fmamk_f32 v68, v66, 0xb102e308, v67
	v_pk_add_f32 v[66:67], v[64:65], v[68:69]
	v_mov_b32_e32 v134, v64
	v_sub_f32_e32 v69, v67, v69
	v_sub_f32_e32 v69, v65, v69
	v_add_f32_e32 v135, v55, v69
	v_pk_add_f32 v[64:65], v[66:67], v[64:65] neg_lo:[0,1] neg_hi:[0,1]
	v_pk_add_f32 v[144:145], v[66:67], v[134:135]
	v_mov_b32_e32 v69, v66
	v_mov_b32_e32 v65, v145
	v_pk_add_f32 v[146:147], v[68:69], v[64:65] neg_lo:[0,1] neg_hi:[0,1]
	v_pk_add_f32 v[64:65], v[68:69], v[64:65]
	v_mov_b32_e32 v134, v135
	v_mov_b32_e32 v68, v65
	v_pk_add_f32 v[148:149], v[68:69], v[66:67] neg_lo:[0,1] neg_hi:[0,1]
	v_mov_b32_e32 v64, v145
	v_mov_b32_e32 v55, v148
	v_pk_add_f32 v[150:151], v[144:145], v[54:55] neg_lo:[0,1] neg_hi:[0,1]
	v_mov_b32_e32 v144, v67
	v_mov_b32_e32 v145, v148
	;; [unrolled: 1-line block ×3, first 2 shown]
	v_pk_add_f32 v[64:65], v[64:65], v[144:145] neg_lo:[0,1] neg_hi:[0,1]
	v_mov_b32_e32 v135, v66
	v_pk_add_f32 v[64:65], v[134:135], v[64:65] neg_lo:[0,1] neg_hi:[0,1]
	v_mov_b32_e32 v150, v146
	v_pk_add_f32 v[66:67], v[150:151], v[64:65]
	v_cmp_eq_f32_e64 s[58:59], s66, v133
	v_mov_b32_e32 v134, v67
	v_pk_add_f32 v[134:135], v[66:67], v[134:135]
	s_mov_b32 s66, 0x33800000
	v_pk_add_f32 v[68:69], v[68:69], v[134:135]
	v_mov_b32_e32 v65, v134
	v_mov_b32_e32 v67, v68
	v_pk_add_f32 v[144:145], v[66:67], v[146:147] neg_lo:[0,1] neg_hi:[0,1]
	v_cmp_lt_f32_e64 s[66:67], |v133|, s66
	v_sub_f32_e32 v55, v66, v144
	v_pk_add_f32 v[64:65], v[64:65], v[144:145] neg_lo:[0,1] neg_hi:[0,1]
	v_sub_f32_e32 v55, v146, v55
	v_add_f32_e32 v55, v64, v55
	v_add_f32_e32 v55, v55, v65
	;; [unrolled: 1-line block ×3, first 2 shown]
	s_or_b64 s[58:59], s[58:59], s[66:67]
	v_cndmask_b32_e64 v55, v55, v133, s[58:59]
	v_add_f32_e32 v55, v54, v55
.LBB121_115:
	s_or_b64 exec, exec, s[60:61]
	v_mov_b32_e32 v54, v55
.LBB121_116:
	s_or_b64 exec, exec, s[64:65]
	s_nop 0
	v_mov_b32_dpp v55, v54 row_shr:4 row_mask:0xf bank_mask:0xf
	v_cmp_lt_u32_e64 s[58:59], 3, v53
	s_and_saveexec_b64 s[64:65], s[58:59]
	s_cbranch_execz .LBB121_120
; %bb.117:
	v_max_f32_e32 v65, v54, v54
	v_max_f32_e32 v66, v55, v55
	v_min_f32_e32 v64, v66, v65
	v_cmp_u_f32_e64 s[58:59], v55, v55
	v_max_f32_e32 v65, v66, v65
	v_cmp_u_f32_e64 s[60:61], v54, v54
	v_cndmask_b32_e64 v64, v64, v55, s[58:59]
	v_cndmask_b32_e64 v65, v65, v55, s[58:59]
	;; [unrolled: 1-line block ×4, first 2 shown]
	s_movk_i32 s60, 0x1f8
	v_cmp_neq_f32_e64 s[58:59], v64, v54
	v_cmp_class_f32_e64 s[60:61], v64, s60
	s_or_b64 s[58:59], s[58:59], s[60:61]
	s_and_saveexec_b64 s[60:61], s[58:59]
	s_cbranch_execz .LBB121_119
; %bb.118:
	v_sub_f32_e32 v55, v64, v54
	s_mov_b32 s58, 0x3fb8aa3b
	v_mul_f32_e32 v64, 0x3fb8aa3b, v55
	v_fma_f32 v65, v55, s58, -v64
	v_rndne_f32_e32 v66, v64
	v_fmamk_f32 v65, v55, 0x32a5705f, v65
	v_sub_f32_e32 v64, v64, v66
	v_add_f32_e32 v64, v64, v65
	v_exp_f32_e32 v64, v64
	v_cvt_i32_f32_e32 v65, v66
	s_mov_b32 s58, 0xc2ce8ed0
	v_cmp_ngt_f32_e64 s[58:59], s58, v55
	s_mov_b32 s66, 0x7f800000
	v_ldexp_f32 v64, v64, v65
	v_cndmask_b32_e64 v64, 0, v64, s[58:59]
	s_mov_b32 s58, 0x42b17218
	v_mov_b32_e32 v65, 0x7f800000
	v_cmp_nlt_f32_e64 s[58:59], s58, v55
	s_nop 1
	v_cndmask_b32_e64 v133, v65, v64, s[58:59]
	v_add_f32_e32 v55, 1.0, v133
	v_add_f32_e32 v64, -1.0, v55
	v_sub_f32_e32 v65, v64, v55
	v_add_f32_e32 v65, 1.0, v65
	v_sub_f32_e32 v64, v133, v64
	v_add_f32_e32 v66, v64, v65
	v_frexp_mant_f32_e32 v67, v55
	s_mov_b32 s58, 0x3f2aaaab
	v_cvt_f64_f32_e32 v[64:65], v55
	v_frexp_exp_i32_f64_e32 v64, v[64:65]
	v_cmp_gt_f32_e64 s[58:59], s58, v67
	s_nop 1
	v_subbrev_co_u32_e64 v144, s[58:59], 0, v64, s[58:59]
	v_sub_u32_e32 v64, 0, v144
	v_ldexp_f32 v55, v55, v64
	v_ldexp_f32 v64, v66, v64
	v_add_f32_e32 v66, -1.0, v55
	v_add_f32_e32 v65, 1.0, v66
	v_sub_f32_e32 v65, v55, v65
	v_add_f32_e32 v67, v64, v65
	v_add_f32_e32 v65, 1.0, v55
	v_add_f32_e32 v68, -1.0, v65
	v_sub_f32_e32 v55, v55, v68
	v_add_f32_e32 v55, v64, v55
	v_add_f32_e32 v145, v65, v55
	v_rcp_f32_e32 v146, v145
	v_sub_f32_e32 v64, v65, v145
	v_add_f32_e32 v65, v66, v67
	v_add_f32_e32 v55, v55, v64
	v_mul_f32_e32 v148, v65, v146
	v_sub_f32_e32 v64, v66, v65
	v_mul_f32_e32 v66, v145, v148
	v_fma_f32 v68, v148, v145, -v66
	v_fmac_f32_e32 v68, v148, v55
	v_add_f32_e32 v147, v67, v64
	v_add_f32_e32 v64, v66, v68
	v_sub_f32_e32 v67, v65, v64
	v_pk_add_f32 v[134:135], v[64:65], v[66:67] neg_lo:[0,1] neg_hi:[0,1]
	v_mov_b32_e32 v69, v64
	v_pk_add_f32 v[64:65], v[134:135], v[68:69] neg_lo:[0,1] neg_hi:[0,1]
	s_mov_b32 s58, 0x3f317218
	v_add_f32_e32 v65, v147, v65
	v_add_f32_e32 v64, v64, v65
	;; [unrolled: 1-line block ×3, first 2 shown]
	v_mul_f32_e32 v147, v146, v65
	v_mul_f32_e32 v66, v145, v147
	v_fma_f32 v68, v147, v145, -v66
	v_fmac_f32_e32 v68, v147, v55
	v_sub_f32_e32 v55, v67, v65
	v_add_f32_e32 v55, v64, v55
	v_add_f32_e32 v64, v66, v68
	v_sub_f32_e32 v67, v65, v64
	v_pk_add_f32 v[134:135], v[64:65], v[66:67] neg_lo:[0,1] neg_hi:[0,1]
	v_mov_b32_e32 v69, v64
	v_pk_add_f32 v[64:65], v[134:135], v[68:69] neg_lo:[0,1] neg_hi:[0,1]
	v_cvt_f32_i32_e32 v66, v144
	v_add_f32_e32 v55, v55, v65
	v_add_f32_e32 v55, v64, v55
	;; [unrolled: 1-line block ×4, first 2 shown]
	v_sub_f32_e32 v65, v64, v148
	v_mul_f32_e32 v55, v146, v55
	v_sub_f32_e32 v65, v147, v65
	v_add_f32_e32 v55, v65, v55
	v_add_f32_e32 v67, v64, v55
	v_mul_f32_e32 v68, v67, v67
	v_mov_b32_e32 v65, 0x3ecc95a3
	v_fmac_f32_e32 v65, 0x3e9b6dac, v68
	v_sub_f32_e32 v64, v67, v64
	v_fmaak_f32 v65, v68, v65, 0x3f2aaada
	v_sub_f32_e32 v55, v55, v64
	v_ldexp_f32 v69, v67, 1
	v_mul_f32_e32 v67, v67, v68
	v_mov_b32_e32 v64, 0x3f317218
	v_pk_mul_f32 v[64:65], v[66:67], v[64:65]
	v_ldexp_f32 v55, v55, 1
	v_fma_f32 v67, v66, s58, -v64
	v_fmamk_f32 v68, v66, 0xb102e308, v67
	v_pk_add_f32 v[66:67], v[64:65], v[68:69]
	v_mov_b32_e32 v134, v64
	v_sub_f32_e32 v69, v67, v69
	v_sub_f32_e32 v69, v65, v69
	v_add_f32_e32 v135, v55, v69
	v_pk_add_f32 v[64:65], v[66:67], v[64:65] neg_lo:[0,1] neg_hi:[0,1]
	v_pk_add_f32 v[144:145], v[66:67], v[134:135]
	v_mov_b32_e32 v69, v66
	v_mov_b32_e32 v65, v145
	v_pk_add_f32 v[146:147], v[68:69], v[64:65] neg_lo:[0,1] neg_hi:[0,1]
	v_pk_add_f32 v[64:65], v[68:69], v[64:65]
	v_mov_b32_e32 v134, v135
	v_mov_b32_e32 v68, v65
	v_pk_add_f32 v[148:149], v[68:69], v[66:67] neg_lo:[0,1] neg_hi:[0,1]
	v_mov_b32_e32 v64, v145
	v_mov_b32_e32 v55, v148
	v_pk_add_f32 v[150:151], v[144:145], v[54:55] neg_lo:[0,1] neg_hi:[0,1]
	v_mov_b32_e32 v144, v67
	v_mov_b32_e32 v145, v148
	;; [unrolled: 1-line block ×3, first 2 shown]
	v_pk_add_f32 v[64:65], v[64:65], v[144:145] neg_lo:[0,1] neg_hi:[0,1]
	v_mov_b32_e32 v135, v66
	v_pk_add_f32 v[64:65], v[134:135], v[64:65] neg_lo:[0,1] neg_hi:[0,1]
	v_mov_b32_e32 v150, v146
	v_pk_add_f32 v[66:67], v[150:151], v[64:65]
	v_cmp_eq_f32_e64 s[58:59], s66, v133
	v_mov_b32_e32 v134, v67
	v_pk_add_f32 v[134:135], v[66:67], v[134:135]
	s_mov_b32 s66, 0x33800000
	v_pk_add_f32 v[68:69], v[68:69], v[134:135]
	v_mov_b32_e32 v65, v134
	v_mov_b32_e32 v67, v68
	v_pk_add_f32 v[144:145], v[66:67], v[146:147] neg_lo:[0,1] neg_hi:[0,1]
	v_cmp_lt_f32_e64 s[66:67], |v133|, s66
	v_sub_f32_e32 v55, v66, v144
	v_pk_add_f32 v[64:65], v[64:65], v[144:145] neg_lo:[0,1] neg_hi:[0,1]
	v_sub_f32_e32 v55, v146, v55
	v_add_f32_e32 v55, v64, v55
	v_add_f32_e32 v55, v55, v65
	;; [unrolled: 1-line block ×3, first 2 shown]
	s_or_b64 s[58:59], s[58:59], s[66:67]
	v_cndmask_b32_e64 v55, v55, v133, s[58:59]
	v_add_f32_e32 v55, v54, v55
.LBB121_119:
	s_or_b64 exec, exec, s[60:61]
	v_mov_b32_e32 v54, v55
.LBB121_120:
	s_or_b64 exec, exec, s[64:65]
	s_nop 0
	v_mov_b32_dpp v55, v54 row_shr:8 row_mask:0xf bank_mask:0xf
	v_cmp_lt_u32_e64 s[58:59], 7, v53
	s_and_saveexec_b64 s[64:65], s[58:59]
	s_cbranch_execz .LBB121_124
; %bb.121:
	v_max_f32_e32 v53, v54, v54
	v_max_f32_e32 v65, v55, v55
	v_min_f32_e32 v64, v65, v53
	v_cmp_u_f32_e64 s[58:59], v55, v55
	v_max_f32_e32 v53, v65, v53
	v_cmp_u_f32_e64 s[60:61], v54, v54
	v_cndmask_b32_e64 v64, v64, v55, s[58:59]
	v_cndmask_b32_e64 v53, v53, v55, s[58:59]
	;; [unrolled: 1-line block ×4, first 2 shown]
	s_movk_i32 s60, 0x1f8
	v_cmp_neq_f32_e64 s[58:59], v64, v53
	v_cmp_class_f32_e64 s[60:61], v64, s60
	s_or_b64 s[58:59], s[58:59], s[60:61]
	s_and_saveexec_b64 s[60:61], s[58:59]
	s_cbranch_execz .LBB121_123
; %bb.122:
	v_sub_f32_e32 v54, v64, v53
	s_mov_b32 s58, 0x3fb8aa3b
	v_mul_f32_e32 v55, 0x3fb8aa3b, v54
	v_fma_f32 v64, v54, s58, -v55
	v_rndne_f32_e32 v65, v55
	v_fmamk_f32 v64, v54, 0x32a5705f, v64
	v_sub_f32_e32 v55, v55, v65
	v_add_f32_e32 v55, v55, v64
	v_exp_f32_e32 v55, v55
	v_cvt_i32_f32_e32 v64, v65
	s_mov_b32 s58, 0xc2ce8ed0
	v_cmp_ngt_f32_e64 s[58:59], s58, v54
	s_mov_b32 s66, 0x7f800000
	v_ldexp_f32 v55, v55, v64
	v_cndmask_b32_e64 v55, 0, v55, s[58:59]
	s_mov_b32 s58, 0x42b17218
	v_mov_b32_e32 v64, 0x7f800000
	v_cmp_nlt_f32_e64 s[58:59], s58, v54
	s_nop 1
	v_cndmask_b32_e64 v133, v64, v55, s[58:59]
	v_add_f32_e32 v64, 1.0, v133
	v_add_f32_e32 v54, -1.0, v64
	v_sub_f32_e32 v55, v54, v64
	v_add_f32_e32 v55, 1.0, v55
	v_sub_f32_e32 v54, v133, v54
	v_add_f32_e32 v65, v54, v55
	v_frexp_mant_f32_e32 v66, v64
	s_mov_b32 s58, 0x3f2aaaab
	v_cvt_f64_f32_e32 v[54:55], v64
	v_frexp_exp_i32_f64_e32 v54, v[54:55]
	v_cmp_gt_f32_e64 s[58:59], s58, v66
	s_nop 1
	v_subbrev_co_u32_e64 v134, s[58:59], 0, v54, s[58:59]
	v_sub_u32_e32 v54, 0, v134
	v_ldexp_f32 v55, v64, v54
	v_add_f32_e32 v64, -1.0, v55
	v_add_f32_e32 v66, 1.0, v55
	v_ldexp_f32 v54, v65, v54
	v_add_f32_e32 v65, 1.0, v64
	v_add_f32_e32 v67, -1.0, v66
	v_sub_f32_e32 v65, v55, v65
	v_sub_f32_e32 v55, v55, v67
	v_add_f32_e32 v65, v54, v65
	v_add_f32_e32 v54, v54, v55
	;; [unrolled: 1-line block ×3, first 2 shown]
	v_rcp_f32_e32 v145, v135
	v_sub_f32_e32 v55, v66, v135
	v_add_f32_e32 v144, v54, v55
	v_add_f32_e32 v55, v64, v65
	v_mul_f32_e32 v147, v55, v145
	v_sub_f32_e32 v54, v64, v55
	v_mul_f32_e32 v64, v135, v147
	v_fma_f32 v66, v147, v135, -v64
	v_fmac_f32_e32 v66, v147, v144
	v_add_f32_e32 v146, v65, v54
	v_add_f32_e32 v54, v64, v66
	v_sub_f32_e32 v65, v55, v54
	v_pk_add_f32 v[68:69], v[54:55], v[64:65] neg_lo:[0,1] neg_hi:[0,1]
	v_mov_b32_e32 v67, v54
	v_pk_add_f32 v[54:55], v[68:69], v[66:67] neg_lo:[0,1] neg_hi:[0,1]
	s_mov_b32 s58, 0x3f317218
	v_add_f32_e32 v55, v146, v55
	v_add_f32_e32 v54, v54, v55
	;; [unrolled: 1-line block ×3, first 2 shown]
	v_mul_f32_e32 v146, v145, v55
	v_mul_f32_e32 v64, v135, v146
	v_fma_f32 v66, v146, v135, -v64
	v_fmac_f32_e32 v66, v146, v144
	v_sub_f32_e32 v65, v65, v55
	v_add_f32_e32 v135, v54, v65
	v_add_f32_e32 v54, v64, v66
	v_sub_f32_e32 v65, v55, v54
	v_pk_add_f32 v[68:69], v[54:55], v[64:65] neg_lo:[0,1] neg_hi:[0,1]
	v_mov_b32_e32 v67, v54
	v_pk_add_f32 v[54:55], v[68:69], v[66:67] neg_lo:[0,1] neg_hi:[0,1]
	v_cvt_f32_i32_e32 v64, v134
	v_add_f32_e32 v55, v135, v55
	v_add_f32_e32 v54, v54, v55
	;; [unrolled: 1-line block ×4, first 2 shown]
	v_sub_f32_e32 v55, v65, v147
	v_mul_f32_e32 v54, v145, v54
	v_sub_f32_e32 v55, v146, v55
	v_add_f32_e32 v54, v55, v54
	v_add_f32_e32 v66, v65, v54
	v_mul_f32_e32 v68, v66, v66
	v_mov_b32_e32 v55, 0x3ecc95a3
	v_sub_f32_e32 v65, v66, v65
	v_fmac_f32_e32 v55, 0x3e9b6dac, v68
	v_sub_f32_e32 v54, v54, v65
	v_fmaak_f32 v55, v68, v55, 0x3f2aaada
	v_ldexp_f32 v69, v54, 1
	v_mul_f32_e32 v65, v66, v68
	v_mov_b32_e32 v54, 0x3f317218
	v_pk_mul_f32 v[54:55], v[64:65], v[54:55]
	v_ldexp_f32 v67, v66, 1
	v_fma_f32 v65, v64, s58, -v54
	v_fmamk_f32 v66, v64, 0xb102e308, v65
	v_pk_add_f32 v[64:65], v[54:55], v[66:67]
	v_mov_b32_e32 v68, v54
	v_sub_f32_e32 v67, v65, v67
	v_sub_f32_e32 v67, v55, v67
	v_add_f32_e32 v69, v69, v67
	v_pk_add_f32 v[54:55], v[64:65], v[54:55] neg_lo:[0,1] neg_hi:[0,1]
	v_pk_add_f32 v[134:135], v[64:65], v[68:69]
	v_mov_b32_e32 v67, v64
	v_mov_b32_e32 v55, v135
	v_pk_add_f32 v[144:145], v[66:67], v[54:55] neg_lo:[0,1] neg_hi:[0,1]
	v_pk_add_f32 v[54:55], v[66:67], v[54:55]
	v_mov_b32_e32 v68, v69
	v_mov_b32_e32 v66, v55
	v_pk_add_f32 v[146:147], v[66:67], v[64:65] neg_lo:[0,1] neg_hi:[0,1]
	v_mov_b32_e32 v54, v135
	v_mov_b32_e32 v67, v146
	v_pk_add_f32 v[148:149], v[134:135], v[66:67] neg_lo:[0,1] neg_hi:[0,1]
	v_mov_b32_e32 v134, v65
	v_mov_b32_e32 v135, v146
	;; [unrolled: 1-line block ×3, first 2 shown]
	v_pk_add_f32 v[54:55], v[54:55], v[134:135] neg_lo:[0,1] neg_hi:[0,1]
	v_mov_b32_e32 v69, v64
	v_pk_add_f32 v[54:55], v[68:69], v[54:55] neg_lo:[0,1] neg_hi:[0,1]
	v_mov_b32_e32 v148, v144
	v_pk_add_f32 v[64:65], v[148:149], v[54:55]
	v_cmp_eq_f32_e64 s[58:59], s66, v133
	v_mov_b32_e32 v68, v65
	v_pk_add_f32 v[68:69], v[64:65], v[68:69]
	s_mov_b32 s66, 0x33800000
	v_pk_add_f32 v[66:67], v[66:67], v[68:69]
	v_mov_b32_e32 v55, v68
	v_mov_b32_e32 v65, v66
	v_pk_add_f32 v[134:135], v[64:65], v[144:145] neg_lo:[0,1] neg_hi:[0,1]
	v_cmp_lt_f32_e64 s[66:67], |v133|, s66
	v_sub_f32_e32 v64, v64, v134
	v_pk_add_f32 v[54:55], v[54:55], v[134:135] neg_lo:[0,1] neg_hi:[0,1]
	v_sub_f32_e32 v64, v144, v64
	v_add_f32_e32 v54, v54, v64
	v_add_f32_e32 v54, v54, v55
	;; [unrolled: 1-line block ×3, first 2 shown]
	s_or_b64 s[58:59], s[58:59], s[66:67]
	v_cndmask_b32_e64 v54, v54, v133, s[58:59]
	v_add_f32_e32 v55, v53, v54
.LBB121_123:
	s_or_b64 exec, exec, s[60:61]
	v_mov_b32_e32 v54, v55
.LBB121_124:
	s_or_b64 exec, exec, s[64:65]
	v_and_b32_e32 v53, 16, v49
	v_mov_b32_dpp v55, v54 row_bcast:15 row_mask:0xf bank_mask:0xf
	v_cmp_ne_u32_e64 s[58:59], 0, v53
	s_and_saveexec_b64 s[64:65], s[58:59]
	s_cbranch_execz .LBB121_128
; %bb.125:
	v_max_f32_e32 v53, v54, v54
	v_max_f32_e32 v65, v55, v55
	v_min_f32_e32 v64, v65, v53
	v_cmp_u_f32_e64 s[58:59], v55, v55
	v_max_f32_e32 v53, v65, v53
	v_cmp_u_f32_e64 s[60:61], v54, v54
	v_cndmask_b32_e64 v64, v64, v55, s[58:59]
	v_cndmask_b32_e64 v53, v53, v55, s[58:59]
	;; [unrolled: 1-line block ×4, first 2 shown]
	s_movk_i32 s60, 0x1f8
	v_cmp_neq_f32_e64 s[58:59], v64, v53
	v_cmp_class_f32_e64 s[60:61], v64, s60
	s_or_b64 s[58:59], s[58:59], s[60:61]
	s_and_saveexec_b64 s[60:61], s[58:59]
	s_cbranch_execz .LBB121_127
; %bb.126:
	v_sub_f32_e32 v54, v64, v53
	s_mov_b32 s58, 0x3fb8aa3b
	v_mul_f32_e32 v55, 0x3fb8aa3b, v54
	v_fma_f32 v64, v54, s58, -v55
	v_rndne_f32_e32 v65, v55
	v_fmamk_f32 v64, v54, 0x32a5705f, v64
	v_sub_f32_e32 v55, v55, v65
	v_add_f32_e32 v55, v55, v64
	v_exp_f32_e32 v55, v55
	v_cvt_i32_f32_e32 v64, v65
	s_mov_b32 s58, 0xc2ce8ed0
	v_cmp_ngt_f32_e64 s[58:59], s58, v54
	s_mov_b32 s66, 0x7f800000
	v_ldexp_f32 v55, v55, v64
	v_cndmask_b32_e64 v55, 0, v55, s[58:59]
	s_mov_b32 s58, 0x42b17218
	v_mov_b32_e32 v64, 0x7f800000
	v_cmp_nlt_f32_e64 s[58:59], s58, v54
	s_nop 1
	v_cndmask_b32_e64 v133, v64, v55, s[58:59]
	v_add_f32_e32 v64, 1.0, v133
	v_add_f32_e32 v54, -1.0, v64
	v_sub_f32_e32 v55, v54, v64
	v_add_f32_e32 v55, 1.0, v55
	v_sub_f32_e32 v54, v133, v54
	v_add_f32_e32 v65, v54, v55
	v_frexp_mant_f32_e32 v66, v64
	s_mov_b32 s58, 0x3f2aaaab
	v_cvt_f64_f32_e32 v[54:55], v64
	v_frexp_exp_i32_f64_e32 v54, v[54:55]
	v_cmp_gt_f32_e64 s[58:59], s58, v66
	s_nop 1
	v_subbrev_co_u32_e64 v134, s[58:59], 0, v54, s[58:59]
	v_sub_u32_e32 v54, 0, v134
	v_ldexp_f32 v55, v64, v54
	v_add_f32_e32 v64, -1.0, v55
	v_add_f32_e32 v66, 1.0, v55
	v_ldexp_f32 v54, v65, v54
	v_add_f32_e32 v65, 1.0, v64
	v_add_f32_e32 v67, -1.0, v66
	v_sub_f32_e32 v65, v55, v65
	v_sub_f32_e32 v55, v55, v67
	v_add_f32_e32 v65, v54, v65
	v_add_f32_e32 v54, v54, v55
	;; [unrolled: 1-line block ×3, first 2 shown]
	v_rcp_f32_e32 v145, v135
	v_sub_f32_e32 v55, v66, v135
	v_add_f32_e32 v144, v54, v55
	v_add_f32_e32 v55, v64, v65
	v_mul_f32_e32 v147, v55, v145
	v_sub_f32_e32 v54, v64, v55
	v_mul_f32_e32 v64, v135, v147
	v_fma_f32 v66, v147, v135, -v64
	v_fmac_f32_e32 v66, v147, v144
	v_add_f32_e32 v146, v65, v54
	v_add_f32_e32 v54, v64, v66
	v_sub_f32_e32 v65, v55, v54
	v_pk_add_f32 v[68:69], v[54:55], v[64:65] neg_lo:[0,1] neg_hi:[0,1]
	v_mov_b32_e32 v67, v54
	v_pk_add_f32 v[54:55], v[68:69], v[66:67] neg_lo:[0,1] neg_hi:[0,1]
	s_mov_b32 s58, 0x3f317218
	v_add_f32_e32 v55, v146, v55
	v_add_f32_e32 v54, v54, v55
	;; [unrolled: 1-line block ×3, first 2 shown]
	v_mul_f32_e32 v146, v145, v55
	v_mul_f32_e32 v64, v135, v146
	v_fma_f32 v66, v146, v135, -v64
	v_fmac_f32_e32 v66, v146, v144
	v_sub_f32_e32 v65, v65, v55
	v_add_f32_e32 v135, v54, v65
	v_add_f32_e32 v54, v64, v66
	v_sub_f32_e32 v65, v55, v54
	v_pk_add_f32 v[68:69], v[54:55], v[64:65] neg_lo:[0,1] neg_hi:[0,1]
	v_mov_b32_e32 v67, v54
	v_pk_add_f32 v[54:55], v[68:69], v[66:67] neg_lo:[0,1] neg_hi:[0,1]
	v_cvt_f32_i32_e32 v64, v134
	v_add_f32_e32 v55, v135, v55
	v_add_f32_e32 v54, v54, v55
	;; [unrolled: 1-line block ×4, first 2 shown]
	v_sub_f32_e32 v55, v65, v147
	v_mul_f32_e32 v54, v145, v54
	v_sub_f32_e32 v55, v146, v55
	v_add_f32_e32 v54, v55, v54
	v_add_f32_e32 v66, v65, v54
	v_mul_f32_e32 v68, v66, v66
	v_mov_b32_e32 v55, 0x3ecc95a3
	v_sub_f32_e32 v65, v66, v65
	v_fmac_f32_e32 v55, 0x3e9b6dac, v68
	v_sub_f32_e32 v54, v54, v65
	v_fmaak_f32 v55, v68, v55, 0x3f2aaada
	v_ldexp_f32 v69, v54, 1
	v_mul_f32_e32 v65, v66, v68
	v_mov_b32_e32 v54, 0x3f317218
	v_pk_mul_f32 v[54:55], v[64:65], v[54:55]
	v_ldexp_f32 v67, v66, 1
	v_fma_f32 v65, v64, s58, -v54
	v_fmamk_f32 v66, v64, 0xb102e308, v65
	v_pk_add_f32 v[64:65], v[54:55], v[66:67]
	v_mov_b32_e32 v68, v54
	v_sub_f32_e32 v67, v65, v67
	v_sub_f32_e32 v67, v55, v67
	v_add_f32_e32 v69, v69, v67
	v_pk_add_f32 v[54:55], v[64:65], v[54:55] neg_lo:[0,1] neg_hi:[0,1]
	v_pk_add_f32 v[134:135], v[64:65], v[68:69]
	v_mov_b32_e32 v67, v64
	v_mov_b32_e32 v55, v135
	v_pk_add_f32 v[144:145], v[66:67], v[54:55] neg_lo:[0,1] neg_hi:[0,1]
	v_pk_add_f32 v[54:55], v[66:67], v[54:55]
	v_mov_b32_e32 v68, v69
	v_mov_b32_e32 v66, v55
	v_pk_add_f32 v[146:147], v[66:67], v[64:65] neg_lo:[0,1] neg_hi:[0,1]
	v_mov_b32_e32 v54, v135
	v_mov_b32_e32 v67, v146
	v_pk_add_f32 v[148:149], v[134:135], v[66:67] neg_lo:[0,1] neg_hi:[0,1]
	v_mov_b32_e32 v134, v65
	v_mov_b32_e32 v135, v146
	;; [unrolled: 1-line block ×3, first 2 shown]
	v_pk_add_f32 v[54:55], v[54:55], v[134:135] neg_lo:[0,1] neg_hi:[0,1]
	v_mov_b32_e32 v69, v64
	v_pk_add_f32 v[54:55], v[68:69], v[54:55] neg_lo:[0,1] neg_hi:[0,1]
	v_mov_b32_e32 v148, v144
	v_pk_add_f32 v[64:65], v[148:149], v[54:55]
	v_cmp_eq_f32_e64 s[58:59], s66, v133
	v_mov_b32_e32 v68, v65
	v_pk_add_f32 v[68:69], v[64:65], v[68:69]
	s_mov_b32 s66, 0x33800000
	v_pk_add_f32 v[66:67], v[66:67], v[68:69]
	v_mov_b32_e32 v55, v68
	v_mov_b32_e32 v65, v66
	v_pk_add_f32 v[134:135], v[64:65], v[144:145] neg_lo:[0,1] neg_hi:[0,1]
	v_cmp_lt_f32_e64 s[66:67], |v133|, s66
	v_sub_f32_e32 v64, v64, v134
	v_pk_add_f32 v[54:55], v[54:55], v[134:135] neg_lo:[0,1] neg_hi:[0,1]
	v_sub_f32_e32 v64, v144, v64
	v_add_f32_e32 v54, v54, v64
	v_add_f32_e32 v54, v54, v55
	;; [unrolled: 1-line block ×3, first 2 shown]
	s_or_b64 s[58:59], s[58:59], s[66:67]
	v_cndmask_b32_e64 v54, v54, v133, s[58:59]
	v_add_f32_e32 v55, v53, v54
.LBB121_127:
	s_or_b64 exec, exec, s[60:61]
	v_mov_b32_e32 v54, v55
.LBB121_128:
	s_or_b64 exec, exec, s[64:65]
	s_nop 0
	v_mov_b32_dpp v55, v54 row_bcast:31 row_mask:0xf bank_mask:0xf
	v_cmp_lt_u32_e64 s[58:59], 31, v49
	s_and_saveexec_b64 s[64:65], s[58:59]
	s_cbranch_execz .LBB121_132
; %bb.129:
	v_max_f32_e32 v53, v54, v54
	v_max_f32_e32 v65, v55, v55
	v_min_f32_e32 v64, v65, v53
	v_cmp_u_f32_e64 s[58:59], v55, v55
	v_max_f32_e32 v53, v65, v53
	v_cmp_u_f32_e64 s[60:61], v54, v54
	v_cndmask_b32_e64 v64, v64, v55, s[58:59]
	v_cndmask_b32_e64 v53, v53, v55, s[58:59]
	;; [unrolled: 1-line block ×4, first 2 shown]
	s_movk_i32 s60, 0x1f8
	v_cmp_neq_f32_e64 s[58:59], v64, v53
	v_cmp_class_f32_e64 s[60:61], v64, s60
	s_or_b64 s[58:59], s[58:59], s[60:61]
	s_and_saveexec_b64 s[60:61], s[58:59]
	s_cbranch_execz .LBB121_131
; %bb.130:
	v_sub_f32_e32 v54, v64, v53
	s_mov_b32 s58, 0x3fb8aa3b
	v_mul_f32_e32 v55, 0x3fb8aa3b, v54
	v_fma_f32 v64, v54, s58, -v55
	v_rndne_f32_e32 v65, v55
	v_fmamk_f32 v64, v54, 0x32a5705f, v64
	v_sub_f32_e32 v55, v55, v65
	v_add_f32_e32 v55, v55, v64
	v_exp_f32_e32 v55, v55
	v_cvt_i32_f32_e32 v64, v65
	s_mov_b32 s58, 0xc2ce8ed0
	v_cmp_ngt_f32_e64 s[58:59], s58, v54
	s_mov_b32 s66, 0x7f800000
	v_ldexp_f32 v55, v55, v64
	v_cndmask_b32_e64 v55, 0, v55, s[58:59]
	s_mov_b32 s58, 0x42b17218
	v_mov_b32_e32 v64, 0x7f800000
	v_cmp_nlt_f32_e64 s[58:59], s58, v54
	s_nop 1
	v_cndmask_b32_e64 v133, v64, v55, s[58:59]
	v_add_f32_e32 v64, 1.0, v133
	v_add_f32_e32 v54, -1.0, v64
	v_sub_f32_e32 v55, v54, v64
	v_add_f32_e32 v55, 1.0, v55
	v_sub_f32_e32 v54, v133, v54
	v_add_f32_e32 v65, v54, v55
	v_frexp_mant_f32_e32 v66, v64
	s_mov_b32 s58, 0x3f2aaaab
	v_cvt_f64_f32_e32 v[54:55], v64
	v_frexp_exp_i32_f64_e32 v54, v[54:55]
	v_cmp_gt_f32_e64 s[58:59], s58, v66
	s_nop 1
	v_subbrev_co_u32_e64 v134, s[58:59], 0, v54, s[58:59]
	v_sub_u32_e32 v54, 0, v134
	v_ldexp_f32 v55, v64, v54
	v_add_f32_e32 v64, -1.0, v55
	v_add_f32_e32 v66, 1.0, v55
	v_ldexp_f32 v54, v65, v54
	v_add_f32_e32 v65, 1.0, v64
	v_add_f32_e32 v67, -1.0, v66
	v_sub_f32_e32 v65, v55, v65
	v_sub_f32_e32 v55, v55, v67
	v_add_f32_e32 v65, v54, v65
	v_add_f32_e32 v54, v54, v55
	;; [unrolled: 1-line block ×3, first 2 shown]
	v_rcp_f32_e32 v145, v135
	v_sub_f32_e32 v55, v66, v135
	v_add_f32_e32 v144, v54, v55
	v_add_f32_e32 v55, v64, v65
	v_mul_f32_e32 v147, v55, v145
	v_sub_f32_e32 v54, v64, v55
	v_mul_f32_e32 v64, v135, v147
	v_fma_f32 v66, v147, v135, -v64
	v_fmac_f32_e32 v66, v147, v144
	v_add_f32_e32 v146, v65, v54
	v_add_f32_e32 v54, v64, v66
	v_sub_f32_e32 v65, v55, v54
	v_pk_add_f32 v[68:69], v[54:55], v[64:65] neg_lo:[0,1] neg_hi:[0,1]
	v_mov_b32_e32 v67, v54
	v_pk_add_f32 v[54:55], v[68:69], v[66:67] neg_lo:[0,1] neg_hi:[0,1]
	s_mov_b32 s58, 0x3f317218
	v_add_f32_e32 v55, v146, v55
	v_add_f32_e32 v54, v54, v55
	;; [unrolled: 1-line block ×3, first 2 shown]
	v_mul_f32_e32 v146, v145, v55
	v_mul_f32_e32 v64, v135, v146
	v_fma_f32 v66, v146, v135, -v64
	v_fmac_f32_e32 v66, v146, v144
	v_sub_f32_e32 v65, v65, v55
	v_add_f32_e32 v135, v54, v65
	v_add_f32_e32 v54, v64, v66
	v_sub_f32_e32 v65, v55, v54
	v_pk_add_f32 v[68:69], v[54:55], v[64:65] neg_lo:[0,1] neg_hi:[0,1]
	v_mov_b32_e32 v67, v54
	v_pk_add_f32 v[54:55], v[68:69], v[66:67] neg_lo:[0,1] neg_hi:[0,1]
	v_cvt_f32_i32_e32 v64, v134
	v_add_f32_e32 v55, v135, v55
	v_add_f32_e32 v54, v54, v55
	;; [unrolled: 1-line block ×4, first 2 shown]
	v_sub_f32_e32 v55, v65, v147
	v_mul_f32_e32 v54, v145, v54
	v_sub_f32_e32 v55, v146, v55
	v_add_f32_e32 v54, v55, v54
	v_add_f32_e32 v66, v65, v54
	v_mul_f32_e32 v68, v66, v66
	v_mov_b32_e32 v55, 0x3ecc95a3
	v_sub_f32_e32 v65, v66, v65
	v_fmac_f32_e32 v55, 0x3e9b6dac, v68
	v_sub_f32_e32 v54, v54, v65
	v_fmaak_f32 v55, v68, v55, 0x3f2aaada
	v_ldexp_f32 v69, v54, 1
	v_mul_f32_e32 v65, v66, v68
	v_mov_b32_e32 v54, 0x3f317218
	v_pk_mul_f32 v[54:55], v[64:65], v[54:55]
	v_ldexp_f32 v67, v66, 1
	v_fma_f32 v65, v64, s58, -v54
	v_fmamk_f32 v66, v64, 0xb102e308, v65
	v_pk_add_f32 v[64:65], v[54:55], v[66:67]
	v_mov_b32_e32 v68, v54
	v_sub_f32_e32 v67, v65, v67
	v_sub_f32_e32 v67, v55, v67
	v_add_f32_e32 v69, v69, v67
	v_pk_add_f32 v[54:55], v[64:65], v[54:55] neg_lo:[0,1] neg_hi:[0,1]
	v_pk_add_f32 v[134:135], v[64:65], v[68:69]
	v_mov_b32_e32 v67, v64
	v_mov_b32_e32 v55, v135
	v_pk_add_f32 v[144:145], v[66:67], v[54:55] neg_lo:[0,1] neg_hi:[0,1]
	v_pk_add_f32 v[54:55], v[66:67], v[54:55]
	v_mov_b32_e32 v68, v69
	v_mov_b32_e32 v66, v55
	v_pk_add_f32 v[146:147], v[66:67], v[64:65] neg_lo:[0,1] neg_hi:[0,1]
	v_mov_b32_e32 v54, v135
	v_mov_b32_e32 v67, v146
	v_pk_add_f32 v[148:149], v[134:135], v[66:67] neg_lo:[0,1] neg_hi:[0,1]
	v_mov_b32_e32 v134, v65
	v_mov_b32_e32 v135, v146
	;; [unrolled: 1-line block ×3, first 2 shown]
	v_pk_add_f32 v[54:55], v[54:55], v[134:135] neg_lo:[0,1] neg_hi:[0,1]
	v_mov_b32_e32 v69, v64
	v_pk_add_f32 v[54:55], v[68:69], v[54:55] neg_lo:[0,1] neg_hi:[0,1]
	v_mov_b32_e32 v148, v144
	v_pk_add_f32 v[64:65], v[148:149], v[54:55]
	v_cmp_eq_f32_e64 s[58:59], s66, v133
	v_mov_b32_e32 v68, v65
	v_pk_add_f32 v[68:69], v[64:65], v[68:69]
	s_mov_b32 s66, 0x33800000
	v_pk_add_f32 v[66:67], v[66:67], v[68:69]
	v_mov_b32_e32 v55, v68
	v_mov_b32_e32 v65, v66
	v_pk_add_f32 v[134:135], v[64:65], v[144:145] neg_lo:[0,1] neg_hi:[0,1]
	v_cmp_lt_f32_e64 s[66:67], |v133|, s66
	v_sub_f32_e32 v64, v64, v134
	v_pk_add_f32 v[54:55], v[54:55], v[134:135] neg_lo:[0,1] neg_hi:[0,1]
	v_sub_f32_e32 v64, v144, v64
	v_add_f32_e32 v54, v54, v64
	v_add_f32_e32 v54, v54, v55
	;; [unrolled: 1-line block ×3, first 2 shown]
	s_or_b64 s[58:59], s[58:59], s[66:67]
	v_cndmask_b32_e64 v54, v54, v133, s[58:59]
	v_add_f32_e32 v55, v53, v54
.LBB121_131:
	s_or_b64 exec, exec, s[60:61]
	v_mov_b32_e32 v54, v55
.LBB121_132:
	s_or_b64 exec, exec, s[64:65]
	v_add_u32_e32 v53, -1, v49
	v_and_b32_e32 v55, 64, v49
	v_cmp_lt_i32_e64 s[58:59], v53, v55
	s_movk_i32 s60, 0x1f8
	s_nop 0
	v_cndmask_b32_e64 v49, v53, v49, s[58:59]
	v_lshlrev_b32_e32 v49, 2, v49
	ds_bpermute_b32 v49, v49, v54
	s_waitcnt lgkmcnt(0)
	v_max_f32_e32 v53, v49, v49
	v_min_f32_e32 v54, v53, v51
	v_max_f32_e32 v53, v53, v51
	v_cmp_u_f32_e64 s[58:59], v49, v49
	s_nop 1
	v_cndmask_b32_e64 v51, v54, v49, s[58:59]
	v_cndmask_b32_e64 v53, v53, v49, s[58:59]
	;; [unrolled: 1-line block ×4, first 2 shown]
	v_cmp_neq_f32_e64 s[56:57], v51, v48
	v_cmp_class_f32_e64 s[58:59], v51, s60
	s_or_b64 s[56:57], s[56:57], s[58:59]
	s_and_saveexec_b64 s[58:59], s[56:57]
	s_cbranch_execz .LBB121_134
; %bb.133:
	v_sub_f32_e32 v49, v51, v48
	s_mov_b32 s56, 0x3fb8aa3b
	v_mul_f32_e32 v51, 0x3fb8aa3b, v49
	v_fma_f32 v53, v49, s56, -v51
	v_rndne_f32_e32 v54, v51
	v_fmamk_f32 v53, v49, 0x32a5705f, v53
	v_sub_f32_e32 v51, v51, v54
	v_add_f32_e32 v51, v51, v53
	v_exp_f32_e32 v51, v51
	v_cvt_i32_f32_e32 v53, v54
	s_mov_b32 s56, 0xc2ce8ed0
	v_cmp_ngt_f32_e64 s[56:57], s56, v49
	s_mov_b32 s61, 0x7f800000
	v_ldexp_f32 v51, v51, v53
	v_cndmask_b32_e64 v51, 0, v51, s[56:57]
	s_mov_b32 s56, 0x42b17218
	v_mov_b32_e32 v53, 0x7f800000
	v_cmp_nlt_f32_e64 s[56:57], s56, v49
	s_nop 1
	v_cndmask_b32_e64 v51, v53, v51, s[56:57]
	v_add_f32_e32 v49, 1.0, v51
	v_add_f32_e32 v53, -1.0, v49
	v_sub_f32_e32 v54, v53, v49
	v_add_f32_e32 v54, 1.0, v54
	v_sub_f32_e32 v53, v51, v53
	v_add_f32_e32 v53, v53, v54
	v_frexp_mant_f32_e32 v64, v49
	s_mov_b32 s56, 0x3f2aaaab
	v_cvt_f64_f32_e32 v[54:55], v49
	v_frexp_exp_i32_f64_e32 v54, v[54:55]
	v_cmp_gt_f32_e64 s[56:57], s56, v64
	s_nop 1
	v_subbrev_co_u32_e64 v133, s[56:57], 0, v54, s[56:57]
	v_sub_u32_e32 v54, 0, v133
	v_ldexp_f32 v49, v49, v54
	v_ldexp_f32 v53, v53, v54
	v_add_f32_e32 v54, -1.0, v49
	v_add_f32_e32 v55, 1.0, v54
	v_sub_f32_e32 v55, v49, v55
	v_add_f32_e32 v64, v53, v55
	v_add_f32_e32 v55, 1.0, v49
	v_add_f32_e32 v65, -1.0, v55
	v_sub_f32_e32 v49, v49, v65
	v_add_f32_e32 v49, v53, v49
	v_add_f32_e32 v53, v55, v49
	v_rcp_f32_e32 v134, v53
	v_sub_f32_e32 v55, v55, v53
	v_add_f32_e32 v49, v49, v55
	v_add_f32_e32 v55, v54, v64
	v_sub_f32_e32 v54, v54, v55
	v_mul_f32_e32 v144, v55, v134
	v_add_f32_e32 v135, v64, v54
	v_mul_f32_e32 v64, v53, v144
	v_fma_f32 v66, v144, v53, -v64
	v_fmac_f32_e32 v66, v144, v49
	v_add_f32_e32 v54, v64, v66
	v_sub_f32_e32 v65, v55, v54
	v_pk_add_f32 v[68:69], v[54:55], v[64:65] neg_lo:[0,1] neg_hi:[0,1]
	v_mov_b32_e32 v67, v54
	v_pk_add_f32 v[54:55], v[68:69], v[66:67] neg_lo:[0,1] neg_hi:[0,1]
	s_mov_b32 s56, 0x3f317218
	v_add_f32_e32 v55, v135, v55
	v_add_f32_e32 v54, v54, v55
	;; [unrolled: 1-line block ×3, first 2 shown]
	v_mul_f32_e32 v135, v134, v55
	v_mul_f32_e32 v64, v53, v135
	v_fma_f32 v66, v135, v53, -v64
	v_fmac_f32_e32 v66, v135, v49
	v_sub_f32_e32 v49, v65, v55
	v_add_f32_e32 v49, v54, v49
	v_add_f32_e32 v54, v64, v66
	v_sub_f32_e32 v65, v55, v54
	v_pk_add_f32 v[68:69], v[54:55], v[64:65] neg_lo:[0,1] neg_hi:[0,1]
	v_mov_b32_e32 v67, v54
	v_pk_add_f32 v[54:55], v[68:69], v[66:67] neg_lo:[0,1] neg_hi:[0,1]
	v_add_f32_e32 v53, v144, v135
	v_add_f32_e32 v49, v49, v55
	;; [unrolled: 1-line block ×4, first 2 shown]
	v_sub_f32_e32 v54, v53, v144
	v_mul_f32_e32 v49, v134, v49
	v_sub_f32_e32 v54, v135, v54
	v_add_f32_e32 v49, v54, v49
	v_add_f32_e32 v54, v53, v49
	v_cvt_f32_i32_e32 v64, v133
	v_mul_f32_e32 v65, v54, v54
	v_mov_b32_e32 v55, 0x3ecc95a3
	v_fmac_f32_e32 v55, 0x3e9b6dac, v65
	v_fmaak_f32 v55, v65, v55, 0x3f2aaada
	v_sub_f32_e32 v53, v54, v53
	v_ldexp_f32 v67, v54, 1
	v_mul_f32_e32 v65, v54, v65
	v_mov_b32_e32 v54, 0x3f317218
	v_pk_mul_f32 v[54:55], v[64:65], v[54:55]
	v_sub_f32_e32 v49, v49, v53
	v_fma_f32 v53, v64, s56, -v54
	v_fmamk_f32 v66, v64, 0xb102e308, v53
	v_pk_add_f32 v[64:65], v[54:55], v[66:67]
	v_ldexp_f32 v49, v49, 1
	v_sub_f32_e32 v53, v65, v67
	v_sub_f32_e32 v53, v55, v53
	v_add_f32_e32 v69, v49, v53
	v_mov_b32_e32 v68, v54
	v_pk_add_f32 v[54:55], v[64:65], v[54:55] neg_lo:[0,1] neg_hi:[0,1]
	v_pk_add_f32 v[134:135], v[64:65], v[68:69]
	v_mov_b32_e32 v67, v64
	v_mov_b32_e32 v55, v135
	v_pk_add_f32 v[144:145], v[66:67], v[54:55] neg_lo:[0,1] neg_hi:[0,1]
	v_pk_add_f32 v[54:55], v[66:67], v[54:55]
	v_mov_b32_e32 v68, v69
	v_mov_b32_e32 v66, v55
	v_pk_add_f32 v[146:147], v[66:67], v[64:65] neg_lo:[0,1] neg_hi:[0,1]
	v_mov_b32_e32 v54, v135
	v_mov_b32_e32 v49, v146
	v_pk_add_f32 v[148:149], v[134:135], v[48:49] neg_lo:[0,1] neg_hi:[0,1]
	v_mov_b32_e32 v134, v65
	v_mov_b32_e32 v135, v146
	v_mov_b32_e32 v145, v55
	v_pk_add_f32 v[54:55], v[54:55], v[134:135] neg_lo:[0,1] neg_hi:[0,1]
	v_mov_b32_e32 v69, v64
	v_pk_add_f32 v[54:55], v[68:69], v[54:55] neg_lo:[0,1] neg_hi:[0,1]
	v_mov_b32_e32 v148, v144
	v_pk_add_f32 v[64:65], v[148:149], v[54:55]
	v_cmp_eq_f32_e64 s[56:57], s61, v51
	v_mov_b32_e32 v68, v65
	v_pk_add_f32 v[68:69], v[64:65], v[68:69]
	s_mov_b32 s61, 0x33800000
	v_pk_add_f32 v[66:67], v[66:67], v[68:69]
	v_mov_b32_e32 v55, v68
	v_mov_b32_e32 v65, v66
	v_pk_add_f32 v[134:135], v[64:65], v[144:145] neg_lo:[0,1] neg_hi:[0,1]
	v_cmp_lt_f32_e64 s[64:65], |v51|, s61
	v_sub_f32_e32 v49, v64, v134
	v_pk_add_f32 v[54:55], v[54:55], v[134:135] neg_lo:[0,1] neg_hi:[0,1]
	v_sub_f32_e32 v49, v144, v49
	v_add_f32_e32 v49, v54, v49
	v_add_f32_e32 v49, v49, v55
	;; [unrolled: 1-line block ×3, first 2 shown]
	s_or_b64 s[56:57], s[56:57], s[64:65]
	v_cndmask_b32_e64 v49, v49, v51, s[56:57]
	v_add_f32_e32 v49, v48, v49
.LBB121_134:
	s_or_b64 exec, exec, s[58:59]
	v_cndmask_b32_e64 v49, v49, v132, s[4:5]
	; wave barrier
	ds_write_b32 v50, v49
	; wave barrier
	ds_read_b32 v48, v50 offset:4
	v_max_f32_e32 v53, v49, v49
	v_cmp_u_f32_e64 s[56:57], v49, v49
	s_waitcnt lgkmcnt(0)
	v_max_f32_e32 v54, v48, v48
	v_min_f32_e32 v51, v53, v54
	v_max_f32_e32 v53, v53, v54
	v_cndmask_b32_e64 v51, v51, v49, s[56:57]
	v_cmp_u_f32_e64 s[58:59], v48, v48
	v_cndmask_b32_e64 v53, v53, v49, s[56:57]
	s_nop 0
	v_cndmask_b32_e64 v51, v51, v48, s[58:59]
	v_cndmask_b32_e64 v48, v53, v48, s[58:59]
	v_cmp_neq_f32_e64 s[56:57], v51, v48
	v_cmp_class_f32_e64 s[58:59], v51, s60
	s_or_b64 s[56:57], s[56:57], s[58:59]
	s_and_saveexec_b64 s[58:59], s[56:57]
	s_cbranch_execz .LBB121_136
; %bb.135:
	v_sub_f32_e32 v49, v51, v48
	s_mov_b32 s56, 0x3fb8aa3b
	v_mul_f32_e32 v51, 0x3fb8aa3b, v49
	v_fma_f32 v53, v49, s56, -v51
	v_rndne_f32_e32 v54, v51
	v_fmamk_f32 v53, v49, 0x32a5705f, v53
	v_sub_f32_e32 v51, v51, v54
	v_add_f32_e32 v51, v51, v53
	v_exp_f32_e32 v51, v51
	v_cvt_i32_f32_e32 v53, v54
	s_mov_b32 s56, 0xc2ce8ed0
	v_cmp_ngt_f32_e64 s[56:57], s56, v49
	s_mov_b32 s60, 0x7f800000
	v_ldexp_f32 v51, v51, v53
	v_cndmask_b32_e64 v51, 0, v51, s[56:57]
	s_mov_b32 s56, 0x42b17218
	v_mov_b32_e32 v53, 0x7f800000
	v_cmp_nlt_f32_e64 s[56:57], s56, v49
	s_nop 1
	v_cndmask_b32_e64 v51, v53, v51, s[56:57]
	v_add_f32_e32 v49, 1.0, v51
	v_add_f32_e32 v53, -1.0, v49
	v_sub_f32_e32 v54, v53, v49
	v_add_f32_e32 v54, 1.0, v54
	v_sub_f32_e32 v53, v51, v53
	v_add_f32_e32 v53, v53, v54
	v_frexp_mant_f32_e32 v64, v49
	s_mov_b32 s56, 0x3f2aaaab
	v_cvt_f64_f32_e32 v[54:55], v49
	v_frexp_exp_i32_f64_e32 v54, v[54:55]
	v_cmp_gt_f32_e64 s[56:57], s56, v64
	s_nop 1
	v_subbrev_co_u32_e64 v133, s[56:57], 0, v54, s[56:57]
	v_sub_u32_e32 v54, 0, v133
	v_ldexp_f32 v49, v49, v54
	v_ldexp_f32 v53, v53, v54
	v_add_f32_e32 v54, -1.0, v49
	v_add_f32_e32 v55, 1.0, v54
	v_sub_f32_e32 v55, v49, v55
	v_add_f32_e32 v64, v53, v55
	v_add_f32_e32 v55, 1.0, v49
	v_add_f32_e32 v65, -1.0, v55
	v_sub_f32_e32 v49, v49, v65
	v_add_f32_e32 v49, v53, v49
	v_add_f32_e32 v53, v55, v49
	v_rcp_f32_e32 v134, v53
	v_sub_f32_e32 v55, v55, v53
	v_add_f32_e32 v49, v49, v55
	v_add_f32_e32 v55, v54, v64
	v_sub_f32_e32 v54, v54, v55
	v_mul_f32_e32 v144, v55, v134
	v_add_f32_e32 v135, v64, v54
	v_mul_f32_e32 v64, v53, v144
	v_fma_f32 v66, v144, v53, -v64
	v_fmac_f32_e32 v66, v144, v49
	v_add_f32_e32 v54, v64, v66
	v_sub_f32_e32 v65, v55, v54
	v_pk_add_f32 v[68:69], v[54:55], v[64:65] neg_lo:[0,1] neg_hi:[0,1]
	v_mov_b32_e32 v67, v54
	v_pk_add_f32 v[54:55], v[68:69], v[66:67] neg_lo:[0,1] neg_hi:[0,1]
	s_mov_b32 s56, 0x3f317218
	v_add_f32_e32 v55, v135, v55
	v_add_f32_e32 v54, v54, v55
	v_add_f32_e32 v55, v65, v54
	v_mul_f32_e32 v135, v134, v55
	v_mul_f32_e32 v64, v53, v135
	v_fma_f32 v66, v135, v53, -v64
	v_fmac_f32_e32 v66, v135, v49
	v_sub_f32_e32 v49, v65, v55
	v_add_f32_e32 v49, v54, v49
	v_add_f32_e32 v54, v64, v66
	v_sub_f32_e32 v65, v55, v54
	v_pk_add_f32 v[68:69], v[54:55], v[64:65] neg_lo:[0,1] neg_hi:[0,1]
	v_mov_b32_e32 v67, v54
	v_pk_add_f32 v[54:55], v[68:69], v[66:67] neg_lo:[0,1] neg_hi:[0,1]
	v_add_f32_e32 v53, v144, v135
	v_add_f32_e32 v49, v49, v55
	;; [unrolled: 1-line block ×4, first 2 shown]
	v_sub_f32_e32 v54, v53, v144
	v_mul_f32_e32 v49, v134, v49
	v_sub_f32_e32 v54, v135, v54
	v_add_f32_e32 v49, v54, v49
	v_add_f32_e32 v54, v53, v49
	v_cvt_f32_i32_e32 v64, v133
	v_mul_f32_e32 v65, v54, v54
	v_mov_b32_e32 v55, 0x3ecc95a3
	v_fmac_f32_e32 v55, 0x3e9b6dac, v65
	v_fmaak_f32 v55, v65, v55, 0x3f2aaada
	v_sub_f32_e32 v53, v54, v53
	v_ldexp_f32 v67, v54, 1
	v_mul_f32_e32 v65, v54, v65
	v_mov_b32_e32 v54, 0x3f317218
	v_pk_mul_f32 v[54:55], v[64:65], v[54:55]
	v_sub_f32_e32 v49, v49, v53
	v_fma_f32 v53, v64, s56, -v54
	v_fmamk_f32 v66, v64, 0xb102e308, v53
	v_pk_add_f32 v[64:65], v[54:55], v[66:67]
	v_ldexp_f32 v49, v49, 1
	v_sub_f32_e32 v53, v65, v67
	v_sub_f32_e32 v53, v55, v53
	v_add_f32_e32 v69, v49, v53
	v_mov_b32_e32 v68, v54
	v_pk_add_f32 v[54:55], v[64:65], v[54:55] neg_lo:[0,1] neg_hi:[0,1]
	v_pk_add_f32 v[134:135], v[64:65], v[68:69]
	v_mov_b32_e32 v67, v64
	v_mov_b32_e32 v55, v135
	v_pk_add_f32 v[144:145], v[66:67], v[54:55] neg_lo:[0,1] neg_hi:[0,1]
	v_pk_add_f32 v[54:55], v[66:67], v[54:55]
	v_mov_b32_e32 v68, v69
	v_mov_b32_e32 v66, v55
	v_pk_add_f32 v[146:147], v[66:67], v[64:65] neg_lo:[0,1] neg_hi:[0,1]
	v_mov_b32_e32 v54, v135
	v_mov_b32_e32 v49, v146
	v_pk_add_f32 v[148:149], v[134:135], v[48:49] neg_lo:[0,1] neg_hi:[0,1]
	v_mov_b32_e32 v134, v65
	v_mov_b32_e32 v135, v146
	;; [unrolled: 1-line block ×3, first 2 shown]
	v_pk_add_f32 v[54:55], v[54:55], v[134:135] neg_lo:[0,1] neg_hi:[0,1]
	v_mov_b32_e32 v69, v64
	v_pk_add_f32 v[54:55], v[68:69], v[54:55] neg_lo:[0,1] neg_hi:[0,1]
	v_mov_b32_e32 v148, v144
	v_pk_add_f32 v[64:65], v[148:149], v[54:55]
	v_cmp_eq_f32_e64 s[56:57], s60, v51
	v_mov_b32_e32 v68, v65
	v_pk_add_f32 v[68:69], v[64:65], v[68:69]
	s_mov_b32 s60, 0x33800000
	v_pk_add_f32 v[66:67], v[66:67], v[68:69]
	v_mov_b32_e32 v55, v68
	v_mov_b32_e32 v65, v66
	v_pk_add_f32 v[134:135], v[64:65], v[144:145] neg_lo:[0,1] neg_hi:[0,1]
	v_cmp_lt_f32_e64 s[60:61], |v51|, s60
	v_sub_f32_e32 v49, v64, v134
	v_pk_add_f32 v[54:55], v[54:55], v[134:135] neg_lo:[0,1] neg_hi:[0,1]
	v_sub_f32_e32 v49, v144, v49
	v_add_f32_e32 v49, v54, v49
	v_add_f32_e32 v49, v49, v55
	;; [unrolled: 1-line block ×3, first 2 shown]
	s_or_b64 s[56:57], s[56:57], s[60:61]
	v_cndmask_b32_e64 v49, v49, v51, s[56:57]
	v_add_f32_e32 v49, v48, v49
.LBB121_136:
	s_or_b64 exec, exec, s[58:59]
	ds_read_b32 v48, v50 offset:8
	v_max_f32_e32 v53, v49, v49
	v_cmp_u_f32_e64 s[56:57], v49, v49
	s_movk_i32 s60, 0x1f8
	ds_write_b32 v50, v49 offset:4
	s_waitcnt lgkmcnt(1)
	v_max_f32_e32 v54, v48, v48
	v_min_f32_e32 v51, v53, v54
	v_max_f32_e32 v53, v53, v54
	v_cndmask_b32_e64 v51, v51, v49, s[56:57]
	v_cmp_u_f32_e64 s[58:59], v48, v48
	v_cndmask_b32_e64 v53, v53, v49, s[56:57]
	s_nop 0
	v_cndmask_b32_e64 v51, v51, v48, s[58:59]
	v_cndmask_b32_e64 v48, v53, v48, s[58:59]
	v_cmp_neq_f32_e64 s[56:57], v51, v48
	v_cmp_class_f32_e64 s[58:59], v51, s60
	s_or_b64 s[56:57], s[56:57], s[58:59]
	s_and_saveexec_b64 s[58:59], s[56:57]
	s_cbranch_execz .LBB121_138
; %bb.137:
	v_sub_f32_e32 v49, v51, v48
	s_mov_b32 s56, 0x3fb8aa3b
	v_mul_f32_e32 v51, 0x3fb8aa3b, v49
	v_fma_f32 v53, v49, s56, -v51
	v_rndne_f32_e32 v54, v51
	v_fmamk_f32 v53, v49, 0x32a5705f, v53
	v_sub_f32_e32 v51, v51, v54
	v_add_f32_e32 v51, v51, v53
	v_exp_f32_e32 v51, v51
	v_cvt_i32_f32_e32 v53, v54
	s_mov_b32 s56, 0xc2ce8ed0
	v_cmp_ngt_f32_e64 s[56:57], s56, v49
	s_mov_b32 s61, 0x7f800000
	v_ldexp_f32 v51, v51, v53
	v_cndmask_b32_e64 v51, 0, v51, s[56:57]
	s_mov_b32 s56, 0x42b17218
	v_mov_b32_e32 v53, 0x7f800000
	v_cmp_nlt_f32_e64 s[56:57], s56, v49
	s_nop 1
	v_cndmask_b32_e64 v51, v53, v51, s[56:57]
	v_add_f32_e32 v49, 1.0, v51
	v_add_f32_e32 v53, -1.0, v49
	v_sub_f32_e32 v54, v53, v49
	v_add_f32_e32 v54, 1.0, v54
	v_sub_f32_e32 v53, v51, v53
	v_add_f32_e32 v53, v53, v54
	v_frexp_mant_f32_e32 v64, v49
	s_mov_b32 s56, 0x3f2aaaab
	v_cvt_f64_f32_e32 v[54:55], v49
	v_frexp_exp_i32_f64_e32 v54, v[54:55]
	v_cmp_gt_f32_e64 s[56:57], s56, v64
	s_nop 1
	v_subbrev_co_u32_e64 v133, s[56:57], 0, v54, s[56:57]
	v_sub_u32_e32 v54, 0, v133
	v_ldexp_f32 v49, v49, v54
	v_ldexp_f32 v53, v53, v54
	v_add_f32_e32 v54, -1.0, v49
	v_add_f32_e32 v55, 1.0, v54
	v_sub_f32_e32 v55, v49, v55
	v_add_f32_e32 v64, v53, v55
	v_add_f32_e32 v55, 1.0, v49
	v_add_f32_e32 v65, -1.0, v55
	v_sub_f32_e32 v49, v49, v65
	v_add_f32_e32 v49, v53, v49
	v_add_f32_e32 v53, v55, v49
	v_rcp_f32_e32 v134, v53
	v_sub_f32_e32 v55, v55, v53
	v_add_f32_e32 v49, v49, v55
	v_add_f32_e32 v55, v54, v64
	v_sub_f32_e32 v54, v54, v55
	v_mul_f32_e32 v144, v55, v134
	v_add_f32_e32 v135, v64, v54
	v_mul_f32_e32 v64, v53, v144
	v_fma_f32 v66, v144, v53, -v64
	v_fmac_f32_e32 v66, v144, v49
	v_add_f32_e32 v54, v64, v66
	v_sub_f32_e32 v65, v55, v54
	v_pk_add_f32 v[68:69], v[54:55], v[64:65] neg_lo:[0,1] neg_hi:[0,1]
	v_mov_b32_e32 v67, v54
	v_pk_add_f32 v[54:55], v[68:69], v[66:67] neg_lo:[0,1] neg_hi:[0,1]
	s_mov_b32 s56, 0x3f317218
	v_add_f32_e32 v55, v135, v55
	v_add_f32_e32 v54, v54, v55
	;; [unrolled: 1-line block ×3, first 2 shown]
	v_mul_f32_e32 v135, v134, v55
	v_mul_f32_e32 v64, v53, v135
	v_fma_f32 v66, v135, v53, -v64
	v_fmac_f32_e32 v66, v135, v49
	v_sub_f32_e32 v49, v65, v55
	v_add_f32_e32 v49, v54, v49
	v_add_f32_e32 v54, v64, v66
	v_sub_f32_e32 v65, v55, v54
	v_pk_add_f32 v[68:69], v[54:55], v[64:65] neg_lo:[0,1] neg_hi:[0,1]
	v_mov_b32_e32 v67, v54
	v_pk_add_f32 v[54:55], v[68:69], v[66:67] neg_lo:[0,1] neg_hi:[0,1]
	v_add_f32_e32 v53, v144, v135
	v_add_f32_e32 v49, v49, v55
	;; [unrolled: 1-line block ×4, first 2 shown]
	v_sub_f32_e32 v54, v53, v144
	v_mul_f32_e32 v49, v134, v49
	v_sub_f32_e32 v54, v135, v54
	v_add_f32_e32 v49, v54, v49
	v_add_f32_e32 v54, v53, v49
	v_cvt_f32_i32_e32 v64, v133
	v_mul_f32_e32 v65, v54, v54
	v_mov_b32_e32 v55, 0x3ecc95a3
	v_fmac_f32_e32 v55, 0x3e9b6dac, v65
	v_fmaak_f32 v55, v65, v55, 0x3f2aaada
	v_sub_f32_e32 v53, v54, v53
	v_ldexp_f32 v67, v54, 1
	v_mul_f32_e32 v65, v54, v65
	v_mov_b32_e32 v54, 0x3f317218
	v_pk_mul_f32 v[54:55], v[64:65], v[54:55]
	v_sub_f32_e32 v49, v49, v53
	v_fma_f32 v53, v64, s56, -v54
	v_fmamk_f32 v66, v64, 0xb102e308, v53
	v_pk_add_f32 v[64:65], v[54:55], v[66:67]
	v_ldexp_f32 v49, v49, 1
	v_sub_f32_e32 v53, v65, v67
	v_sub_f32_e32 v53, v55, v53
	v_add_f32_e32 v69, v49, v53
	v_mov_b32_e32 v68, v54
	v_pk_add_f32 v[54:55], v[64:65], v[54:55] neg_lo:[0,1] neg_hi:[0,1]
	v_pk_add_f32 v[134:135], v[64:65], v[68:69]
	v_mov_b32_e32 v67, v64
	v_mov_b32_e32 v55, v135
	v_pk_add_f32 v[144:145], v[66:67], v[54:55] neg_lo:[0,1] neg_hi:[0,1]
	v_pk_add_f32 v[54:55], v[66:67], v[54:55]
	v_mov_b32_e32 v68, v69
	v_mov_b32_e32 v66, v55
	v_pk_add_f32 v[146:147], v[66:67], v[64:65] neg_lo:[0,1] neg_hi:[0,1]
	v_mov_b32_e32 v54, v135
	v_mov_b32_e32 v49, v146
	v_pk_add_f32 v[148:149], v[134:135], v[48:49] neg_lo:[0,1] neg_hi:[0,1]
	v_mov_b32_e32 v134, v65
	v_mov_b32_e32 v135, v146
	;; [unrolled: 1-line block ×3, first 2 shown]
	v_pk_add_f32 v[54:55], v[54:55], v[134:135] neg_lo:[0,1] neg_hi:[0,1]
	v_mov_b32_e32 v69, v64
	v_pk_add_f32 v[54:55], v[68:69], v[54:55] neg_lo:[0,1] neg_hi:[0,1]
	v_mov_b32_e32 v148, v144
	v_pk_add_f32 v[64:65], v[148:149], v[54:55]
	v_cmp_eq_f32_e64 s[56:57], s61, v51
	v_mov_b32_e32 v68, v65
	v_pk_add_f32 v[68:69], v[64:65], v[68:69]
	s_mov_b32 s61, 0x33800000
	v_pk_add_f32 v[66:67], v[66:67], v[68:69]
	v_mov_b32_e32 v55, v68
	v_mov_b32_e32 v65, v66
	v_pk_add_f32 v[134:135], v[64:65], v[144:145] neg_lo:[0,1] neg_hi:[0,1]
	v_cmp_lt_f32_e64 s[64:65], |v51|, s61
	v_sub_f32_e32 v49, v64, v134
	v_pk_add_f32 v[54:55], v[54:55], v[134:135] neg_lo:[0,1] neg_hi:[0,1]
	v_sub_f32_e32 v49, v144, v49
	v_add_f32_e32 v49, v54, v49
	v_add_f32_e32 v49, v49, v55
	;; [unrolled: 1-line block ×3, first 2 shown]
	s_or_b64 s[56:57], s[56:57], s[64:65]
	v_cndmask_b32_e64 v49, v49, v51, s[56:57]
	v_add_f32_e32 v49, v48, v49
.LBB121_138:
	s_or_b64 exec, exec, s[58:59]
	ds_read_b32 v48, v50 offset:12
	v_max_f32_e32 v53, v49, v49
	v_cmp_u_f32_e64 s[56:57], v49, v49
	ds_write_b32 v50, v49 offset:8
	s_waitcnt lgkmcnt(1)
	v_max_f32_e32 v54, v48, v48
	v_min_f32_e32 v51, v53, v54
	v_max_f32_e32 v53, v53, v54
	v_cndmask_b32_e64 v51, v51, v49, s[56:57]
	v_cmp_u_f32_e64 s[58:59], v48, v48
	v_cndmask_b32_e64 v53, v53, v49, s[56:57]
	s_nop 0
	v_cndmask_b32_e64 v51, v51, v48, s[58:59]
	v_cndmask_b32_e64 v48, v53, v48, s[58:59]
	v_cmp_neq_f32_e64 s[56:57], v51, v48
	v_cmp_class_f32_e64 s[58:59], v51, s60
	s_or_b64 s[56:57], s[56:57], s[58:59]
	s_and_saveexec_b64 s[58:59], s[56:57]
	s_cbranch_execz .LBB121_140
; %bb.139:
	v_sub_f32_e32 v49, v51, v48
	s_mov_b32 s56, 0x3fb8aa3b
	v_mul_f32_e32 v51, 0x3fb8aa3b, v49
	v_fma_f32 v53, v49, s56, -v51
	v_rndne_f32_e32 v54, v51
	v_fmamk_f32 v53, v49, 0x32a5705f, v53
	v_sub_f32_e32 v51, v51, v54
	v_add_f32_e32 v51, v51, v53
	v_exp_f32_e32 v51, v51
	v_cvt_i32_f32_e32 v53, v54
	s_mov_b32 s56, 0xc2ce8ed0
	v_cmp_ngt_f32_e64 s[56:57], s56, v49
	s_mov_b32 s60, 0x7f800000
	v_ldexp_f32 v51, v51, v53
	v_cndmask_b32_e64 v51, 0, v51, s[56:57]
	s_mov_b32 s56, 0x42b17218
	v_mov_b32_e32 v53, 0x7f800000
	v_cmp_nlt_f32_e64 s[56:57], s56, v49
	s_nop 1
	v_cndmask_b32_e64 v51, v53, v51, s[56:57]
	v_add_f32_e32 v49, 1.0, v51
	v_add_f32_e32 v53, -1.0, v49
	v_sub_f32_e32 v54, v53, v49
	v_add_f32_e32 v54, 1.0, v54
	v_sub_f32_e32 v53, v51, v53
	v_add_f32_e32 v53, v53, v54
	v_frexp_mant_f32_e32 v64, v49
	s_mov_b32 s56, 0x3f2aaaab
	v_cvt_f64_f32_e32 v[54:55], v49
	v_frexp_exp_i32_f64_e32 v54, v[54:55]
	v_cmp_gt_f32_e64 s[56:57], s56, v64
	s_nop 1
	v_subbrev_co_u32_e64 v133, s[56:57], 0, v54, s[56:57]
	v_sub_u32_e32 v54, 0, v133
	v_ldexp_f32 v49, v49, v54
	v_ldexp_f32 v53, v53, v54
	v_add_f32_e32 v54, -1.0, v49
	v_add_f32_e32 v55, 1.0, v54
	v_sub_f32_e32 v55, v49, v55
	v_add_f32_e32 v64, v53, v55
	v_add_f32_e32 v55, 1.0, v49
	v_add_f32_e32 v65, -1.0, v55
	v_sub_f32_e32 v49, v49, v65
	v_add_f32_e32 v49, v53, v49
	v_add_f32_e32 v53, v55, v49
	v_rcp_f32_e32 v134, v53
	v_sub_f32_e32 v55, v55, v53
	v_add_f32_e32 v49, v49, v55
	v_add_f32_e32 v55, v54, v64
	v_sub_f32_e32 v54, v54, v55
	v_mul_f32_e32 v144, v55, v134
	v_add_f32_e32 v135, v64, v54
	v_mul_f32_e32 v64, v53, v144
	v_fma_f32 v66, v144, v53, -v64
	v_fmac_f32_e32 v66, v144, v49
	v_add_f32_e32 v54, v64, v66
	v_sub_f32_e32 v65, v55, v54
	v_pk_add_f32 v[68:69], v[54:55], v[64:65] neg_lo:[0,1] neg_hi:[0,1]
	v_mov_b32_e32 v67, v54
	v_pk_add_f32 v[54:55], v[68:69], v[66:67] neg_lo:[0,1] neg_hi:[0,1]
	s_mov_b32 s56, 0x3f317218
	v_add_f32_e32 v55, v135, v55
	v_add_f32_e32 v54, v54, v55
	;; [unrolled: 1-line block ×3, first 2 shown]
	v_mul_f32_e32 v135, v134, v55
	v_mul_f32_e32 v64, v53, v135
	v_fma_f32 v66, v135, v53, -v64
	v_fmac_f32_e32 v66, v135, v49
	v_sub_f32_e32 v49, v65, v55
	v_add_f32_e32 v49, v54, v49
	v_add_f32_e32 v54, v64, v66
	v_sub_f32_e32 v65, v55, v54
	v_pk_add_f32 v[68:69], v[54:55], v[64:65] neg_lo:[0,1] neg_hi:[0,1]
	v_mov_b32_e32 v67, v54
	v_pk_add_f32 v[54:55], v[68:69], v[66:67] neg_lo:[0,1] neg_hi:[0,1]
	v_add_f32_e32 v53, v144, v135
	v_add_f32_e32 v49, v49, v55
	;; [unrolled: 1-line block ×4, first 2 shown]
	v_sub_f32_e32 v54, v53, v144
	v_mul_f32_e32 v49, v134, v49
	v_sub_f32_e32 v54, v135, v54
	v_add_f32_e32 v49, v54, v49
	v_add_f32_e32 v54, v53, v49
	v_cvt_f32_i32_e32 v64, v133
	v_mul_f32_e32 v65, v54, v54
	v_mov_b32_e32 v55, 0x3ecc95a3
	v_fmac_f32_e32 v55, 0x3e9b6dac, v65
	v_fmaak_f32 v55, v65, v55, 0x3f2aaada
	v_sub_f32_e32 v53, v54, v53
	v_ldexp_f32 v67, v54, 1
	v_mul_f32_e32 v65, v54, v65
	v_mov_b32_e32 v54, 0x3f317218
	v_pk_mul_f32 v[54:55], v[64:65], v[54:55]
	v_sub_f32_e32 v49, v49, v53
	v_fma_f32 v53, v64, s56, -v54
	v_fmamk_f32 v66, v64, 0xb102e308, v53
	v_pk_add_f32 v[64:65], v[54:55], v[66:67]
	v_ldexp_f32 v49, v49, 1
	v_sub_f32_e32 v53, v65, v67
	v_sub_f32_e32 v53, v55, v53
	v_add_f32_e32 v69, v49, v53
	v_mov_b32_e32 v68, v54
	v_pk_add_f32 v[54:55], v[64:65], v[54:55] neg_lo:[0,1] neg_hi:[0,1]
	v_pk_add_f32 v[134:135], v[64:65], v[68:69]
	v_mov_b32_e32 v67, v64
	v_mov_b32_e32 v55, v135
	v_pk_add_f32 v[144:145], v[66:67], v[54:55] neg_lo:[0,1] neg_hi:[0,1]
	v_pk_add_f32 v[54:55], v[66:67], v[54:55]
	v_mov_b32_e32 v68, v69
	v_mov_b32_e32 v66, v55
	v_pk_add_f32 v[146:147], v[66:67], v[64:65] neg_lo:[0,1] neg_hi:[0,1]
	v_mov_b32_e32 v54, v135
	v_mov_b32_e32 v49, v146
	v_pk_add_f32 v[148:149], v[134:135], v[48:49] neg_lo:[0,1] neg_hi:[0,1]
	v_mov_b32_e32 v134, v65
	v_mov_b32_e32 v135, v146
	;; [unrolled: 1-line block ×3, first 2 shown]
	v_pk_add_f32 v[54:55], v[54:55], v[134:135] neg_lo:[0,1] neg_hi:[0,1]
	v_mov_b32_e32 v69, v64
	v_pk_add_f32 v[54:55], v[68:69], v[54:55] neg_lo:[0,1] neg_hi:[0,1]
	v_mov_b32_e32 v148, v144
	v_pk_add_f32 v[64:65], v[148:149], v[54:55]
	v_cmp_eq_f32_e64 s[56:57], s60, v51
	v_mov_b32_e32 v68, v65
	v_pk_add_f32 v[68:69], v[64:65], v[68:69]
	s_mov_b32 s60, 0x33800000
	v_pk_add_f32 v[66:67], v[66:67], v[68:69]
	v_mov_b32_e32 v55, v68
	v_mov_b32_e32 v65, v66
	v_pk_add_f32 v[134:135], v[64:65], v[144:145] neg_lo:[0,1] neg_hi:[0,1]
	v_cmp_lt_f32_e64 s[60:61], |v51|, s60
	v_sub_f32_e32 v49, v64, v134
	v_pk_add_f32 v[54:55], v[54:55], v[134:135] neg_lo:[0,1] neg_hi:[0,1]
	v_sub_f32_e32 v49, v144, v49
	v_add_f32_e32 v49, v54, v49
	v_add_f32_e32 v49, v49, v55
	;; [unrolled: 1-line block ×3, first 2 shown]
	s_or_b64 s[56:57], s[56:57], s[60:61]
	v_cndmask_b32_e64 v49, v49, v51, s[56:57]
	v_add_f32_e32 v49, v48, v49
.LBB121_140:
	s_or_b64 exec, exec, s[58:59]
	ds_write_b32 v50, v49 offset:12
.LBB121_141:
	s_or_b64 exec, exec, s[62:63]
	s_waitcnt lgkmcnt(0)
	s_barrier
	s_and_saveexec_b64 s[56:57], s[2:3]
	s_cbranch_execz .LBB121_143
; %bb.142:
	v_add_u32_e32 v48, -1, v100
	v_lshrrev_b32_e32 v49, 5, v48
	v_add_lshl_u32 v48, v49, v48, 2
	ds_read_b32 v132, v48
.LBB121_143:
	s_or_b64 exec, exec, s[56:57]
	s_and_saveexec_b64 s[60:61], vcc
	s_cbranch_execz .LBB121_218
; %bb.144:
	v_mov_b32_e32 v67, 0
	ds_read_b32 v50, v67 offset:1048
	v_mbcnt_lo_u32_b32 v48, -1, 0
	v_mbcnt_hi_u32_b32 v53, -1, v48
	v_cmp_eq_u32_e64 s[56:57], 0, v53
	v_add_u32_e32 v48, 64, v52
	s_and_saveexec_b64 vcc, s[56:57]
	s_cbranch_execz .LBB121_146
; %bb.145:
	v_mov_b32_e32 v49, v67
	v_lshl_add_u64 v[54:55], v[48:49], 3, v[96:97]
	v_mov_b32_e32 v51, 1
	s_waitcnt lgkmcnt(0)
	flat_store_dwordx2 v[54:55], v[50:51] sc1
.LBB121_146:
	s_or_b64 exec, exec, vcc
	v_xad_u32 v52, v53, -1, v52
	v_add_u32_e32 v66, 64, v52
	v_lshl_add_u64 v[54:55], v[66:67], 3, v[96:97]
	flat_load_dwordx2 v[64:65], v[54:55] sc1
	s_waitcnt vmcnt(0) lgkmcnt(0)
	v_cmp_eq_u16_sdwa s[58:59], v65, v67 src0_sel:BYTE_0 src1_sel:DWORD
	s_and_saveexec_b64 vcc, s[58:59]
	s_cbranch_execz .LBB121_152
; %bb.147:
	s_mov_b32 s62, 1
	s_mov_b64 s[58:59], 0
	v_mov_b32_e32 v49, 0
.LBB121_148:                            ; =>This Loop Header: Depth=1
                                        ;     Child Loop BB121_149 Depth 2
	s_max_u32 s63, s62, 1
.LBB121_149:                            ;   Parent Loop BB121_148 Depth=1
                                        ; =>  This Inner Loop Header: Depth=2
	s_add_i32 s63, s63, -1
	s_cmp_eq_u32 s63, 0
	s_sleep 1
	s_cbranch_scc0 .LBB121_149
; %bb.150:                              ;   in Loop: Header=BB121_148 Depth=1
	flat_load_dwordx2 v[64:65], v[54:55] sc1
	s_cmp_lt_u32 s62, 32
	s_cselect_b64 s[64:65], -1, 0
	s_cmp_lg_u64 s[64:65], 0
	s_addc_u32 s62, s62, 0
	s_waitcnt vmcnt(0) lgkmcnt(0)
	v_cmp_ne_u16_sdwa s[64:65], v65, v49 src0_sel:BYTE_0 src1_sel:DWORD
	s_or_b64 s[58:59], s[64:65], s[58:59]
	s_andn2_b64 exec, exec, s[58:59]
	s_cbranch_execnz .LBB121_148
; %bb.151:
	s_or_b64 exec, exec, s[58:59]
.LBB121_152:
	s_or_b64 exec, exec, vcc
	v_mov_b32_e32 v49, 2
	v_cmp_eq_u16_sdwa vcc, v65, v49 src0_sel:BYTE_0 src1_sel:DWORD
	v_lshlrev_b64 v[54:55], v53, -1
	s_nop 0
	v_and_b32_e32 v49, vcc_hi, v55
	v_or_b32_e32 v49, 0x80000000, v49
	v_ffbl_b32_e32 v49, v49
	v_add_u32_e32 v67, 32, v49
	v_and_b32_e32 v49, 63, v53
	v_and_b32_e32 v66, vcc_lo, v54
	v_cmp_ne_u32_e32 vcc, 63, v49
	v_ffbl_b32_e32 v66, v66
	v_min_u32_e32 v66, v66, v67
	v_addc_co_u32_e32 v51, vcc, 0, v53, vcc
	v_lshlrev_b32_e32 v51, 2, v51
	ds_bpermute_b32 v68, v51, v64
	v_cmp_lt_u32_e32 vcc, v49, v66
	v_mov_b32_e32 v67, v64
	s_and_saveexec_b64 s[62:63], vcc
	s_cbranch_execz .LBB121_156
; %bb.153:
	v_max_f32_e32 v69, v64, v64
	s_waitcnt lgkmcnt(0)
	v_max_f32_e32 v133, v68, v68
	v_min_f32_e32 v67, v133, v69
	v_cmp_u_f32_e32 vcc, v68, v68
	v_max_f32_e32 v69, v133, v69
	v_cmp_u_f32_e64 s[58:59], v64, v64
	v_cndmask_b32_e32 v67, v67, v68, vcc
	v_cndmask_b32_e32 v69, v69, v68, vcc
	v_cndmask_b32_e64 v67, v67, v64, s[58:59]
	v_cndmask_b32_e64 v64, v69, v64, s[58:59]
	s_movk_i32 s58, 0x1f8
	v_cmp_neq_f32_e32 vcc, v67, v64
	v_cmp_class_f32_e64 s[58:59], v67, s58
	s_or_b64 vcc, vcc, s[58:59]
	s_and_saveexec_b64 s[58:59], vcc
	s_cbranch_execz .LBB121_155
; %bb.154:
	v_sub_f32_e32 v67, v67, v64
	s_mov_b32 s64, 0x3fb8aa3b
	v_mul_f32_e32 v68, 0x3fb8aa3b, v67
	v_fma_f32 v69, v67, s64, -v68
	v_rndne_f32_e32 v133, v68
	v_fmamk_f32 v69, v67, 0x32a5705f, v69
	v_sub_f32_e32 v68, v68, v133
	v_add_f32_e32 v68, v68, v69
	v_exp_f32_e32 v68, v68
	v_cvt_i32_f32_e32 v69, v133
	s_mov_b32 s64, 0xc2ce8ed0
	v_cmp_ngt_f32_e32 vcc, s64, v67
	s_mov_b32 s64, 0x42b17218
	v_ldexp_f32 v68, v68, v69
	v_cndmask_b32_e32 v68, 0, v68, vcc
	v_mov_b32_e32 v69, 0x7f800000
	v_cmp_nlt_f32_e32 vcc, s64, v67
	s_mov_b32 s64, 0x3f2aaaab
	s_mov_b32 s65, 0x7f800000
	v_cndmask_b32_e32 v133, v69, v68, vcc
	v_add_f32_e32 v67, 1.0, v133
	v_add_f32_e32 v68, -1.0, v67
	v_sub_f32_e32 v69, v68, v67
	v_add_f32_e32 v69, 1.0, v69
	v_sub_f32_e32 v68, v133, v68
	v_add_f32_e32 v134, v68, v69
	v_frexp_mant_f32_e32 v135, v67
	v_cvt_f64_f32_e32 v[68:69], v67
	v_frexp_exp_i32_f64_e32 v68, v[68:69]
	v_cmp_gt_f32_e32 vcc, s64, v135
	s_mov_b32 s64, 0x3f317218
	s_nop 0
	v_subbrev_co_u32_e32 v148, vcc, 0, v68, vcc
	v_sub_u32_e32 v68, 0, v148
	v_ldexp_f32 v67, v67, v68
	v_ldexp_f32 v68, v134, v68
	v_add_f32_e32 v134, -1.0, v67
	v_add_f32_e32 v69, 1.0, v134
	v_sub_f32_e32 v69, v67, v69
	v_add_f32_e32 v135, v68, v69
	v_add_f32_e32 v69, 1.0, v67
	v_add_f32_e32 v144, -1.0, v69
	v_sub_f32_e32 v67, v67, v144
	v_add_f32_e32 v67, v68, v67
	v_add_f32_e32 v149, v69, v67
	v_rcp_f32_e32 v150, v149
	v_sub_f32_e32 v68, v69, v149
	v_add_f32_e32 v69, v134, v135
	v_add_f32_e32 v67, v67, v68
	v_mul_f32_e32 v160, v69, v150
	v_sub_f32_e32 v68, v134, v69
	v_mul_f32_e32 v134, v149, v160
	v_fma_f32 v144, v160, v149, -v134
	v_fmac_f32_e32 v144, v160, v67
	v_add_f32_e32 v151, v135, v68
	v_add_f32_e32 v68, v134, v144
	v_sub_f32_e32 v135, v69, v68
	v_pk_add_f32 v[146:147], v[68:69], v[134:135] neg_lo:[0,1] neg_hi:[0,1]
	v_mov_b32_e32 v145, v68
	v_pk_add_f32 v[68:69], v[146:147], v[144:145] neg_lo:[0,1] neg_hi:[0,1]
	v_cmp_eq_f32_e32 vcc, s65, v133
	v_add_f32_e32 v69, v151, v69
	v_add_f32_e32 v68, v68, v69
	;; [unrolled: 1-line block ×3, first 2 shown]
	v_mul_f32_e32 v151, v150, v69
	v_mul_f32_e32 v134, v149, v151
	v_fma_f32 v144, v151, v149, -v134
	v_fmac_f32_e32 v144, v151, v67
	v_sub_f32_e32 v67, v135, v69
	v_add_f32_e32 v67, v68, v67
	v_add_f32_e32 v68, v134, v144
	v_sub_f32_e32 v135, v69, v68
	v_pk_add_f32 v[146:147], v[68:69], v[134:135] neg_lo:[0,1] neg_hi:[0,1]
	v_mov_b32_e32 v145, v68
	v_pk_add_f32 v[68:69], v[146:147], v[144:145] neg_lo:[0,1] neg_hi:[0,1]
	v_cvt_f32_i32_e32 v134, v148
	v_add_f32_e32 v67, v67, v69
	v_add_f32_e32 v67, v68, v67
	;; [unrolled: 1-line block ×4, first 2 shown]
	v_sub_f32_e32 v69, v68, v160
	v_mul_f32_e32 v67, v150, v67
	v_sub_f32_e32 v69, v151, v69
	v_add_f32_e32 v67, v69, v67
	v_add_f32_e32 v135, v68, v67
	v_mul_f32_e32 v144, v135, v135
	v_mov_b32_e32 v69, 0x3ecc95a3
	v_fmac_f32_e32 v69, 0x3e9b6dac, v144
	v_sub_f32_e32 v68, v135, v68
	v_fmaak_f32 v69, v144, v69, 0x3f2aaada
	v_sub_f32_e32 v67, v67, v68
	v_ldexp_f32 v145, v135, 1
	v_mul_f32_e32 v135, v135, v144
	v_mov_b32_e32 v68, 0x3f317218
	v_pk_mul_f32 v[68:69], v[134:135], v[68:69]
	v_ldexp_f32 v67, v67, 1
	v_fma_f32 v135, v134, s64, -v68
	v_fmamk_f32 v144, v134, 0xb102e308, v135
	v_pk_add_f32 v[134:135], v[68:69], v[144:145]
	v_mov_b32_e32 v146, v68
	v_sub_f32_e32 v145, v135, v145
	v_sub_f32_e32 v145, v69, v145
	v_add_f32_e32 v147, v67, v145
	v_pk_add_f32 v[68:69], v[134:135], v[68:69] neg_lo:[0,1] neg_hi:[0,1]
	v_pk_add_f32 v[148:149], v[134:135], v[146:147]
	v_mov_b32_e32 v145, v134
	v_mov_b32_e32 v69, v149
	v_pk_add_f32 v[150:151], v[144:145], v[68:69] neg_lo:[0,1] neg_hi:[0,1]
	v_pk_add_f32 v[68:69], v[144:145], v[68:69]
	v_mov_b32_e32 v146, v147
	v_mov_b32_e32 v144, v69
	v_pk_add_f32 v[160:161], v[144:145], v[134:135] neg_lo:[0,1] neg_hi:[0,1]
	v_mov_b32_e32 v68, v149
	v_mov_b32_e32 v67, v160
	v_pk_add_f32 v[162:163], v[148:149], v[66:67] neg_lo:[0,1] neg_hi:[0,1]
	v_mov_b32_e32 v148, v135
	v_mov_b32_e32 v149, v160
	;; [unrolled: 1-line block ×3, first 2 shown]
	v_pk_add_f32 v[68:69], v[68:69], v[148:149] neg_lo:[0,1] neg_hi:[0,1]
	v_mov_b32_e32 v147, v134
	v_pk_add_f32 v[68:69], v[146:147], v[68:69] neg_lo:[0,1] neg_hi:[0,1]
	v_mov_b32_e32 v162, v150
	v_pk_add_f32 v[134:135], v[162:163], v[68:69]
	s_mov_b32 s64, 0x33800000
	v_mov_b32_e32 v146, v135
	v_pk_add_f32 v[146:147], v[134:135], v[146:147]
	v_cmp_lt_f32_e64 s[64:65], |v133|, s64
	v_pk_add_f32 v[144:145], v[144:145], v[146:147]
	v_mov_b32_e32 v69, v146
	v_mov_b32_e32 v135, v144
	v_pk_add_f32 v[148:149], v[134:135], v[150:151] neg_lo:[0,1] neg_hi:[0,1]
	s_or_b64 vcc, vcc, s[64:65]
	v_sub_f32_e32 v67, v134, v148
	v_pk_add_f32 v[68:69], v[68:69], v[148:149] neg_lo:[0,1] neg_hi:[0,1]
	v_sub_f32_e32 v67, v150, v67
	v_add_f32_e32 v67, v68, v67
	v_add_f32_e32 v67, v67, v69
	;; [unrolled: 1-line block ×3, first 2 shown]
	v_cndmask_b32_e32 v67, v67, v133, vcc
	v_add_f32_e32 v68, v64, v67
.LBB121_155:
	s_or_b64 exec, exec, s[58:59]
	v_mov_b32_e32 v64, v68
	v_mov_b32_e32 v67, v68
.LBB121_156:
	s_or_b64 exec, exec, s[62:63]
	v_cmp_gt_u32_e32 vcc, 62, v49
	v_add_u32_e32 v134, 2, v49
	s_waitcnt lgkmcnt(0)
	v_cndmask_b32_e64 v68, 0, 1, vcc
	v_lshlrev_b32_e32 v68, 1, v68
	v_add_lshl_u32 v133, v68, v53, 2
	ds_bpermute_b32 v68, v133, v64
	v_cmp_le_u32_e32 vcc, v134, v66
	s_and_saveexec_b64 s[62:63], vcc
	s_cbranch_execz .LBB121_160
; %bb.157:
	v_max_f32_e32 v64, v67, v67
	s_waitcnt lgkmcnt(0)
	v_max_f32_e32 v135, v68, v68
	v_min_f32_e32 v69, v135, v64
	v_cmp_u_f32_e32 vcc, v68, v68
	v_max_f32_e32 v64, v135, v64
	v_cmp_u_f32_e64 s[58:59], v67, v67
	v_cndmask_b32_e32 v69, v69, v68, vcc
	v_cndmask_b32_e32 v64, v64, v68, vcc
	v_cndmask_b32_e64 v69, v69, v67, s[58:59]
	v_cndmask_b32_e64 v64, v64, v67, s[58:59]
	s_movk_i32 s58, 0x1f8
	v_cmp_neq_f32_e32 vcc, v69, v64
	v_cmp_class_f32_e64 s[58:59], v69, s58
	s_or_b64 vcc, vcc, s[58:59]
	s_and_saveexec_b64 s[58:59], vcc
	s_cbranch_execz .LBB121_159
; %bb.158:
	v_sub_f32_e32 v67, v69, v64
	s_mov_b32 s64, 0x3fb8aa3b
	v_mul_f32_e32 v68, 0x3fb8aa3b, v67
	v_fma_f32 v69, v67, s64, -v68
	v_rndne_f32_e32 v135, v68
	v_fmamk_f32 v69, v67, 0x32a5705f, v69
	v_sub_f32_e32 v68, v68, v135
	v_add_f32_e32 v68, v68, v69
	v_exp_f32_e32 v68, v68
	v_cvt_i32_f32_e32 v69, v135
	s_mov_b32 s64, 0xc2ce8ed0
	v_cmp_ngt_f32_e32 vcc, s64, v67
	s_mov_b32 s64, 0x42b17218
	v_ldexp_f32 v68, v68, v69
	v_cndmask_b32_e32 v68, 0, v68, vcc
	v_mov_b32_e32 v69, 0x7f800000
	v_cmp_nlt_f32_e32 vcc, s64, v67
	s_mov_b32 s64, 0x3f2aaaab
	s_mov_b32 s65, 0x7f800000
	v_cndmask_b32_e32 v135, v69, v68, vcc
	v_add_f32_e32 v67, 1.0, v135
	v_add_f32_e32 v68, -1.0, v67
	v_sub_f32_e32 v69, v68, v67
	v_add_f32_e32 v69, 1.0, v69
	v_sub_f32_e32 v68, v135, v68
	v_add_f32_e32 v144, v68, v69
	v_frexp_mant_f32_e32 v145, v67
	v_cvt_f64_f32_e32 v[68:69], v67
	v_frexp_exp_i32_f64_e32 v68, v[68:69]
	v_cmp_gt_f32_e32 vcc, s64, v145
	s_mov_b32 s64, 0x3f317218
	s_nop 0
	v_subbrev_co_u32_e32 v150, vcc, 0, v68, vcc
	v_sub_u32_e32 v68, 0, v150
	v_ldexp_f32 v67, v67, v68
	v_ldexp_f32 v68, v144, v68
	v_add_f32_e32 v144, -1.0, v67
	v_add_f32_e32 v69, 1.0, v144
	v_sub_f32_e32 v69, v67, v69
	v_add_f32_e32 v145, v68, v69
	v_add_f32_e32 v69, 1.0, v67
	v_add_f32_e32 v146, -1.0, v69
	v_sub_f32_e32 v67, v67, v146
	v_add_f32_e32 v67, v68, v67
	v_add_f32_e32 v151, v69, v67
	v_rcp_f32_e32 v160, v151
	v_sub_f32_e32 v68, v69, v151
	v_add_f32_e32 v69, v144, v145
	v_add_f32_e32 v67, v67, v68
	v_mul_f32_e32 v162, v69, v160
	v_sub_f32_e32 v68, v144, v69
	v_mul_f32_e32 v144, v151, v162
	v_fma_f32 v146, v162, v151, -v144
	v_fmac_f32_e32 v146, v162, v67
	v_add_f32_e32 v161, v145, v68
	v_add_f32_e32 v68, v144, v146
	v_sub_f32_e32 v145, v69, v68
	v_pk_add_f32 v[148:149], v[68:69], v[144:145] neg_lo:[0,1] neg_hi:[0,1]
	v_mov_b32_e32 v147, v68
	v_pk_add_f32 v[68:69], v[148:149], v[146:147] neg_lo:[0,1] neg_hi:[0,1]
	v_cmp_eq_f32_e32 vcc, s65, v135
	v_add_f32_e32 v69, v161, v69
	v_add_f32_e32 v68, v68, v69
	;; [unrolled: 1-line block ×3, first 2 shown]
	v_mul_f32_e32 v161, v160, v69
	v_mul_f32_e32 v144, v151, v161
	v_fma_f32 v146, v161, v151, -v144
	v_fmac_f32_e32 v146, v161, v67
	v_sub_f32_e32 v67, v145, v69
	v_add_f32_e32 v67, v68, v67
	v_add_f32_e32 v68, v144, v146
	v_sub_f32_e32 v145, v69, v68
	v_pk_add_f32 v[148:149], v[68:69], v[144:145] neg_lo:[0,1] neg_hi:[0,1]
	v_mov_b32_e32 v147, v68
	v_pk_add_f32 v[68:69], v[148:149], v[146:147] neg_lo:[0,1] neg_hi:[0,1]
	v_cvt_f32_i32_e32 v144, v150
	v_add_f32_e32 v67, v67, v69
	v_add_f32_e32 v67, v68, v67
	;; [unrolled: 1-line block ×4, first 2 shown]
	v_sub_f32_e32 v69, v68, v162
	v_mul_f32_e32 v67, v160, v67
	v_sub_f32_e32 v69, v161, v69
	v_add_f32_e32 v67, v69, v67
	v_add_f32_e32 v145, v68, v67
	v_mul_f32_e32 v146, v145, v145
	v_mov_b32_e32 v69, 0x3ecc95a3
	v_fmac_f32_e32 v69, 0x3e9b6dac, v146
	v_sub_f32_e32 v68, v145, v68
	v_fmaak_f32 v69, v146, v69, 0x3f2aaada
	v_sub_f32_e32 v67, v67, v68
	v_ldexp_f32 v147, v145, 1
	v_mul_f32_e32 v145, v145, v146
	v_mov_b32_e32 v68, 0x3f317218
	v_pk_mul_f32 v[68:69], v[144:145], v[68:69]
	v_ldexp_f32 v67, v67, 1
	v_fma_f32 v145, v144, s64, -v68
	v_fmamk_f32 v146, v144, 0xb102e308, v145
	v_pk_add_f32 v[144:145], v[68:69], v[146:147]
	v_mov_b32_e32 v148, v68
	v_sub_f32_e32 v147, v145, v147
	v_sub_f32_e32 v147, v69, v147
	v_add_f32_e32 v149, v67, v147
	v_pk_add_f32 v[68:69], v[144:145], v[68:69] neg_lo:[0,1] neg_hi:[0,1]
	v_pk_add_f32 v[150:151], v[144:145], v[148:149]
	v_mov_b32_e32 v147, v144
	v_mov_b32_e32 v69, v151
	v_pk_add_f32 v[160:161], v[146:147], v[68:69] neg_lo:[0,1] neg_hi:[0,1]
	v_pk_add_f32 v[68:69], v[146:147], v[68:69]
	v_mov_b32_e32 v148, v149
	v_mov_b32_e32 v146, v69
	v_pk_add_f32 v[162:163], v[146:147], v[144:145] neg_lo:[0,1] neg_hi:[0,1]
	v_mov_b32_e32 v68, v151
	v_mov_b32_e32 v67, v162
	v_pk_add_f32 v[164:165], v[150:151], v[66:67] neg_lo:[0,1] neg_hi:[0,1]
	v_mov_b32_e32 v150, v145
	v_mov_b32_e32 v151, v162
	;; [unrolled: 1-line block ×3, first 2 shown]
	v_pk_add_f32 v[68:69], v[68:69], v[150:151] neg_lo:[0,1] neg_hi:[0,1]
	v_mov_b32_e32 v149, v144
	v_pk_add_f32 v[68:69], v[148:149], v[68:69] neg_lo:[0,1] neg_hi:[0,1]
	v_mov_b32_e32 v164, v160
	v_pk_add_f32 v[144:145], v[164:165], v[68:69]
	s_mov_b32 s64, 0x33800000
	v_mov_b32_e32 v148, v145
	v_pk_add_f32 v[148:149], v[144:145], v[148:149]
	v_cmp_lt_f32_e64 s[64:65], |v135|, s64
	v_pk_add_f32 v[146:147], v[146:147], v[148:149]
	v_mov_b32_e32 v69, v148
	v_mov_b32_e32 v145, v146
	v_pk_add_f32 v[150:151], v[144:145], v[160:161] neg_lo:[0,1] neg_hi:[0,1]
	s_or_b64 vcc, vcc, s[64:65]
	v_sub_f32_e32 v67, v144, v150
	v_pk_add_f32 v[68:69], v[68:69], v[150:151] neg_lo:[0,1] neg_hi:[0,1]
	v_sub_f32_e32 v67, v160, v67
	v_add_f32_e32 v67, v68, v67
	v_add_f32_e32 v67, v67, v69
	;; [unrolled: 1-line block ×3, first 2 shown]
	v_cndmask_b32_e32 v67, v67, v135, vcc
	v_add_f32_e32 v68, v64, v67
.LBB121_159:
	s_or_b64 exec, exec, s[58:59]
	v_mov_b32_e32 v64, v68
	v_mov_b32_e32 v67, v68
.LBB121_160:
	s_or_b64 exec, exec, s[62:63]
	v_cmp_gt_u32_e32 vcc, 60, v49
	v_add_u32_e32 v144, 4, v49
	s_waitcnt lgkmcnt(0)
	v_cndmask_b32_e64 v68, 0, 1, vcc
	v_lshlrev_b32_e32 v68, 2, v68
	v_add_lshl_u32 v135, v68, v53, 2
	ds_bpermute_b32 v68, v135, v64
	v_cmp_le_u32_e32 vcc, v144, v66
	s_and_saveexec_b64 s[62:63], vcc
	s_cbranch_execz .LBB121_164
; %bb.161:
	v_max_f32_e32 v64, v67, v67
	s_waitcnt lgkmcnt(0)
	v_max_f32_e32 v145, v68, v68
	v_min_f32_e32 v69, v145, v64
	v_cmp_u_f32_e32 vcc, v68, v68
	v_max_f32_e32 v64, v145, v64
	v_cmp_u_f32_e64 s[58:59], v67, v67
	v_cndmask_b32_e32 v69, v69, v68, vcc
	v_cndmask_b32_e32 v64, v64, v68, vcc
	v_cndmask_b32_e64 v69, v69, v67, s[58:59]
	v_cndmask_b32_e64 v64, v64, v67, s[58:59]
	s_movk_i32 s58, 0x1f8
	v_cmp_neq_f32_e32 vcc, v69, v64
	v_cmp_class_f32_e64 s[58:59], v69, s58
	s_or_b64 vcc, vcc, s[58:59]
	s_and_saveexec_b64 s[58:59], vcc
	s_cbranch_execz .LBB121_163
; %bb.162:
	v_sub_f32_e32 v67, v69, v64
	s_mov_b32 s64, 0x3fb8aa3b
	v_mul_f32_e32 v68, 0x3fb8aa3b, v67
	v_fma_f32 v69, v67, s64, -v68
	v_rndne_f32_e32 v145, v68
	v_fmamk_f32 v69, v67, 0x32a5705f, v69
	v_sub_f32_e32 v68, v68, v145
	v_add_f32_e32 v68, v68, v69
	v_exp_f32_e32 v68, v68
	v_cvt_i32_f32_e32 v69, v145
	s_mov_b32 s64, 0xc2ce8ed0
	v_cmp_ngt_f32_e32 vcc, s64, v67
	s_mov_b32 s64, 0x42b17218
	v_ldexp_f32 v68, v68, v69
	v_cndmask_b32_e32 v68, 0, v68, vcc
	v_mov_b32_e32 v69, 0x7f800000
	v_cmp_nlt_f32_e32 vcc, s64, v67
	s_mov_b32 s64, 0x3f2aaaab
	s_mov_b32 s65, 0x7f800000
	v_cndmask_b32_e32 v145, v69, v68, vcc
	v_add_f32_e32 v67, 1.0, v145
	v_add_f32_e32 v68, -1.0, v67
	v_sub_f32_e32 v69, v68, v67
	v_add_f32_e32 v69, 1.0, v69
	v_sub_f32_e32 v68, v145, v68
	v_add_f32_e32 v146, v68, v69
	v_frexp_mant_f32_e32 v147, v67
	v_cvt_f64_f32_e32 v[68:69], v67
	v_frexp_exp_i32_f64_e32 v68, v[68:69]
	v_cmp_gt_f32_e32 vcc, s64, v147
	s_mov_b32 s64, 0x3f317218
	s_nop 0
	v_subbrev_co_u32_e32 v160, vcc, 0, v68, vcc
	v_sub_u32_e32 v68, 0, v160
	v_ldexp_f32 v67, v67, v68
	v_ldexp_f32 v68, v146, v68
	v_add_f32_e32 v146, -1.0, v67
	v_add_f32_e32 v69, 1.0, v146
	v_sub_f32_e32 v69, v67, v69
	v_add_f32_e32 v147, v68, v69
	v_add_f32_e32 v69, 1.0, v67
	v_add_f32_e32 v148, -1.0, v69
	v_sub_f32_e32 v67, v67, v148
	v_add_f32_e32 v67, v68, v67
	v_add_f32_e32 v161, v69, v67
	v_rcp_f32_e32 v162, v161
	v_sub_f32_e32 v68, v69, v161
	v_add_f32_e32 v69, v146, v147
	v_add_f32_e32 v67, v67, v68
	v_mul_f32_e32 v164, v69, v162
	v_sub_f32_e32 v68, v146, v69
	v_mul_f32_e32 v146, v161, v164
	v_fma_f32 v148, v164, v161, -v146
	v_fmac_f32_e32 v148, v164, v67
	v_add_f32_e32 v163, v147, v68
	v_add_f32_e32 v68, v146, v148
	v_sub_f32_e32 v147, v69, v68
	v_pk_add_f32 v[150:151], v[68:69], v[146:147] neg_lo:[0,1] neg_hi:[0,1]
	v_mov_b32_e32 v149, v68
	v_pk_add_f32 v[68:69], v[150:151], v[148:149] neg_lo:[0,1] neg_hi:[0,1]
	v_cmp_eq_f32_e32 vcc, s65, v145
	v_add_f32_e32 v69, v163, v69
	v_add_f32_e32 v68, v68, v69
	;; [unrolled: 1-line block ×3, first 2 shown]
	v_mul_f32_e32 v163, v162, v69
	v_mul_f32_e32 v146, v161, v163
	v_fma_f32 v148, v163, v161, -v146
	v_fmac_f32_e32 v148, v163, v67
	v_sub_f32_e32 v67, v147, v69
	v_add_f32_e32 v67, v68, v67
	v_add_f32_e32 v68, v146, v148
	v_sub_f32_e32 v147, v69, v68
	v_pk_add_f32 v[150:151], v[68:69], v[146:147] neg_lo:[0,1] neg_hi:[0,1]
	v_mov_b32_e32 v149, v68
	v_pk_add_f32 v[68:69], v[150:151], v[148:149] neg_lo:[0,1] neg_hi:[0,1]
	v_cvt_f32_i32_e32 v146, v160
	v_add_f32_e32 v67, v67, v69
	v_add_f32_e32 v67, v68, v67
	;; [unrolled: 1-line block ×4, first 2 shown]
	v_sub_f32_e32 v69, v68, v164
	v_mul_f32_e32 v67, v162, v67
	v_sub_f32_e32 v69, v163, v69
	v_add_f32_e32 v67, v69, v67
	v_add_f32_e32 v147, v68, v67
	v_mul_f32_e32 v148, v147, v147
	v_mov_b32_e32 v69, 0x3ecc95a3
	v_fmac_f32_e32 v69, 0x3e9b6dac, v148
	v_sub_f32_e32 v68, v147, v68
	v_fmaak_f32 v69, v148, v69, 0x3f2aaada
	v_sub_f32_e32 v67, v67, v68
	v_ldexp_f32 v149, v147, 1
	v_mul_f32_e32 v147, v147, v148
	v_mov_b32_e32 v68, 0x3f317218
	v_pk_mul_f32 v[68:69], v[146:147], v[68:69]
	v_ldexp_f32 v67, v67, 1
	v_fma_f32 v147, v146, s64, -v68
	v_fmamk_f32 v148, v146, 0xb102e308, v147
	v_pk_add_f32 v[146:147], v[68:69], v[148:149]
	v_mov_b32_e32 v150, v68
	v_sub_f32_e32 v149, v147, v149
	v_sub_f32_e32 v149, v69, v149
	v_add_f32_e32 v151, v67, v149
	v_pk_add_f32 v[68:69], v[146:147], v[68:69] neg_lo:[0,1] neg_hi:[0,1]
	v_pk_add_f32 v[160:161], v[146:147], v[150:151]
	v_mov_b32_e32 v149, v146
	v_mov_b32_e32 v69, v161
	v_pk_add_f32 v[162:163], v[148:149], v[68:69] neg_lo:[0,1] neg_hi:[0,1]
	v_pk_add_f32 v[68:69], v[148:149], v[68:69]
	v_mov_b32_e32 v150, v151
	v_mov_b32_e32 v148, v69
	v_pk_add_f32 v[164:165], v[148:149], v[146:147] neg_lo:[0,1] neg_hi:[0,1]
	v_mov_b32_e32 v68, v161
	v_mov_b32_e32 v67, v164
	v_pk_add_f32 v[166:167], v[160:161], v[66:67] neg_lo:[0,1] neg_hi:[0,1]
	v_mov_b32_e32 v160, v147
	v_mov_b32_e32 v161, v164
	;; [unrolled: 1-line block ×3, first 2 shown]
	v_pk_add_f32 v[68:69], v[68:69], v[160:161] neg_lo:[0,1] neg_hi:[0,1]
	v_mov_b32_e32 v151, v146
	v_pk_add_f32 v[68:69], v[150:151], v[68:69] neg_lo:[0,1] neg_hi:[0,1]
	v_mov_b32_e32 v166, v162
	v_pk_add_f32 v[146:147], v[166:167], v[68:69]
	s_mov_b32 s64, 0x33800000
	v_mov_b32_e32 v150, v147
	v_pk_add_f32 v[150:151], v[146:147], v[150:151]
	v_cmp_lt_f32_e64 s[64:65], |v145|, s64
	v_pk_add_f32 v[148:149], v[148:149], v[150:151]
	v_mov_b32_e32 v69, v150
	v_mov_b32_e32 v147, v148
	v_pk_add_f32 v[160:161], v[146:147], v[162:163] neg_lo:[0,1] neg_hi:[0,1]
	s_or_b64 vcc, vcc, s[64:65]
	v_sub_f32_e32 v67, v146, v160
	v_pk_add_f32 v[68:69], v[68:69], v[160:161] neg_lo:[0,1] neg_hi:[0,1]
	v_sub_f32_e32 v67, v162, v67
	v_add_f32_e32 v67, v68, v67
	v_add_f32_e32 v67, v67, v69
	;; [unrolled: 1-line block ×3, first 2 shown]
	v_cndmask_b32_e32 v67, v67, v145, vcc
	v_add_f32_e32 v68, v64, v67
.LBB121_163:
	s_or_b64 exec, exec, s[58:59]
	v_mov_b32_e32 v64, v68
	v_mov_b32_e32 v67, v68
.LBB121_164:
	s_or_b64 exec, exec, s[62:63]
	v_cmp_gt_u32_e32 vcc, 56, v49
	v_add_u32_e32 v146, 8, v49
	s_waitcnt lgkmcnt(0)
	v_cndmask_b32_e64 v68, 0, 1, vcc
	v_lshlrev_b32_e32 v68, 3, v68
	v_add_lshl_u32 v145, v68, v53, 2
	ds_bpermute_b32 v68, v145, v64
	v_cmp_le_u32_e32 vcc, v146, v66
	s_and_saveexec_b64 s[62:63], vcc
	s_cbranch_execz .LBB121_168
; %bb.165:
	v_max_f32_e32 v64, v67, v67
	s_waitcnt lgkmcnt(0)
	v_max_f32_e32 v147, v68, v68
	v_min_f32_e32 v69, v147, v64
	v_cmp_u_f32_e32 vcc, v68, v68
	v_max_f32_e32 v64, v147, v64
	v_cmp_u_f32_e64 s[58:59], v67, v67
	v_cndmask_b32_e32 v69, v69, v68, vcc
	v_cndmask_b32_e32 v64, v64, v68, vcc
	v_cndmask_b32_e64 v69, v69, v67, s[58:59]
	v_cndmask_b32_e64 v64, v64, v67, s[58:59]
	s_movk_i32 s58, 0x1f8
	v_cmp_neq_f32_e32 vcc, v69, v64
	v_cmp_class_f32_e64 s[58:59], v69, s58
	s_or_b64 vcc, vcc, s[58:59]
	s_and_saveexec_b64 s[58:59], vcc
	s_cbranch_execz .LBB121_167
; %bb.166:
	v_sub_f32_e32 v67, v69, v64
	s_mov_b32 s64, 0x3fb8aa3b
	v_mul_f32_e32 v68, 0x3fb8aa3b, v67
	v_fma_f32 v69, v67, s64, -v68
	v_rndne_f32_e32 v147, v68
	v_fmamk_f32 v69, v67, 0x32a5705f, v69
	v_sub_f32_e32 v68, v68, v147
	v_add_f32_e32 v68, v68, v69
	v_exp_f32_e32 v68, v68
	v_cvt_i32_f32_e32 v69, v147
	s_mov_b32 s64, 0xc2ce8ed0
	v_cmp_ngt_f32_e32 vcc, s64, v67
	s_mov_b32 s64, 0x42b17218
	v_ldexp_f32 v68, v68, v69
	v_cndmask_b32_e32 v68, 0, v68, vcc
	v_mov_b32_e32 v69, 0x7f800000
	v_cmp_nlt_f32_e32 vcc, s64, v67
	s_mov_b32 s64, 0x3f2aaaab
	s_mov_b32 s65, 0x7f800000
	v_cndmask_b32_e32 v147, v69, v68, vcc
	v_add_f32_e32 v67, 1.0, v147
	v_add_f32_e32 v68, -1.0, v67
	v_sub_f32_e32 v69, v68, v67
	v_add_f32_e32 v69, 1.0, v69
	v_sub_f32_e32 v68, v147, v68
	v_add_f32_e32 v148, v68, v69
	v_frexp_mant_f32_e32 v149, v67
	v_cvt_f64_f32_e32 v[68:69], v67
	v_frexp_exp_i32_f64_e32 v68, v[68:69]
	v_cmp_gt_f32_e32 vcc, s64, v149
	s_mov_b32 s64, 0x3f317218
	s_nop 0
	v_subbrev_co_u32_e32 v162, vcc, 0, v68, vcc
	v_sub_u32_e32 v68, 0, v162
	v_ldexp_f32 v67, v67, v68
	v_ldexp_f32 v68, v148, v68
	v_add_f32_e32 v148, -1.0, v67
	v_add_f32_e32 v69, 1.0, v148
	v_sub_f32_e32 v69, v67, v69
	v_add_f32_e32 v149, v68, v69
	v_add_f32_e32 v69, 1.0, v67
	v_add_f32_e32 v150, -1.0, v69
	v_sub_f32_e32 v67, v67, v150
	v_add_f32_e32 v67, v68, v67
	v_add_f32_e32 v163, v69, v67
	v_rcp_f32_e32 v164, v163
	v_sub_f32_e32 v68, v69, v163
	v_add_f32_e32 v69, v148, v149
	v_add_f32_e32 v67, v67, v68
	v_mul_f32_e32 v166, v69, v164
	v_sub_f32_e32 v68, v148, v69
	v_mul_f32_e32 v148, v163, v166
	v_fma_f32 v150, v166, v163, -v148
	v_fmac_f32_e32 v150, v166, v67
	v_add_f32_e32 v165, v149, v68
	v_add_f32_e32 v68, v148, v150
	v_sub_f32_e32 v149, v69, v68
	v_pk_add_f32 v[160:161], v[68:69], v[148:149] neg_lo:[0,1] neg_hi:[0,1]
	v_mov_b32_e32 v151, v68
	v_pk_add_f32 v[68:69], v[160:161], v[150:151] neg_lo:[0,1] neg_hi:[0,1]
	v_cmp_eq_f32_e32 vcc, s65, v147
	v_add_f32_e32 v69, v165, v69
	v_add_f32_e32 v68, v68, v69
	;; [unrolled: 1-line block ×3, first 2 shown]
	v_mul_f32_e32 v165, v164, v69
	v_mul_f32_e32 v148, v163, v165
	v_fma_f32 v150, v165, v163, -v148
	v_fmac_f32_e32 v150, v165, v67
	v_sub_f32_e32 v67, v149, v69
	v_add_f32_e32 v67, v68, v67
	v_add_f32_e32 v68, v148, v150
	v_sub_f32_e32 v149, v69, v68
	v_pk_add_f32 v[160:161], v[68:69], v[148:149] neg_lo:[0,1] neg_hi:[0,1]
	v_mov_b32_e32 v151, v68
	v_pk_add_f32 v[68:69], v[160:161], v[150:151] neg_lo:[0,1] neg_hi:[0,1]
	v_cvt_f32_i32_e32 v148, v162
	v_add_f32_e32 v67, v67, v69
	v_add_f32_e32 v67, v68, v67
	;; [unrolled: 1-line block ×4, first 2 shown]
	v_sub_f32_e32 v69, v68, v166
	v_mul_f32_e32 v67, v164, v67
	v_sub_f32_e32 v69, v165, v69
	v_add_f32_e32 v67, v69, v67
	v_add_f32_e32 v149, v68, v67
	v_mul_f32_e32 v150, v149, v149
	v_mov_b32_e32 v69, 0x3ecc95a3
	v_fmac_f32_e32 v69, 0x3e9b6dac, v150
	v_sub_f32_e32 v68, v149, v68
	v_fmaak_f32 v69, v150, v69, 0x3f2aaada
	v_sub_f32_e32 v67, v67, v68
	v_ldexp_f32 v151, v149, 1
	v_mul_f32_e32 v149, v149, v150
	v_mov_b32_e32 v68, 0x3f317218
	v_pk_mul_f32 v[68:69], v[148:149], v[68:69]
	v_ldexp_f32 v67, v67, 1
	v_fma_f32 v149, v148, s64, -v68
	v_fmamk_f32 v150, v148, 0xb102e308, v149
	v_pk_add_f32 v[148:149], v[68:69], v[150:151]
	v_mov_b32_e32 v160, v68
	v_sub_f32_e32 v151, v149, v151
	v_sub_f32_e32 v151, v69, v151
	v_add_f32_e32 v161, v67, v151
	v_pk_add_f32 v[68:69], v[148:149], v[68:69] neg_lo:[0,1] neg_hi:[0,1]
	v_pk_add_f32 v[162:163], v[148:149], v[160:161]
	v_mov_b32_e32 v151, v148
	v_mov_b32_e32 v69, v163
	v_pk_add_f32 v[164:165], v[150:151], v[68:69] neg_lo:[0,1] neg_hi:[0,1]
	v_pk_add_f32 v[68:69], v[150:151], v[68:69]
	v_mov_b32_e32 v160, v161
	v_mov_b32_e32 v150, v69
	v_pk_add_f32 v[166:167], v[150:151], v[148:149] neg_lo:[0,1] neg_hi:[0,1]
	v_mov_b32_e32 v68, v163
	v_mov_b32_e32 v67, v166
	v_pk_add_f32 v[176:177], v[162:163], v[66:67] neg_lo:[0,1] neg_hi:[0,1]
	v_mov_b32_e32 v162, v149
	v_mov_b32_e32 v163, v166
	;; [unrolled: 1-line block ×3, first 2 shown]
	v_pk_add_f32 v[68:69], v[68:69], v[162:163] neg_lo:[0,1] neg_hi:[0,1]
	v_mov_b32_e32 v161, v148
	v_pk_add_f32 v[68:69], v[160:161], v[68:69] neg_lo:[0,1] neg_hi:[0,1]
	v_mov_b32_e32 v176, v164
	v_pk_add_f32 v[148:149], v[176:177], v[68:69]
	s_mov_b32 s64, 0x33800000
	v_mov_b32_e32 v160, v149
	v_pk_add_f32 v[160:161], v[148:149], v[160:161]
	v_cmp_lt_f32_e64 s[64:65], |v147|, s64
	v_pk_add_f32 v[150:151], v[150:151], v[160:161]
	v_mov_b32_e32 v69, v160
	v_mov_b32_e32 v149, v150
	v_pk_add_f32 v[162:163], v[148:149], v[164:165] neg_lo:[0,1] neg_hi:[0,1]
	s_or_b64 vcc, vcc, s[64:65]
	v_sub_f32_e32 v67, v148, v162
	v_pk_add_f32 v[68:69], v[68:69], v[162:163] neg_lo:[0,1] neg_hi:[0,1]
	v_sub_f32_e32 v67, v164, v67
	v_add_f32_e32 v67, v68, v67
	v_add_f32_e32 v67, v67, v69
	;; [unrolled: 1-line block ×3, first 2 shown]
	v_cndmask_b32_e32 v67, v67, v147, vcc
	v_add_f32_e32 v68, v64, v67
.LBB121_167:
	s_or_b64 exec, exec, s[58:59]
	v_mov_b32_e32 v64, v68
	v_mov_b32_e32 v67, v68
.LBB121_168:
	s_or_b64 exec, exec, s[62:63]
	v_cmp_gt_u32_e32 vcc, 48, v49
	v_add_u32_e32 v148, 16, v49
	s_waitcnt lgkmcnt(0)
	v_cndmask_b32_e64 v68, 0, 1, vcc
	v_lshlrev_b32_e32 v68, 4, v68
	v_add_lshl_u32 v147, v68, v53, 2
	ds_bpermute_b32 v68, v147, v64
	v_cmp_le_u32_e32 vcc, v148, v66
	s_and_saveexec_b64 s[62:63], vcc
	s_cbranch_execz .LBB121_172
; %bb.169:
	v_max_f32_e32 v64, v67, v67
	s_waitcnt lgkmcnt(0)
	v_max_f32_e32 v149, v68, v68
	v_min_f32_e32 v69, v149, v64
	v_cmp_u_f32_e32 vcc, v68, v68
	v_max_f32_e32 v64, v149, v64
	v_cmp_u_f32_e64 s[58:59], v67, v67
	v_cndmask_b32_e32 v69, v69, v68, vcc
	v_cndmask_b32_e32 v64, v64, v68, vcc
	v_cndmask_b32_e64 v69, v69, v67, s[58:59]
	v_cndmask_b32_e64 v64, v64, v67, s[58:59]
	s_movk_i32 s58, 0x1f8
	v_cmp_neq_f32_e32 vcc, v69, v64
	v_cmp_class_f32_e64 s[58:59], v69, s58
	s_or_b64 vcc, vcc, s[58:59]
	s_and_saveexec_b64 s[58:59], vcc
	s_cbranch_execz .LBB121_171
; %bb.170:
	v_sub_f32_e32 v67, v69, v64
	s_mov_b32 s64, 0x3fb8aa3b
	v_mul_f32_e32 v68, 0x3fb8aa3b, v67
	v_fma_f32 v69, v67, s64, -v68
	v_rndne_f32_e32 v149, v68
	v_fmamk_f32 v69, v67, 0x32a5705f, v69
	v_sub_f32_e32 v68, v68, v149
	v_add_f32_e32 v68, v68, v69
	v_exp_f32_e32 v68, v68
	v_cvt_i32_f32_e32 v69, v149
	s_mov_b32 s64, 0xc2ce8ed0
	v_cmp_ngt_f32_e32 vcc, s64, v67
	s_mov_b32 s64, 0x42b17218
	v_ldexp_f32 v68, v68, v69
	v_cndmask_b32_e32 v68, 0, v68, vcc
	v_mov_b32_e32 v69, 0x7f800000
	v_cmp_nlt_f32_e32 vcc, s64, v67
	s_mov_b32 s64, 0x3f2aaaab
	s_mov_b32 s65, 0x7f800000
	v_cndmask_b32_e32 v149, v69, v68, vcc
	v_add_f32_e32 v67, 1.0, v149
	v_add_f32_e32 v68, -1.0, v67
	v_sub_f32_e32 v69, v68, v67
	v_add_f32_e32 v69, 1.0, v69
	v_sub_f32_e32 v68, v149, v68
	v_add_f32_e32 v150, v68, v69
	v_frexp_mant_f32_e32 v151, v67
	v_cvt_f64_f32_e32 v[68:69], v67
	v_frexp_exp_i32_f64_e32 v68, v[68:69]
	v_cmp_gt_f32_e32 vcc, s64, v151
	s_mov_b32 s64, 0x3f317218
	s_nop 0
	v_subbrev_co_u32_e32 v164, vcc, 0, v68, vcc
	v_sub_u32_e32 v68, 0, v164
	v_ldexp_f32 v67, v67, v68
	v_ldexp_f32 v68, v150, v68
	v_add_f32_e32 v150, -1.0, v67
	v_add_f32_e32 v69, 1.0, v150
	v_sub_f32_e32 v69, v67, v69
	v_add_f32_e32 v151, v68, v69
	v_add_f32_e32 v69, 1.0, v67
	v_add_f32_e32 v160, -1.0, v69
	v_sub_f32_e32 v67, v67, v160
	v_add_f32_e32 v67, v68, v67
	v_add_f32_e32 v165, v69, v67
	v_rcp_f32_e32 v166, v165
	v_sub_f32_e32 v68, v69, v165
	v_add_f32_e32 v69, v150, v151
	v_add_f32_e32 v67, v67, v68
	v_mul_f32_e32 v176, v69, v166
	v_sub_f32_e32 v68, v150, v69
	v_mul_f32_e32 v150, v165, v176
	v_fma_f32 v160, v176, v165, -v150
	v_fmac_f32_e32 v160, v176, v67
	v_add_f32_e32 v167, v151, v68
	v_add_f32_e32 v68, v150, v160
	v_sub_f32_e32 v151, v69, v68
	v_pk_add_f32 v[162:163], v[68:69], v[150:151] neg_lo:[0,1] neg_hi:[0,1]
	v_mov_b32_e32 v161, v68
	v_pk_add_f32 v[68:69], v[162:163], v[160:161] neg_lo:[0,1] neg_hi:[0,1]
	v_cmp_eq_f32_e32 vcc, s65, v149
	v_add_f32_e32 v69, v167, v69
	v_add_f32_e32 v68, v68, v69
	;; [unrolled: 1-line block ×3, first 2 shown]
	v_mul_f32_e32 v167, v166, v69
	v_mul_f32_e32 v150, v165, v167
	v_fma_f32 v160, v167, v165, -v150
	v_fmac_f32_e32 v160, v167, v67
	v_sub_f32_e32 v67, v151, v69
	v_add_f32_e32 v67, v68, v67
	v_add_f32_e32 v68, v150, v160
	v_sub_f32_e32 v151, v69, v68
	v_pk_add_f32 v[162:163], v[68:69], v[150:151] neg_lo:[0,1] neg_hi:[0,1]
	v_mov_b32_e32 v161, v68
	v_pk_add_f32 v[68:69], v[162:163], v[160:161] neg_lo:[0,1] neg_hi:[0,1]
	v_cvt_f32_i32_e32 v150, v164
	v_add_f32_e32 v67, v67, v69
	v_add_f32_e32 v67, v68, v67
	;; [unrolled: 1-line block ×4, first 2 shown]
	v_sub_f32_e32 v69, v68, v176
	v_mul_f32_e32 v67, v166, v67
	v_sub_f32_e32 v69, v167, v69
	v_add_f32_e32 v67, v69, v67
	v_add_f32_e32 v151, v68, v67
	v_mul_f32_e32 v160, v151, v151
	v_mov_b32_e32 v69, 0x3ecc95a3
	v_fmac_f32_e32 v69, 0x3e9b6dac, v160
	v_sub_f32_e32 v68, v151, v68
	v_fmaak_f32 v69, v160, v69, 0x3f2aaada
	v_sub_f32_e32 v67, v67, v68
	v_ldexp_f32 v161, v151, 1
	v_mul_f32_e32 v151, v151, v160
	v_mov_b32_e32 v68, 0x3f317218
	v_pk_mul_f32 v[68:69], v[150:151], v[68:69]
	v_ldexp_f32 v67, v67, 1
	v_fma_f32 v151, v150, s64, -v68
	v_fmamk_f32 v160, v150, 0xb102e308, v151
	v_pk_add_f32 v[150:151], v[68:69], v[160:161]
	v_mov_b32_e32 v162, v68
	v_sub_f32_e32 v161, v151, v161
	v_sub_f32_e32 v161, v69, v161
	v_add_f32_e32 v163, v67, v161
	v_pk_add_f32 v[68:69], v[150:151], v[68:69] neg_lo:[0,1] neg_hi:[0,1]
	v_pk_add_f32 v[164:165], v[150:151], v[162:163]
	v_mov_b32_e32 v161, v150
	v_mov_b32_e32 v69, v165
	v_pk_add_f32 v[166:167], v[160:161], v[68:69] neg_lo:[0,1] neg_hi:[0,1]
	v_pk_add_f32 v[68:69], v[160:161], v[68:69]
	v_mov_b32_e32 v162, v163
	v_mov_b32_e32 v160, v69
	v_pk_add_f32 v[176:177], v[160:161], v[150:151] neg_lo:[0,1] neg_hi:[0,1]
	v_mov_b32_e32 v68, v165
	v_mov_b32_e32 v67, v176
	v_pk_add_f32 v[178:179], v[164:165], v[66:67] neg_lo:[0,1] neg_hi:[0,1]
	v_mov_b32_e32 v164, v151
	v_mov_b32_e32 v165, v176
	;; [unrolled: 1-line block ×3, first 2 shown]
	v_pk_add_f32 v[68:69], v[68:69], v[164:165] neg_lo:[0,1] neg_hi:[0,1]
	v_mov_b32_e32 v163, v150
	v_pk_add_f32 v[68:69], v[162:163], v[68:69] neg_lo:[0,1] neg_hi:[0,1]
	v_mov_b32_e32 v178, v166
	v_pk_add_f32 v[150:151], v[178:179], v[68:69]
	s_mov_b32 s64, 0x33800000
	v_mov_b32_e32 v162, v151
	v_pk_add_f32 v[162:163], v[150:151], v[162:163]
	v_cmp_lt_f32_e64 s[64:65], |v149|, s64
	v_pk_add_f32 v[160:161], v[160:161], v[162:163]
	v_mov_b32_e32 v69, v162
	v_mov_b32_e32 v151, v160
	v_pk_add_f32 v[164:165], v[150:151], v[166:167] neg_lo:[0,1] neg_hi:[0,1]
	s_or_b64 vcc, vcc, s[64:65]
	v_sub_f32_e32 v67, v150, v164
	v_pk_add_f32 v[68:69], v[68:69], v[164:165] neg_lo:[0,1] neg_hi:[0,1]
	v_sub_f32_e32 v67, v166, v67
	v_add_f32_e32 v67, v68, v67
	v_add_f32_e32 v67, v67, v69
	;; [unrolled: 1-line block ×3, first 2 shown]
	v_cndmask_b32_e32 v67, v67, v149, vcc
	v_add_f32_e32 v68, v64, v67
.LBB121_171:
	s_or_b64 exec, exec, s[58:59]
	v_mov_b32_e32 v64, v68
	v_mov_b32_e32 v67, v68
.LBB121_172:
	s_or_b64 exec, exec, s[62:63]
	v_cmp_gt_u32_e32 vcc, 32, v49
	v_add_u32_e32 v150, 32, v49
	s_waitcnt lgkmcnt(0)
	v_cndmask_b32_e64 v68, 0, 1, vcc
	v_lshlrev_b32_e32 v68, 5, v68
	v_add_lshl_u32 v149, v68, v53, 2
	ds_bpermute_b32 v64, v149, v64
	v_cmp_le_u32_e32 vcc, v150, v66
	s_and_saveexec_b64 s[62:63], vcc
	s_cbranch_execz .LBB121_176
; %bb.173:
	v_max_f32_e32 v53, v67, v67
	s_waitcnt lgkmcnt(0)
	v_max_f32_e32 v68, v64, v64
	v_min_f32_e32 v66, v68, v53
	v_cmp_u_f32_e32 vcc, v64, v64
	v_max_f32_e32 v53, v68, v53
	v_cmp_u_f32_e64 s[58:59], v67, v67
	v_cndmask_b32_e32 v66, v66, v64, vcc
	v_cndmask_b32_e32 v53, v53, v64, vcc
	v_cndmask_b32_e64 v66, v66, v67, s[58:59]
	v_cndmask_b32_e64 v53, v53, v67, s[58:59]
	s_movk_i32 s58, 0x1f8
	v_cmp_neq_f32_e32 vcc, v66, v53
	v_cmp_class_f32_e64 s[58:59], v66, s58
	s_or_b64 vcc, vcc, s[58:59]
	s_and_saveexec_b64 s[58:59], vcc
	s_cbranch_execz .LBB121_175
; %bb.174:
	v_sub_f32_e32 v64, v66, v53
	s_mov_b32 s64, 0x3fb8aa3b
	v_mul_f32_e32 v66, 0x3fb8aa3b, v64
	v_fma_f32 v67, v64, s64, -v66
	v_rndne_f32_e32 v68, v66
	v_fmamk_f32 v67, v64, 0x32a5705f, v67
	v_sub_f32_e32 v66, v66, v68
	v_add_f32_e32 v66, v66, v67
	v_exp_f32_e32 v66, v66
	v_cvt_i32_f32_e32 v67, v68
	s_mov_b32 s64, 0xc2ce8ed0
	v_cmp_ngt_f32_e32 vcc, s64, v64
	s_mov_b32 s64, 0x42b17218
	v_ldexp_f32 v66, v66, v67
	v_cndmask_b32_e32 v66, 0, v66, vcc
	v_mov_b32_e32 v67, 0x7f800000
	v_cmp_nlt_f32_e32 vcc, s64, v64
	s_mov_b32 s64, 0x3f2aaaab
	s_mov_b32 s65, 0x7f800000
	v_cndmask_b32_e32 v178, v67, v66, vcc
	v_add_f32_e32 v64, 1.0, v178
	v_add_f32_e32 v66, -1.0, v64
	v_sub_f32_e32 v67, v66, v64
	v_add_f32_e32 v67, 1.0, v67
	v_sub_f32_e32 v66, v178, v66
	v_add_f32_e32 v68, v66, v67
	v_frexp_mant_f32_e32 v69, v64
	v_cvt_f64_f32_e32 v[66:67], v64
	v_frexp_exp_i32_f64_e32 v66, v[66:67]
	v_cmp_gt_f32_e32 vcc, s64, v69
	s_mov_b32 s64, 0x3f317218
	s_nop 0
	v_subbrev_co_u32_e32 v151, vcc, 0, v66, vcc
	v_sub_u32_e32 v66, 0, v151
	v_ldexp_f32 v64, v64, v66
	v_ldexp_f32 v66, v68, v66
	v_add_f32_e32 v68, -1.0, v64
	v_add_f32_e32 v67, 1.0, v68
	v_sub_f32_e32 v67, v64, v67
	v_add_f32_e32 v69, v66, v67
	v_add_f32_e32 v67, 1.0, v64
	v_add_f32_e32 v160, -1.0, v67
	v_sub_f32_e32 v64, v64, v160
	v_add_f32_e32 v64, v66, v64
	v_add_f32_e32 v164, v67, v64
	v_rcp_f32_e32 v165, v164
	v_sub_f32_e32 v66, v67, v164
	v_add_f32_e32 v67, v68, v69
	v_add_f32_e32 v64, v64, v66
	v_mul_f32_e32 v167, v67, v165
	v_sub_f32_e32 v66, v68, v67
	v_mul_f32_e32 v68, v164, v167
	v_fma_f32 v160, v167, v164, -v68
	v_fmac_f32_e32 v160, v167, v64
	v_add_f32_e32 v166, v69, v66
	v_add_f32_e32 v66, v68, v160
	v_sub_f32_e32 v69, v67, v66
	v_pk_add_f32 v[162:163], v[66:67], v[68:69] neg_lo:[0,1] neg_hi:[0,1]
	v_mov_b32_e32 v161, v66
	v_pk_add_f32 v[66:67], v[162:163], v[160:161] neg_lo:[0,1] neg_hi:[0,1]
	v_cmp_eq_f32_e32 vcc, s65, v178
	v_add_f32_e32 v67, v166, v67
	v_add_f32_e32 v66, v66, v67
	;; [unrolled: 1-line block ×3, first 2 shown]
	v_mul_f32_e32 v166, v165, v67
	v_mul_f32_e32 v68, v164, v166
	v_fma_f32 v160, v166, v164, -v68
	v_fmac_f32_e32 v160, v166, v64
	v_sub_f32_e32 v64, v69, v67
	v_add_f32_e32 v64, v66, v64
	v_add_f32_e32 v66, v68, v160
	v_sub_f32_e32 v69, v67, v66
	v_pk_add_f32 v[162:163], v[66:67], v[68:69] neg_lo:[0,1] neg_hi:[0,1]
	v_mov_b32_e32 v161, v66
	v_pk_add_f32 v[66:67], v[162:163], v[160:161] neg_lo:[0,1] neg_hi:[0,1]
	v_cvt_f32_i32_e32 v68, v151
	v_add_f32_e32 v64, v64, v67
	v_add_f32_e32 v64, v66, v64
	;; [unrolled: 1-line block ×4, first 2 shown]
	v_sub_f32_e32 v67, v66, v167
	v_mul_f32_e32 v64, v165, v64
	v_sub_f32_e32 v67, v166, v67
	v_add_f32_e32 v64, v67, v64
	v_add_f32_e32 v69, v66, v64
	v_mul_f32_e32 v160, v69, v69
	v_mov_b32_e32 v67, 0x3ecc95a3
	v_fmac_f32_e32 v67, 0x3e9b6dac, v160
	v_sub_f32_e32 v66, v69, v66
	v_fmaak_f32 v67, v160, v67, 0x3f2aaada
	v_sub_f32_e32 v64, v64, v66
	v_ldexp_f32 v161, v69, 1
	v_mul_f32_e32 v69, v69, v160
	v_mov_b32_e32 v66, 0x3f317218
	v_pk_mul_f32 v[66:67], v[68:69], v[66:67]
	v_ldexp_f32 v64, v64, 1
	v_fma_f32 v69, v68, s64, -v66
	v_fmamk_f32 v160, v68, 0xb102e308, v69
	v_pk_add_f32 v[68:69], v[66:67], v[160:161]
	v_mov_b32_e32 v162, v66
	v_sub_f32_e32 v151, v69, v161
	v_sub_f32_e32 v151, v67, v151
	v_add_f32_e32 v163, v64, v151
	v_pk_add_f32 v[66:67], v[68:69], v[66:67] neg_lo:[0,1] neg_hi:[0,1]
	v_pk_add_f32 v[164:165], v[68:69], v[162:163]
	v_mov_b32_e32 v161, v68
	v_mov_b32_e32 v67, v165
	v_pk_add_f32 v[166:167], v[160:161], v[66:67] neg_lo:[0,1] neg_hi:[0,1]
	v_pk_add_f32 v[66:67], v[160:161], v[66:67]
	s_mov_b32 s64, 0x33800000
	v_mov_b32_e32 v64, v67
	v_pk_add_f32 v[160:161], v[64:65], v[68:69] neg_lo:[0,1] neg_hi:[0,1]
	v_mov_b32_e32 v66, v165
	v_mov_b32_e32 v151, v160
	v_pk_add_f32 v[176:177], v[164:165], v[150:151] neg_lo:[0,1] neg_hi:[0,1]
	v_mov_b32_e32 v164, v69
	v_mov_b32_e32 v165, v160
	;; [unrolled: 1-line block ×3, first 2 shown]
	v_pk_add_f32 v[66:67], v[66:67], v[164:165] neg_lo:[0,1] neg_hi:[0,1]
	v_mov_b32_e32 v160, v163
	v_mov_b32_e32 v161, v68
	v_pk_add_f32 v[66:67], v[160:161], v[66:67] neg_lo:[0,1] neg_hi:[0,1]
	v_mov_b32_e32 v176, v166
	v_pk_add_f32 v[68:69], v[176:177], v[66:67]
	v_cmp_lt_f32_e64 s[64:65], |v178|, s64
	v_mov_b32_e32 v160, v69
	v_pk_add_f32 v[160:161], v[68:69], v[160:161]
	s_or_b64 vcc, vcc, s[64:65]
	v_pk_add_f32 v[162:163], v[64:65], v[160:161]
	v_mov_b32_e32 v67, v160
	v_mov_b32_e32 v69, v162
	v_pk_add_f32 v[164:165], v[68:69], v[166:167] neg_lo:[0,1] neg_hi:[0,1]
	s_nop 0
	v_sub_f32_e32 v64, v68, v164
	v_pk_add_f32 v[66:67], v[66:67], v[164:165] neg_lo:[0,1] neg_hi:[0,1]
	v_sub_f32_e32 v64, v166, v64
	v_add_f32_e32 v64, v66, v64
	v_add_f32_e32 v64, v64, v67
	;; [unrolled: 1-line block ×3, first 2 shown]
	v_cndmask_b32_e32 v64, v64, v178, vcc
	v_add_f32_e32 v64, v53, v64
.LBB121_175:
	s_or_b64 exec, exec, s[58:59]
	v_mov_b32_e32 v67, v64
.LBB121_176:
	s_or_b64 exec, exec, s[62:63]
	v_mov_b32_e32 v53, 0
	s_movk_i32 s64, 0x1f8
	s_mov_b32 s65, 0x3fb8aa3b
	s_mov_b32 s66, 0xc2ce8ed0
	;; [unrolled: 1-line block ×5, first 2 shown]
	v_mov_b32_e32 v160, 0x3ecc95a3
	s_mov_b32 s70, 0x3f317218
	s_mov_b32 s71, 0x33800000
	v_mov_b32_e32 v161, 2
	v_mov_b32_e32 v162, 0x7f800000
	;; [unrolled: 1-line block ×3, first 2 shown]
                                        ; implicit-def: $vgpr64
	s_branch .LBB121_178
.LBB121_177:                            ;   in Loop: Header=BB121_178 Depth=1
	s_or_b64 exec, exec, s[58:59]
	v_subrev_u32_e32 v52, 64, v52
.LBB121_178:                            ; =>This Loop Header: Depth=1
                                        ;     Child Loop BB121_181 Depth 2
                                        ;       Child Loop BB121_182 Depth 3
	v_cmp_ne_u16_sdwa vcc, v65, v161 src0_sel:BYTE_0 src1_sel:DWORD
	v_mov_b32_e32 v151, v67
	s_waitcnt lgkmcnt(0)
	v_cndmask_b32_e64 v64, 0, 1, vcc
	;;#ASMSTART
	;;#ASMEND
	s_nop 0
	v_cmp_ne_u32_e32 vcc, 0, v64
	s_cmp_lg_u64 vcc, exec
	s_cbranch_scc1 .LBB121_211
; %bb.179:                              ;   in Loop: Header=BB121_178 Depth=1
	v_lshl_add_u64 v[68:69], v[52:53], 3, v[96:97]
	flat_load_dwordx2 v[64:65], v[68:69] sc1
	s_waitcnt vmcnt(0) lgkmcnt(0)
	v_cmp_eq_u16_sdwa s[58:59], v65, v53 src0_sel:BYTE_0 src1_sel:DWORD
	s_and_saveexec_b64 vcc, s[58:59]
	s_cbranch_execz .LBB121_185
; %bb.180:                              ;   in Loop: Header=BB121_178 Depth=1
	s_mov_b32 s62, 1
	s_mov_b64 s[58:59], 0
.LBB121_181:                            ;   Parent Loop BB121_178 Depth=1
                                        ; =>  This Loop Header: Depth=2
                                        ;       Child Loop BB121_182 Depth 3
	s_max_u32 s63, s62, 1
.LBB121_182:                            ;   Parent Loop BB121_178 Depth=1
                                        ;     Parent Loop BB121_181 Depth=2
                                        ; =>    This Inner Loop Header: Depth=3
	s_add_i32 s63, s63, -1
	s_cmp_eq_u32 s63, 0
	s_sleep 1
	s_cbranch_scc0 .LBB121_182
; %bb.183:                              ;   in Loop: Header=BB121_181 Depth=2
	flat_load_dwordx2 v[64:65], v[68:69] sc1
	s_cmp_lt_u32 s62, 32
	s_cselect_b64 s[72:73], -1, 0
	s_cmp_lg_u64 s[72:73], 0
	s_addc_u32 s62, s62, 0
	s_waitcnt vmcnt(0) lgkmcnt(0)
	v_cmp_ne_u16_sdwa s[72:73], v65, v53 src0_sel:BYTE_0 src1_sel:DWORD
	s_or_b64 s[58:59], s[72:73], s[58:59]
	s_andn2_b64 exec, exec, s[58:59]
	s_cbranch_execnz .LBB121_181
; %bb.184:                              ;   in Loop: Header=BB121_178 Depth=1
	s_or_b64 exec, exec, s[58:59]
.LBB121_185:                            ;   in Loop: Header=BB121_178 Depth=1
	s_or_b64 exec, exec, vcc
	v_cmp_eq_u16_sdwa vcc, v65, v161 src0_sel:BYTE_0 src1_sel:DWORD
	ds_bpermute_b32 v69, v51, v64
	s_nop 0
	v_and_b32_e32 v67, vcc_hi, v55
	v_or_b32_e32 v67, 0x80000000, v67
	v_and_b32_e32 v68, vcc_lo, v54
	v_ffbl_b32_e32 v67, v67
	v_add_u32_e32 v67, 32, v67
	v_ffbl_b32_e32 v68, v68
	v_min_u32_e32 v68, v68, v67
	v_cmp_lt_u32_e32 vcc, v49, v68
	v_mov_b32_e32 v67, v64
	s_and_saveexec_b64 s[62:63], vcc
	s_cbranch_execz .LBB121_189
; %bb.186:                              ;   in Loop: Header=BB121_178 Depth=1
	v_max_f32_e32 v163, v64, v64
	s_waitcnt lgkmcnt(0)
	v_max_f32_e32 v164, v69, v69
	v_min_f32_e32 v67, v164, v163
	v_cmp_u_f32_e32 vcc, v69, v69
	v_max_f32_e32 v163, v164, v163
	v_cmp_u_f32_e64 s[58:59], v64, v64
	v_cndmask_b32_e32 v67, v67, v69, vcc
	v_cndmask_b32_e32 v163, v163, v69, vcc
	v_cndmask_b32_e64 v67, v67, v64, s[58:59]
	v_cndmask_b32_e64 v64, v163, v64, s[58:59]
	v_cmp_neq_f32_e32 vcc, v67, v64
	v_cmp_class_f32_e64 s[58:59], v67, s64
	s_or_b64 vcc, vcc, s[58:59]
	s_and_saveexec_b64 s[58:59], vcc
	s_cbranch_execz .LBB121_188
; %bb.187:                              ;   in Loop: Header=BB121_178 Depth=1
	v_sub_f32_e32 v67, v67, v64
	v_mul_f32_e32 v69, 0x3fb8aa3b, v67
	v_fma_f32 v163, v67, s65, -v69
	v_rndne_f32_e32 v164, v69
	v_fmac_f32_e32 v163, 0x32a5705f, v67
	v_sub_f32_e32 v69, v69, v164
	v_add_f32_e32 v69, v69, v163
	v_cvt_i32_f32_e32 v163, v164
	v_exp_f32_e32 v69, v69
	v_cmp_ngt_f32_e32 vcc, s66, v67
	v_ldexp_f32 v69, v69, v163
	s_nop 0
	v_cndmask_b32_e32 v69, 0, v69, vcc
	v_cmp_nlt_f32_e32 vcc, s67, v67
	s_nop 1
	v_cndmask_b32_e32 v69, v162, v69, vcc
	v_add_f32_e32 v67, 1.0, v69
	v_add_f32_e32 v163, -1.0, v67
	v_sub_f32_e32 v164, v163, v67
	v_add_f32_e32 v164, 1.0, v164
	v_sub_f32_e32 v163, v69, v163
	v_add_f32_e32 v163, v163, v164
	v_frexp_mant_f32_e32 v166, v67
	v_cvt_f64_f32_e32 v[164:165], v67
	v_frexp_exp_i32_f64_e32 v164, v[164:165]
	v_cmp_gt_f32_e32 vcc, s69, v166
	v_cmp_lt_f32_e64 s[72:73], |v69|, s71
	s_nop 0
	v_subbrev_co_u32_e32 v180, vcc, 0, v164, vcc
	v_sub_u32_e32 v164, 0, v180
	v_ldexp_f32 v67, v67, v164
	v_ldexp_f32 v163, v163, v164
	v_add_f32_e32 v164, -1.0, v67
	v_add_f32_e32 v165, 1.0, v164
	v_sub_f32_e32 v165, v67, v165
	v_add_f32_e32 v166, v163, v165
	v_add_f32_e32 v165, 1.0, v67
	v_add_f32_e32 v167, -1.0, v165
	v_sub_f32_e32 v67, v67, v167
	v_add_f32_e32 v67, v163, v67
	v_add_f32_e32 v163, v165, v67
	v_rcp_f32_e32 v181, v163
	v_sub_f32_e32 v165, v165, v163
	v_add_f32_e32 v67, v67, v165
	v_add_f32_e32 v165, v164, v166
	v_sub_f32_e32 v164, v164, v165
	v_mul_f32_e32 v183, v165, v181
	v_add_f32_e32 v182, v166, v164
	v_mul_f32_e32 v166, v163, v183
	v_fma_f32 v176, v183, v163, -v166
	v_fmac_f32_e32 v176, v183, v67
	v_add_f32_e32 v164, v166, v176
	v_sub_f32_e32 v167, v165, v164
	v_pk_add_f32 v[178:179], v[164:165], v[166:167] neg_lo:[0,1] neg_hi:[0,1]
	v_mov_b32_e32 v177, v164
	v_pk_add_f32 v[164:165], v[178:179], v[176:177] neg_lo:[0,1] neg_hi:[0,1]
	v_cmp_eq_f32_e32 vcc, s68, v69
	v_add_f32_e32 v165, v182, v165
	v_add_f32_e32 v164, v164, v165
	;; [unrolled: 1-line block ×3, first 2 shown]
	v_mul_f32_e32 v182, v181, v165
	v_mul_f32_e32 v166, v163, v182
	v_fma_f32 v176, v182, v163, -v166
	v_fmac_f32_e32 v176, v182, v67
	v_sub_f32_e32 v67, v167, v165
	v_add_f32_e32 v67, v164, v67
	v_add_f32_e32 v164, v166, v176
	v_sub_f32_e32 v167, v165, v164
	v_pk_add_f32 v[178:179], v[164:165], v[166:167] neg_lo:[0,1] neg_hi:[0,1]
	v_mov_b32_e32 v177, v164
	v_pk_add_f32 v[164:165], v[178:179], v[176:177] neg_lo:[0,1] neg_hi:[0,1]
	v_add_f32_e32 v163, v183, v182
	v_add_f32_e32 v67, v67, v165
	;; [unrolled: 1-line block ×4, first 2 shown]
	v_sub_f32_e32 v164, v163, v183
	v_mul_f32_e32 v67, v181, v67
	v_sub_f32_e32 v164, v182, v164
	v_add_f32_e32 v165, v164, v67
	v_add_f32_e32 v166, v163, v165
	v_cvt_f32_i32_e32 v164, v180
	v_mul_f32_e32 v176, v166, v166
	v_fmamk_f32 v67, v176, 0x3e9b6dac, v160
	v_sub_f32_e32 v163, v166, v163
	v_fmaak_f32 v67, v176, v67, 0x3f2aaada
	v_sub_f32_e32 v163, v165, v163
	v_mul_f32_e32 v165, v166, v176
	v_pk_mul_f32 v[176:177], v[164:165], v[66:67]
	v_ldexp_f32 v167, v166, 1
	v_fma_f32 v166, v164, s70, -v176
	v_fmac_f32_e32 v166, 0xb102e308, v164
	v_pk_add_f32 v[164:165], v[176:177], v[166:167]
	v_ldexp_f32 v163, v163, 1
	v_sub_f32_e32 v67, v165, v167
	v_sub_f32_e32 v67, v177, v67
	v_add_f32_e32 v179, v163, v67
	v_mov_b32_e32 v178, v176
	v_pk_add_f32 v[176:177], v[164:165], v[176:177] neg_lo:[0,1] neg_hi:[0,1]
	v_pk_add_f32 v[180:181], v[164:165], v[178:179]
	v_mov_b32_e32 v167, v164
	v_mov_b32_e32 v177, v181
	v_pk_add_f32 v[182:183], v[166:167], v[176:177] neg_lo:[0,1] neg_hi:[0,1]
	v_pk_add_f32 v[166:167], v[166:167], v[176:177]
	v_mov_b32_e32 v178, v179
	v_mov_b32_e32 v176, v167
	v_pk_add_f32 v[192:193], v[176:177], v[164:165] neg_lo:[0,1] neg_hi:[0,1]
	v_mov_b32_e32 v166, v181
	v_mov_b32_e32 v67, v192
	v_pk_add_f32 v[194:195], v[180:181], v[66:67] neg_lo:[0,1] neg_hi:[0,1]
	v_mov_b32_e32 v180, v165
	v_mov_b32_e32 v181, v192
	;; [unrolled: 1-line block ×3, first 2 shown]
	v_pk_add_f32 v[166:167], v[166:167], v[180:181] neg_lo:[0,1] neg_hi:[0,1]
	v_mov_b32_e32 v179, v164
	v_pk_add_f32 v[164:165], v[178:179], v[166:167] neg_lo:[0,1] neg_hi:[0,1]
	v_mov_b32_e32 v194, v182
	v_pk_add_f32 v[166:167], v[194:195], v[164:165]
	s_or_b64 vcc, vcc, s[72:73]
	v_mov_b32_e32 v178, v167
	v_pk_add_f32 v[178:179], v[166:167], v[178:179]
	s_nop 0
	v_pk_add_f32 v[176:177], v[176:177], v[178:179]
	v_mov_b32_e32 v165, v178
	v_mov_b32_e32 v167, v176
	v_pk_add_f32 v[180:181], v[166:167], v[182:183] neg_lo:[0,1] neg_hi:[0,1]
	s_nop 0
	v_sub_f32_e32 v67, v166, v180
	v_pk_add_f32 v[164:165], v[164:165], v[180:181] neg_lo:[0,1] neg_hi:[0,1]
	v_sub_f32_e32 v67, v182, v67
	v_add_f32_e32 v67, v164, v67
	v_add_f32_e32 v67, v67, v165
	;; [unrolled: 1-line block ×3, first 2 shown]
	v_cndmask_b32_e32 v67, v67, v69, vcc
	v_add_f32_e32 v69, v64, v67
.LBB121_188:                            ;   in Loop: Header=BB121_178 Depth=1
	s_or_b64 exec, exec, s[58:59]
	v_mov_b32_e32 v64, v69
	v_mov_b32_e32 v67, v69
.LBB121_189:                            ;   in Loop: Header=BB121_178 Depth=1
	s_or_b64 exec, exec, s[62:63]
	s_waitcnt lgkmcnt(0)
	ds_bpermute_b32 v69, v133, v64
	v_cmp_le_u32_e32 vcc, v134, v68
	s_and_saveexec_b64 s[62:63], vcc
	s_cbranch_execz .LBB121_193
; %bb.190:                              ;   in Loop: Header=BB121_178 Depth=1
	v_max_f32_e32 v64, v67, v67
	s_waitcnt lgkmcnt(0)
	v_max_f32_e32 v164, v69, v69
	v_min_f32_e32 v163, v164, v64
	v_cmp_u_f32_e32 vcc, v69, v69
	v_max_f32_e32 v64, v164, v64
	v_cmp_u_f32_e64 s[58:59], v67, v67
	v_cndmask_b32_e32 v163, v163, v69, vcc
	v_cndmask_b32_e32 v64, v64, v69, vcc
	v_cndmask_b32_e64 v163, v163, v67, s[58:59]
	v_cndmask_b32_e64 v64, v64, v67, s[58:59]
	v_cmp_neq_f32_e32 vcc, v163, v64
	v_cmp_class_f32_e64 s[58:59], v163, s64
	s_or_b64 vcc, vcc, s[58:59]
	s_and_saveexec_b64 s[58:59], vcc
	s_cbranch_execz .LBB121_192
; %bb.191:                              ;   in Loop: Header=BB121_178 Depth=1
	v_sub_f32_e32 v67, v163, v64
	v_mul_f32_e32 v69, 0x3fb8aa3b, v67
	v_fma_f32 v163, v67, s65, -v69
	v_rndne_f32_e32 v164, v69
	v_fmac_f32_e32 v163, 0x32a5705f, v67
	v_sub_f32_e32 v69, v69, v164
	v_add_f32_e32 v69, v69, v163
	v_cvt_i32_f32_e32 v163, v164
	v_exp_f32_e32 v69, v69
	v_cmp_ngt_f32_e32 vcc, s66, v67
	v_ldexp_f32 v69, v69, v163
	s_nop 0
	v_cndmask_b32_e32 v69, 0, v69, vcc
	v_cmp_nlt_f32_e32 vcc, s67, v67
	s_nop 1
	v_cndmask_b32_e32 v69, v162, v69, vcc
	v_add_f32_e32 v67, 1.0, v69
	v_add_f32_e32 v163, -1.0, v67
	v_sub_f32_e32 v164, v163, v67
	v_add_f32_e32 v164, 1.0, v164
	v_sub_f32_e32 v163, v69, v163
	v_add_f32_e32 v163, v163, v164
	v_frexp_mant_f32_e32 v166, v67
	v_cvt_f64_f32_e32 v[164:165], v67
	v_frexp_exp_i32_f64_e32 v164, v[164:165]
	v_cmp_gt_f32_e32 vcc, s69, v166
	v_cmp_lt_f32_e64 s[72:73], |v69|, s71
	s_nop 0
	v_subbrev_co_u32_e32 v180, vcc, 0, v164, vcc
	v_sub_u32_e32 v164, 0, v180
	v_ldexp_f32 v67, v67, v164
	v_ldexp_f32 v163, v163, v164
	v_add_f32_e32 v164, -1.0, v67
	v_add_f32_e32 v165, 1.0, v164
	v_sub_f32_e32 v165, v67, v165
	v_add_f32_e32 v166, v163, v165
	v_add_f32_e32 v165, 1.0, v67
	v_add_f32_e32 v167, -1.0, v165
	v_sub_f32_e32 v67, v67, v167
	v_add_f32_e32 v67, v163, v67
	v_add_f32_e32 v163, v165, v67
	v_rcp_f32_e32 v181, v163
	v_sub_f32_e32 v165, v165, v163
	v_add_f32_e32 v67, v67, v165
	v_add_f32_e32 v165, v164, v166
	v_sub_f32_e32 v164, v164, v165
	v_mul_f32_e32 v183, v165, v181
	v_add_f32_e32 v182, v166, v164
	v_mul_f32_e32 v166, v163, v183
	v_fma_f32 v176, v183, v163, -v166
	v_fmac_f32_e32 v176, v183, v67
	v_add_f32_e32 v164, v166, v176
	v_sub_f32_e32 v167, v165, v164
	v_pk_add_f32 v[178:179], v[164:165], v[166:167] neg_lo:[0,1] neg_hi:[0,1]
	v_mov_b32_e32 v177, v164
	v_pk_add_f32 v[164:165], v[178:179], v[176:177] neg_lo:[0,1] neg_hi:[0,1]
	v_cmp_eq_f32_e32 vcc, s68, v69
	v_add_f32_e32 v165, v182, v165
	v_add_f32_e32 v164, v164, v165
	;; [unrolled: 1-line block ×3, first 2 shown]
	v_mul_f32_e32 v182, v181, v165
	v_mul_f32_e32 v166, v163, v182
	v_fma_f32 v176, v182, v163, -v166
	v_fmac_f32_e32 v176, v182, v67
	v_sub_f32_e32 v67, v167, v165
	v_add_f32_e32 v67, v164, v67
	v_add_f32_e32 v164, v166, v176
	v_sub_f32_e32 v167, v165, v164
	v_pk_add_f32 v[178:179], v[164:165], v[166:167] neg_lo:[0,1] neg_hi:[0,1]
	v_mov_b32_e32 v177, v164
	v_pk_add_f32 v[164:165], v[178:179], v[176:177] neg_lo:[0,1] neg_hi:[0,1]
	v_add_f32_e32 v163, v183, v182
	v_add_f32_e32 v67, v67, v165
	;; [unrolled: 1-line block ×4, first 2 shown]
	v_sub_f32_e32 v164, v163, v183
	v_mul_f32_e32 v67, v181, v67
	v_sub_f32_e32 v164, v182, v164
	v_add_f32_e32 v165, v164, v67
	v_add_f32_e32 v166, v163, v165
	v_cvt_f32_i32_e32 v164, v180
	v_mul_f32_e32 v176, v166, v166
	v_fmamk_f32 v67, v176, 0x3e9b6dac, v160
	v_sub_f32_e32 v163, v166, v163
	v_fmaak_f32 v67, v176, v67, 0x3f2aaada
	v_sub_f32_e32 v163, v165, v163
	v_mul_f32_e32 v165, v166, v176
	v_pk_mul_f32 v[176:177], v[164:165], v[66:67]
	v_ldexp_f32 v167, v166, 1
	v_fma_f32 v166, v164, s70, -v176
	v_fmac_f32_e32 v166, 0xb102e308, v164
	v_pk_add_f32 v[164:165], v[176:177], v[166:167]
	v_ldexp_f32 v163, v163, 1
	v_sub_f32_e32 v67, v165, v167
	v_sub_f32_e32 v67, v177, v67
	v_add_f32_e32 v179, v163, v67
	v_mov_b32_e32 v178, v176
	v_pk_add_f32 v[176:177], v[164:165], v[176:177] neg_lo:[0,1] neg_hi:[0,1]
	v_pk_add_f32 v[180:181], v[164:165], v[178:179]
	v_mov_b32_e32 v167, v164
	v_mov_b32_e32 v177, v181
	v_pk_add_f32 v[182:183], v[166:167], v[176:177] neg_lo:[0,1] neg_hi:[0,1]
	v_pk_add_f32 v[166:167], v[166:167], v[176:177]
	v_mov_b32_e32 v178, v179
	v_mov_b32_e32 v176, v167
	v_pk_add_f32 v[192:193], v[176:177], v[164:165] neg_lo:[0,1] neg_hi:[0,1]
	v_mov_b32_e32 v166, v181
	v_mov_b32_e32 v67, v192
	v_pk_add_f32 v[194:195], v[180:181], v[66:67] neg_lo:[0,1] neg_hi:[0,1]
	v_mov_b32_e32 v180, v165
	v_mov_b32_e32 v181, v192
	;; [unrolled: 1-line block ×3, first 2 shown]
	v_pk_add_f32 v[166:167], v[166:167], v[180:181] neg_lo:[0,1] neg_hi:[0,1]
	v_mov_b32_e32 v179, v164
	v_pk_add_f32 v[164:165], v[178:179], v[166:167] neg_lo:[0,1] neg_hi:[0,1]
	v_mov_b32_e32 v194, v182
	v_pk_add_f32 v[166:167], v[194:195], v[164:165]
	s_or_b64 vcc, vcc, s[72:73]
	v_mov_b32_e32 v178, v167
	v_pk_add_f32 v[178:179], v[166:167], v[178:179]
	s_nop 0
	v_pk_add_f32 v[176:177], v[176:177], v[178:179]
	v_mov_b32_e32 v165, v178
	v_mov_b32_e32 v167, v176
	v_pk_add_f32 v[180:181], v[166:167], v[182:183] neg_lo:[0,1] neg_hi:[0,1]
	s_nop 0
	v_sub_f32_e32 v67, v166, v180
	v_pk_add_f32 v[164:165], v[164:165], v[180:181] neg_lo:[0,1] neg_hi:[0,1]
	v_sub_f32_e32 v67, v182, v67
	v_add_f32_e32 v67, v164, v67
	v_add_f32_e32 v67, v67, v165
	;; [unrolled: 1-line block ×3, first 2 shown]
	v_cndmask_b32_e32 v67, v67, v69, vcc
	v_add_f32_e32 v69, v64, v67
.LBB121_192:                            ;   in Loop: Header=BB121_178 Depth=1
	s_or_b64 exec, exec, s[58:59]
	v_mov_b32_e32 v64, v69
	v_mov_b32_e32 v67, v69
.LBB121_193:                            ;   in Loop: Header=BB121_178 Depth=1
	s_or_b64 exec, exec, s[62:63]
	s_waitcnt lgkmcnt(0)
	ds_bpermute_b32 v69, v135, v64
	v_cmp_le_u32_e32 vcc, v144, v68
	s_and_saveexec_b64 s[62:63], vcc
	s_cbranch_execz .LBB121_197
; %bb.194:                              ;   in Loop: Header=BB121_178 Depth=1
	v_max_f32_e32 v64, v67, v67
	s_waitcnt lgkmcnt(0)
	v_max_f32_e32 v164, v69, v69
	v_min_f32_e32 v163, v164, v64
	v_cmp_u_f32_e32 vcc, v69, v69
	v_max_f32_e32 v64, v164, v64
	v_cmp_u_f32_e64 s[58:59], v67, v67
	v_cndmask_b32_e32 v163, v163, v69, vcc
	v_cndmask_b32_e32 v64, v64, v69, vcc
	v_cndmask_b32_e64 v163, v163, v67, s[58:59]
	v_cndmask_b32_e64 v64, v64, v67, s[58:59]
	v_cmp_neq_f32_e32 vcc, v163, v64
	v_cmp_class_f32_e64 s[58:59], v163, s64
	s_or_b64 vcc, vcc, s[58:59]
	s_and_saveexec_b64 s[58:59], vcc
	s_cbranch_execz .LBB121_196
; %bb.195:                              ;   in Loop: Header=BB121_178 Depth=1
	v_sub_f32_e32 v67, v163, v64
	v_mul_f32_e32 v69, 0x3fb8aa3b, v67
	v_fma_f32 v163, v67, s65, -v69
	v_rndne_f32_e32 v164, v69
	v_fmac_f32_e32 v163, 0x32a5705f, v67
	v_sub_f32_e32 v69, v69, v164
	v_add_f32_e32 v69, v69, v163
	v_cvt_i32_f32_e32 v163, v164
	v_exp_f32_e32 v69, v69
	v_cmp_ngt_f32_e32 vcc, s66, v67
	v_ldexp_f32 v69, v69, v163
	s_nop 0
	v_cndmask_b32_e32 v69, 0, v69, vcc
	v_cmp_nlt_f32_e32 vcc, s67, v67
	s_nop 1
	v_cndmask_b32_e32 v69, v162, v69, vcc
	v_add_f32_e32 v67, 1.0, v69
	v_add_f32_e32 v163, -1.0, v67
	v_sub_f32_e32 v164, v163, v67
	v_add_f32_e32 v164, 1.0, v164
	v_sub_f32_e32 v163, v69, v163
	v_add_f32_e32 v163, v163, v164
	v_frexp_mant_f32_e32 v166, v67
	v_cvt_f64_f32_e32 v[164:165], v67
	v_frexp_exp_i32_f64_e32 v164, v[164:165]
	v_cmp_gt_f32_e32 vcc, s69, v166
	v_cmp_lt_f32_e64 s[72:73], |v69|, s71
	s_nop 0
	v_subbrev_co_u32_e32 v180, vcc, 0, v164, vcc
	v_sub_u32_e32 v164, 0, v180
	v_ldexp_f32 v67, v67, v164
	v_ldexp_f32 v163, v163, v164
	v_add_f32_e32 v164, -1.0, v67
	v_add_f32_e32 v165, 1.0, v164
	v_sub_f32_e32 v165, v67, v165
	v_add_f32_e32 v166, v163, v165
	v_add_f32_e32 v165, 1.0, v67
	v_add_f32_e32 v167, -1.0, v165
	v_sub_f32_e32 v67, v67, v167
	v_add_f32_e32 v67, v163, v67
	v_add_f32_e32 v163, v165, v67
	v_rcp_f32_e32 v181, v163
	v_sub_f32_e32 v165, v165, v163
	v_add_f32_e32 v67, v67, v165
	v_add_f32_e32 v165, v164, v166
	v_sub_f32_e32 v164, v164, v165
	v_mul_f32_e32 v183, v165, v181
	v_add_f32_e32 v182, v166, v164
	v_mul_f32_e32 v166, v163, v183
	v_fma_f32 v176, v183, v163, -v166
	v_fmac_f32_e32 v176, v183, v67
	v_add_f32_e32 v164, v166, v176
	v_sub_f32_e32 v167, v165, v164
	v_pk_add_f32 v[178:179], v[164:165], v[166:167] neg_lo:[0,1] neg_hi:[0,1]
	v_mov_b32_e32 v177, v164
	v_pk_add_f32 v[164:165], v[178:179], v[176:177] neg_lo:[0,1] neg_hi:[0,1]
	v_cmp_eq_f32_e32 vcc, s68, v69
	v_add_f32_e32 v165, v182, v165
	v_add_f32_e32 v164, v164, v165
	v_add_f32_e32 v165, v167, v164
	v_mul_f32_e32 v182, v181, v165
	v_mul_f32_e32 v166, v163, v182
	v_fma_f32 v176, v182, v163, -v166
	v_fmac_f32_e32 v176, v182, v67
	v_sub_f32_e32 v67, v167, v165
	v_add_f32_e32 v67, v164, v67
	v_add_f32_e32 v164, v166, v176
	v_sub_f32_e32 v167, v165, v164
	v_pk_add_f32 v[178:179], v[164:165], v[166:167] neg_lo:[0,1] neg_hi:[0,1]
	v_mov_b32_e32 v177, v164
	v_pk_add_f32 v[164:165], v[178:179], v[176:177] neg_lo:[0,1] neg_hi:[0,1]
	v_add_f32_e32 v163, v183, v182
	v_add_f32_e32 v67, v67, v165
	;; [unrolled: 1-line block ×4, first 2 shown]
	v_sub_f32_e32 v164, v163, v183
	v_mul_f32_e32 v67, v181, v67
	v_sub_f32_e32 v164, v182, v164
	v_add_f32_e32 v165, v164, v67
	v_add_f32_e32 v166, v163, v165
	v_cvt_f32_i32_e32 v164, v180
	v_mul_f32_e32 v176, v166, v166
	v_fmamk_f32 v67, v176, 0x3e9b6dac, v160
	v_sub_f32_e32 v163, v166, v163
	v_fmaak_f32 v67, v176, v67, 0x3f2aaada
	v_sub_f32_e32 v163, v165, v163
	v_mul_f32_e32 v165, v166, v176
	v_pk_mul_f32 v[176:177], v[164:165], v[66:67]
	v_ldexp_f32 v167, v166, 1
	v_fma_f32 v166, v164, s70, -v176
	v_fmac_f32_e32 v166, 0xb102e308, v164
	v_pk_add_f32 v[164:165], v[176:177], v[166:167]
	v_ldexp_f32 v163, v163, 1
	v_sub_f32_e32 v67, v165, v167
	v_sub_f32_e32 v67, v177, v67
	v_add_f32_e32 v179, v163, v67
	v_mov_b32_e32 v178, v176
	v_pk_add_f32 v[176:177], v[164:165], v[176:177] neg_lo:[0,1] neg_hi:[0,1]
	v_pk_add_f32 v[180:181], v[164:165], v[178:179]
	v_mov_b32_e32 v167, v164
	v_mov_b32_e32 v177, v181
	v_pk_add_f32 v[182:183], v[166:167], v[176:177] neg_lo:[0,1] neg_hi:[0,1]
	v_pk_add_f32 v[166:167], v[166:167], v[176:177]
	v_mov_b32_e32 v178, v179
	v_mov_b32_e32 v176, v167
	v_pk_add_f32 v[192:193], v[176:177], v[164:165] neg_lo:[0,1] neg_hi:[0,1]
	v_mov_b32_e32 v166, v181
	v_mov_b32_e32 v67, v192
	v_pk_add_f32 v[194:195], v[180:181], v[66:67] neg_lo:[0,1] neg_hi:[0,1]
	v_mov_b32_e32 v180, v165
	v_mov_b32_e32 v181, v192
	;; [unrolled: 1-line block ×3, first 2 shown]
	v_pk_add_f32 v[166:167], v[166:167], v[180:181] neg_lo:[0,1] neg_hi:[0,1]
	v_mov_b32_e32 v179, v164
	v_pk_add_f32 v[164:165], v[178:179], v[166:167] neg_lo:[0,1] neg_hi:[0,1]
	v_mov_b32_e32 v194, v182
	v_pk_add_f32 v[166:167], v[194:195], v[164:165]
	s_or_b64 vcc, vcc, s[72:73]
	v_mov_b32_e32 v178, v167
	v_pk_add_f32 v[178:179], v[166:167], v[178:179]
	s_nop 0
	v_pk_add_f32 v[176:177], v[176:177], v[178:179]
	v_mov_b32_e32 v165, v178
	v_mov_b32_e32 v167, v176
	v_pk_add_f32 v[180:181], v[166:167], v[182:183] neg_lo:[0,1] neg_hi:[0,1]
	s_nop 0
	v_sub_f32_e32 v67, v166, v180
	v_pk_add_f32 v[164:165], v[164:165], v[180:181] neg_lo:[0,1] neg_hi:[0,1]
	v_sub_f32_e32 v67, v182, v67
	v_add_f32_e32 v67, v164, v67
	v_add_f32_e32 v67, v67, v165
	;; [unrolled: 1-line block ×3, first 2 shown]
	v_cndmask_b32_e32 v67, v67, v69, vcc
	v_add_f32_e32 v69, v64, v67
.LBB121_196:                            ;   in Loop: Header=BB121_178 Depth=1
	s_or_b64 exec, exec, s[58:59]
	v_mov_b32_e32 v64, v69
	v_mov_b32_e32 v67, v69
.LBB121_197:                            ;   in Loop: Header=BB121_178 Depth=1
	s_or_b64 exec, exec, s[62:63]
	s_waitcnt lgkmcnt(0)
	ds_bpermute_b32 v69, v145, v64
	v_cmp_le_u32_e32 vcc, v146, v68
	s_and_saveexec_b64 s[62:63], vcc
	s_cbranch_execz .LBB121_201
; %bb.198:                              ;   in Loop: Header=BB121_178 Depth=1
	v_max_f32_e32 v64, v67, v67
	s_waitcnt lgkmcnt(0)
	v_max_f32_e32 v164, v69, v69
	v_min_f32_e32 v163, v164, v64
	v_cmp_u_f32_e32 vcc, v69, v69
	v_max_f32_e32 v64, v164, v64
	v_cmp_u_f32_e64 s[58:59], v67, v67
	v_cndmask_b32_e32 v163, v163, v69, vcc
	v_cndmask_b32_e32 v64, v64, v69, vcc
	v_cndmask_b32_e64 v163, v163, v67, s[58:59]
	v_cndmask_b32_e64 v64, v64, v67, s[58:59]
	v_cmp_neq_f32_e32 vcc, v163, v64
	v_cmp_class_f32_e64 s[58:59], v163, s64
	s_or_b64 vcc, vcc, s[58:59]
	s_and_saveexec_b64 s[58:59], vcc
	s_cbranch_execz .LBB121_200
; %bb.199:                              ;   in Loop: Header=BB121_178 Depth=1
	v_sub_f32_e32 v67, v163, v64
	v_mul_f32_e32 v69, 0x3fb8aa3b, v67
	v_fma_f32 v163, v67, s65, -v69
	v_rndne_f32_e32 v164, v69
	v_fmac_f32_e32 v163, 0x32a5705f, v67
	v_sub_f32_e32 v69, v69, v164
	v_add_f32_e32 v69, v69, v163
	v_cvt_i32_f32_e32 v163, v164
	v_exp_f32_e32 v69, v69
	v_cmp_ngt_f32_e32 vcc, s66, v67
	v_ldexp_f32 v69, v69, v163
	s_nop 0
	v_cndmask_b32_e32 v69, 0, v69, vcc
	v_cmp_nlt_f32_e32 vcc, s67, v67
	s_nop 1
	v_cndmask_b32_e32 v69, v162, v69, vcc
	v_add_f32_e32 v67, 1.0, v69
	v_add_f32_e32 v163, -1.0, v67
	v_sub_f32_e32 v164, v163, v67
	v_add_f32_e32 v164, 1.0, v164
	v_sub_f32_e32 v163, v69, v163
	v_add_f32_e32 v163, v163, v164
	v_frexp_mant_f32_e32 v166, v67
	v_cvt_f64_f32_e32 v[164:165], v67
	v_frexp_exp_i32_f64_e32 v164, v[164:165]
	v_cmp_gt_f32_e32 vcc, s69, v166
	v_cmp_lt_f32_e64 s[72:73], |v69|, s71
	s_nop 0
	v_subbrev_co_u32_e32 v180, vcc, 0, v164, vcc
	v_sub_u32_e32 v164, 0, v180
	v_ldexp_f32 v67, v67, v164
	v_ldexp_f32 v163, v163, v164
	v_add_f32_e32 v164, -1.0, v67
	v_add_f32_e32 v165, 1.0, v164
	v_sub_f32_e32 v165, v67, v165
	v_add_f32_e32 v166, v163, v165
	v_add_f32_e32 v165, 1.0, v67
	v_add_f32_e32 v167, -1.0, v165
	v_sub_f32_e32 v67, v67, v167
	v_add_f32_e32 v67, v163, v67
	v_add_f32_e32 v163, v165, v67
	v_rcp_f32_e32 v181, v163
	v_sub_f32_e32 v165, v165, v163
	v_add_f32_e32 v67, v67, v165
	v_add_f32_e32 v165, v164, v166
	v_sub_f32_e32 v164, v164, v165
	v_mul_f32_e32 v183, v165, v181
	v_add_f32_e32 v182, v166, v164
	v_mul_f32_e32 v166, v163, v183
	v_fma_f32 v176, v183, v163, -v166
	v_fmac_f32_e32 v176, v183, v67
	v_add_f32_e32 v164, v166, v176
	v_sub_f32_e32 v167, v165, v164
	v_pk_add_f32 v[178:179], v[164:165], v[166:167] neg_lo:[0,1] neg_hi:[0,1]
	v_mov_b32_e32 v177, v164
	v_pk_add_f32 v[164:165], v[178:179], v[176:177] neg_lo:[0,1] neg_hi:[0,1]
	v_cmp_eq_f32_e32 vcc, s68, v69
	v_add_f32_e32 v165, v182, v165
	v_add_f32_e32 v164, v164, v165
	;; [unrolled: 1-line block ×3, first 2 shown]
	v_mul_f32_e32 v182, v181, v165
	v_mul_f32_e32 v166, v163, v182
	v_fma_f32 v176, v182, v163, -v166
	v_fmac_f32_e32 v176, v182, v67
	v_sub_f32_e32 v67, v167, v165
	v_add_f32_e32 v67, v164, v67
	v_add_f32_e32 v164, v166, v176
	v_sub_f32_e32 v167, v165, v164
	v_pk_add_f32 v[178:179], v[164:165], v[166:167] neg_lo:[0,1] neg_hi:[0,1]
	v_mov_b32_e32 v177, v164
	v_pk_add_f32 v[164:165], v[178:179], v[176:177] neg_lo:[0,1] neg_hi:[0,1]
	v_add_f32_e32 v163, v183, v182
	v_add_f32_e32 v67, v67, v165
	;; [unrolled: 1-line block ×4, first 2 shown]
	v_sub_f32_e32 v164, v163, v183
	v_mul_f32_e32 v67, v181, v67
	v_sub_f32_e32 v164, v182, v164
	v_add_f32_e32 v165, v164, v67
	v_add_f32_e32 v166, v163, v165
	v_cvt_f32_i32_e32 v164, v180
	v_mul_f32_e32 v176, v166, v166
	v_fmamk_f32 v67, v176, 0x3e9b6dac, v160
	v_sub_f32_e32 v163, v166, v163
	v_fmaak_f32 v67, v176, v67, 0x3f2aaada
	v_sub_f32_e32 v163, v165, v163
	v_mul_f32_e32 v165, v166, v176
	v_pk_mul_f32 v[176:177], v[164:165], v[66:67]
	v_ldexp_f32 v167, v166, 1
	v_fma_f32 v166, v164, s70, -v176
	v_fmac_f32_e32 v166, 0xb102e308, v164
	v_pk_add_f32 v[164:165], v[176:177], v[166:167]
	v_ldexp_f32 v163, v163, 1
	v_sub_f32_e32 v67, v165, v167
	v_sub_f32_e32 v67, v177, v67
	v_add_f32_e32 v179, v163, v67
	v_mov_b32_e32 v178, v176
	v_pk_add_f32 v[176:177], v[164:165], v[176:177] neg_lo:[0,1] neg_hi:[0,1]
	v_pk_add_f32 v[180:181], v[164:165], v[178:179]
	v_mov_b32_e32 v167, v164
	v_mov_b32_e32 v177, v181
	v_pk_add_f32 v[182:183], v[166:167], v[176:177] neg_lo:[0,1] neg_hi:[0,1]
	v_pk_add_f32 v[166:167], v[166:167], v[176:177]
	v_mov_b32_e32 v178, v179
	v_mov_b32_e32 v176, v167
	v_pk_add_f32 v[192:193], v[176:177], v[164:165] neg_lo:[0,1] neg_hi:[0,1]
	v_mov_b32_e32 v166, v181
	v_mov_b32_e32 v67, v192
	v_pk_add_f32 v[194:195], v[180:181], v[66:67] neg_lo:[0,1] neg_hi:[0,1]
	v_mov_b32_e32 v180, v165
	v_mov_b32_e32 v181, v192
	v_mov_b32_e32 v183, v167
	v_pk_add_f32 v[166:167], v[166:167], v[180:181] neg_lo:[0,1] neg_hi:[0,1]
	v_mov_b32_e32 v179, v164
	v_pk_add_f32 v[164:165], v[178:179], v[166:167] neg_lo:[0,1] neg_hi:[0,1]
	v_mov_b32_e32 v194, v182
	v_pk_add_f32 v[166:167], v[194:195], v[164:165]
	s_or_b64 vcc, vcc, s[72:73]
	v_mov_b32_e32 v178, v167
	v_pk_add_f32 v[178:179], v[166:167], v[178:179]
	s_nop 0
	v_pk_add_f32 v[176:177], v[176:177], v[178:179]
	v_mov_b32_e32 v165, v178
	v_mov_b32_e32 v167, v176
	v_pk_add_f32 v[180:181], v[166:167], v[182:183] neg_lo:[0,1] neg_hi:[0,1]
	s_nop 0
	v_sub_f32_e32 v67, v166, v180
	v_pk_add_f32 v[164:165], v[164:165], v[180:181] neg_lo:[0,1] neg_hi:[0,1]
	v_sub_f32_e32 v67, v182, v67
	v_add_f32_e32 v67, v164, v67
	v_add_f32_e32 v67, v67, v165
	;; [unrolled: 1-line block ×3, first 2 shown]
	v_cndmask_b32_e32 v67, v67, v69, vcc
	v_add_f32_e32 v69, v64, v67
.LBB121_200:                            ;   in Loop: Header=BB121_178 Depth=1
	s_or_b64 exec, exec, s[58:59]
	v_mov_b32_e32 v64, v69
	v_mov_b32_e32 v67, v69
.LBB121_201:                            ;   in Loop: Header=BB121_178 Depth=1
	s_or_b64 exec, exec, s[62:63]
	s_waitcnt lgkmcnt(0)
	ds_bpermute_b32 v69, v147, v64
	v_cmp_le_u32_e32 vcc, v148, v68
	s_and_saveexec_b64 s[62:63], vcc
	s_cbranch_execz .LBB121_205
; %bb.202:                              ;   in Loop: Header=BB121_178 Depth=1
	v_max_f32_e32 v64, v67, v67
	s_waitcnt lgkmcnt(0)
	v_max_f32_e32 v164, v69, v69
	v_min_f32_e32 v163, v164, v64
	v_cmp_u_f32_e32 vcc, v69, v69
	v_max_f32_e32 v64, v164, v64
	v_cmp_u_f32_e64 s[58:59], v67, v67
	v_cndmask_b32_e32 v163, v163, v69, vcc
	v_cndmask_b32_e32 v64, v64, v69, vcc
	v_cndmask_b32_e64 v163, v163, v67, s[58:59]
	v_cndmask_b32_e64 v64, v64, v67, s[58:59]
	v_cmp_neq_f32_e32 vcc, v163, v64
	v_cmp_class_f32_e64 s[58:59], v163, s64
	s_or_b64 vcc, vcc, s[58:59]
	s_and_saveexec_b64 s[58:59], vcc
	s_cbranch_execz .LBB121_204
; %bb.203:                              ;   in Loop: Header=BB121_178 Depth=1
	v_sub_f32_e32 v67, v163, v64
	v_mul_f32_e32 v69, 0x3fb8aa3b, v67
	v_fma_f32 v163, v67, s65, -v69
	v_rndne_f32_e32 v164, v69
	v_fmac_f32_e32 v163, 0x32a5705f, v67
	v_sub_f32_e32 v69, v69, v164
	v_add_f32_e32 v69, v69, v163
	v_cvt_i32_f32_e32 v163, v164
	v_exp_f32_e32 v69, v69
	v_cmp_ngt_f32_e32 vcc, s66, v67
	v_ldexp_f32 v69, v69, v163
	s_nop 0
	v_cndmask_b32_e32 v69, 0, v69, vcc
	v_cmp_nlt_f32_e32 vcc, s67, v67
	s_nop 1
	v_cndmask_b32_e32 v69, v162, v69, vcc
	v_add_f32_e32 v67, 1.0, v69
	v_add_f32_e32 v163, -1.0, v67
	v_sub_f32_e32 v164, v163, v67
	v_add_f32_e32 v164, 1.0, v164
	v_sub_f32_e32 v163, v69, v163
	v_add_f32_e32 v163, v163, v164
	v_frexp_mant_f32_e32 v166, v67
	v_cvt_f64_f32_e32 v[164:165], v67
	v_frexp_exp_i32_f64_e32 v164, v[164:165]
	v_cmp_gt_f32_e32 vcc, s69, v166
	v_cmp_lt_f32_e64 s[72:73], |v69|, s71
	s_nop 0
	v_subbrev_co_u32_e32 v180, vcc, 0, v164, vcc
	v_sub_u32_e32 v164, 0, v180
	v_ldexp_f32 v67, v67, v164
	v_ldexp_f32 v163, v163, v164
	v_add_f32_e32 v164, -1.0, v67
	v_add_f32_e32 v165, 1.0, v164
	v_sub_f32_e32 v165, v67, v165
	v_add_f32_e32 v166, v163, v165
	v_add_f32_e32 v165, 1.0, v67
	v_add_f32_e32 v167, -1.0, v165
	v_sub_f32_e32 v67, v67, v167
	v_add_f32_e32 v67, v163, v67
	v_add_f32_e32 v163, v165, v67
	v_rcp_f32_e32 v181, v163
	v_sub_f32_e32 v165, v165, v163
	v_add_f32_e32 v67, v67, v165
	v_add_f32_e32 v165, v164, v166
	v_sub_f32_e32 v164, v164, v165
	v_mul_f32_e32 v183, v165, v181
	v_add_f32_e32 v182, v166, v164
	v_mul_f32_e32 v166, v163, v183
	v_fma_f32 v176, v183, v163, -v166
	v_fmac_f32_e32 v176, v183, v67
	v_add_f32_e32 v164, v166, v176
	v_sub_f32_e32 v167, v165, v164
	v_pk_add_f32 v[178:179], v[164:165], v[166:167] neg_lo:[0,1] neg_hi:[0,1]
	v_mov_b32_e32 v177, v164
	v_pk_add_f32 v[164:165], v[178:179], v[176:177] neg_lo:[0,1] neg_hi:[0,1]
	v_cmp_eq_f32_e32 vcc, s68, v69
	v_add_f32_e32 v165, v182, v165
	v_add_f32_e32 v164, v164, v165
	v_add_f32_e32 v165, v167, v164
	v_mul_f32_e32 v182, v181, v165
	v_mul_f32_e32 v166, v163, v182
	v_fma_f32 v176, v182, v163, -v166
	v_fmac_f32_e32 v176, v182, v67
	v_sub_f32_e32 v67, v167, v165
	v_add_f32_e32 v67, v164, v67
	v_add_f32_e32 v164, v166, v176
	v_sub_f32_e32 v167, v165, v164
	v_pk_add_f32 v[178:179], v[164:165], v[166:167] neg_lo:[0,1] neg_hi:[0,1]
	v_mov_b32_e32 v177, v164
	v_pk_add_f32 v[164:165], v[178:179], v[176:177] neg_lo:[0,1] neg_hi:[0,1]
	v_add_f32_e32 v163, v183, v182
	v_add_f32_e32 v67, v67, v165
	;; [unrolled: 1-line block ×4, first 2 shown]
	v_sub_f32_e32 v164, v163, v183
	v_mul_f32_e32 v67, v181, v67
	v_sub_f32_e32 v164, v182, v164
	v_add_f32_e32 v165, v164, v67
	v_add_f32_e32 v166, v163, v165
	v_cvt_f32_i32_e32 v164, v180
	v_mul_f32_e32 v176, v166, v166
	v_fmamk_f32 v67, v176, 0x3e9b6dac, v160
	v_sub_f32_e32 v163, v166, v163
	v_fmaak_f32 v67, v176, v67, 0x3f2aaada
	v_sub_f32_e32 v163, v165, v163
	v_mul_f32_e32 v165, v166, v176
	v_pk_mul_f32 v[176:177], v[164:165], v[66:67]
	v_ldexp_f32 v167, v166, 1
	v_fma_f32 v166, v164, s70, -v176
	v_fmac_f32_e32 v166, 0xb102e308, v164
	v_pk_add_f32 v[164:165], v[176:177], v[166:167]
	v_ldexp_f32 v163, v163, 1
	v_sub_f32_e32 v67, v165, v167
	v_sub_f32_e32 v67, v177, v67
	v_add_f32_e32 v179, v163, v67
	v_mov_b32_e32 v178, v176
	v_pk_add_f32 v[176:177], v[164:165], v[176:177] neg_lo:[0,1] neg_hi:[0,1]
	v_pk_add_f32 v[180:181], v[164:165], v[178:179]
	v_mov_b32_e32 v167, v164
	v_mov_b32_e32 v177, v181
	v_pk_add_f32 v[182:183], v[166:167], v[176:177] neg_lo:[0,1] neg_hi:[0,1]
	v_pk_add_f32 v[166:167], v[166:167], v[176:177]
	v_mov_b32_e32 v178, v179
	v_mov_b32_e32 v176, v167
	v_pk_add_f32 v[192:193], v[176:177], v[164:165] neg_lo:[0,1] neg_hi:[0,1]
	v_mov_b32_e32 v166, v181
	v_mov_b32_e32 v67, v192
	v_pk_add_f32 v[194:195], v[180:181], v[66:67] neg_lo:[0,1] neg_hi:[0,1]
	v_mov_b32_e32 v180, v165
	v_mov_b32_e32 v181, v192
	;; [unrolled: 1-line block ×3, first 2 shown]
	v_pk_add_f32 v[166:167], v[166:167], v[180:181] neg_lo:[0,1] neg_hi:[0,1]
	v_mov_b32_e32 v179, v164
	v_pk_add_f32 v[164:165], v[178:179], v[166:167] neg_lo:[0,1] neg_hi:[0,1]
	v_mov_b32_e32 v194, v182
	v_pk_add_f32 v[166:167], v[194:195], v[164:165]
	s_or_b64 vcc, vcc, s[72:73]
	v_mov_b32_e32 v178, v167
	v_pk_add_f32 v[178:179], v[166:167], v[178:179]
	s_nop 0
	v_pk_add_f32 v[176:177], v[176:177], v[178:179]
	v_mov_b32_e32 v165, v178
	v_mov_b32_e32 v167, v176
	v_pk_add_f32 v[180:181], v[166:167], v[182:183] neg_lo:[0,1] neg_hi:[0,1]
	s_nop 0
	v_sub_f32_e32 v67, v166, v180
	v_pk_add_f32 v[164:165], v[164:165], v[180:181] neg_lo:[0,1] neg_hi:[0,1]
	v_sub_f32_e32 v67, v182, v67
	v_add_f32_e32 v67, v164, v67
	v_add_f32_e32 v67, v67, v165
	v_add_f32_e32 v67, v176, v67
	v_cndmask_b32_e32 v67, v67, v69, vcc
	v_add_f32_e32 v69, v64, v67
.LBB121_204:                            ;   in Loop: Header=BB121_178 Depth=1
	s_or_b64 exec, exec, s[58:59]
	v_mov_b32_e32 v64, v69
	v_mov_b32_e32 v67, v69
.LBB121_205:                            ;   in Loop: Header=BB121_178 Depth=1
	s_or_b64 exec, exec, s[62:63]
	s_waitcnt lgkmcnt(0)
	ds_bpermute_b32 v69, v149, v64
	v_cmp_le_u32_e32 vcc, v150, v68
	s_and_saveexec_b64 s[62:63], vcc
	s_cbranch_execz .LBB121_209
; %bb.206:                              ;   in Loop: Header=BB121_178 Depth=1
	v_max_f32_e32 v64, v67, v67
	s_waitcnt lgkmcnt(0)
	v_max_f32_e32 v163, v69, v69
	v_min_f32_e32 v68, v163, v64
	v_cmp_u_f32_e32 vcc, v69, v69
	v_max_f32_e32 v64, v163, v64
	v_cmp_u_f32_e64 s[58:59], v67, v67
	v_cndmask_b32_e32 v68, v68, v69, vcc
	v_cndmask_b32_e32 v64, v64, v69, vcc
	v_cndmask_b32_e64 v68, v68, v67, s[58:59]
	v_cndmask_b32_e64 v64, v64, v67, s[58:59]
	v_cmp_neq_f32_e32 vcc, v68, v64
	v_cmp_class_f32_e64 s[58:59], v68, s64
	s_or_b64 vcc, vcc, s[58:59]
	s_and_saveexec_b64 s[58:59], vcc
	s_cbranch_execz .LBB121_208
; %bb.207:                              ;   in Loop: Header=BB121_178 Depth=1
	v_sub_f32_e32 v67, v68, v64
	v_mul_f32_e32 v68, 0x3fb8aa3b, v67
	v_fma_f32 v69, v67, s65, -v68
	v_rndne_f32_e32 v163, v68
	v_fmac_f32_e32 v69, 0x32a5705f, v67
	v_sub_f32_e32 v68, v68, v163
	v_add_f32_e32 v68, v68, v69
	v_cvt_i32_f32_e32 v69, v163
	v_exp_f32_e32 v68, v68
	v_cmp_ngt_f32_e32 vcc, s66, v67
	v_ldexp_f32 v68, v68, v69
	s_nop 0
	v_cndmask_b32_e32 v68, 0, v68, vcc
	v_cmp_nlt_f32_e32 vcc, s67, v67
	s_nop 1
	v_cndmask_b32_e32 v163, v162, v68, vcc
	v_add_f32_e32 v67, 1.0, v163
	v_add_f32_e32 v68, -1.0, v67
	v_sub_f32_e32 v69, v68, v67
	v_add_f32_e32 v69, 1.0, v69
	v_sub_f32_e32 v68, v163, v68
	v_add_f32_e32 v164, v68, v69
	v_frexp_mant_f32_e32 v165, v67
	v_cvt_f64_f32_e32 v[68:69], v67
	v_frexp_exp_i32_f64_e32 v68, v[68:69]
	v_cmp_gt_f32_e32 vcc, s69, v165
	v_cmp_lt_f32_e64 s[72:73], |v163|, s71
	s_nop 0
	v_subbrev_co_u32_e32 v178, vcc, 0, v68, vcc
	v_sub_u32_e32 v68, 0, v178
	v_ldexp_f32 v67, v67, v68
	v_ldexp_f32 v68, v164, v68
	v_add_f32_e32 v164, -1.0, v67
	v_add_f32_e32 v69, 1.0, v164
	v_sub_f32_e32 v69, v67, v69
	v_add_f32_e32 v165, v68, v69
	v_add_f32_e32 v69, 1.0, v67
	v_add_f32_e32 v166, -1.0, v69
	v_sub_f32_e32 v67, v67, v166
	v_add_f32_e32 v67, v68, v67
	v_add_f32_e32 v179, v69, v67
	v_rcp_f32_e32 v180, v179
	v_sub_f32_e32 v68, v69, v179
	v_add_f32_e32 v69, v164, v165
	v_add_f32_e32 v67, v67, v68
	v_mul_f32_e32 v182, v69, v180
	v_sub_f32_e32 v68, v164, v69
	v_mul_f32_e32 v164, v179, v182
	v_fma_f32 v166, v182, v179, -v164
	v_fmac_f32_e32 v166, v182, v67
	v_add_f32_e32 v181, v165, v68
	v_add_f32_e32 v68, v164, v166
	v_sub_f32_e32 v165, v69, v68
	v_pk_add_f32 v[176:177], v[68:69], v[164:165] neg_lo:[0,1] neg_hi:[0,1]
	v_mov_b32_e32 v167, v68
	v_pk_add_f32 v[68:69], v[176:177], v[166:167] neg_lo:[0,1] neg_hi:[0,1]
	v_cmp_eq_f32_e32 vcc, s68, v163
	v_add_f32_e32 v69, v181, v69
	v_add_f32_e32 v68, v68, v69
	;; [unrolled: 1-line block ×3, first 2 shown]
	v_mul_f32_e32 v181, v180, v69
	v_mul_f32_e32 v164, v179, v181
	v_fma_f32 v166, v181, v179, -v164
	v_fmac_f32_e32 v166, v181, v67
	v_sub_f32_e32 v67, v165, v69
	v_add_f32_e32 v67, v68, v67
	v_add_f32_e32 v68, v164, v166
	v_sub_f32_e32 v165, v69, v68
	v_pk_add_f32 v[176:177], v[68:69], v[164:165] neg_lo:[0,1] neg_hi:[0,1]
	v_mov_b32_e32 v167, v68
	v_pk_add_f32 v[68:69], v[176:177], v[166:167] neg_lo:[0,1] neg_hi:[0,1]
	s_or_b64 vcc, vcc, s[72:73]
	v_add_f32_e32 v67, v67, v69
	v_add_f32_e32 v67, v68, v67
	;; [unrolled: 1-line block ×4, first 2 shown]
	v_sub_f32_e32 v68, v69, v182
	v_mul_f32_e32 v67, v180, v67
	v_sub_f32_e32 v68, v181, v68
	v_add_f32_e32 v164, v68, v67
	v_add_f32_e32 v166, v69, v164
	v_cvt_f32_i32_e32 v68, v178
	v_mul_f32_e32 v167, v166, v166
	v_sub_f32_e32 v69, v166, v69
	v_fmamk_f32 v67, v167, 0x3e9b6dac, v160
	v_sub_f32_e32 v69, v164, v69
	v_fmaak_f32 v67, v167, v67, 0x3f2aaada
	v_ldexp_f32 v176, v69, 1
	v_mul_f32_e32 v69, v166, v167
	v_ldexp_f32 v165, v166, 1
	v_pk_mul_f32 v[166:167], v[68:69], v[66:67]
	s_nop 0
	v_fma_f32 v164, v68, s70, -v166
	v_fmac_f32_e32 v164, 0xb102e308, v68
	v_pk_add_f32 v[68:69], v[166:167], v[164:165]
	s_nop 0
	v_sub_f32_e32 v67, v69, v165
	v_sub_f32_e32 v67, v167, v67
	v_add_f32_e32 v177, v176, v67
	v_mov_b32_e32 v176, v166
	v_pk_add_f32 v[166:167], v[68:69], v[166:167] neg_lo:[0,1] neg_hi:[0,1]
	v_pk_add_f32 v[178:179], v[68:69], v[176:177]
	v_mov_b32_e32 v165, v68
	v_mov_b32_e32 v167, v179
	v_pk_add_f32 v[180:181], v[164:165], v[166:167] neg_lo:[0,1] neg_hi:[0,1]
	v_pk_add_f32 v[164:165], v[164:165], v[166:167]
	v_mov_b32_e32 v176, v177
	v_mov_b32_e32 v166, v165
	v_pk_add_f32 v[182:183], v[166:167], v[68:69] neg_lo:[0,1] neg_hi:[0,1]
	v_mov_b32_e32 v164, v179
	v_mov_b32_e32 v67, v182
	v_pk_add_f32 v[192:193], v[178:179], v[66:67] neg_lo:[0,1] neg_hi:[0,1]
	v_mov_b32_e32 v178, v69
	v_mov_b32_e32 v179, v182
	;; [unrolled: 1-line block ×3, first 2 shown]
	v_pk_add_f32 v[164:165], v[164:165], v[178:179] neg_lo:[0,1] neg_hi:[0,1]
	v_mov_b32_e32 v177, v68
	v_pk_add_f32 v[68:69], v[176:177], v[164:165] neg_lo:[0,1] neg_hi:[0,1]
	v_mov_b32_e32 v192, v180
	v_pk_add_f32 v[164:165], v[192:193], v[68:69]
	s_nop 0
	v_mov_b32_e32 v176, v165
	v_pk_add_f32 v[176:177], v[164:165], v[176:177]
	s_nop 0
	v_pk_add_f32 v[166:167], v[166:167], v[176:177]
	v_mov_b32_e32 v69, v176
	v_mov_b32_e32 v165, v166
	v_pk_add_f32 v[178:179], v[164:165], v[180:181] neg_lo:[0,1] neg_hi:[0,1]
	s_nop 0
	v_sub_f32_e32 v67, v164, v178
	v_pk_add_f32 v[68:69], v[68:69], v[178:179] neg_lo:[0,1] neg_hi:[0,1]
	v_sub_f32_e32 v67, v180, v67
	v_add_f32_e32 v67, v68, v67
	v_add_f32_e32 v67, v67, v69
	;; [unrolled: 1-line block ×3, first 2 shown]
	v_cndmask_b32_e32 v67, v67, v163, vcc
	v_add_f32_e32 v69, v64, v67
.LBB121_208:                            ;   in Loop: Header=BB121_178 Depth=1
	s_or_b64 exec, exec, s[58:59]
	v_mov_b32_e32 v67, v69
.LBB121_209:                            ;   in Loop: Header=BB121_178 Depth=1
	s_or_b64 exec, exec, s[62:63]
	v_max_f32_e32 v64, v151, v151
	s_waitcnt lgkmcnt(0)
	v_max_f32_e32 v69, v67, v67
	v_min_f32_e32 v68, v69, v64
	v_cmp_u_f32_e32 vcc, v67, v67
	v_max_f32_e32 v64, v69, v64
	v_cmp_u_f32_e64 s[58:59], v151, v151
	v_cndmask_b32_e32 v68, v68, v67, vcc
	v_cndmask_b32_e32 v64, v64, v67, vcc
	v_cndmask_b32_e64 v68, v68, v151, s[58:59]
	v_cndmask_b32_e64 v64, v64, v151, s[58:59]
	v_cmp_neq_f32_e32 vcc, v68, v64
	v_cmp_class_f32_e64 s[58:59], v68, s64
	s_or_b64 vcc, vcc, s[58:59]
	s_and_saveexec_b64 s[58:59], vcc
	s_xor_b64 s[58:59], exec, s[58:59]
	s_cbranch_execz .LBB121_177
; %bb.210:                              ;   in Loop: Header=BB121_178 Depth=1
	v_sub_f32_e32 v67, v68, v64
	v_mul_f32_e32 v68, 0x3fb8aa3b, v67
	v_fma_f32 v69, v67, s65, -v68
	v_rndne_f32_e32 v163, v68
	v_fmac_f32_e32 v69, 0x32a5705f, v67
	v_sub_f32_e32 v68, v68, v163
	v_add_f32_e32 v68, v68, v69
	v_cvt_i32_f32_e32 v69, v163
	v_exp_f32_e32 v68, v68
	v_cmp_ngt_f32_e32 vcc, s66, v67
	v_ldexp_f32 v68, v68, v69
	s_nop 0
	v_cndmask_b32_e32 v68, 0, v68, vcc
	v_cmp_nlt_f32_e32 vcc, s67, v67
	s_nop 1
	v_cndmask_b32_e32 v163, v162, v68, vcc
	v_add_f32_e32 v67, 1.0, v163
	v_add_f32_e32 v68, -1.0, v67
	v_sub_f32_e32 v69, v68, v67
	v_add_f32_e32 v69, 1.0, v69
	v_sub_f32_e32 v68, v163, v68
	v_add_f32_e32 v164, v68, v69
	v_frexp_mant_f32_e32 v165, v67
	v_cvt_f64_f32_e32 v[68:69], v67
	v_frexp_exp_i32_f64_e32 v68, v[68:69]
	v_cmp_gt_f32_e32 vcc, s69, v165
	v_cmp_lt_f32_e64 s[62:63], |v163|, s71
	s_nop 0
	v_subbrev_co_u32_e32 v68, vcc, 0, v68, vcc
	v_sub_u32_e32 v69, 0, v68
	v_ldexp_f32 v67, v67, v69
	v_ldexp_f32 v69, v164, v69
	v_add_f32_e32 v164, -1.0, v67
	v_add_f32_e32 v167, 1.0, v67
	v_add_f32_e32 v165, 1.0, v164
	v_add_f32_e32 v176, -1.0, v167
	v_sub_f32_e32 v165, v67, v165
	v_sub_f32_e32 v67, v67, v176
	v_add_f32_e32 v67, v69, v67
	v_add_f32_e32 v165, v69, v165
	v_add_f32_e32 v69, v167, v67
	v_rcp_f32_e32 v176, v69
	v_add_f32_e32 v166, v164, v165
	v_sub_f32_e32 v164, v164, v166
	v_add_f32_e32 v164, v165, v164
	v_sub_f32_e32 v165, v167, v69
	v_add_f32_e32 v67, v67, v165
	v_mul_f32_e32 v165, v166, v176
	v_mul_f32_e32 v167, v69, v165
	v_fma_f32 v177, v165, v69, -v167
	v_fmac_f32_e32 v177, v165, v67
	v_add_f32_e32 v178, v167, v177
	v_sub_f32_e32 v179, v166, v178
	v_sub_f32_e32 v166, v166, v179
	;; [unrolled: 1-line block ×4, first 2 shown]
	v_add_f32_e32 v164, v164, v166
	v_sub_f32_e32 v166, v167, v177
	v_add_f32_e32 v164, v166, v164
	v_add_f32_e32 v166, v179, v164
	v_mul_f32_e32 v167, v176, v166
	v_mul_f32_e32 v177, v69, v167
	v_fma_f32 v69, v167, v69, -v177
	v_fmac_f32_e32 v69, v167, v67
	v_sub_f32_e32 v67, v179, v166
	v_add_f32_e32 v67, v164, v67
	v_add_f32_e32 v164, v177, v69
	v_sub_f32_e32 v178, v166, v164
	v_sub_f32_e32 v166, v166, v178
	;; [unrolled: 1-line block ×4, first 2 shown]
	v_add_f32_e32 v67, v67, v164
	v_sub_f32_e32 v69, v177, v69
	v_add_f32_e32 v67, v69, v67
	v_add_f32_e32 v69, v165, v167
	;; [unrolled: 1-line block ×3, first 2 shown]
	v_sub_f32_e32 v164, v69, v165
	v_mul_f32_e32 v67, v176, v67
	v_sub_f32_e32 v164, v167, v164
	v_add_f32_e32 v164, v164, v67
	v_add_f32_e32 v166, v69, v164
	v_cvt_f32_i32_e32 v68, v68
	v_mul_f32_e32 v167, v166, v166
	v_sub_f32_e32 v69, v166, v69
	v_fmamk_f32 v67, v167, 0x3e9b6dac, v160
	v_sub_f32_e32 v69, v164, v69
	v_fmaak_f32 v67, v167, v67, 0x3f2aaada
	v_ldexp_f32 v176, v69, 1
	v_mul_f32_e32 v69, v166, v167
	v_ldexp_f32 v165, v166, 1
	v_pk_mul_f32 v[166:167], v[68:69], v[66:67]
	v_cmp_eq_f32_e32 vcc, s68, v163
	v_fma_f32 v164, v68, s70, -v166
	v_fmac_f32_e32 v164, 0xb102e308, v68
	v_pk_add_f32 v[68:69], v[166:167], v[164:165]
	s_or_b64 vcc, vcc, s[62:63]
	v_sub_f32_e32 v67, v69, v165
	v_sub_f32_e32 v67, v167, v67
	v_add_f32_e32 v177, v176, v67
	v_mov_b32_e32 v176, v166
	v_pk_add_f32 v[166:167], v[68:69], v[166:167] neg_lo:[0,1] neg_hi:[0,1]
	v_pk_add_f32 v[178:179], v[68:69], v[176:177]
	v_mov_b32_e32 v165, v68
	v_mov_b32_e32 v167, v179
	v_pk_add_f32 v[180:181], v[164:165], v[166:167] neg_lo:[0,1] neg_hi:[0,1]
	v_pk_add_f32 v[164:165], v[164:165], v[166:167]
	v_mov_b32_e32 v176, v177
	v_mov_b32_e32 v166, v165
	v_pk_add_f32 v[182:183], v[166:167], v[68:69] neg_lo:[0,1] neg_hi:[0,1]
	v_mov_b32_e32 v164, v179
	v_mov_b32_e32 v67, v182
	v_pk_add_f32 v[192:193], v[178:179], v[66:67] neg_lo:[0,1] neg_hi:[0,1]
	v_mov_b32_e32 v178, v69
	v_mov_b32_e32 v179, v182
	;; [unrolled: 1-line block ×3, first 2 shown]
	v_pk_add_f32 v[164:165], v[164:165], v[178:179] neg_lo:[0,1] neg_hi:[0,1]
	v_mov_b32_e32 v177, v68
	v_pk_add_f32 v[68:69], v[176:177], v[164:165] neg_lo:[0,1] neg_hi:[0,1]
	v_mov_b32_e32 v192, v180
	v_pk_add_f32 v[164:165], v[192:193], v[68:69]
	s_nop 0
	v_mov_b32_e32 v176, v165
	v_pk_add_f32 v[176:177], v[164:165], v[176:177]
	s_nop 0
	v_pk_add_f32 v[166:167], v[166:167], v[176:177]
	v_mov_b32_e32 v69, v176
	v_mov_b32_e32 v165, v166
	v_pk_add_f32 v[178:179], v[164:165], v[180:181] neg_lo:[0,1] neg_hi:[0,1]
	s_nop 0
	v_sub_f32_e32 v67, v164, v178
	v_pk_add_f32 v[68:69], v[68:69], v[178:179] neg_lo:[0,1] neg_hi:[0,1]
	v_sub_f32_e32 v67, v180, v67
	v_add_f32_e32 v67, v68, v67
	v_add_f32_e32 v67, v67, v69
	;; [unrolled: 1-line block ×3, first 2 shown]
	v_cndmask_b32_e32 v67, v67, v163, vcc
	v_add_f32_e32 v67, v64, v67
	s_branch .LBB121_177
.LBB121_211:                            ;   in Loop: Header=BB121_178 Depth=1
                                        ; implicit-def: $vgpr67
                                        ; implicit-def: $vgpr65
	s_cbranch_execz .LBB121_178
; %bb.212:
	s_and_saveexec_b64 s[58:59], s[56:57]
	s_cbranch_execz .LBB121_216
; %bb.213:
	v_max_f32_e32 v49, v50, v50
	v_max_f32_e32 v52, v151, v151
	v_min_f32_e32 v51, v52, v49
	v_cmp_u_f32_e32 vcc, v151, v151
	v_max_f32_e32 v49, v52, v49
	v_cmp_u_f32_e64 s[56:57], v50, v50
	v_cndmask_b32_e32 v51, v51, v151, vcc
	v_cndmask_b32_e32 v49, v49, v151, vcc
	v_cndmask_b32_e64 v51, v51, v50, s[56:57]
	v_cndmask_b32_e64 v49, v49, v50, s[56:57]
	s_movk_i32 s56, 0x1f8
	v_cmp_neq_f32_e32 vcc, v51, v49
	v_cmp_class_f32_e64 s[56:57], v51, s56
	s_or_b64 vcc, vcc, s[56:57]
	v_mov_b32_e32 v50, v151
	s_and_saveexec_b64 s[56:57], vcc
	s_cbranch_execz .LBB121_215
; %bb.214:
	v_sub_f32_e32 v50, v51, v49
	s_mov_b32 s62, 0x3fb8aa3b
	v_mul_f32_e32 v51, 0x3fb8aa3b, v50
	v_fma_f32 v52, v50, s62, -v51
	v_rndne_f32_e32 v53, v51
	v_fmamk_f32 v52, v50, 0x32a5705f, v52
	v_sub_f32_e32 v51, v51, v53
	v_add_f32_e32 v51, v51, v52
	v_exp_f32_e32 v51, v51
	v_cvt_i32_f32_e32 v52, v53
	s_mov_b32 s62, 0xc2ce8ed0
	v_cmp_ngt_f32_e32 vcc, s62, v50
	s_mov_b32 s62, 0x42b17218
	v_ldexp_f32 v51, v51, v52
	v_cndmask_b32_e32 v51, 0, v51, vcc
	v_mov_b32_e32 v52, 0x7f800000
	v_cmp_nlt_f32_e32 vcc, s62, v50
	s_mov_b32 s62, 0x3f2aaaab
	s_mov_b32 s63, 0x7f800000
	v_cndmask_b32_e32 v133, v52, v51, vcc
	v_add_f32_e32 v52, 1.0, v133
	v_add_f32_e32 v50, -1.0, v52
	v_sub_f32_e32 v51, v50, v52
	v_add_f32_e32 v51, 1.0, v51
	v_sub_f32_e32 v50, v133, v50
	v_add_f32_e32 v53, v50, v51
	v_frexp_mant_f32_e32 v54, v52
	v_cvt_f64_f32_e32 v[50:51], v52
	v_frexp_exp_i32_f64_e32 v50, v[50:51]
	v_cmp_gt_f32_e32 vcc, s62, v54
	s_mov_b32 s62, 0x3f317218
	s_nop 0
	v_subbrev_co_u32_e32 v66, vcc, 0, v50, vcc
	v_sub_u32_e32 v50, 0, v66
	v_ldexp_f32 v51, v52, v50
	v_add_f32_e32 v52, -1.0, v51
	v_add_f32_e32 v54, 1.0, v51
	v_ldexp_f32 v50, v53, v50
	v_add_f32_e32 v53, 1.0, v52
	v_add_f32_e32 v55, -1.0, v54
	v_sub_f32_e32 v53, v51, v53
	v_sub_f32_e32 v51, v51, v55
	v_add_f32_e32 v53, v50, v53
	v_add_f32_e32 v50, v50, v51
	;; [unrolled: 1-line block ×3, first 2 shown]
	v_rcp_f32_e32 v69, v67
	v_sub_f32_e32 v51, v54, v67
	v_add_f32_e32 v68, v50, v51
	v_add_f32_e32 v51, v52, v53
	v_mul_f32_e32 v135, v51, v69
	v_sub_f32_e32 v50, v52, v51
	v_mul_f32_e32 v52, v67, v135
	v_fma_f32 v54, v135, v67, -v52
	v_fmac_f32_e32 v54, v135, v68
	v_add_f32_e32 v134, v53, v50
	v_add_f32_e32 v50, v52, v54
	v_sub_f32_e32 v53, v51, v50
	v_pk_add_f32 v[64:65], v[50:51], v[52:53] neg_lo:[0,1] neg_hi:[0,1]
	v_mov_b32_e32 v55, v50
	v_pk_add_f32 v[50:51], v[64:65], v[54:55] neg_lo:[0,1] neg_hi:[0,1]
	v_cmp_eq_f32_e32 vcc, s63, v133
	v_add_f32_e32 v51, v134, v51
	v_add_f32_e32 v50, v50, v51
	v_add_f32_e32 v51, v53, v50
	v_mul_f32_e32 v134, v69, v51
	v_mul_f32_e32 v52, v67, v134
	v_fma_f32 v54, v134, v67, -v52
	v_fmac_f32_e32 v54, v134, v68
	v_sub_f32_e32 v53, v53, v51
	v_add_f32_e32 v67, v50, v53
	v_add_f32_e32 v50, v52, v54
	v_sub_f32_e32 v53, v51, v50
	v_pk_add_f32 v[64:65], v[50:51], v[52:53] neg_lo:[0,1] neg_hi:[0,1]
	v_mov_b32_e32 v55, v50
	v_pk_add_f32 v[50:51], v[64:65], v[54:55] neg_lo:[0,1] neg_hi:[0,1]
	v_cvt_f32_i32_e32 v52, v66
	v_add_f32_e32 v51, v67, v51
	v_add_f32_e32 v50, v50, v51
	;; [unrolled: 1-line block ×4, first 2 shown]
	v_sub_f32_e32 v51, v53, v135
	v_mul_f32_e32 v50, v69, v50
	v_sub_f32_e32 v51, v134, v51
	v_add_f32_e32 v50, v51, v50
	v_add_f32_e32 v54, v53, v50
	v_mul_f32_e32 v64, v54, v54
	v_mov_b32_e32 v51, 0x3ecc95a3
	v_sub_f32_e32 v53, v54, v53
	v_fmac_f32_e32 v51, 0x3e9b6dac, v64
	v_sub_f32_e32 v50, v50, v53
	v_fmaak_f32 v51, v64, v51, 0x3f2aaada
	v_ldexp_f32 v65, v50, 1
	v_mul_f32_e32 v53, v54, v64
	v_mov_b32_e32 v50, 0x3f317218
	v_pk_mul_f32 v[50:51], v[52:53], v[50:51]
	v_ldexp_f32 v55, v54, 1
	v_fma_f32 v53, v52, s62, -v50
	v_fmamk_f32 v54, v52, 0xb102e308, v53
	v_pk_add_f32 v[52:53], v[50:51], v[54:55]
	v_mov_b32_e32 v64, v50
	v_sub_f32_e32 v55, v53, v55
	v_sub_f32_e32 v55, v51, v55
	v_add_f32_e32 v65, v65, v55
	v_pk_add_f32 v[50:51], v[52:53], v[50:51] neg_lo:[0,1] neg_hi:[0,1]
	v_pk_add_f32 v[66:67], v[52:53], v[64:65]
	v_mov_b32_e32 v55, v52
	v_mov_b32_e32 v51, v67
	v_pk_add_f32 v[68:69], v[54:55], v[50:51] neg_lo:[0,1] neg_hi:[0,1]
	v_pk_add_f32 v[50:51], v[54:55], v[50:51]
	v_mov_b32_e32 v64, v65
	v_mov_b32_e32 v54, v51
	v_pk_add_f32 v[134:135], v[54:55], v[52:53] neg_lo:[0,1] neg_hi:[0,1]
	v_mov_b32_e32 v50, v67
	v_mov_b32_e32 v55, v134
	v_pk_add_f32 v[144:145], v[66:67], v[54:55] neg_lo:[0,1] neg_hi:[0,1]
	v_mov_b32_e32 v66, v53
	v_mov_b32_e32 v67, v134
	;; [unrolled: 1-line block ×3, first 2 shown]
	v_pk_add_f32 v[50:51], v[50:51], v[66:67] neg_lo:[0,1] neg_hi:[0,1]
	v_mov_b32_e32 v65, v52
	v_pk_add_f32 v[50:51], v[64:65], v[50:51] neg_lo:[0,1] neg_hi:[0,1]
	v_mov_b32_e32 v144, v68
	v_pk_add_f32 v[52:53], v[144:145], v[50:51]
	s_mov_b32 s62, 0x33800000
	v_mov_b32_e32 v64, v53
	v_pk_add_f32 v[64:65], v[52:53], v[64:65]
	v_cmp_lt_f32_e64 s[62:63], |v133|, s62
	v_pk_add_f32 v[54:55], v[54:55], v[64:65]
	v_mov_b32_e32 v51, v64
	v_mov_b32_e32 v53, v54
	v_pk_add_f32 v[66:67], v[52:53], v[68:69] neg_lo:[0,1] neg_hi:[0,1]
	s_or_b64 vcc, vcc, s[62:63]
	v_sub_f32_e32 v52, v52, v66
	v_pk_add_f32 v[50:51], v[50:51], v[66:67] neg_lo:[0,1] neg_hi:[0,1]
	v_sub_f32_e32 v52, v68, v52
	v_add_f32_e32 v50, v50, v52
	v_add_f32_e32 v50, v50, v51
	;; [unrolled: 1-line block ×3, first 2 shown]
	v_cndmask_b32_e32 v50, v50, v133, vcc
	v_add_f32_e32 v50, v49, v50
.LBB121_215:
	s_or_b64 exec, exec, s[56:57]
	v_mov_b32_e32 v49, 0
	v_lshl_add_u64 v[48:49], v[48:49], 3, v[96:97]
	v_mov_b32_e32 v51, 2
	flat_store_dwordx2 v[48:49], v[50:51] sc1
.LBB121_216:
	s_or_b64 exec, exec, s[58:59]
	s_and_b64 exec, exec, s[4:5]
	s_cbranch_execz .LBB121_218
; %bb.217:
	v_mov_b32_e32 v48, 0
	ds_write_b32 v48, v151
.LBB121_218:
	s_or_b64 exec, exec, s[60:61]
	v_mov_b32_e32 v48, 0
	s_waitcnt lgkmcnt(0)
	s_barrier
	ds_read_b32 v48, v48
	v_mov_b32_e32 v49, v16
	s_and_saveexec_b64 s[56:57], s[2:3]
	s_cbranch_execz .LBB121_222
; %bb.219:
	v_max_f32_e32 v49, v132, v132
	v_min_f32_e32 v50, v49, v131
	v_cmp_u_f32_e32 vcc, v132, v132
	v_max_f32_e32 v49, v49, v131
	s_nop 0
	v_cndmask_b32_e32 v50, v50, v132, vcc
	v_cndmask_b32_e32 v49, v49, v132, vcc
	v_cndmask_b32_e64 v50, v50, v16, s[54:55]
	v_cndmask_b32_e64 v49, v49, v16, s[54:55]
	s_movk_i32 s54, 0x1f8
	v_cmp_neq_f32_e32 vcc, v50, v49
	v_cmp_class_f32_e64 s[54:55], v50, s54
	s_or_b64 vcc, vcc, s[54:55]
	s_and_saveexec_b64 s[54:55], vcc
	s_cbranch_execz .LBB121_221
; %bb.220:
	v_sub_f32_e32 v50, v50, v49
	s_mov_b32 s58, 0x3fb8aa3b
	v_mul_f32_e32 v51, 0x3fb8aa3b, v50
	v_fma_f32 v52, v50, s58, -v51
	v_rndne_f32_e32 v53, v51
	v_fmamk_f32 v52, v50, 0x32a5705f, v52
	v_sub_f32_e32 v51, v51, v53
	v_add_f32_e32 v51, v51, v52
	v_exp_f32_e32 v51, v51
	v_cvt_i32_f32_e32 v52, v53
	s_mov_b32 s58, 0xc2ce8ed0
	v_cmp_ngt_f32_e32 vcc, s58, v50
	s_mov_b32 s58, 0x42b17218
	v_ldexp_f32 v51, v51, v52
	v_cndmask_b32_e32 v51, 0, v51, vcc
	v_mov_b32_e32 v52, 0x7f800000
	v_cmp_nlt_f32_e32 vcc, s58, v50
	s_mov_b32 s58, 0x3f2aaaab
	s_mov_b32 s59, 0x7f800000
	v_cndmask_b32_e32 v131, v52, v51, vcc
	v_add_f32_e32 v52, 1.0, v131
	v_add_f32_e32 v50, -1.0, v52
	v_sub_f32_e32 v51, v50, v52
	v_add_f32_e32 v51, 1.0, v51
	v_sub_f32_e32 v50, v131, v50
	v_add_f32_e32 v53, v50, v51
	v_frexp_mant_f32_e32 v54, v52
	v_cvt_f64_f32_e32 v[50:51], v52
	v_frexp_exp_i32_f64_e32 v50, v[50:51]
	v_cmp_gt_f32_e32 vcc, s58, v54
	s_mov_b32 s58, 0x3f317218
	s_nop 0
	v_subbrev_co_u32_e32 v66, vcc, 0, v50, vcc
	v_sub_u32_e32 v50, 0, v66
	v_ldexp_f32 v51, v52, v50
	v_add_f32_e32 v52, -1.0, v51
	v_add_f32_e32 v54, 1.0, v51
	v_ldexp_f32 v50, v53, v50
	v_add_f32_e32 v53, 1.0, v52
	v_add_f32_e32 v55, -1.0, v54
	v_sub_f32_e32 v53, v51, v53
	v_sub_f32_e32 v51, v51, v55
	v_add_f32_e32 v53, v50, v53
	v_add_f32_e32 v50, v50, v51
	;; [unrolled: 1-line block ×3, first 2 shown]
	v_rcp_f32_e32 v69, v67
	v_sub_f32_e32 v51, v54, v67
	v_add_f32_e32 v68, v50, v51
	v_add_f32_e32 v51, v52, v53
	v_mul_f32_e32 v133, v51, v69
	v_sub_f32_e32 v50, v52, v51
	v_mul_f32_e32 v52, v67, v133
	v_fma_f32 v54, v133, v67, -v52
	v_fmac_f32_e32 v54, v133, v68
	v_add_f32_e32 v132, v53, v50
	v_add_f32_e32 v50, v52, v54
	v_sub_f32_e32 v53, v51, v50
	v_pk_add_f32 v[64:65], v[50:51], v[52:53] neg_lo:[0,1] neg_hi:[0,1]
	v_mov_b32_e32 v55, v50
	v_pk_add_f32 v[50:51], v[64:65], v[54:55] neg_lo:[0,1] neg_hi:[0,1]
	v_cmp_eq_f32_e32 vcc, s59, v131
	v_add_f32_e32 v51, v132, v51
	v_add_f32_e32 v50, v50, v51
	;; [unrolled: 1-line block ×3, first 2 shown]
	v_mul_f32_e32 v132, v69, v51
	v_mul_f32_e32 v52, v67, v132
	v_fma_f32 v54, v132, v67, -v52
	v_fmac_f32_e32 v54, v132, v68
	v_sub_f32_e32 v53, v53, v51
	v_add_f32_e32 v67, v50, v53
	v_add_f32_e32 v50, v52, v54
	v_sub_f32_e32 v53, v51, v50
	v_pk_add_f32 v[64:65], v[50:51], v[52:53] neg_lo:[0,1] neg_hi:[0,1]
	v_mov_b32_e32 v55, v50
	v_pk_add_f32 v[50:51], v[64:65], v[54:55] neg_lo:[0,1] neg_hi:[0,1]
	v_cvt_f32_i32_e32 v52, v66
	v_add_f32_e32 v51, v67, v51
	v_add_f32_e32 v50, v50, v51
	;; [unrolled: 1-line block ×4, first 2 shown]
	v_sub_f32_e32 v51, v53, v133
	v_mul_f32_e32 v50, v69, v50
	v_sub_f32_e32 v51, v132, v51
	v_add_f32_e32 v50, v51, v50
	v_add_f32_e32 v54, v53, v50
	v_mul_f32_e32 v64, v54, v54
	v_mov_b32_e32 v51, 0x3ecc95a3
	v_sub_f32_e32 v53, v54, v53
	v_fmac_f32_e32 v51, 0x3e9b6dac, v64
	v_sub_f32_e32 v50, v50, v53
	v_fmaak_f32 v51, v64, v51, 0x3f2aaada
	v_ldexp_f32 v65, v50, 1
	v_mul_f32_e32 v53, v54, v64
	v_mov_b32_e32 v50, 0x3f317218
	v_pk_mul_f32 v[50:51], v[52:53], v[50:51]
	v_ldexp_f32 v55, v54, 1
	v_fma_f32 v53, v52, s58, -v50
	v_fmamk_f32 v54, v52, 0xb102e308, v53
	v_pk_add_f32 v[52:53], v[50:51], v[54:55]
	v_mov_b32_e32 v64, v50
	v_sub_f32_e32 v55, v53, v55
	v_sub_f32_e32 v55, v51, v55
	v_add_f32_e32 v65, v65, v55
	v_pk_add_f32 v[50:51], v[52:53], v[50:51] neg_lo:[0,1] neg_hi:[0,1]
	v_pk_add_f32 v[66:67], v[52:53], v[64:65]
	v_mov_b32_e32 v55, v52
	v_mov_b32_e32 v51, v67
	v_pk_add_f32 v[68:69], v[54:55], v[50:51] neg_lo:[0,1] neg_hi:[0,1]
	v_pk_add_f32 v[50:51], v[54:55], v[50:51]
	v_mov_b32_e32 v64, v65
	v_mov_b32_e32 v54, v51
	v_pk_add_f32 v[132:133], v[54:55], v[52:53] neg_lo:[0,1] neg_hi:[0,1]
	v_mov_b32_e32 v50, v67
	v_mov_b32_e32 v55, v132
	v_pk_add_f32 v[134:135], v[66:67], v[54:55] neg_lo:[0,1] neg_hi:[0,1]
	v_mov_b32_e32 v66, v53
	v_mov_b32_e32 v67, v132
	;; [unrolled: 1-line block ×3, first 2 shown]
	v_pk_add_f32 v[50:51], v[50:51], v[66:67] neg_lo:[0,1] neg_hi:[0,1]
	v_mov_b32_e32 v65, v52
	v_pk_add_f32 v[50:51], v[64:65], v[50:51] neg_lo:[0,1] neg_hi:[0,1]
	v_mov_b32_e32 v134, v68
	v_pk_add_f32 v[52:53], v[134:135], v[50:51]
	s_mov_b32 s58, 0x33800000
	v_mov_b32_e32 v64, v53
	v_pk_add_f32 v[64:65], v[52:53], v[64:65]
	v_cmp_lt_f32_e64 s[58:59], |v131|, s58
	v_pk_add_f32 v[54:55], v[54:55], v[64:65]
	v_mov_b32_e32 v51, v64
	v_mov_b32_e32 v53, v54
	v_pk_add_f32 v[66:67], v[52:53], v[68:69] neg_lo:[0,1] neg_hi:[0,1]
	s_or_b64 vcc, vcc, s[58:59]
	v_sub_f32_e32 v52, v52, v66
	v_pk_add_f32 v[50:51], v[50:51], v[66:67] neg_lo:[0,1] neg_hi:[0,1]
	v_sub_f32_e32 v52, v68, v52
	v_add_f32_e32 v50, v50, v52
	v_add_f32_e32 v50, v50, v51
	;; [unrolled: 1-line block ×3, first 2 shown]
	v_cndmask_b32_e32 v50, v50, v131, vcc
	v_add_f32_e32 v132, v49, v50
.LBB121_221:
	s_or_b64 exec, exec, s[54:55]
	v_mov_b32_e32 v49, v132
.LBB121_222:
	s_or_b64 exec, exec, s[56:57]
	v_max_f32_e32 v51, v49, v49
	s_waitcnt lgkmcnt(0)
	v_max_f32_e32 v52, v48, v48
	v_min_f32_e32 v50, v52, v51
	v_cmp_u_f32_e32 vcc, v48, v48
	v_max_f32_e32 v51, v52, v51
	v_cmp_u_f32_e64 s[54:55], v49, v49
	v_cndmask_b32_e32 v50, v50, v48, vcc
	v_cndmask_b32_e32 v51, v51, v48, vcc
	v_cndmask_b32_e64 v50, v50, v49, s[54:55]
	v_cndmask_b32_e64 v49, v51, v49, s[54:55]
	s_movk_i32 s56, 0x1f8
	v_cmp_neq_f32_e32 vcc, v50, v49
	v_cmp_class_f32_e64 s[54:55], v50, s56
	s_or_b64 vcc, vcc, s[54:55]
	s_and_saveexec_b64 s[54:55], vcc
	s_cbranch_execz .LBB121_224
; %bb.223:
	v_sub_f32_e32 v48, v50, v49
	s_mov_b32 s57, 0x3fb8aa3b
	v_mul_f32_e32 v50, 0x3fb8aa3b, v48
	v_fma_f32 v51, v48, s57, -v50
	v_rndne_f32_e32 v52, v50
	v_fmamk_f32 v51, v48, 0x32a5705f, v51
	v_sub_f32_e32 v50, v50, v52
	v_add_f32_e32 v50, v50, v51
	v_exp_f32_e32 v50, v50
	v_cvt_i32_f32_e32 v51, v52
	s_mov_b32 s57, 0xc2ce8ed0
	v_cmp_ngt_f32_e32 vcc, s57, v48
	s_mov_b32 s57, 0x42b17218
	v_ldexp_f32 v50, v50, v51
	v_cndmask_b32_e32 v50, 0, v50, vcc
	v_mov_b32_e32 v51, 0x7f800000
	v_cmp_nlt_f32_e32 vcc, s57, v48
	s_mov_b32 s57, 0x3f2aaaab
	s_mov_b32 s58, 0x7f800000
	v_cndmask_b32_e32 v131, v51, v50, vcc
	v_add_f32_e32 v48, 1.0, v131
	v_add_f32_e32 v50, -1.0, v48
	v_sub_f32_e32 v51, v50, v48
	v_add_f32_e32 v51, 1.0, v51
	v_sub_f32_e32 v50, v131, v50
	v_add_f32_e32 v52, v50, v51
	v_frexp_mant_f32_e32 v53, v48
	v_cvt_f64_f32_e32 v[50:51], v48
	v_frexp_exp_i32_f64_e32 v50, v[50:51]
	v_cmp_gt_f32_e32 vcc, s57, v53
	s_mov_b32 s57, 0x3f317218
	s_nop 0
	v_subbrev_co_u32_e32 v66, vcc, 0, v50, vcc
	v_sub_u32_e32 v50, 0, v66
	v_ldexp_f32 v48, v48, v50
	v_ldexp_f32 v50, v52, v50
	v_add_f32_e32 v52, -1.0, v48
	v_add_f32_e32 v51, 1.0, v52
	v_sub_f32_e32 v51, v48, v51
	v_add_f32_e32 v53, v50, v51
	v_add_f32_e32 v51, 1.0, v48
	v_add_f32_e32 v54, -1.0, v51
	v_sub_f32_e32 v48, v48, v54
	v_add_f32_e32 v48, v50, v48
	v_add_f32_e32 v67, v51, v48
	v_rcp_f32_e32 v68, v67
	v_sub_f32_e32 v50, v51, v67
	v_add_f32_e32 v51, v52, v53
	v_add_f32_e32 v48, v48, v50
	v_mul_f32_e32 v132, v51, v68
	v_sub_f32_e32 v50, v52, v51
	v_mul_f32_e32 v52, v67, v132
	v_fma_f32 v54, v132, v67, -v52
	v_fmac_f32_e32 v54, v132, v48
	v_add_f32_e32 v69, v53, v50
	v_add_f32_e32 v50, v52, v54
	v_sub_f32_e32 v53, v51, v50
	v_pk_add_f32 v[64:65], v[50:51], v[52:53] neg_lo:[0,1] neg_hi:[0,1]
	v_mov_b32_e32 v55, v50
	v_pk_add_f32 v[50:51], v[64:65], v[54:55] neg_lo:[0,1] neg_hi:[0,1]
	v_cmp_eq_f32_e32 vcc, s58, v131
	v_add_f32_e32 v51, v69, v51
	v_add_f32_e32 v50, v50, v51
	;; [unrolled: 1-line block ×3, first 2 shown]
	v_mul_f32_e32 v69, v68, v51
	v_mul_f32_e32 v52, v67, v69
	v_fma_f32 v54, v69, v67, -v52
	v_fmac_f32_e32 v54, v69, v48
	v_sub_f32_e32 v48, v53, v51
	v_add_f32_e32 v48, v50, v48
	v_add_f32_e32 v50, v52, v54
	v_sub_f32_e32 v53, v51, v50
	v_pk_add_f32 v[64:65], v[50:51], v[52:53] neg_lo:[0,1] neg_hi:[0,1]
	v_mov_b32_e32 v55, v50
	v_pk_add_f32 v[50:51], v[64:65], v[54:55] neg_lo:[0,1] neg_hi:[0,1]
	v_cvt_f32_i32_e32 v52, v66
	v_add_f32_e32 v48, v48, v51
	v_add_f32_e32 v48, v50, v48
	;; [unrolled: 1-line block ×4, first 2 shown]
	v_sub_f32_e32 v51, v50, v132
	v_mul_f32_e32 v48, v68, v48
	v_sub_f32_e32 v51, v69, v51
	v_add_f32_e32 v48, v51, v48
	v_add_f32_e32 v53, v50, v48
	v_mul_f32_e32 v54, v53, v53
	v_mov_b32_e32 v51, 0x3ecc95a3
	v_fmac_f32_e32 v51, 0x3e9b6dac, v54
	v_sub_f32_e32 v50, v53, v50
	v_fmaak_f32 v51, v54, v51, 0x3f2aaada
	v_sub_f32_e32 v48, v48, v50
	v_ldexp_f32 v55, v53, 1
	v_mul_f32_e32 v53, v53, v54
	v_mov_b32_e32 v50, 0x3f317218
	v_pk_mul_f32 v[50:51], v[52:53], v[50:51]
	v_ldexp_f32 v48, v48, 1
	v_fma_f32 v53, v52, s57, -v50
	v_fmamk_f32 v54, v52, 0xb102e308, v53
	v_pk_add_f32 v[52:53], v[50:51], v[54:55]
	v_mov_b32_e32 v64, v50
	v_sub_f32_e32 v55, v53, v55
	v_sub_f32_e32 v55, v51, v55
	v_add_f32_e32 v65, v48, v55
	v_pk_add_f32 v[50:51], v[52:53], v[50:51] neg_lo:[0,1] neg_hi:[0,1]
	v_pk_add_f32 v[66:67], v[52:53], v[64:65]
	v_mov_b32_e32 v55, v52
	v_mov_b32_e32 v51, v67
	v_pk_add_f32 v[68:69], v[54:55], v[50:51] neg_lo:[0,1] neg_hi:[0,1]
	v_pk_add_f32 v[50:51], v[54:55], v[50:51]
	s_mov_b32 s57, 0x33800000
	v_mov_b32_e32 v48, v51
	v_pk_add_f32 v[54:55], v[48:49], v[52:53] neg_lo:[0,1] neg_hi:[0,1]
	v_mov_b32_e32 v50, v67
	v_mov_b32_e32 v55, v54
	v_pk_add_f32 v[132:133], v[66:67], v[54:55] neg_lo:[0,1] neg_hi:[0,1]
	v_mov_b32_e32 v66, v53
	v_mov_b32_e32 v67, v54
	;; [unrolled: 1-line block ×3, first 2 shown]
	v_pk_add_f32 v[50:51], v[50:51], v[66:67] neg_lo:[0,1] neg_hi:[0,1]
	v_mov_b32_e32 v54, v65
	v_mov_b32_e32 v55, v52
	v_pk_add_f32 v[50:51], v[54:55], v[50:51] neg_lo:[0,1] neg_hi:[0,1]
	v_mov_b32_e32 v132, v68
	v_pk_add_f32 v[52:53], v[132:133], v[50:51]
	v_cmp_lt_f32_e64 s[58:59], |v131|, s57
	v_mov_b32_e32 v54, v53
	v_pk_add_f32 v[54:55], v[52:53], v[54:55]
	s_or_b64 vcc, vcc, s[58:59]
	v_pk_add_f32 v[64:65], v[48:49], v[54:55]
	v_mov_b32_e32 v51, v54
	v_mov_b32_e32 v53, v64
	v_pk_add_f32 v[66:67], v[52:53], v[68:69] neg_lo:[0,1] neg_hi:[0,1]
	s_nop 0
	v_sub_f32_e32 v48, v52, v66
	v_pk_add_f32 v[50:51], v[50:51], v[66:67] neg_lo:[0,1] neg_hi:[0,1]
	v_sub_f32_e32 v48, v68, v48
	v_add_f32_e32 v48, v50, v48
	v_add_f32_e32 v48, v48, v51
	;; [unrolled: 1-line block ×3, first 2 shown]
	v_cndmask_b32_e32 v48, v48, v131, vcc
	v_add_f32_e32 v48, v49, v48
.LBB121_224:
	s_or_b64 exec, exec, s[54:55]
	v_max_f32_e32 v49, v48, v48
	v_min_f32_e32 v50, v49, v99
	v_cmp_u_f32_e32 vcc, v48, v48
	v_max_f32_e32 v49, v49, v99
	s_nop 0
	v_cndmask_b32_e32 v50, v50, v48, vcc
	v_cndmask_b32_e32 v49, v49, v48, vcc
	v_cndmask_b32_e64 v51, v50, v17, s[6:7]
	v_cndmask_b32_e64 v50, v49, v17, s[6:7]
	v_cmp_neq_f32_e32 vcc, v51, v50
	v_cmp_class_f32_e64 s[6:7], v51, s56
	s_or_b64 vcc, vcc, s[6:7]
	v_mov_b32_e32 v49, v48
	s_and_saveexec_b64 s[6:7], vcc
	s_cbranch_execz .LBB121_226
; %bb.225:
	v_sub_f32_e32 v49, v51, v50
	s_mov_b32 s54, 0x3fb8aa3b
	v_mul_f32_e32 v51, 0x3fb8aa3b, v49
	v_fma_f32 v52, v49, s54, -v51
	v_rndne_f32_e32 v53, v51
	v_fmamk_f32 v52, v49, 0x32a5705f, v52
	v_sub_f32_e32 v51, v51, v53
	v_add_f32_e32 v51, v51, v52
	v_exp_f32_e32 v51, v51
	v_cvt_i32_f32_e32 v52, v53
	s_mov_b32 s54, 0xc2ce8ed0
	v_cmp_ngt_f32_e32 vcc, s54, v49
	s_mov_b32 s54, 0x42b17218
	v_ldexp_f32 v51, v51, v52
	v_cndmask_b32_e32 v51, 0, v51, vcc
	v_mov_b32_e32 v52, 0x7f800000
	v_cmp_nlt_f32_e32 vcc, s54, v49
	s_mov_b32 s54, 0x3f2aaaab
	s_mov_b32 s55, 0x7f800000
	v_cndmask_b32_e32 v51, v52, v51, vcc
	v_add_f32_e32 v49, 1.0, v51
	v_add_f32_e32 v52, -1.0, v49
	v_sub_f32_e32 v53, v52, v49
	v_add_f32_e32 v53, 1.0, v53
	v_sub_f32_e32 v52, v51, v52
	v_add_f32_e32 v54, v52, v53
	v_frexp_mant_f32_e32 v55, v49
	v_cvt_f64_f32_e32 v[52:53], v49
	v_frexp_exp_i32_f64_e32 v52, v[52:53]
	v_cmp_gt_f32_e32 vcc, s54, v55
	s_mov_b32 s54, 0x3f317218
	s_nop 0
	v_subbrev_co_u32_e32 v68, vcc, 0, v52, vcc
	v_sub_u32_e32 v52, 0, v68
	v_ldexp_f32 v49, v49, v52
	v_ldexp_f32 v52, v54, v52
	v_add_f32_e32 v54, -1.0, v49
	v_add_f32_e32 v53, 1.0, v54
	v_sub_f32_e32 v53, v49, v53
	v_add_f32_e32 v55, v52, v53
	v_add_f32_e32 v53, 1.0, v49
	v_add_f32_e32 v64, -1.0, v53
	v_sub_f32_e32 v49, v49, v64
	v_add_f32_e32 v49, v52, v49
	v_add_f32_e32 v69, v53, v49
	v_rcp_f32_e32 v131, v69
	v_sub_f32_e32 v52, v53, v69
	v_add_f32_e32 v53, v54, v55
	v_add_f32_e32 v49, v49, v52
	v_mul_f32_e32 v133, v53, v131
	v_sub_f32_e32 v52, v54, v53
	v_mul_f32_e32 v54, v69, v133
	v_fma_f32 v64, v133, v69, -v54
	v_fmac_f32_e32 v64, v133, v49
	v_add_f32_e32 v132, v55, v52
	v_add_f32_e32 v52, v54, v64
	v_sub_f32_e32 v55, v53, v52
	v_pk_add_f32 v[66:67], v[52:53], v[54:55] neg_lo:[0,1] neg_hi:[0,1]
	v_mov_b32_e32 v65, v52
	v_pk_add_f32 v[52:53], v[66:67], v[64:65] neg_lo:[0,1] neg_hi:[0,1]
	v_cmp_eq_f32_e32 vcc, s55, v51
	v_add_f32_e32 v53, v132, v53
	v_add_f32_e32 v52, v52, v53
	;; [unrolled: 1-line block ×3, first 2 shown]
	v_mul_f32_e32 v132, v131, v53
	v_mul_f32_e32 v54, v69, v132
	v_fma_f32 v64, v132, v69, -v54
	v_fmac_f32_e32 v64, v132, v49
	v_sub_f32_e32 v49, v55, v53
	v_add_f32_e32 v49, v52, v49
	v_add_f32_e32 v52, v54, v64
	v_sub_f32_e32 v55, v53, v52
	v_pk_add_f32 v[66:67], v[52:53], v[54:55] neg_lo:[0,1] neg_hi:[0,1]
	v_mov_b32_e32 v65, v52
	v_pk_add_f32 v[52:53], v[66:67], v[64:65] neg_lo:[0,1] neg_hi:[0,1]
	v_cvt_f32_i32_e32 v54, v68
	v_add_f32_e32 v49, v49, v53
	v_add_f32_e32 v49, v52, v49
	;; [unrolled: 1-line block ×4, first 2 shown]
	v_sub_f32_e32 v53, v52, v133
	v_mul_f32_e32 v49, v131, v49
	v_sub_f32_e32 v53, v132, v53
	v_add_f32_e32 v49, v53, v49
	v_add_f32_e32 v55, v52, v49
	v_mul_f32_e32 v64, v55, v55
	v_mov_b32_e32 v53, 0x3ecc95a3
	v_fmac_f32_e32 v53, 0x3e9b6dac, v64
	v_sub_f32_e32 v52, v55, v52
	v_fmaak_f32 v53, v64, v53, 0x3f2aaada
	v_sub_f32_e32 v49, v49, v52
	v_ldexp_f32 v65, v55, 1
	v_mul_f32_e32 v55, v55, v64
	v_mov_b32_e32 v52, 0x3f317218
	v_pk_mul_f32 v[52:53], v[54:55], v[52:53]
	v_ldexp_f32 v49, v49, 1
	v_fma_f32 v55, v54, s54, -v52
	v_fmamk_f32 v64, v54, 0xb102e308, v55
	v_pk_add_f32 v[54:55], v[52:53], v[64:65]
	v_mov_b32_e32 v66, v52
	v_sub_f32_e32 v65, v55, v65
	v_sub_f32_e32 v65, v53, v65
	v_add_f32_e32 v67, v49, v65
	v_pk_add_f32 v[52:53], v[54:55], v[52:53] neg_lo:[0,1] neg_hi:[0,1]
	v_pk_add_f32 v[68:69], v[54:55], v[66:67]
	v_mov_b32_e32 v65, v54
	v_mov_b32_e32 v53, v69
	v_pk_add_f32 v[132:133], v[64:65], v[52:53] neg_lo:[0,1] neg_hi:[0,1]
	v_pk_add_f32 v[52:53], v[64:65], v[52:53]
	v_mov_b32_e32 v66, v67
	v_mov_b32_e32 v64, v53
	v_pk_add_f32 v[134:135], v[64:65], v[54:55] neg_lo:[0,1] neg_hi:[0,1]
	v_mov_b32_e32 v52, v69
	v_mov_b32_e32 v49, v134
	v_pk_add_f32 v[144:145], v[68:69], v[48:49] neg_lo:[0,1] neg_hi:[0,1]
	v_mov_b32_e32 v68, v55
	v_mov_b32_e32 v69, v134
	;; [unrolled: 1-line block ×3, first 2 shown]
	v_pk_add_f32 v[52:53], v[52:53], v[68:69] neg_lo:[0,1] neg_hi:[0,1]
	v_mov_b32_e32 v67, v54
	v_pk_add_f32 v[52:53], v[66:67], v[52:53] neg_lo:[0,1] neg_hi:[0,1]
	v_mov_b32_e32 v144, v132
	v_pk_add_f32 v[54:55], v[144:145], v[52:53]
	s_mov_b32 s54, 0x33800000
	v_mov_b32_e32 v66, v55
	v_pk_add_f32 v[66:67], v[54:55], v[66:67]
	v_cmp_lt_f32_e64 s[54:55], |v51|, s54
	v_pk_add_f32 v[64:65], v[64:65], v[66:67]
	v_mov_b32_e32 v53, v66
	v_mov_b32_e32 v55, v64
	v_pk_add_f32 v[68:69], v[54:55], v[132:133] neg_lo:[0,1] neg_hi:[0,1]
	s_or_b64 vcc, vcc, s[54:55]
	v_sub_f32_e32 v49, v54, v68
	v_pk_add_f32 v[52:53], v[52:53], v[68:69] neg_lo:[0,1] neg_hi:[0,1]
	v_sub_f32_e32 v49, v132, v49
	v_add_f32_e32 v49, v52, v49
	v_add_f32_e32 v49, v49, v53
	;; [unrolled: 1-line block ×3, first 2 shown]
	v_cndmask_b32_e32 v49, v49, v51, vcc
	v_add_f32_e32 v49, v50, v49
.LBB121_226:
	s_or_b64 exec, exec, s[6:7]
	v_max_f32_e32 v50, v49, v49
	v_min_f32_e32 v51, v50, v70
	v_cmp_u_f32_e32 vcc, v49, v49
	v_max_f32_e32 v50, v50, v70
	s_nop 0
	v_cndmask_b32_e32 v51, v51, v49, vcc
	v_cndmask_b32_e32 v50, v50, v49, vcc
	v_cndmask_b32_e64 v52, v51, v18, s[8:9]
	v_cndmask_b32_e64 v51, v50, v18, s[8:9]
	s_movk_i32 s8, 0x1f8
	v_cmp_neq_f32_e32 vcc, v52, v51
	v_cmp_class_f32_e64 s[6:7], v52, s8
	s_or_b64 vcc, vcc, s[6:7]
	v_mov_b32_e32 v50, v49
	s_and_saveexec_b64 s[6:7], vcc
	s_cbranch_execz .LBB121_228
; %bb.227:
	v_sub_f32_e32 v50, v52, v51
	s_mov_b32 s9, 0x3fb8aa3b
	v_mul_f32_e32 v52, 0x3fb8aa3b, v50
	v_fma_f32 v53, v50, s9, -v52
	v_rndne_f32_e32 v54, v52
	v_fmamk_f32 v53, v50, 0x32a5705f, v53
	v_sub_f32_e32 v52, v52, v54
	v_add_f32_e32 v52, v52, v53
	v_exp_f32_e32 v52, v52
	v_cvt_i32_f32_e32 v53, v54
	s_mov_b32 s9, 0xc2ce8ed0
	v_cmp_ngt_f32_e32 vcc, s9, v50
	s_mov_b32 s9, 0x42b17218
	v_ldexp_f32 v52, v52, v53
	v_cndmask_b32_e32 v52, 0, v52, vcc
	v_mov_b32_e32 v53, 0x7f800000
	v_cmp_nlt_f32_e32 vcc, s9, v50
	s_mov_b32 s9, 0x3f2aaaab
	s_mov_b32 s54, 0x7f800000
	v_cndmask_b32_e32 v70, v53, v52, vcc
	v_add_f32_e32 v50, 1.0, v70
	v_add_f32_e32 v52, -1.0, v50
	v_sub_f32_e32 v53, v52, v50
	v_add_f32_e32 v53, 1.0, v53
	v_sub_f32_e32 v52, v70, v52
	v_add_f32_e32 v54, v52, v53
	v_frexp_mant_f32_e32 v55, v50
	v_cvt_f64_f32_e32 v[52:53], v50
	v_frexp_exp_i32_f64_e32 v52, v[52:53]
	v_cmp_gt_f32_e32 vcc, s9, v55
	s_mov_b32 s9, 0x3f317218
	s_nop 0
	v_subbrev_co_u32_e32 v68, vcc, 0, v52, vcc
	v_sub_u32_e32 v52, 0, v68
	v_ldexp_f32 v50, v50, v52
	v_ldexp_f32 v52, v54, v52
	v_add_f32_e32 v54, -1.0, v50
	v_add_f32_e32 v53, 1.0, v54
	v_sub_f32_e32 v53, v50, v53
	v_add_f32_e32 v55, v52, v53
	v_add_f32_e32 v53, 1.0, v50
	v_add_f32_e32 v64, -1.0, v53
	v_sub_f32_e32 v50, v50, v64
	v_add_f32_e32 v50, v52, v50
	v_add_f32_e32 v69, v53, v50
	v_rcp_f32_e32 v131, v69
	v_sub_f32_e32 v52, v53, v69
	v_add_f32_e32 v53, v54, v55
	v_add_f32_e32 v50, v50, v52
	v_mul_f32_e32 v133, v53, v131
	v_sub_f32_e32 v52, v54, v53
	v_mul_f32_e32 v54, v69, v133
	v_fma_f32 v64, v133, v69, -v54
	v_fmac_f32_e32 v64, v133, v50
	v_add_f32_e32 v132, v55, v52
	v_add_f32_e32 v52, v54, v64
	v_sub_f32_e32 v55, v53, v52
	v_pk_add_f32 v[66:67], v[52:53], v[54:55] neg_lo:[0,1] neg_hi:[0,1]
	v_mov_b32_e32 v65, v52
	v_pk_add_f32 v[52:53], v[66:67], v[64:65] neg_lo:[0,1] neg_hi:[0,1]
	v_cmp_eq_f32_e32 vcc, s54, v70
	v_add_f32_e32 v53, v132, v53
	v_add_f32_e32 v52, v52, v53
	;; [unrolled: 1-line block ×3, first 2 shown]
	v_mul_f32_e32 v132, v131, v53
	v_mul_f32_e32 v54, v69, v132
	v_fma_f32 v64, v132, v69, -v54
	v_fmac_f32_e32 v64, v132, v50
	v_sub_f32_e32 v50, v55, v53
	v_add_f32_e32 v50, v52, v50
	v_add_f32_e32 v52, v54, v64
	v_sub_f32_e32 v55, v53, v52
	v_pk_add_f32 v[66:67], v[52:53], v[54:55] neg_lo:[0,1] neg_hi:[0,1]
	v_mov_b32_e32 v65, v52
	v_pk_add_f32 v[52:53], v[66:67], v[64:65] neg_lo:[0,1] neg_hi:[0,1]
	v_cvt_f32_i32_e32 v54, v68
	v_add_f32_e32 v50, v50, v53
	v_add_f32_e32 v50, v52, v50
	v_add_f32_e32 v52, v133, v132
	v_add_f32_e32 v50, v55, v50
	v_sub_f32_e32 v53, v52, v133
	v_mul_f32_e32 v50, v131, v50
	v_sub_f32_e32 v53, v132, v53
	v_add_f32_e32 v50, v53, v50
	v_add_f32_e32 v55, v52, v50
	v_mul_f32_e32 v64, v55, v55
	v_mov_b32_e32 v53, 0x3ecc95a3
	v_fmac_f32_e32 v53, 0x3e9b6dac, v64
	v_sub_f32_e32 v52, v55, v52
	v_fmaak_f32 v53, v64, v53, 0x3f2aaada
	v_sub_f32_e32 v50, v50, v52
	v_ldexp_f32 v65, v55, 1
	v_mul_f32_e32 v55, v55, v64
	v_mov_b32_e32 v52, 0x3f317218
	v_pk_mul_f32 v[52:53], v[54:55], v[52:53]
	v_ldexp_f32 v50, v50, 1
	v_fma_f32 v55, v54, s9, -v52
	v_fmamk_f32 v64, v54, 0xb102e308, v55
	v_pk_add_f32 v[54:55], v[52:53], v[64:65]
	v_mov_b32_e32 v66, v52
	v_sub_f32_e32 v65, v55, v65
	v_sub_f32_e32 v65, v53, v65
	v_add_f32_e32 v67, v50, v65
	v_pk_add_f32 v[52:53], v[54:55], v[52:53] neg_lo:[0,1] neg_hi:[0,1]
	v_pk_add_f32 v[68:69], v[54:55], v[66:67]
	v_mov_b32_e32 v65, v54
	v_mov_b32_e32 v53, v69
	v_pk_add_f32 v[132:133], v[64:65], v[52:53] neg_lo:[0,1] neg_hi:[0,1]
	v_pk_add_f32 v[52:53], v[64:65], v[52:53]
	s_mov_b32 s9, 0x33800000
	v_mov_b32_e32 v50, v53
	v_pk_add_f32 v[64:65], v[50:51], v[54:55] neg_lo:[0,1] neg_hi:[0,1]
	v_mov_b32_e32 v52, v69
	v_mov_b32_e32 v65, v64
	v_pk_add_f32 v[134:135], v[68:69], v[64:65] neg_lo:[0,1] neg_hi:[0,1]
	v_mov_b32_e32 v68, v55
	v_mov_b32_e32 v69, v64
	v_mov_b32_e32 v133, v53
	v_pk_add_f32 v[52:53], v[52:53], v[68:69] neg_lo:[0,1] neg_hi:[0,1]
	v_mov_b32_e32 v64, v67
	v_mov_b32_e32 v65, v54
	v_pk_add_f32 v[52:53], v[64:65], v[52:53] neg_lo:[0,1] neg_hi:[0,1]
	v_mov_b32_e32 v134, v132
	v_pk_add_f32 v[54:55], v[134:135], v[52:53]
	v_cmp_lt_f32_e64 s[54:55], |v70|, s9
	v_mov_b32_e32 v64, v55
	v_pk_add_f32 v[64:65], v[54:55], v[64:65]
	s_or_b64 vcc, vcc, s[54:55]
	v_pk_add_f32 v[66:67], v[50:51], v[64:65]
	v_mov_b32_e32 v53, v64
	v_mov_b32_e32 v55, v66
	v_pk_add_f32 v[68:69], v[54:55], v[132:133] neg_lo:[0,1] neg_hi:[0,1]
	s_nop 0
	v_sub_f32_e32 v50, v54, v68
	v_pk_add_f32 v[52:53], v[52:53], v[68:69] neg_lo:[0,1] neg_hi:[0,1]
	v_sub_f32_e32 v50, v132, v50
	v_add_f32_e32 v50, v52, v50
	v_add_f32_e32 v50, v50, v53
	;; [unrolled: 1-line block ×3, first 2 shown]
	v_cndmask_b32_e32 v50, v50, v70, vcc
	v_add_f32_e32 v50, v51, v50
.LBB121_228:
	s_or_b64 exec, exec, s[6:7]
	v_max_f32_e32 v51, v50, v50
	v_min_f32_e32 v52, v51, v71
	v_cmp_u_f32_e32 vcc, v50, v50
	v_max_f32_e32 v51, v51, v71
	s_nop 0
	v_cndmask_b32_e32 v52, v52, v50, vcc
	v_cndmask_b32_e32 v51, v51, v50, vcc
	v_cndmask_b32_e64 v53, v52, v19, s[10:11]
	v_cndmask_b32_e64 v52, v51, v19, s[10:11]
	v_cmp_neq_f32_e32 vcc, v53, v52
	v_cmp_class_f32_e64 s[6:7], v53, s8
	s_or_b64 s[8:9], vcc, s[6:7]
	v_mov_b32_e32 v51, v50
	s_and_saveexec_b64 s[6:7], s[8:9]
	s_cbranch_execz .LBB121_230
; %bb.229:
	v_sub_f32_e32 v51, v53, v52
	s_mov_b32 s8, 0x3fb8aa3b
	v_mul_f32_e32 v53, 0x3fb8aa3b, v51
	v_fma_f32 v54, v51, s8, -v53
	v_rndne_f32_e32 v55, v53
	v_fmamk_f32 v54, v51, 0x32a5705f, v54
	v_sub_f32_e32 v53, v53, v55
	v_add_f32_e32 v53, v53, v54
	v_exp_f32_e32 v53, v53
	v_cvt_i32_f32_e32 v54, v55
	s_mov_b32 s8, 0xc2ce8ed0
	v_cmp_ngt_f32_e32 vcc, s8, v51
	s_mov_b32 s8, 0x42b17218
	v_ldexp_f32 v53, v53, v54
	v_cndmask_b32_e32 v53, 0, v53, vcc
	v_mov_b32_e32 v54, 0x7f800000
	v_cmp_nlt_f32_e32 vcc, s8, v51
	s_mov_b32 s8, 0x3f2aaaab
	s_mov_b32 s9, 0x7f800000
	v_cndmask_b32_e32 v53, v54, v53, vcc
	v_add_f32_e32 v51, 1.0, v53
	v_add_f32_e32 v54, -1.0, v51
	v_sub_f32_e32 v55, v54, v51
	v_add_f32_e32 v55, 1.0, v55
	v_sub_f32_e32 v54, v53, v54
	v_add_f32_e32 v64, v54, v55
	v_frexp_mant_f32_e32 v65, v51
	v_cvt_f64_f32_e32 v[54:55], v51
	v_frexp_exp_i32_f64_e32 v54, v[54:55]
	v_cmp_gt_f32_e32 vcc, s8, v65
	s_mov_b32 s8, 0x3f317218
	s_nop 0
	v_subbrev_co_u32_e32 v70, vcc, 0, v54, vcc
	v_sub_u32_e32 v54, 0, v70
	v_ldexp_f32 v51, v51, v54
	v_ldexp_f32 v54, v64, v54
	v_add_f32_e32 v64, -1.0, v51
	v_add_f32_e32 v55, 1.0, v64
	v_sub_f32_e32 v55, v51, v55
	v_add_f32_e32 v65, v54, v55
	v_add_f32_e32 v55, 1.0, v51
	v_add_f32_e32 v66, -1.0, v55
	v_sub_f32_e32 v51, v51, v66
	v_add_f32_e32 v51, v54, v51
	v_add_f32_e32 v71, v55, v51
	v_rcp_f32_e32 v131, v71
	v_sub_f32_e32 v54, v55, v71
	v_add_f32_e32 v55, v64, v65
	v_add_f32_e32 v51, v51, v54
	v_mul_f32_e32 v133, v55, v131
	v_sub_f32_e32 v54, v64, v55
	v_mul_f32_e32 v64, v71, v133
	v_fma_f32 v66, v133, v71, -v64
	v_fmac_f32_e32 v66, v133, v51
	v_add_f32_e32 v132, v65, v54
	v_add_f32_e32 v54, v64, v66
	v_sub_f32_e32 v65, v55, v54
	v_pk_add_f32 v[68:69], v[54:55], v[64:65] neg_lo:[0,1] neg_hi:[0,1]
	v_mov_b32_e32 v67, v54
	v_pk_add_f32 v[54:55], v[68:69], v[66:67] neg_lo:[0,1] neg_hi:[0,1]
	v_cmp_eq_f32_e32 vcc, s9, v53
	v_add_f32_e32 v55, v132, v55
	v_add_f32_e32 v54, v54, v55
	;; [unrolled: 1-line block ×3, first 2 shown]
	v_mul_f32_e32 v132, v131, v55
	v_mul_f32_e32 v64, v71, v132
	v_fma_f32 v66, v132, v71, -v64
	v_fmac_f32_e32 v66, v132, v51
	v_sub_f32_e32 v51, v65, v55
	v_add_f32_e32 v51, v54, v51
	v_add_f32_e32 v54, v64, v66
	v_sub_f32_e32 v65, v55, v54
	v_pk_add_f32 v[68:69], v[54:55], v[64:65] neg_lo:[0,1] neg_hi:[0,1]
	v_mov_b32_e32 v67, v54
	v_pk_add_f32 v[54:55], v[68:69], v[66:67] neg_lo:[0,1] neg_hi:[0,1]
	v_cvt_f32_i32_e32 v64, v70
	v_add_f32_e32 v51, v51, v55
	v_add_f32_e32 v51, v54, v51
	;; [unrolled: 1-line block ×4, first 2 shown]
	v_sub_f32_e32 v55, v54, v133
	v_mul_f32_e32 v51, v131, v51
	v_sub_f32_e32 v55, v132, v55
	v_add_f32_e32 v51, v55, v51
	v_add_f32_e32 v65, v54, v51
	v_mul_f32_e32 v66, v65, v65
	v_mov_b32_e32 v55, 0x3ecc95a3
	v_fmac_f32_e32 v55, 0x3e9b6dac, v66
	v_sub_f32_e32 v54, v65, v54
	v_fmaak_f32 v55, v66, v55, 0x3f2aaada
	v_sub_f32_e32 v51, v51, v54
	v_ldexp_f32 v67, v65, 1
	v_mul_f32_e32 v65, v65, v66
	v_mov_b32_e32 v54, 0x3f317218
	v_pk_mul_f32 v[54:55], v[64:65], v[54:55]
	v_ldexp_f32 v51, v51, 1
	v_fma_f32 v65, v64, s8, -v54
	v_fmamk_f32 v66, v64, 0xb102e308, v65
	v_pk_add_f32 v[64:65], v[54:55], v[66:67]
	v_mov_b32_e32 v68, v54
	v_sub_f32_e32 v67, v65, v67
	v_sub_f32_e32 v67, v55, v67
	v_add_f32_e32 v69, v51, v67
	v_pk_add_f32 v[54:55], v[64:65], v[54:55] neg_lo:[0,1] neg_hi:[0,1]
	v_pk_add_f32 v[70:71], v[64:65], v[68:69]
	v_mov_b32_e32 v67, v64
	v_mov_b32_e32 v55, v71
	v_pk_add_f32 v[132:133], v[66:67], v[54:55] neg_lo:[0,1] neg_hi:[0,1]
	v_pk_add_f32 v[54:55], v[66:67], v[54:55]
	v_mov_b32_e32 v68, v69
	v_mov_b32_e32 v66, v55
	v_pk_add_f32 v[134:135], v[66:67], v[64:65] neg_lo:[0,1] neg_hi:[0,1]
	v_mov_b32_e32 v54, v71
	v_mov_b32_e32 v51, v134
	v_pk_add_f32 v[144:145], v[70:71], v[50:51] neg_lo:[0,1] neg_hi:[0,1]
	v_mov_b32_e32 v70, v65
	v_mov_b32_e32 v71, v134
	;; [unrolled: 1-line block ×3, first 2 shown]
	v_pk_add_f32 v[54:55], v[54:55], v[70:71] neg_lo:[0,1] neg_hi:[0,1]
	v_mov_b32_e32 v69, v64
	v_pk_add_f32 v[54:55], v[68:69], v[54:55] neg_lo:[0,1] neg_hi:[0,1]
	v_mov_b32_e32 v144, v132
	v_pk_add_f32 v[64:65], v[144:145], v[54:55]
	s_mov_b32 s8, 0x33800000
	v_mov_b32_e32 v68, v65
	v_pk_add_f32 v[68:69], v[64:65], v[68:69]
	v_cmp_lt_f32_e64 s[8:9], |v53|, s8
	v_pk_add_f32 v[66:67], v[66:67], v[68:69]
	v_mov_b32_e32 v55, v68
	v_mov_b32_e32 v65, v66
	v_pk_add_f32 v[70:71], v[64:65], v[132:133] neg_lo:[0,1] neg_hi:[0,1]
	s_or_b64 vcc, vcc, s[8:9]
	v_sub_f32_e32 v51, v64, v70
	v_pk_add_f32 v[54:55], v[54:55], v[70:71] neg_lo:[0,1] neg_hi:[0,1]
	v_sub_f32_e32 v51, v132, v51
	v_add_f32_e32 v51, v54, v51
	v_add_f32_e32 v51, v51, v55
	;; [unrolled: 1-line block ×3, first 2 shown]
	v_cndmask_b32_e32 v51, v51, v53, vcc
	v_add_f32_e32 v51, v52, v51
.LBB121_230:
	s_or_b64 exec, exec, s[6:7]
	v_max_f32_e32 v52, v51, v51
	v_min_f32_e32 v53, v52, v80
	v_cmp_u_f32_e32 vcc, v51, v51
	v_max_f32_e32 v52, v52, v80
	s_movk_i32 s8, 0x1f8
	v_cndmask_b32_e32 v53, v53, v51, vcc
	v_cndmask_b32_e32 v52, v52, v51, vcc
	v_cndmask_b32_e64 v54, v53, v36, s[12:13]
	v_cndmask_b32_e64 v53, v52, v36, s[12:13]
	v_cmp_neq_f32_e32 vcc, v54, v53
	v_cmp_class_f32_e64 s[6:7], v54, s8
	s_or_b64 s[10:11], vcc, s[6:7]
	v_mov_b32_e32 v52, v51
	s_and_saveexec_b64 s[6:7], s[10:11]
	s_cbranch_execz .LBB121_232
; %bb.231:
	v_sub_f32_e32 v52, v54, v53
	s_mov_b32 s9, 0x3fb8aa3b
	v_mul_f32_e32 v54, 0x3fb8aa3b, v52
	v_fma_f32 v55, v52, s9, -v54
	v_rndne_f32_e32 v64, v54
	v_fmamk_f32 v55, v52, 0x32a5705f, v55
	v_sub_f32_e32 v54, v54, v64
	v_add_f32_e32 v54, v54, v55
	v_exp_f32_e32 v54, v54
	v_cvt_i32_f32_e32 v55, v64
	s_mov_b32 s9, 0xc2ce8ed0
	v_cmp_ngt_f32_e32 vcc, s9, v52
	s_mov_b32 s9, 0x42b17218
	v_ldexp_f32 v54, v54, v55
	v_cndmask_b32_e32 v54, 0, v54, vcc
	v_mov_b32_e32 v55, 0x7f800000
	v_cmp_nlt_f32_e32 vcc, s9, v52
	s_mov_b32 s9, 0x3f2aaaab
	s_mov_b32 s10, 0x7f800000
	v_cndmask_b32_e32 v80, v55, v54, vcc
	v_add_f32_e32 v52, 1.0, v80
	v_add_f32_e32 v54, -1.0, v52
	v_sub_f32_e32 v55, v54, v52
	v_add_f32_e32 v55, 1.0, v55
	v_sub_f32_e32 v54, v80, v54
	v_add_f32_e32 v64, v54, v55
	v_frexp_mant_f32_e32 v65, v52
	v_cvt_f64_f32_e32 v[54:55], v52
	v_frexp_exp_i32_f64_e32 v54, v[54:55]
	v_cmp_gt_f32_e32 vcc, s9, v65
	s_mov_b32 s9, 0x3f317218
	s_nop 0
	v_subbrev_co_u32_e32 v70, vcc, 0, v54, vcc
	v_sub_u32_e32 v54, 0, v70
	v_ldexp_f32 v52, v52, v54
	v_ldexp_f32 v54, v64, v54
	v_add_f32_e32 v64, -1.0, v52
	v_add_f32_e32 v55, 1.0, v64
	v_sub_f32_e32 v55, v52, v55
	v_add_f32_e32 v65, v54, v55
	v_add_f32_e32 v55, 1.0, v52
	v_add_f32_e32 v66, -1.0, v55
	v_sub_f32_e32 v52, v52, v66
	v_add_f32_e32 v52, v54, v52
	v_add_f32_e32 v71, v55, v52
	v_rcp_f32_e32 v131, v71
	v_sub_f32_e32 v54, v55, v71
	v_add_f32_e32 v55, v64, v65
	v_add_f32_e32 v52, v52, v54
	v_mul_f32_e32 v133, v55, v131
	v_sub_f32_e32 v54, v64, v55
	v_mul_f32_e32 v64, v71, v133
	v_fma_f32 v66, v133, v71, -v64
	v_fmac_f32_e32 v66, v133, v52
	v_add_f32_e32 v132, v65, v54
	v_add_f32_e32 v54, v64, v66
	v_sub_f32_e32 v65, v55, v54
	v_pk_add_f32 v[68:69], v[54:55], v[64:65] neg_lo:[0,1] neg_hi:[0,1]
	v_mov_b32_e32 v67, v54
	v_pk_add_f32 v[54:55], v[68:69], v[66:67] neg_lo:[0,1] neg_hi:[0,1]
	v_cmp_eq_f32_e32 vcc, s10, v80
	v_add_f32_e32 v55, v132, v55
	v_add_f32_e32 v54, v54, v55
	;; [unrolled: 1-line block ×3, first 2 shown]
	v_mul_f32_e32 v132, v131, v55
	v_mul_f32_e32 v64, v71, v132
	v_fma_f32 v66, v132, v71, -v64
	v_fmac_f32_e32 v66, v132, v52
	v_sub_f32_e32 v52, v65, v55
	v_add_f32_e32 v52, v54, v52
	v_add_f32_e32 v54, v64, v66
	v_sub_f32_e32 v65, v55, v54
	v_pk_add_f32 v[68:69], v[54:55], v[64:65] neg_lo:[0,1] neg_hi:[0,1]
	v_mov_b32_e32 v67, v54
	v_pk_add_f32 v[54:55], v[68:69], v[66:67] neg_lo:[0,1] neg_hi:[0,1]
	v_cvt_f32_i32_e32 v64, v70
	v_add_f32_e32 v52, v52, v55
	v_add_f32_e32 v52, v54, v52
	;; [unrolled: 1-line block ×4, first 2 shown]
	v_sub_f32_e32 v55, v54, v133
	v_mul_f32_e32 v52, v131, v52
	v_sub_f32_e32 v55, v132, v55
	v_add_f32_e32 v52, v55, v52
	v_add_f32_e32 v65, v54, v52
	v_mul_f32_e32 v66, v65, v65
	v_mov_b32_e32 v55, 0x3ecc95a3
	v_fmac_f32_e32 v55, 0x3e9b6dac, v66
	v_sub_f32_e32 v54, v65, v54
	v_fmaak_f32 v55, v66, v55, 0x3f2aaada
	v_sub_f32_e32 v52, v52, v54
	v_ldexp_f32 v67, v65, 1
	v_mul_f32_e32 v65, v65, v66
	v_mov_b32_e32 v54, 0x3f317218
	v_pk_mul_f32 v[54:55], v[64:65], v[54:55]
	v_ldexp_f32 v52, v52, 1
	v_fma_f32 v65, v64, s9, -v54
	v_fmamk_f32 v66, v64, 0xb102e308, v65
	v_pk_add_f32 v[64:65], v[54:55], v[66:67]
	v_mov_b32_e32 v68, v54
	v_sub_f32_e32 v67, v65, v67
	v_sub_f32_e32 v67, v55, v67
	v_add_f32_e32 v69, v52, v67
	v_pk_add_f32 v[54:55], v[64:65], v[54:55] neg_lo:[0,1] neg_hi:[0,1]
	v_pk_add_f32 v[70:71], v[64:65], v[68:69]
	v_mov_b32_e32 v67, v64
	v_mov_b32_e32 v55, v71
	v_pk_add_f32 v[132:133], v[66:67], v[54:55] neg_lo:[0,1] neg_hi:[0,1]
	v_pk_add_f32 v[54:55], v[66:67], v[54:55]
	s_mov_b32 s9, 0x33800000
	v_mov_b32_e32 v52, v55
	v_pk_add_f32 v[66:67], v[52:53], v[64:65] neg_lo:[0,1] neg_hi:[0,1]
	v_mov_b32_e32 v54, v71
	v_mov_b32_e32 v67, v66
	v_pk_add_f32 v[134:135], v[70:71], v[66:67] neg_lo:[0,1] neg_hi:[0,1]
	v_mov_b32_e32 v70, v65
	v_mov_b32_e32 v71, v66
	v_mov_b32_e32 v133, v55
	v_pk_add_f32 v[54:55], v[54:55], v[70:71] neg_lo:[0,1] neg_hi:[0,1]
	v_mov_b32_e32 v66, v69
	v_mov_b32_e32 v67, v64
	v_pk_add_f32 v[54:55], v[66:67], v[54:55] neg_lo:[0,1] neg_hi:[0,1]
	v_mov_b32_e32 v134, v132
	v_pk_add_f32 v[64:65], v[134:135], v[54:55]
	v_cmp_lt_f32_e64 s[10:11], |v80|, s9
	v_mov_b32_e32 v66, v65
	v_pk_add_f32 v[66:67], v[64:65], v[66:67]
	s_or_b64 vcc, vcc, s[10:11]
	v_pk_add_f32 v[68:69], v[52:53], v[66:67]
	v_mov_b32_e32 v55, v66
	v_mov_b32_e32 v65, v68
	v_pk_add_f32 v[70:71], v[64:65], v[132:133] neg_lo:[0,1] neg_hi:[0,1]
	s_nop 0
	v_sub_f32_e32 v52, v64, v70
	v_pk_add_f32 v[54:55], v[54:55], v[70:71] neg_lo:[0,1] neg_hi:[0,1]
	v_sub_f32_e32 v52, v132, v52
	v_add_f32_e32 v52, v54, v52
	v_add_f32_e32 v52, v52, v55
	;; [unrolled: 1-line block ×3, first 2 shown]
	v_cndmask_b32_e32 v52, v52, v80, vcc
	v_add_f32_e32 v52, v53, v52
.LBB121_232:
	s_or_b64 exec, exec, s[6:7]
	v_max_f32_e32 v53, v52, v52
	v_min_f32_e32 v54, v53, v81
	v_cmp_u_f32_e32 vcc, v52, v52
	v_max_f32_e32 v53, v53, v81
	s_nop 0
	v_cndmask_b32_e32 v54, v54, v52, vcc
	v_cndmask_b32_e32 v53, v53, v52, vcc
	v_cndmask_b32_e64 v55, v54, v37, s[14:15]
	v_cndmask_b32_e64 v54, v53, v37, s[14:15]
	v_cmp_neq_f32_e32 vcc, v55, v54
	v_cmp_class_f32_e64 s[6:7], v55, s8
	s_or_b64 s[8:9], vcc, s[6:7]
	v_mov_b32_e32 v53, v52
	s_and_saveexec_b64 s[6:7], s[8:9]
	s_cbranch_execz .LBB121_234
; %bb.233:
	v_sub_f32_e32 v53, v55, v54
	s_mov_b32 s8, 0x3fb8aa3b
	v_mul_f32_e32 v55, 0x3fb8aa3b, v53
	v_fma_f32 v64, v53, s8, -v55
	v_rndne_f32_e32 v65, v55
	v_fmamk_f32 v64, v53, 0x32a5705f, v64
	v_sub_f32_e32 v55, v55, v65
	v_add_f32_e32 v55, v55, v64
	v_exp_f32_e32 v55, v55
	v_cvt_i32_f32_e32 v64, v65
	s_mov_b32 s8, 0xc2ce8ed0
	v_cmp_ngt_f32_e32 vcc, s8, v53
	s_mov_b32 s8, 0x42b17218
	v_ldexp_f32 v55, v55, v64
	v_cndmask_b32_e32 v55, 0, v55, vcc
	v_mov_b32_e32 v64, 0x7f800000
	v_cmp_nlt_f32_e32 vcc, s8, v53
	s_mov_b32 s8, 0x3f2aaaab
	s_mov_b32 s9, 0x7f800000
	v_cndmask_b32_e32 v55, v64, v55, vcc
	v_add_f32_e32 v53, 1.0, v55
	v_add_f32_e32 v64, -1.0, v53
	v_sub_f32_e32 v65, v64, v53
	v_add_f32_e32 v65, 1.0, v65
	v_sub_f32_e32 v64, v55, v64
	v_add_f32_e32 v66, v64, v65
	v_frexp_mant_f32_e32 v67, v53
	v_cvt_f64_f32_e32 v[64:65], v53
	v_frexp_exp_i32_f64_e32 v64, v[64:65]
	v_cmp_gt_f32_e32 vcc, s8, v67
	s_mov_b32 s8, 0x3f317218
	s_nop 0
	v_subbrev_co_u32_e32 v80, vcc, 0, v64, vcc
	v_sub_u32_e32 v64, 0, v80
	v_ldexp_f32 v53, v53, v64
	v_ldexp_f32 v64, v66, v64
	v_add_f32_e32 v66, -1.0, v53
	v_add_f32_e32 v65, 1.0, v66
	v_sub_f32_e32 v65, v53, v65
	v_add_f32_e32 v67, v64, v65
	v_add_f32_e32 v65, 1.0, v53
	v_add_f32_e32 v68, -1.0, v65
	v_sub_f32_e32 v53, v53, v68
	v_add_f32_e32 v53, v64, v53
	v_add_f32_e32 v81, v65, v53
	v_rcp_f32_e32 v131, v81
	v_sub_f32_e32 v64, v65, v81
	v_add_f32_e32 v65, v66, v67
	v_add_f32_e32 v53, v53, v64
	v_mul_f32_e32 v133, v65, v131
	v_sub_f32_e32 v64, v66, v65
	v_mul_f32_e32 v66, v81, v133
	v_fma_f32 v68, v133, v81, -v66
	v_fmac_f32_e32 v68, v133, v53
	v_add_f32_e32 v132, v67, v64
	v_add_f32_e32 v64, v66, v68
	v_sub_f32_e32 v67, v65, v64
	v_pk_add_f32 v[70:71], v[64:65], v[66:67] neg_lo:[0,1] neg_hi:[0,1]
	v_mov_b32_e32 v69, v64
	v_pk_add_f32 v[64:65], v[70:71], v[68:69] neg_lo:[0,1] neg_hi:[0,1]
	v_cmp_eq_f32_e32 vcc, s9, v55
	v_add_f32_e32 v65, v132, v65
	v_add_f32_e32 v64, v64, v65
	;; [unrolled: 1-line block ×3, first 2 shown]
	v_mul_f32_e32 v132, v131, v65
	v_mul_f32_e32 v66, v81, v132
	v_fma_f32 v68, v132, v81, -v66
	v_fmac_f32_e32 v68, v132, v53
	v_sub_f32_e32 v53, v67, v65
	v_add_f32_e32 v53, v64, v53
	v_add_f32_e32 v64, v66, v68
	v_sub_f32_e32 v67, v65, v64
	v_pk_add_f32 v[70:71], v[64:65], v[66:67] neg_lo:[0,1] neg_hi:[0,1]
	v_mov_b32_e32 v69, v64
	v_pk_add_f32 v[64:65], v[70:71], v[68:69] neg_lo:[0,1] neg_hi:[0,1]
	v_cvt_f32_i32_e32 v66, v80
	v_add_f32_e32 v53, v53, v65
	v_add_f32_e32 v53, v64, v53
	;; [unrolled: 1-line block ×4, first 2 shown]
	v_sub_f32_e32 v65, v64, v133
	v_mul_f32_e32 v53, v131, v53
	v_sub_f32_e32 v65, v132, v65
	v_add_f32_e32 v53, v65, v53
	v_add_f32_e32 v67, v64, v53
	v_mul_f32_e32 v68, v67, v67
	v_mov_b32_e32 v65, 0x3ecc95a3
	v_fmac_f32_e32 v65, 0x3e9b6dac, v68
	v_sub_f32_e32 v64, v67, v64
	v_fmaak_f32 v65, v68, v65, 0x3f2aaada
	v_sub_f32_e32 v53, v53, v64
	v_ldexp_f32 v69, v67, 1
	v_mul_f32_e32 v67, v67, v68
	v_mov_b32_e32 v64, 0x3f317218
	v_pk_mul_f32 v[64:65], v[66:67], v[64:65]
	v_ldexp_f32 v53, v53, 1
	v_fma_f32 v67, v66, s8, -v64
	v_fmamk_f32 v68, v66, 0xb102e308, v67
	v_pk_add_f32 v[66:67], v[64:65], v[68:69]
	v_mov_b32_e32 v70, v64
	v_sub_f32_e32 v69, v67, v69
	v_sub_f32_e32 v69, v65, v69
	v_add_f32_e32 v71, v53, v69
	v_pk_add_f32 v[64:65], v[66:67], v[64:65] neg_lo:[0,1] neg_hi:[0,1]
	v_pk_add_f32 v[80:81], v[66:67], v[70:71]
	v_mov_b32_e32 v69, v66
	v_mov_b32_e32 v65, v81
	v_pk_add_f32 v[132:133], v[68:69], v[64:65] neg_lo:[0,1] neg_hi:[0,1]
	v_pk_add_f32 v[64:65], v[68:69], v[64:65]
	v_mov_b32_e32 v70, v71
	v_mov_b32_e32 v68, v65
	v_pk_add_f32 v[134:135], v[68:69], v[66:67] neg_lo:[0,1] neg_hi:[0,1]
	v_mov_b32_e32 v64, v81
	v_mov_b32_e32 v53, v134
	v_pk_add_f32 v[144:145], v[80:81], v[52:53] neg_lo:[0,1] neg_hi:[0,1]
	v_mov_b32_e32 v80, v67
	v_mov_b32_e32 v81, v134
	;; [unrolled: 1-line block ×3, first 2 shown]
	v_pk_add_f32 v[64:65], v[64:65], v[80:81] neg_lo:[0,1] neg_hi:[0,1]
	v_mov_b32_e32 v71, v66
	v_pk_add_f32 v[64:65], v[70:71], v[64:65] neg_lo:[0,1] neg_hi:[0,1]
	v_mov_b32_e32 v144, v132
	v_pk_add_f32 v[66:67], v[144:145], v[64:65]
	s_mov_b32 s8, 0x33800000
	v_mov_b32_e32 v70, v67
	v_pk_add_f32 v[70:71], v[66:67], v[70:71]
	v_cmp_lt_f32_e64 s[8:9], |v55|, s8
	v_pk_add_f32 v[68:69], v[68:69], v[70:71]
	v_mov_b32_e32 v65, v70
	v_mov_b32_e32 v67, v68
	v_pk_add_f32 v[80:81], v[66:67], v[132:133] neg_lo:[0,1] neg_hi:[0,1]
	s_or_b64 vcc, vcc, s[8:9]
	v_sub_f32_e32 v53, v66, v80
	v_pk_add_f32 v[64:65], v[64:65], v[80:81] neg_lo:[0,1] neg_hi:[0,1]
	v_sub_f32_e32 v53, v132, v53
	v_add_f32_e32 v53, v64, v53
	v_add_f32_e32 v53, v53, v65
	;; [unrolled: 1-line block ×3, first 2 shown]
	v_cndmask_b32_e32 v53, v53, v55, vcc
	v_add_f32_e32 v53, v54, v53
.LBB121_234:
	s_or_b64 exec, exec, s[6:7]
	v_max_f32_e32 v54, v53, v53
	v_min_f32_e32 v55, v54, v82
	v_cmp_u_f32_e32 vcc, v53, v53
	v_max_f32_e32 v54, v54, v82
	s_movk_i32 s8, 0x1f8
	v_cndmask_b32_e32 v55, v55, v53, vcc
	v_cndmask_b32_e32 v54, v54, v53, vcc
	v_cndmask_b32_e64 v64, v55, v38, s[16:17]
	v_cndmask_b32_e64 v55, v54, v38, s[16:17]
	v_cmp_neq_f32_e32 vcc, v64, v55
	v_cmp_class_f32_e64 s[6:7], v64, s8
	s_or_b64 s[10:11], vcc, s[6:7]
	v_mov_b32_e32 v54, v53
	s_and_saveexec_b64 s[6:7], s[10:11]
	s_cbranch_execz .LBB121_236
; %bb.235:
	v_sub_f32_e32 v54, v64, v55
	s_mov_b32 s9, 0x3fb8aa3b
	v_mul_f32_e32 v64, 0x3fb8aa3b, v54
	v_fma_f32 v65, v54, s9, -v64
	v_rndne_f32_e32 v66, v64
	v_fmamk_f32 v65, v54, 0x32a5705f, v65
	v_sub_f32_e32 v64, v64, v66
	v_add_f32_e32 v64, v64, v65
	v_exp_f32_e32 v64, v64
	v_cvt_i32_f32_e32 v65, v66
	s_mov_b32 s9, 0xc2ce8ed0
	v_cmp_ngt_f32_e32 vcc, s9, v54
	s_mov_b32 s9, 0x42b17218
	v_ldexp_f32 v64, v64, v65
	v_cndmask_b32_e32 v64, 0, v64, vcc
	v_mov_b32_e32 v65, 0x7f800000
	v_cmp_nlt_f32_e32 vcc, s9, v54
	s_mov_b32 s9, 0x3f2aaaab
	s_mov_b32 s10, 0x7f800000
	v_cndmask_b32_e32 v82, v65, v64, vcc
	v_add_f32_e32 v54, 1.0, v82
	v_add_f32_e32 v64, -1.0, v54
	v_sub_f32_e32 v65, v64, v54
	v_add_f32_e32 v65, 1.0, v65
	v_sub_f32_e32 v64, v82, v64
	v_add_f32_e32 v66, v64, v65
	v_frexp_mant_f32_e32 v67, v54
	v_cvt_f64_f32_e32 v[64:65], v54
	v_frexp_exp_i32_f64_e32 v64, v[64:65]
	v_cmp_gt_f32_e32 vcc, s9, v67
	s_mov_b32 s9, 0x3f317218
	s_nop 0
	v_subbrev_co_u32_e32 v80, vcc, 0, v64, vcc
	v_sub_u32_e32 v64, 0, v80
	v_ldexp_f32 v54, v54, v64
	v_ldexp_f32 v64, v66, v64
	v_add_f32_e32 v66, -1.0, v54
	v_add_f32_e32 v65, 1.0, v66
	v_sub_f32_e32 v65, v54, v65
	v_add_f32_e32 v67, v64, v65
	v_add_f32_e32 v65, 1.0, v54
	v_add_f32_e32 v68, -1.0, v65
	v_sub_f32_e32 v54, v54, v68
	v_add_f32_e32 v54, v64, v54
	v_add_f32_e32 v81, v65, v54
	v_rcp_f32_e32 v131, v81
	v_sub_f32_e32 v64, v65, v81
	v_add_f32_e32 v65, v66, v67
	v_add_f32_e32 v54, v54, v64
	v_mul_f32_e32 v133, v65, v131
	v_sub_f32_e32 v64, v66, v65
	v_mul_f32_e32 v66, v81, v133
	v_fma_f32 v68, v133, v81, -v66
	v_fmac_f32_e32 v68, v133, v54
	v_add_f32_e32 v132, v67, v64
	v_add_f32_e32 v64, v66, v68
	v_sub_f32_e32 v67, v65, v64
	v_pk_add_f32 v[70:71], v[64:65], v[66:67] neg_lo:[0,1] neg_hi:[0,1]
	v_mov_b32_e32 v69, v64
	v_pk_add_f32 v[64:65], v[70:71], v[68:69] neg_lo:[0,1] neg_hi:[0,1]
	v_cmp_eq_f32_e32 vcc, s10, v82
	v_add_f32_e32 v65, v132, v65
	v_add_f32_e32 v64, v64, v65
	;; [unrolled: 1-line block ×3, first 2 shown]
	v_mul_f32_e32 v132, v131, v65
	v_mul_f32_e32 v66, v81, v132
	v_fma_f32 v68, v132, v81, -v66
	v_fmac_f32_e32 v68, v132, v54
	v_sub_f32_e32 v54, v67, v65
	v_add_f32_e32 v54, v64, v54
	v_add_f32_e32 v64, v66, v68
	v_sub_f32_e32 v67, v65, v64
	v_pk_add_f32 v[70:71], v[64:65], v[66:67] neg_lo:[0,1] neg_hi:[0,1]
	v_mov_b32_e32 v69, v64
	v_pk_add_f32 v[64:65], v[70:71], v[68:69] neg_lo:[0,1] neg_hi:[0,1]
	v_cvt_f32_i32_e32 v66, v80
	v_add_f32_e32 v54, v54, v65
	v_add_f32_e32 v54, v64, v54
	;; [unrolled: 1-line block ×4, first 2 shown]
	v_sub_f32_e32 v65, v64, v133
	v_mul_f32_e32 v54, v131, v54
	v_sub_f32_e32 v65, v132, v65
	v_add_f32_e32 v54, v65, v54
	v_add_f32_e32 v67, v64, v54
	v_mul_f32_e32 v68, v67, v67
	v_mov_b32_e32 v65, 0x3ecc95a3
	v_fmac_f32_e32 v65, 0x3e9b6dac, v68
	v_sub_f32_e32 v64, v67, v64
	v_fmaak_f32 v65, v68, v65, 0x3f2aaada
	v_sub_f32_e32 v54, v54, v64
	v_ldexp_f32 v69, v67, 1
	v_mul_f32_e32 v67, v67, v68
	v_mov_b32_e32 v64, 0x3f317218
	v_pk_mul_f32 v[64:65], v[66:67], v[64:65]
	v_ldexp_f32 v54, v54, 1
	v_fma_f32 v67, v66, s9, -v64
	v_fmamk_f32 v68, v66, 0xb102e308, v67
	v_pk_add_f32 v[66:67], v[64:65], v[68:69]
	v_mov_b32_e32 v70, v64
	v_sub_f32_e32 v69, v67, v69
	v_sub_f32_e32 v69, v65, v69
	v_add_f32_e32 v71, v54, v69
	v_pk_add_f32 v[64:65], v[66:67], v[64:65] neg_lo:[0,1] neg_hi:[0,1]
	v_pk_add_f32 v[80:81], v[66:67], v[70:71]
	v_mov_b32_e32 v69, v66
	v_mov_b32_e32 v65, v81
	v_pk_add_f32 v[132:133], v[68:69], v[64:65] neg_lo:[0,1] neg_hi:[0,1]
	v_pk_add_f32 v[64:65], v[68:69], v[64:65]
	s_mov_b32 s9, 0x33800000
	v_mov_b32_e32 v54, v65
	v_pk_add_f32 v[68:69], v[54:55], v[66:67] neg_lo:[0,1] neg_hi:[0,1]
	v_mov_b32_e32 v64, v81
	v_mov_b32_e32 v69, v68
	v_pk_add_f32 v[134:135], v[80:81], v[68:69] neg_lo:[0,1] neg_hi:[0,1]
	v_mov_b32_e32 v80, v67
	v_mov_b32_e32 v81, v68
	;; [unrolled: 1-line block ×3, first 2 shown]
	v_pk_add_f32 v[64:65], v[64:65], v[80:81] neg_lo:[0,1] neg_hi:[0,1]
	v_mov_b32_e32 v68, v71
	v_mov_b32_e32 v69, v66
	v_pk_add_f32 v[64:65], v[68:69], v[64:65] neg_lo:[0,1] neg_hi:[0,1]
	v_mov_b32_e32 v134, v132
	v_pk_add_f32 v[66:67], v[134:135], v[64:65]
	v_cmp_lt_f32_e64 s[10:11], |v82|, s9
	v_mov_b32_e32 v68, v67
	v_pk_add_f32 v[68:69], v[66:67], v[68:69]
	s_or_b64 vcc, vcc, s[10:11]
	v_pk_add_f32 v[70:71], v[54:55], v[68:69]
	v_mov_b32_e32 v65, v68
	v_mov_b32_e32 v67, v70
	v_pk_add_f32 v[80:81], v[66:67], v[132:133] neg_lo:[0,1] neg_hi:[0,1]
	s_nop 0
	v_sub_f32_e32 v54, v66, v80
	v_pk_add_f32 v[64:65], v[64:65], v[80:81] neg_lo:[0,1] neg_hi:[0,1]
	v_sub_f32_e32 v54, v132, v54
	v_add_f32_e32 v54, v64, v54
	v_add_f32_e32 v54, v54, v65
	;; [unrolled: 1-line block ×3, first 2 shown]
	v_cndmask_b32_e32 v54, v54, v82, vcc
	v_add_f32_e32 v54, v55, v54
.LBB121_236:
	s_or_b64 exec, exec, s[6:7]
	v_max_f32_e32 v55, v54, v54
	v_min_f32_e32 v64, v55, v83
	v_cmp_u_f32_e32 vcc, v54, v54
	v_max_f32_e32 v55, v55, v83
	s_nop 0
	v_cndmask_b32_e32 v64, v64, v54, vcc
	v_cndmask_b32_e32 v55, v55, v54, vcc
	v_cndmask_b32_e64 v65, v64, v39, s[18:19]
	v_cndmask_b32_e64 v64, v55, v39, s[18:19]
	v_cmp_neq_f32_e32 vcc, v65, v64
	v_cmp_class_f32_e64 s[6:7], v65, s8
	s_or_b64 s[8:9], vcc, s[6:7]
	v_mov_b32_e32 v55, v54
	s_and_saveexec_b64 s[6:7], s[8:9]
	s_cbranch_execz .LBB121_238
; %bb.237:
	v_sub_f32_e32 v55, v65, v64
	s_mov_b32 s8, 0x3fb8aa3b
	v_mul_f32_e32 v65, 0x3fb8aa3b, v55
	v_fma_f32 v66, v55, s8, -v65
	v_rndne_f32_e32 v67, v65
	v_fmamk_f32 v66, v55, 0x32a5705f, v66
	v_sub_f32_e32 v65, v65, v67
	v_add_f32_e32 v65, v65, v66
	v_exp_f32_e32 v65, v65
	v_cvt_i32_f32_e32 v66, v67
	s_mov_b32 s8, 0xc2ce8ed0
	v_cmp_ngt_f32_e32 vcc, s8, v55
	s_mov_b32 s8, 0x42b17218
	v_ldexp_f32 v65, v65, v66
	v_cndmask_b32_e32 v65, 0, v65, vcc
	v_mov_b32_e32 v66, 0x7f800000
	v_cmp_nlt_f32_e32 vcc, s8, v55
	s_mov_b32 s8, 0x3f2aaaab
	s_mov_b32 s9, 0x7f800000
	v_cndmask_b32_e32 v65, v66, v65, vcc
	v_add_f32_e32 v55, 1.0, v65
	v_add_f32_e32 v66, -1.0, v55
	v_sub_f32_e32 v67, v66, v55
	v_add_f32_e32 v67, 1.0, v67
	v_sub_f32_e32 v66, v65, v66
	v_add_f32_e32 v68, v66, v67
	v_frexp_mant_f32_e32 v69, v55
	v_cvt_f64_f32_e32 v[66:67], v55
	v_frexp_exp_i32_f64_e32 v66, v[66:67]
	v_cmp_gt_f32_e32 vcc, s8, v69
	s_mov_b32 s8, 0x3f317218
	s_nop 0
	v_subbrev_co_u32_e32 v82, vcc, 0, v66, vcc
	v_sub_u32_e32 v66, 0, v82
	v_ldexp_f32 v55, v55, v66
	v_ldexp_f32 v66, v68, v66
	v_add_f32_e32 v68, -1.0, v55
	v_add_f32_e32 v67, 1.0, v68
	v_sub_f32_e32 v67, v55, v67
	v_add_f32_e32 v69, v66, v67
	v_add_f32_e32 v67, 1.0, v55
	v_add_f32_e32 v70, -1.0, v67
	v_sub_f32_e32 v55, v55, v70
	v_add_f32_e32 v55, v66, v55
	v_add_f32_e32 v83, v67, v55
	v_rcp_f32_e32 v131, v83
	v_sub_f32_e32 v66, v67, v83
	v_add_f32_e32 v67, v68, v69
	v_add_f32_e32 v55, v55, v66
	v_mul_f32_e32 v133, v67, v131
	v_sub_f32_e32 v66, v68, v67
	v_mul_f32_e32 v68, v83, v133
	v_fma_f32 v70, v133, v83, -v68
	v_fmac_f32_e32 v70, v133, v55
	v_add_f32_e32 v132, v69, v66
	v_add_f32_e32 v66, v68, v70
	v_sub_f32_e32 v69, v67, v66
	v_pk_add_f32 v[80:81], v[66:67], v[68:69] neg_lo:[0,1] neg_hi:[0,1]
	v_mov_b32_e32 v71, v66
	v_pk_add_f32 v[66:67], v[80:81], v[70:71] neg_lo:[0,1] neg_hi:[0,1]
	v_cmp_eq_f32_e32 vcc, s9, v65
	v_add_f32_e32 v67, v132, v67
	v_add_f32_e32 v66, v66, v67
	;; [unrolled: 1-line block ×3, first 2 shown]
	v_mul_f32_e32 v132, v131, v67
	v_mul_f32_e32 v68, v83, v132
	v_fma_f32 v70, v132, v83, -v68
	v_fmac_f32_e32 v70, v132, v55
	v_sub_f32_e32 v55, v69, v67
	v_add_f32_e32 v55, v66, v55
	v_add_f32_e32 v66, v68, v70
	v_sub_f32_e32 v69, v67, v66
	v_pk_add_f32 v[80:81], v[66:67], v[68:69] neg_lo:[0,1] neg_hi:[0,1]
	v_mov_b32_e32 v71, v66
	v_pk_add_f32 v[66:67], v[80:81], v[70:71] neg_lo:[0,1] neg_hi:[0,1]
	v_cvt_f32_i32_e32 v68, v82
	v_add_f32_e32 v55, v55, v67
	v_add_f32_e32 v55, v66, v55
	;; [unrolled: 1-line block ×4, first 2 shown]
	v_sub_f32_e32 v67, v66, v133
	v_mul_f32_e32 v55, v131, v55
	v_sub_f32_e32 v67, v132, v67
	v_add_f32_e32 v55, v67, v55
	v_add_f32_e32 v69, v66, v55
	v_mul_f32_e32 v70, v69, v69
	v_mov_b32_e32 v67, 0x3ecc95a3
	v_fmac_f32_e32 v67, 0x3e9b6dac, v70
	v_sub_f32_e32 v66, v69, v66
	v_fmaak_f32 v67, v70, v67, 0x3f2aaada
	v_sub_f32_e32 v55, v55, v66
	v_ldexp_f32 v71, v69, 1
	v_mul_f32_e32 v69, v69, v70
	v_mov_b32_e32 v66, 0x3f317218
	v_pk_mul_f32 v[66:67], v[68:69], v[66:67]
	v_ldexp_f32 v55, v55, 1
	v_fma_f32 v69, v68, s8, -v66
	v_fmamk_f32 v70, v68, 0xb102e308, v69
	v_pk_add_f32 v[68:69], v[66:67], v[70:71]
	v_mov_b32_e32 v80, v66
	v_sub_f32_e32 v71, v69, v71
	v_sub_f32_e32 v71, v67, v71
	v_add_f32_e32 v81, v55, v71
	v_pk_add_f32 v[66:67], v[68:69], v[66:67] neg_lo:[0,1] neg_hi:[0,1]
	v_pk_add_f32 v[82:83], v[68:69], v[80:81]
	v_mov_b32_e32 v71, v68
	v_mov_b32_e32 v67, v83
	v_pk_add_f32 v[132:133], v[70:71], v[66:67] neg_lo:[0,1] neg_hi:[0,1]
	v_pk_add_f32 v[66:67], v[70:71], v[66:67]
	v_mov_b32_e32 v80, v81
	v_mov_b32_e32 v70, v67
	v_pk_add_f32 v[134:135], v[70:71], v[68:69] neg_lo:[0,1] neg_hi:[0,1]
	v_mov_b32_e32 v66, v83
	v_mov_b32_e32 v55, v134
	v_pk_add_f32 v[144:145], v[82:83], v[54:55] neg_lo:[0,1] neg_hi:[0,1]
	v_mov_b32_e32 v82, v69
	v_mov_b32_e32 v83, v134
	;; [unrolled: 1-line block ×3, first 2 shown]
	v_pk_add_f32 v[66:67], v[66:67], v[82:83] neg_lo:[0,1] neg_hi:[0,1]
	v_mov_b32_e32 v81, v68
	v_pk_add_f32 v[66:67], v[80:81], v[66:67] neg_lo:[0,1] neg_hi:[0,1]
	v_mov_b32_e32 v144, v132
	v_pk_add_f32 v[68:69], v[144:145], v[66:67]
	s_mov_b32 s8, 0x33800000
	v_mov_b32_e32 v80, v69
	v_pk_add_f32 v[80:81], v[68:69], v[80:81]
	v_cmp_lt_f32_e64 s[8:9], |v65|, s8
	v_pk_add_f32 v[70:71], v[70:71], v[80:81]
	v_mov_b32_e32 v67, v80
	v_mov_b32_e32 v69, v70
	v_pk_add_f32 v[82:83], v[68:69], v[132:133] neg_lo:[0,1] neg_hi:[0,1]
	s_or_b64 vcc, vcc, s[8:9]
	v_sub_f32_e32 v55, v68, v82
	v_pk_add_f32 v[66:67], v[66:67], v[82:83] neg_lo:[0,1] neg_hi:[0,1]
	v_sub_f32_e32 v55, v132, v55
	v_add_f32_e32 v55, v66, v55
	v_add_f32_e32 v55, v55, v67
	;; [unrolled: 1-line block ×3, first 2 shown]
	v_cndmask_b32_e32 v55, v55, v65, vcc
	v_add_f32_e32 v55, v64, v55
.LBB121_238:
	s_or_b64 exec, exec, s[6:7]
	v_max_f32_e32 v64, v55, v55
	v_min_f32_e32 v65, v64, v84
	v_cmp_u_f32_e32 vcc, v55, v55
	v_max_f32_e32 v64, v64, v84
	s_movk_i32 s8, 0x1f8
	v_cndmask_b32_e32 v65, v65, v55, vcc
	v_cndmask_b32_e32 v64, v64, v55, vcc
	v_cndmask_b32_e64 v66, v65, v32, s[20:21]
	v_cndmask_b32_e64 v65, v64, v32, s[20:21]
	v_cmp_neq_f32_e32 vcc, v66, v65
	v_cmp_class_f32_e64 s[6:7], v66, s8
	s_or_b64 s[10:11], vcc, s[6:7]
	v_mov_b32_e32 v64, v55
	s_and_saveexec_b64 s[6:7], s[10:11]
	s_cbranch_execz .LBB121_240
; %bb.239:
	v_sub_f32_e32 v64, v66, v65
	s_mov_b32 s9, 0x3fb8aa3b
	v_mul_f32_e32 v66, 0x3fb8aa3b, v64
	v_fma_f32 v67, v64, s9, -v66
	v_rndne_f32_e32 v68, v66
	v_fmamk_f32 v67, v64, 0x32a5705f, v67
	v_sub_f32_e32 v66, v66, v68
	v_add_f32_e32 v66, v66, v67
	v_exp_f32_e32 v66, v66
	v_cvt_i32_f32_e32 v67, v68
	s_mov_b32 s9, 0xc2ce8ed0
	v_cmp_ngt_f32_e32 vcc, s9, v64
	s_mov_b32 s9, 0x42b17218
	v_ldexp_f32 v66, v66, v67
	v_cndmask_b32_e32 v66, 0, v66, vcc
	v_mov_b32_e32 v67, 0x7f800000
	v_cmp_nlt_f32_e32 vcc, s9, v64
	s_mov_b32 s9, 0x3f2aaaab
	s_mov_b32 s10, 0x7f800000
	v_cndmask_b32_e32 v84, v67, v66, vcc
	v_add_f32_e32 v64, 1.0, v84
	v_add_f32_e32 v66, -1.0, v64
	v_sub_f32_e32 v67, v66, v64
	v_add_f32_e32 v67, 1.0, v67
	v_sub_f32_e32 v66, v84, v66
	v_add_f32_e32 v68, v66, v67
	v_frexp_mant_f32_e32 v69, v64
	v_cvt_f64_f32_e32 v[66:67], v64
	v_frexp_exp_i32_f64_e32 v66, v[66:67]
	v_cmp_gt_f32_e32 vcc, s9, v69
	s_mov_b32 s9, 0x3f317218
	s_nop 0
	v_subbrev_co_u32_e32 v82, vcc, 0, v66, vcc
	v_sub_u32_e32 v66, 0, v82
	v_ldexp_f32 v64, v64, v66
	v_ldexp_f32 v66, v68, v66
	v_add_f32_e32 v68, -1.0, v64
	v_add_f32_e32 v67, 1.0, v68
	v_sub_f32_e32 v67, v64, v67
	v_add_f32_e32 v69, v66, v67
	v_add_f32_e32 v67, 1.0, v64
	v_add_f32_e32 v70, -1.0, v67
	v_sub_f32_e32 v64, v64, v70
	v_add_f32_e32 v64, v66, v64
	v_add_f32_e32 v83, v67, v64
	v_rcp_f32_e32 v131, v83
	v_sub_f32_e32 v66, v67, v83
	v_add_f32_e32 v67, v68, v69
	v_add_f32_e32 v64, v64, v66
	v_mul_f32_e32 v133, v67, v131
	v_sub_f32_e32 v66, v68, v67
	v_mul_f32_e32 v68, v83, v133
	v_fma_f32 v70, v133, v83, -v68
	v_fmac_f32_e32 v70, v133, v64
	v_add_f32_e32 v132, v69, v66
	v_add_f32_e32 v66, v68, v70
	v_sub_f32_e32 v69, v67, v66
	v_pk_add_f32 v[80:81], v[66:67], v[68:69] neg_lo:[0,1] neg_hi:[0,1]
	v_mov_b32_e32 v71, v66
	v_pk_add_f32 v[66:67], v[80:81], v[70:71] neg_lo:[0,1] neg_hi:[0,1]
	v_cmp_eq_f32_e32 vcc, s10, v84
	v_add_f32_e32 v67, v132, v67
	v_add_f32_e32 v66, v66, v67
	;; [unrolled: 1-line block ×3, first 2 shown]
	v_mul_f32_e32 v132, v131, v67
	v_mul_f32_e32 v68, v83, v132
	v_fma_f32 v70, v132, v83, -v68
	v_fmac_f32_e32 v70, v132, v64
	v_sub_f32_e32 v64, v69, v67
	v_add_f32_e32 v64, v66, v64
	v_add_f32_e32 v66, v68, v70
	v_sub_f32_e32 v69, v67, v66
	v_pk_add_f32 v[80:81], v[66:67], v[68:69] neg_lo:[0,1] neg_hi:[0,1]
	v_mov_b32_e32 v71, v66
	v_pk_add_f32 v[66:67], v[80:81], v[70:71] neg_lo:[0,1] neg_hi:[0,1]
	v_cvt_f32_i32_e32 v68, v82
	v_add_f32_e32 v64, v64, v67
	v_add_f32_e32 v64, v66, v64
	v_add_f32_e32 v66, v133, v132
	v_add_f32_e32 v64, v69, v64
	v_sub_f32_e32 v67, v66, v133
	v_mul_f32_e32 v64, v131, v64
	v_sub_f32_e32 v67, v132, v67
	v_add_f32_e32 v64, v67, v64
	v_add_f32_e32 v69, v66, v64
	v_mul_f32_e32 v70, v69, v69
	v_mov_b32_e32 v67, 0x3ecc95a3
	v_fmac_f32_e32 v67, 0x3e9b6dac, v70
	v_sub_f32_e32 v66, v69, v66
	v_fmaak_f32 v67, v70, v67, 0x3f2aaada
	v_sub_f32_e32 v64, v64, v66
	v_ldexp_f32 v71, v69, 1
	v_mul_f32_e32 v69, v69, v70
	v_mov_b32_e32 v66, 0x3f317218
	v_pk_mul_f32 v[66:67], v[68:69], v[66:67]
	v_ldexp_f32 v64, v64, 1
	v_fma_f32 v69, v68, s9, -v66
	v_fmamk_f32 v70, v68, 0xb102e308, v69
	v_pk_add_f32 v[68:69], v[66:67], v[70:71]
	v_mov_b32_e32 v80, v66
	v_sub_f32_e32 v71, v69, v71
	v_sub_f32_e32 v71, v67, v71
	v_add_f32_e32 v81, v64, v71
	v_pk_add_f32 v[66:67], v[68:69], v[66:67] neg_lo:[0,1] neg_hi:[0,1]
	v_pk_add_f32 v[82:83], v[68:69], v[80:81]
	v_mov_b32_e32 v71, v68
	v_mov_b32_e32 v67, v83
	v_pk_add_f32 v[132:133], v[70:71], v[66:67] neg_lo:[0,1] neg_hi:[0,1]
	v_pk_add_f32 v[66:67], v[70:71], v[66:67]
	s_mov_b32 s9, 0x33800000
	v_mov_b32_e32 v64, v67
	v_pk_add_f32 v[70:71], v[64:65], v[68:69] neg_lo:[0,1] neg_hi:[0,1]
	v_mov_b32_e32 v66, v83
	v_mov_b32_e32 v71, v70
	v_pk_add_f32 v[134:135], v[82:83], v[70:71] neg_lo:[0,1] neg_hi:[0,1]
	v_mov_b32_e32 v82, v69
	v_mov_b32_e32 v83, v70
	;; [unrolled: 1-line block ×3, first 2 shown]
	v_pk_add_f32 v[66:67], v[66:67], v[82:83] neg_lo:[0,1] neg_hi:[0,1]
	v_mov_b32_e32 v70, v81
	v_mov_b32_e32 v71, v68
	v_pk_add_f32 v[66:67], v[70:71], v[66:67] neg_lo:[0,1] neg_hi:[0,1]
	v_mov_b32_e32 v134, v132
	v_pk_add_f32 v[68:69], v[134:135], v[66:67]
	v_cmp_lt_f32_e64 s[10:11], |v84|, s9
	v_mov_b32_e32 v70, v69
	v_pk_add_f32 v[70:71], v[68:69], v[70:71]
	s_or_b64 vcc, vcc, s[10:11]
	v_pk_add_f32 v[80:81], v[64:65], v[70:71]
	v_mov_b32_e32 v67, v70
	v_mov_b32_e32 v69, v80
	v_pk_add_f32 v[82:83], v[68:69], v[132:133] neg_lo:[0,1] neg_hi:[0,1]
	s_nop 0
	v_sub_f32_e32 v64, v68, v82
	v_pk_add_f32 v[66:67], v[66:67], v[82:83] neg_lo:[0,1] neg_hi:[0,1]
	v_sub_f32_e32 v64, v132, v64
	v_add_f32_e32 v64, v66, v64
	v_add_f32_e32 v64, v64, v67
	;; [unrolled: 1-line block ×3, first 2 shown]
	v_cndmask_b32_e32 v64, v64, v84, vcc
	v_add_f32_e32 v64, v65, v64
.LBB121_240:
	s_or_b64 exec, exec, s[6:7]
	v_max_f32_e32 v65, v64, v64
	v_min_f32_e32 v66, v65, v85
	v_cmp_u_f32_e32 vcc, v64, v64
	v_max_f32_e32 v65, v65, v85
	s_nop 0
	v_cndmask_b32_e32 v66, v66, v64, vcc
	v_cndmask_b32_e32 v65, v65, v64, vcc
	v_cndmask_b32_e64 v67, v66, v33, s[22:23]
	v_cndmask_b32_e64 v66, v65, v33, s[22:23]
	v_cmp_neq_f32_e32 vcc, v67, v66
	v_cmp_class_f32_e64 s[6:7], v67, s8
	s_or_b64 s[8:9], vcc, s[6:7]
	v_mov_b32_e32 v65, v64
	s_and_saveexec_b64 s[6:7], s[8:9]
	s_cbranch_execz .LBB121_242
; %bb.241:
	v_sub_f32_e32 v65, v67, v66
	s_mov_b32 s8, 0x3fb8aa3b
	v_mul_f32_e32 v67, 0x3fb8aa3b, v65
	v_fma_f32 v68, v65, s8, -v67
	v_rndne_f32_e32 v69, v67
	v_fmamk_f32 v68, v65, 0x32a5705f, v68
	v_sub_f32_e32 v67, v67, v69
	v_add_f32_e32 v67, v67, v68
	v_exp_f32_e32 v67, v67
	v_cvt_i32_f32_e32 v68, v69
	s_mov_b32 s8, 0xc2ce8ed0
	v_cmp_ngt_f32_e32 vcc, s8, v65
	s_mov_b32 s8, 0x42b17218
	v_ldexp_f32 v67, v67, v68
	v_cndmask_b32_e32 v67, 0, v67, vcc
	v_mov_b32_e32 v68, 0x7f800000
	v_cmp_nlt_f32_e32 vcc, s8, v65
	s_mov_b32 s8, 0x3f2aaaab
	s_mov_b32 s9, 0x7f800000
	v_cndmask_b32_e32 v67, v68, v67, vcc
	v_add_f32_e32 v65, 1.0, v67
	v_add_f32_e32 v68, -1.0, v65
	v_sub_f32_e32 v69, v68, v65
	v_add_f32_e32 v69, 1.0, v69
	v_sub_f32_e32 v68, v67, v68
	v_add_f32_e32 v70, v68, v69
	v_frexp_mant_f32_e32 v71, v65
	v_cvt_f64_f32_e32 v[68:69], v65
	v_frexp_exp_i32_f64_e32 v68, v[68:69]
	v_cmp_gt_f32_e32 vcc, s8, v71
	s_mov_b32 s8, 0x3f317218
	s_nop 0
	v_subbrev_co_u32_e32 v84, vcc, 0, v68, vcc
	v_sub_u32_e32 v68, 0, v84
	v_ldexp_f32 v65, v65, v68
	v_ldexp_f32 v68, v70, v68
	v_add_f32_e32 v70, -1.0, v65
	v_add_f32_e32 v69, 1.0, v70
	v_sub_f32_e32 v69, v65, v69
	v_add_f32_e32 v71, v68, v69
	v_add_f32_e32 v69, 1.0, v65
	v_add_f32_e32 v80, -1.0, v69
	v_sub_f32_e32 v65, v65, v80
	v_add_f32_e32 v65, v68, v65
	v_add_f32_e32 v85, v69, v65
	v_rcp_f32_e32 v131, v85
	v_sub_f32_e32 v68, v69, v85
	v_add_f32_e32 v69, v70, v71
	v_add_f32_e32 v65, v65, v68
	v_mul_f32_e32 v133, v69, v131
	v_sub_f32_e32 v68, v70, v69
	v_mul_f32_e32 v70, v85, v133
	v_fma_f32 v80, v133, v85, -v70
	v_fmac_f32_e32 v80, v133, v65
	v_add_f32_e32 v132, v71, v68
	v_add_f32_e32 v68, v70, v80
	v_sub_f32_e32 v71, v69, v68
	v_pk_add_f32 v[82:83], v[68:69], v[70:71] neg_lo:[0,1] neg_hi:[0,1]
	v_mov_b32_e32 v81, v68
	v_pk_add_f32 v[68:69], v[82:83], v[80:81] neg_lo:[0,1] neg_hi:[0,1]
	v_cmp_eq_f32_e32 vcc, s9, v67
	v_add_f32_e32 v69, v132, v69
	v_add_f32_e32 v68, v68, v69
	;; [unrolled: 1-line block ×3, first 2 shown]
	v_mul_f32_e32 v132, v131, v69
	v_mul_f32_e32 v70, v85, v132
	v_fma_f32 v80, v132, v85, -v70
	v_fmac_f32_e32 v80, v132, v65
	v_sub_f32_e32 v65, v71, v69
	v_add_f32_e32 v65, v68, v65
	v_add_f32_e32 v68, v70, v80
	v_sub_f32_e32 v71, v69, v68
	v_pk_add_f32 v[82:83], v[68:69], v[70:71] neg_lo:[0,1] neg_hi:[0,1]
	v_mov_b32_e32 v81, v68
	v_pk_add_f32 v[68:69], v[82:83], v[80:81] neg_lo:[0,1] neg_hi:[0,1]
	v_cvt_f32_i32_e32 v70, v84
	v_add_f32_e32 v65, v65, v69
	v_add_f32_e32 v65, v68, v65
	;; [unrolled: 1-line block ×4, first 2 shown]
	v_sub_f32_e32 v69, v68, v133
	v_mul_f32_e32 v65, v131, v65
	v_sub_f32_e32 v69, v132, v69
	v_add_f32_e32 v65, v69, v65
	v_add_f32_e32 v71, v68, v65
	v_mul_f32_e32 v80, v71, v71
	v_mov_b32_e32 v69, 0x3ecc95a3
	v_fmac_f32_e32 v69, 0x3e9b6dac, v80
	v_sub_f32_e32 v68, v71, v68
	v_fmaak_f32 v69, v80, v69, 0x3f2aaada
	v_sub_f32_e32 v65, v65, v68
	v_ldexp_f32 v81, v71, 1
	v_mul_f32_e32 v71, v71, v80
	v_mov_b32_e32 v68, 0x3f317218
	v_pk_mul_f32 v[68:69], v[70:71], v[68:69]
	v_ldexp_f32 v65, v65, 1
	v_fma_f32 v71, v70, s8, -v68
	v_fmamk_f32 v80, v70, 0xb102e308, v71
	v_pk_add_f32 v[70:71], v[68:69], v[80:81]
	v_mov_b32_e32 v82, v68
	v_sub_f32_e32 v81, v71, v81
	v_sub_f32_e32 v81, v69, v81
	v_add_f32_e32 v83, v65, v81
	v_pk_add_f32 v[68:69], v[70:71], v[68:69] neg_lo:[0,1] neg_hi:[0,1]
	v_pk_add_f32 v[84:85], v[70:71], v[82:83]
	v_mov_b32_e32 v81, v70
	v_mov_b32_e32 v69, v85
	v_pk_add_f32 v[132:133], v[80:81], v[68:69] neg_lo:[0,1] neg_hi:[0,1]
	v_pk_add_f32 v[68:69], v[80:81], v[68:69]
	v_mov_b32_e32 v82, v83
	v_mov_b32_e32 v80, v69
	v_pk_add_f32 v[134:135], v[80:81], v[70:71] neg_lo:[0,1] neg_hi:[0,1]
	v_mov_b32_e32 v68, v85
	v_mov_b32_e32 v65, v134
	v_pk_add_f32 v[144:145], v[84:85], v[64:65] neg_lo:[0,1] neg_hi:[0,1]
	v_mov_b32_e32 v84, v71
	v_mov_b32_e32 v85, v134
	;; [unrolled: 1-line block ×3, first 2 shown]
	v_pk_add_f32 v[68:69], v[68:69], v[84:85] neg_lo:[0,1] neg_hi:[0,1]
	v_mov_b32_e32 v83, v70
	v_pk_add_f32 v[68:69], v[82:83], v[68:69] neg_lo:[0,1] neg_hi:[0,1]
	v_mov_b32_e32 v144, v132
	v_pk_add_f32 v[70:71], v[144:145], v[68:69]
	s_mov_b32 s8, 0x33800000
	v_mov_b32_e32 v82, v71
	v_pk_add_f32 v[82:83], v[70:71], v[82:83]
	v_cmp_lt_f32_e64 s[8:9], |v67|, s8
	v_pk_add_f32 v[80:81], v[80:81], v[82:83]
	v_mov_b32_e32 v69, v82
	v_mov_b32_e32 v71, v80
	v_pk_add_f32 v[84:85], v[70:71], v[132:133] neg_lo:[0,1] neg_hi:[0,1]
	s_or_b64 vcc, vcc, s[8:9]
	v_sub_f32_e32 v65, v70, v84
	v_pk_add_f32 v[68:69], v[68:69], v[84:85] neg_lo:[0,1] neg_hi:[0,1]
	v_sub_f32_e32 v65, v132, v65
	v_add_f32_e32 v65, v68, v65
	v_add_f32_e32 v65, v65, v69
	;; [unrolled: 1-line block ×3, first 2 shown]
	v_cndmask_b32_e32 v65, v65, v67, vcc
	v_add_f32_e32 v65, v66, v65
.LBB121_242:
	s_or_b64 exec, exec, s[6:7]
	v_max_f32_e32 v66, v65, v65
	v_min_f32_e32 v67, v66, v86
	v_cmp_u_f32_e32 vcc, v65, v65
	v_max_f32_e32 v66, v66, v86
	s_movk_i32 s8, 0x1f8
	v_cndmask_b32_e32 v67, v67, v65, vcc
	v_cndmask_b32_e32 v66, v66, v65, vcc
	v_cndmask_b32_e64 v68, v67, v34, s[24:25]
	v_cndmask_b32_e64 v67, v66, v34, s[24:25]
	v_cmp_neq_f32_e32 vcc, v68, v67
	v_cmp_class_f32_e64 s[6:7], v68, s8
	s_or_b64 s[10:11], vcc, s[6:7]
	v_mov_b32_e32 v66, v65
	s_and_saveexec_b64 s[6:7], s[10:11]
	s_cbranch_execz .LBB121_244
; %bb.243:
	v_sub_f32_e32 v66, v68, v67
	s_mov_b32 s9, 0x3fb8aa3b
	v_mul_f32_e32 v68, 0x3fb8aa3b, v66
	v_fma_f32 v69, v66, s9, -v68
	v_rndne_f32_e32 v70, v68
	v_fmamk_f32 v69, v66, 0x32a5705f, v69
	v_sub_f32_e32 v68, v68, v70
	v_add_f32_e32 v68, v68, v69
	v_exp_f32_e32 v68, v68
	v_cvt_i32_f32_e32 v69, v70
	s_mov_b32 s9, 0xc2ce8ed0
	v_cmp_ngt_f32_e32 vcc, s9, v66
	s_mov_b32 s9, 0x42b17218
	v_ldexp_f32 v68, v68, v69
	v_cndmask_b32_e32 v68, 0, v68, vcc
	v_mov_b32_e32 v69, 0x7f800000
	v_cmp_nlt_f32_e32 vcc, s9, v66
	s_mov_b32 s9, 0x3f2aaaab
	s_mov_b32 s10, 0x7f800000
	v_cndmask_b32_e32 v86, v69, v68, vcc
	v_add_f32_e32 v66, 1.0, v86
	v_add_f32_e32 v68, -1.0, v66
	v_sub_f32_e32 v69, v68, v66
	v_add_f32_e32 v69, 1.0, v69
	v_sub_f32_e32 v68, v86, v68
	v_add_f32_e32 v70, v68, v69
	v_frexp_mant_f32_e32 v71, v66
	v_cvt_f64_f32_e32 v[68:69], v66
	v_frexp_exp_i32_f64_e32 v68, v[68:69]
	v_cmp_gt_f32_e32 vcc, s9, v71
	s_mov_b32 s9, 0x3f317218
	s_nop 0
	v_subbrev_co_u32_e32 v84, vcc, 0, v68, vcc
	v_sub_u32_e32 v68, 0, v84
	v_ldexp_f32 v66, v66, v68
	v_ldexp_f32 v68, v70, v68
	v_add_f32_e32 v70, -1.0, v66
	v_add_f32_e32 v69, 1.0, v70
	v_sub_f32_e32 v69, v66, v69
	v_add_f32_e32 v71, v68, v69
	v_add_f32_e32 v69, 1.0, v66
	v_add_f32_e32 v80, -1.0, v69
	v_sub_f32_e32 v66, v66, v80
	v_add_f32_e32 v66, v68, v66
	v_add_f32_e32 v85, v69, v66
	v_rcp_f32_e32 v131, v85
	v_sub_f32_e32 v68, v69, v85
	v_add_f32_e32 v69, v70, v71
	v_add_f32_e32 v66, v66, v68
	v_mul_f32_e32 v133, v69, v131
	v_sub_f32_e32 v68, v70, v69
	v_mul_f32_e32 v70, v85, v133
	v_fma_f32 v80, v133, v85, -v70
	v_fmac_f32_e32 v80, v133, v66
	v_add_f32_e32 v132, v71, v68
	v_add_f32_e32 v68, v70, v80
	v_sub_f32_e32 v71, v69, v68
	v_pk_add_f32 v[82:83], v[68:69], v[70:71] neg_lo:[0,1] neg_hi:[0,1]
	v_mov_b32_e32 v81, v68
	v_pk_add_f32 v[68:69], v[82:83], v[80:81] neg_lo:[0,1] neg_hi:[0,1]
	v_cmp_eq_f32_e32 vcc, s10, v86
	v_add_f32_e32 v69, v132, v69
	v_add_f32_e32 v68, v68, v69
	;; [unrolled: 1-line block ×3, first 2 shown]
	v_mul_f32_e32 v132, v131, v69
	v_mul_f32_e32 v70, v85, v132
	v_fma_f32 v80, v132, v85, -v70
	v_fmac_f32_e32 v80, v132, v66
	v_sub_f32_e32 v66, v71, v69
	v_add_f32_e32 v66, v68, v66
	v_add_f32_e32 v68, v70, v80
	v_sub_f32_e32 v71, v69, v68
	v_pk_add_f32 v[82:83], v[68:69], v[70:71] neg_lo:[0,1] neg_hi:[0,1]
	v_mov_b32_e32 v81, v68
	v_pk_add_f32 v[68:69], v[82:83], v[80:81] neg_lo:[0,1] neg_hi:[0,1]
	v_cvt_f32_i32_e32 v70, v84
	v_add_f32_e32 v66, v66, v69
	v_add_f32_e32 v66, v68, v66
	;; [unrolled: 1-line block ×4, first 2 shown]
	v_sub_f32_e32 v69, v68, v133
	v_mul_f32_e32 v66, v131, v66
	v_sub_f32_e32 v69, v132, v69
	v_add_f32_e32 v66, v69, v66
	v_add_f32_e32 v71, v68, v66
	v_mul_f32_e32 v80, v71, v71
	v_mov_b32_e32 v69, 0x3ecc95a3
	v_fmac_f32_e32 v69, 0x3e9b6dac, v80
	v_sub_f32_e32 v68, v71, v68
	v_fmaak_f32 v69, v80, v69, 0x3f2aaada
	v_sub_f32_e32 v66, v66, v68
	v_ldexp_f32 v81, v71, 1
	v_mul_f32_e32 v71, v71, v80
	v_mov_b32_e32 v68, 0x3f317218
	v_pk_mul_f32 v[68:69], v[70:71], v[68:69]
	v_ldexp_f32 v66, v66, 1
	v_fma_f32 v71, v70, s9, -v68
	v_fmamk_f32 v80, v70, 0xb102e308, v71
	v_pk_add_f32 v[70:71], v[68:69], v[80:81]
	v_mov_b32_e32 v82, v68
	v_sub_f32_e32 v81, v71, v81
	v_sub_f32_e32 v81, v69, v81
	v_add_f32_e32 v83, v66, v81
	v_pk_add_f32 v[68:69], v[70:71], v[68:69] neg_lo:[0,1] neg_hi:[0,1]
	v_pk_add_f32 v[84:85], v[70:71], v[82:83]
	v_mov_b32_e32 v81, v70
	v_mov_b32_e32 v69, v85
	v_pk_add_f32 v[132:133], v[80:81], v[68:69] neg_lo:[0,1] neg_hi:[0,1]
	v_pk_add_f32 v[68:69], v[80:81], v[68:69]
	s_mov_b32 s9, 0x33800000
	v_mov_b32_e32 v66, v69
	v_pk_add_f32 v[80:81], v[66:67], v[70:71] neg_lo:[0,1] neg_hi:[0,1]
	v_mov_b32_e32 v68, v85
	v_mov_b32_e32 v81, v80
	v_pk_add_f32 v[134:135], v[84:85], v[80:81] neg_lo:[0,1] neg_hi:[0,1]
	v_mov_b32_e32 v84, v71
	v_mov_b32_e32 v85, v80
	;; [unrolled: 1-line block ×3, first 2 shown]
	v_pk_add_f32 v[68:69], v[68:69], v[84:85] neg_lo:[0,1] neg_hi:[0,1]
	v_mov_b32_e32 v80, v83
	v_mov_b32_e32 v81, v70
	v_pk_add_f32 v[68:69], v[80:81], v[68:69] neg_lo:[0,1] neg_hi:[0,1]
	v_mov_b32_e32 v134, v132
	v_pk_add_f32 v[70:71], v[134:135], v[68:69]
	v_cmp_lt_f32_e64 s[10:11], |v86|, s9
	v_mov_b32_e32 v80, v71
	v_pk_add_f32 v[80:81], v[70:71], v[80:81]
	s_or_b64 vcc, vcc, s[10:11]
	v_pk_add_f32 v[82:83], v[66:67], v[80:81]
	v_mov_b32_e32 v69, v80
	v_mov_b32_e32 v71, v82
	v_pk_add_f32 v[84:85], v[70:71], v[132:133] neg_lo:[0,1] neg_hi:[0,1]
	s_nop 0
	v_sub_f32_e32 v66, v70, v84
	v_pk_add_f32 v[68:69], v[68:69], v[84:85] neg_lo:[0,1] neg_hi:[0,1]
	v_sub_f32_e32 v66, v132, v66
	v_add_f32_e32 v66, v68, v66
	v_add_f32_e32 v66, v66, v69
	;; [unrolled: 1-line block ×3, first 2 shown]
	v_cndmask_b32_e32 v66, v66, v86, vcc
	v_add_f32_e32 v66, v67, v66
.LBB121_244:
	s_or_b64 exec, exec, s[6:7]
	v_max_f32_e32 v67, v66, v66
	v_min_f32_e32 v68, v67, v87
	v_cmp_u_f32_e32 vcc, v66, v66
	v_max_f32_e32 v67, v67, v87
	s_nop 0
	v_cndmask_b32_e32 v68, v68, v66, vcc
	v_cndmask_b32_e32 v67, v67, v66, vcc
	v_cndmask_b32_e64 v69, v68, v35, s[26:27]
	v_cndmask_b32_e64 v68, v67, v35, s[26:27]
	v_cmp_neq_f32_e32 vcc, v69, v68
	v_cmp_class_f32_e64 s[6:7], v69, s8
	s_or_b64 s[8:9], vcc, s[6:7]
	v_mov_b32_e32 v67, v66
	s_and_saveexec_b64 s[6:7], s[8:9]
	s_cbranch_execz .LBB121_246
; %bb.245:
	v_sub_f32_e32 v67, v69, v68
	s_mov_b32 s8, 0x3fb8aa3b
	v_mul_f32_e32 v69, 0x3fb8aa3b, v67
	v_fma_f32 v70, v67, s8, -v69
	v_rndne_f32_e32 v71, v69
	v_fmamk_f32 v70, v67, 0x32a5705f, v70
	v_sub_f32_e32 v69, v69, v71
	v_add_f32_e32 v69, v69, v70
	v_exp_f32_e32 v69, v69
	v_cvt_i32_f32_e32 v70, v71
	s_mov_b32 s8, 0xc2ce8ed0
	v_cmp_ngt_f32_e32 vcc, s8, v67
	s_mov_b32 s8, 0x42b17218
	v_ldexp_f32 v69, v69, v70
	v_cndmask_b32_e32 v69, 0, v69, vcc
	v_mov_b32_e32 v70, 0x7f800000
	v_cmp_nlt_f32_e32 vcc, s8, v67
	s_mov_b32 s8, 0x3f2aaaab
	s_mov_b32 s9, 0x7f800000
	v_cndmask_b32_e32 v69, v70, v69, vcc
	v_add_f32_e32 v67, 1.0, v69
	v_add_f32_e32 v70, -1.0, v67
	v_sub_f32_e32 v71, v70, v67
	v_add_f32_e32 v71, 1.0, v71
	v_sub_f32_e32 v70, v69, v70
	v_add_f32_e32 v80, v70, v71
	v_frexp_mant_f32_e32 v81, v67
	v_cvt_f64_f32_e32 v[70:71], v67
	v_frexp_exp_i32_f64_e32 v70, v[70:71]
	v_cmp_gt_f32_e32 vcc, s8, v81
	s_mov_b32 s8, 0x3f317218
	s_nop 0
	v_subbrev_co_u32_e32 v86, vcc, 0, v70, vcc
	v_sub_u32_e32 v70, 0, v86
	v_ldexp_f32 v67, v67, v70
	v_ldexp_f32 v70, v80, v70
	v_add_f32_e32 v80, -1.0, v67
	v_add_f32_e32 v71, 1.0, v80
	v_sub_f32_e32 v71, v67, v71
	v_add_f32_e32 v81, v70, v71
	v_add_f32_e32 v71, 1.0, v67
	v_add_f32_e32 v82, -1.0, v71
	v_sub_f32_e32 v67, v67, v82
	v_add_f32_e32 v67, v70, v67
	v_add_f32_e32 v87, v71, v67
	v_rcp_f32_e32 v131, v87
	v_sub_f32_e32 v70, v71, v87
	v_add_f32_e32 v71, v80, v81
	v_add_f32_e32 v67, v67, v70
	v_mul_f32_e32 v133, v71, v131
	v_sub_f32_e32 v70, v80, v71
	v_mul_f32_e32 v80, v87, v133
	v_fma_f32 v82, v133, v87, -v80
	v_fmac_f32_e32 v82, v133, v67
	v_add_f32_e32 v132, v81, v70
	v_add_f32_e32 v70, v80, v82
	v_sub_f32_e32 v81, v71, v70
	v_pk_add_f32 v[84:85], v[70:71], v[80:81] neg_lo:[0,1] neg_hi:[0,1]
	v_mov_b32_e32 v83, v70
	v_pk_add_f32 v[70:71], v[84:85], v[82:83] neg_lo:[0,1] neg_hi:[0,1]
	v_cmp_eq_f32_e32 vcc, s9, v69
	v_add_f32_e32 v71, v132, v71
	v_add_f32_e32 v70, v70, v71
	;; [unrolled: 1-line block ×3, first 2 shown]
	v_mul_f32_e32 v132, v131, v71
	v_mul_f32_e32 v80, v87, v132
	v_fma_f32 v82, v132, v87, -v80
	v_fmac_f32_e32 v82, v132, v67
	v_sub_f32_e32 v67, v81, v71
	v_add_f32_e32 v67, v70, v67
	v_add_f32_e32 v70, v80, v82
	v_sub_f32_e32 v81, v71, v70
	v_pk_add_f32 v[84:85], v[70:71], v[80:81] neg_lo:[0,1] neg_hi:[0,1]
	v_mov_b32_e32 v83, v70
	v_pk_add_f32 v[70:71], v[84:85], v[82:83] neg_lo:[0,1] neg_hi:[0,1]
	v_cvt_f32_i32_e32 v80, v86
	v_add_f32_e32 v67, v67, v71
	v_add_f32_e32 v67, v70, v67
	;; [unrolled: 1-line block ×4, first 2 shown]
	v_sub_f32_e32 v71, v70, v133
	v_mul_f32_e32 v67, v131, v67
	v_sub_f32_e32 v71, v132, v71
	v_add_f32_e32 v67, v71, v67
	v_add_f32_e32 v81, v70, v67
	v_mul_f32_e32 v82, v81, v81
	v_mov_b32_e32 v71, 0x3ecc95a3
	v_fmac_f32_e32 v71, 0x3e9b6dac, v82
	v_sub_f32_e32 v70, v81, v70
	v_fmaak_f32 v71, v82, v71, 0x3f2aaada
	v_sub_f32_e32 v67, v67, v70
	v_ldexp_f32 v83, v81, 1
	v_mul_f32_e32 v81, v81, v82
	v_mov_b32_e32 v70, 0x3f317218
	v_pk_mul_f32 v[70:71], v[80:81], v[70:71]
	v_ldexp_f32 v67, v67, 1
	v_fma_f32 v81, v80, s8, -v70
	v_fmamk_f32 v82, v80, 0xb102e308, v81
	v_pk_add_f32 v[80:81], v[70:71], v[82:83]
	v_mov_b32_e32 v84, v70
	v_sub_f32_e32 v83, v81, v83
	v_sub_f32_e32 v83, v71, v83
	v_add_f32_e32 v85, v67, v83
	v_pk_add_f32 v[70:71], v[80:81], v[70:71] neg_lo:[0,1] neg_hi:[0,1]
	v_pk_add_f32 v[86:87], v[80:81], v[84:85]
	v_mov_b32_e32 v83, v80
	v_mov_b32_e32 v71, v87
	v_pk_add_f32 v[132:133], v[82:83], v[70:71] neg_lo:[0,1] neg_hi:[0,1]
	v_pk_add_f32 v[70:71], v[82:83], v[70:71]
	v_mov_b32_e32 v84, v85
	v_mov_b32_e32 v82, v71
	v_pk_add_f32 v[134:135], v[82:83], v[80:81] neg_lo:[0,1] neg_hi:[0,1]
	v_mov_b32_e32 v70, v87
	v_mov_b32_e32 v67, v134
	v_pk_add_f32 v[144:145], v[86:87], v[66:67] neg_lo:[0,1] neg_hi:[0,1]
	v_mov_b32_e32 v86, v81
	v_mov_b32_e32 v87, v134
	;; [unrolled: 1-line block ×3, first 2 shown]
	v_pk_add_f32 v[70:71], v[70:71], v[86:87] neg_lo:[0,1] neg_hi:[0,1]
	v_mov_b32_e32 v85, v80
	v_pk_add_f32 v[70:71], v[84:85], v[70:71] neg_lo:[0,1] neg_hi:[0,1]
	v_mov_b32_e32 v144, v132
	v_pk_add_f32 v[80:81], v[144:145], v[70:71]
	s_mov_b32 s8, 0x33800000
	v_mov_b32_e32 v84, v81
	v_pk_add_f32 v[84:85], v[80:81], v[84:85]
	v_cmp_lt_f32_e64 s[8:9], |v69|, s8
	v_pk_add_f32 v[82:83], v[82:83], v[84:85]
	v_mov_b32_e32 v71, v84
	v_mov_b32_e32 v81, v82
	v_pk_add_f32 v[86:87], v[80:81], v[132:133] neg_lo:[0,1] neg_hi:[0,1]
	s_or_b64 vcc, vcc, s[8:9]
	v_sub_f32_e32 v67, v80, v86
	v_pk_add_f32 v[70:71], v[70:71], v[86:87] neg_lo:[0,1] neg_hi:[0,1]
	v_sub_f32_e32 v67, v132, v67
	v_add_f32_e32 v67, v70, v67
	v_add_f32_e32 v67, v67, v71
	;; [unrolled: 1-line block ×3, first 2 shown]
	v_cndmask_b32_e32 v67, v67, v69, vcc
	v_add_f32_e32 v67, v68, v67
.LBB121_246:
	s_or_b64 exec, exec, s[6:7]
	v_max_f32_e32 v68, v67, v67
	v_min_f32_e32 v69, v68, v101
	v_cmp_u_f32_e32 vcc, v67, v67
	v_max_f32_e32 v68, v68, v101
	s_movk_i32 s8, 0x1f8
	v_cndmask_b32_e32 v69, v69, v67, vcc
	v_cndmask_b32_e32 v68, v68, v67, vcc
	v_cndmask_b32_e64 v70, v69, v28, s[28:29]
	v_cndmask_b32_e64 v69, v68, v28, s[28:29]
	v_cmp_neq_f32_e32 vcc, v70, v69
	v_cmp_class_f32_e64 s[6:7], v70, s8
	s_or_b64 s[10:11], vcc, s[6:7]
	v_mov_b32_e32 v68, v67
	s_and_saveexec_b64 s[6:7], s[10:11]
	s_cbranch_execz .LBB121_248
; %bb.247:
	v_sub_f32_e32 v68, v70, v69
	s_mov_b32 s9, 0x3fb8aa3b
	v_mul_f32_e32 v70, 0x3fb8aa3b, v68
	v_fma_f32 v71, v68, s9, -v70
	v_rndne_f32_e32 v80, v70
	v_fmamk_f32 v71, v68, 0x32a5705f, v71
	v_sub_f32_e32 v70, v70, v80
	v_add_f32_e32 v70, v70, v71
	v_exp_f32_e32 v70, v70
	v_cvt_i32_f32_e32 v71, v80
	s_mov_b32 s9, 0xc2ce8ed0
	v_cmp_ngt_f32_e32 vcc, s9, v68
	s_mov_b32 s9, 0x42b17218
	v_ldexp_f32 v70, v70, v71
	v_cndmask_b32_e32 v70, 0, v70, vcc
	v_mov_b32_e32 v71, 0x7f800000
	v_cmp_nlt_f32_e32 vcc, s9, v68
	s_mov_b32 s9, 0x3f2aaaab
	s_mov_b32 s10, 0x7f800000
	v_cndmask_b32_e32 v101, v71, v70, vcc
	v_add_f32_e32 v68, 1.0, v101
	v_add_f32_e32 v70, -1.0, v68
	v_sub_f32_e32 v71, v70, v68
	v_add_f32_e32 v71, 1.0, v71
	v_sub_f32_e32 v70, v101, v70
	v_add_f32_e32 v80, v70, v71
	v_frexp_mant_f32_e32 v81, v68
	v_cvt_f64_f32_e32 v[70:71], v68
	v_frexp_exp_i32_f64_e32 v70, v[70:71]
	v_cmp_gt_f32_e32 vcc, s9, v81
	s_mov_b32 s9, 0x3f317218
	s_nop 0
	v_subbrev_co_u32_e32 v86, vcc, 0, v70, vcc
	v_sub_u32_e32 v70, 0, v86
	v_ldexp_f32 v68, v68, v70
	v_ldexp_f32 v70, v80, v70
	v_add_f32_e32 v80, -1.0, v68
	v_add_f32_e32 v71, 1.0, v80
	v_sub_f32_e32 v71, v68, v71
	v_add_f32_e32 v81, v70, v71
	v_add_f32_e32 v71, 1.0, v68
	v_add_f32_e32 v82, -1.0, v71
	v_sub_f32_e32 v68, v68, v82
	v_add_f32_e32 v68, v70, v68
	v_add_f32_e32 v87, v71, v68
	v_rcp_f32_e32 v131, v87
	v_sub_f32_e32 v70, v71, v87
	v_add_f32_e32 v71, v80, v81
	v_add_f32_e32 v68, v68, v70
	v_mul_f32_e32 v133, v71, v131
	v_sub_f32_e32 v70, v80, v71
	v_mul_f32_e32 v80, v87, v133
	v_fma_f32 v82, v133, v87, -v80
	v_fmac_f32_e32 v82, v133, v68
	v_add_f32_e32 v132, v81, v70
	v_add_f32_e32 v70, v80, v82
	v_sub_f32_e32 v81, v71, v70
	v_pk_add_f32 v[84:85], v[70:71], v[80:81] neg_lo:[0,1] neg_hi:[0,1]
	v_mov_b32_e32 v83, v70
	v_pk_add_f32 v[70:71], v[84:85], v[82:83] neg_lo:[0,1] neg_hi:[0,1]
	v_cmp_eq_f32_e32 vcc, s10, v101
	v_add_f32_e32 v71, v132, v71
	v_add_f32_e32 v70, v70, v71
	;; [unrolled: 1-line block ×3, first 2 shown]
	v_mul_f32_e32 v132, v131, v71
	v_mul_f32_e32 v80, v87, v132
	v_fma_f32 v82, v132, v87, -v80
	v_fmac_f32_e32 v82, v132, v68
	v_sub_f32_e32 v68, v81, v71
	v_add_f32_e32 v68, v70, v68
	v_add_f32_e32 v70, v80, v82
	v_sub_f32_e32 v81, v71, v70
	v_pk_add_f32 v[84:85], v[70:71], v[80:81] neg_lo:[0,1] neg_hi:[0,1]
	v_mov_b32_e32 v83, v70
	v_pk_add_f32 v[70:71], v[84:85], v[82:83] neg_lo:[0,1] neg_hi:[0,1]
	v_cvt_f32_i32_e32 v80, v86
	v_add_f32_e32 v68, v68, v71
	v_add_f32_e32 v68, v70, v68
	;; [unrolled: 1-line block ×4, first 2 shown]
	v_sub_f32_e32 v71, v70, v133
	v_mul_f32_e32 v68, v131, v68
	v_sub_f32_e32 v71, v132, v71
	v_add_f32_e32 v68, v71, v68
	v_add_f32_e32 v81, v70, v68
	v_mul_f32_e32 v82, v81, v81
	v_mov_b32_e32 v71, 0x3ecc95a3
	v_fmac_f32_e32 v71, 0x3e9b6dac, v82
	v_sub_f32_e32 v70, v81, v70
	v_fmaak_f32 v71, v82, v71, 0x3f2aaada
	v_sub_f32_e32 v68, v68, v70
	v_ldexp_f32 v83, v81, 1
	v_mul_f32_e32 v81, v81, v82
	v_mov_b32_e32 v70, 0x3f317218
	v_pk_mul_f32 v[70:71], v[80:81], v[70:71]
	v_ldexp_f32 v68, v68, 1
	v_fma_f32 v81, v80, s9, -v70
	v_fmamk_f32 v82, v80, 0xb102e308, v81
	v_pk_add_f32 v[80:81], v[70:71], v[82:83]
	v_mov_b32_e32 v84, v70
	v_sub_f32_e32 v83, v81, v83
	v_sub_f32_e32 v83, v71, v83
	v_add_f32_e32 v85, v68, v83
	v_pk_add_f32 v[70:71], v[80:81], v[70:71] neg_lo:[0,1] neg_hi:[0,1]
	v_pk_add_f32 v[86:87], v[80:81], v[84:85]
	v_mov_b32_e32 v83, v80
	v_mov_b32_e32 v71, v87
	v_pk_add_f32 v[132:133], v[82:83], v[70:71] neg_lo:[0,1] neg_hi:[0,1]
	v_pk_add_f32 v[70:71], v[82:83], v[70:71]
	s_mov_b32 s9, 0x33800000
	v_mov_b32_e32 v68, v71
	v_pk_add_f32 v[82:83], v[68:69], v[80:81] neg_lo:[0,1] neg_hi:[0,1]
	v_mov_b32_e32 v70, v87
	v_mov_b32_e32 v83, v82
	v_pk_add_f32 v[134:135], v[86:87], v[82:83] neg_lo:[0,1] neg_hi:[0,1]
	v_mov_b32_e32 v86, v81
	v_mov_b32_e32 v87, v82
	;; [unrolled: 1-line block ×3, first 2 shown]
	v_pk_add_f32 v[70:71], v[70:71], v[86:87] neg_lo:[0,1] neg_hi:[0,1]
	v_mov_b32_e32 v82, v85
	v_mov_b32_e32 v83, v80
	v_pk_add_f32 v[70:71], v[82:83], v[70:71] neg_lo:[0,1] neg_hi:[0,1]
	v_mov_b32_e32 v134, v132
	v_pk_add_f32 v[80:81], v[134:135], v[70:71]
	v_cmp_lt_f32_e64 s[10:11], |v101|, s9
	v_mov_b32_e32 v82, v81
	v_pk_add_f32 v[82:83], v[80:81], v[82:83]
	s_or_b64 vcc, vcc, s[10:11]
	v_pk_add_f32 v[84:85], v[68:69], v[82:83]
	v_mov_b32_e32 v71, v82
	v_mov_b32_e32 v81, v84
	v_pk_add_f32 v[86:87], v[80:81], v[132:133] neg_lo:[0,1] neg_hi:[0,1]
	s_nop 0
	v_sub_f32_e32 v68, v80, v86
	v_pk_add_f32 v[70:71], v[70:71], v[86:87] neg_lo:[0,1] neg_hi:[0,1]
	v_sub_f32_e32 v68, v132, v68
	v_add_f32_e32 v68, v70, v68
	v_add_f32_e32 v68, v68, v71
	;; [unrolled: 1-line block ×3, first 2 shown]
	v_cndmask_b32_e32 v68, v68, v101, vcc
	v_add_f32_e32 v68, v69, v68
.LBB121_248:
	s_or_b64 exec, exec, s[6:7]
	v_max_f32_e32 v69, v68, v68
	v_min_f32_e32 v70, v69, v112
	v_cmp_u_f32_e32 vcc, v68, v68
	v_max_f32_e32 v69, v69, v112
	s_nop 0
	v_cndmask_b32_e32 v70, v70, v68, vcc
	v_cndmask_b32_e32 v69, v69, v68, vcc
	v_cndmask_b32_e64 v71, v70, v29, s[30:31]
	v_cndmask_b32_e64 v70, v69, v29, s[30:31]
	v_cmp_neq_f32_e32 vcc, v71, v70
	v_cmp_class_f32_e64 s[6:7], v71, s8
	s_or_b64 s[8:9], vcc, s[6:7]
	v_mov_b32_e32 v69, v68
	s_and_saveexec_b64 s[6:7], s[8:9]
	s_cbranch_execz .LBB121_250
; %bb.249:
	v_sub_f32_e32 v69, v71, v70
	s_mov_b32 s8, 0x3fb8aa3b
	v_mul_f32_e32 v71, 0x3fb8aa3b, v69
	v_fma_f32 v80, v69, s8, -v71
	v_rndne_f32_e32 v81, v71
	v_fmamk_f32 v80, v69, 0x32a5705f, v80
	v_sub_f32_e32 v71, v71, v81
	v_add_f32_e32 v71, v71, v80
	v_exp_f32_e32 v71, v71
	v_cvt_i32_f32_e32 v80, v81
	s_mov_b32 s8, 0xc2ce8ed0
	v_cmp_ngt_f32_e32 vcc, s8, v69
	s_mov_b32 s8, 0x42b17218
	v_ldexp_f32 v71, v71, v80
	v_cndmask_b32_e32 v71, 0, v71, vcc
	v_mov_b32_e32 v80, 0x7f800000
	v_cmp_nlt_f32_e32 vcc, s8, v69
	s_mov_b32 s8, 0x3f2aaaab
	s_mov_b32 s9, 0x7f800000
	v_cndmask_b32_e32 v71, v80, v71, vcc
	v_add_f32_e32 v69, 1.0, v71
	v_add_f32_e32 v80, -1.0, v69
	v_sub_f32_e32 v81, v80, v69
	v_add_f32_e32 v81, 1.0, v81
	v_sub_f32_e32 v80, v71, v80
	v_add_f32_e32 v82, v80, v81
	v_frexp_mant_f32_e32 v83, v69
	v_cvt_f64_f32_e32 v[80:81], v69
	v_frexp_exp_i32_f64_e32 v80, v[80:81]
	v_cmp_gt_f32_e32 vcc, s8, v83
	s_mov_b32 s8, 0x3f317218
	s_nop 0
	v_subbrev_co_u32_e32 v101, vcc, 0, v80, vcc
	v_sub_u32_e32 v80, 0, v101
	v_ldexp_f32 v69, v69, v80
	v_ldexp_f32 v80, v82, v80
	v_add_f32_e32 v82, -1.0, v69
	v_add_f32_e32 v81, 1.0, v82
	v_sub_f32_e32 v81, v69, v81
	v_add_f32_e32 v83, v80, v81
	v_add_f32_e32 v81, 1.0, v69
	v_add_f32_e32 v84, -1.0, v81
	v_sub_f32_e32 v69, v69, v84
	v_add_f32_e32 v69, v80, v69
	v_add_f32_e32 v112, v81, v69
	v_rcp_f32_e32 v131, v112
	v_sub_f32_e32 v80, v81, v112
	v_add_f32_e32 v81, v82, v83
	v_add_f32_e32 v69, v69, v80
	v_mul_f32_e32 v133, v81, v131
	v_sub_f32_e32 v80, v82, v81
	v_mul_f32_e32 v82, v112, v133
	v_fma_f32 v84, v133, v112, -v82
	v_fmac_f32_e32 v84, v133, v69
	v_add_f32_e32 v132, v83, v80
	v_add_f32_e32 v80, v82, v84
	v_sub_f32_e32 v83, v81, v80
	v_pk_add_f32 v[86:87], v[80:81], v[82:83] neg_lo:[0,1] neg_hi:[0,1]
	v_mov_b32_e32 v85, v80
	v_pk_add_f32 v[80:81], v[86:87], v[84:85] neg_lo:[0,1] neg_hi:[0,1]
	v_cmp_eq_f32_e32 vcc, s9, v71
	v_add_f32_e32 v81, v132, v81
	v_add_f32_e32 v80, v80, v81
	;; [unrolled: 1-line block ×3, first 2 shown]
	v_mul_f32_e32 v132, v131, v81
	v_mul_f32_e32 v82, v112, v132
	v_fma_f32 v84, v132, v112, -v82
	v_fmac_f32_e32 v84, v132, v69
	v_sub_f32_e32 v69, v83, v81
	v_add_f32_e32 v69, v80, v69
	v_add_f32_e32 v80, v82, v84
	v_sub_f32_e32 v83, v81, v80
	v_pk_add_f32 v[86:87], v[80:81], v[82:83] neg_lo:[0,1] neg_hi:[0,1]
	v_mov_b32_e32 v85, v80
	v_pk_add_f32 v[80:81], v[86:87], v[84:85] neg_lo:[0,1] neg_hi:[0,1]
	v_cvt_f32_i32_e32 v82, v101
	v_add_f32_e32 v69, v69, v81
	v_add_f32_e32 v69, v80, v69
	;; [unrolled: 1-line block ×4, first 2 shown]
	v_sub_f32_e32 v81, v80, v133
	v_mul_f32_e32 v69, v131, v69
	v_sub_f32_e32 v81, v132, v81
	v_add_f32_e32 v69, v81, v69
	v_add_f32_e32 v83, v80, v69
	v_mul_f32_e32 v84, v83, v83
	v_mov_b32_e32 v81, 0x3ecc95a3
	v_fmac_f32_e32 v81, 0x3e9b6dac, v84
	v_sub_f32_e32 v80, v83, v80
	v_fmaak_f32 v81, v84, v81, 0x3f2aaada
	v_sub_f32_e32 v69, v69, v80
	v_ldexp_f32 v85, v83, 1
	v_mul_f32_e32 v83, v83, v84
	v_mov_b32_e32 v80, 0x3f317218
	v_pk_mul_f32 v[80:81], v[82:83], v[80:81]
	v_ldexp_f32 v69, v69, 1
	v_fma_f32 v83, v82, s8, -v80
	v_fmamk_f32 v84, v82, 0xb102e308, v83
	v_pk_add_f32 v[82:83], v[80:81], v[84:85]
	v_mov_b32_e32 v86, v80
	v_sub_f32_e32 v85, v83, v85
	v_sub_f32_e32 v85, v81, v85
	v_add_f32_e32 v87, v69, v85
	v_pk_add_f32 v[80:81], v[82:83], v[80:81] neg_lo:[0,1] neg_hi:[0,1]
	v_pk_add_f32 v[132:133], v[82:83], v[86:87]
	v_mov_b32_e32 v85, v82
	v_mov_b32_e32 v81, v133
	v_pk_add_f32 v[134:135], v[84:85], v[80:81] neg_lo:[0,1] neg_hi:[0,1]
	v_pk_add_f32 v[80:81], v[84:85], v[80:81]
	v_mov_b32_e32 v86, v87
	v_mov_b32_e32 v84, v81
	v_pk_add_f32 v[144:145], v[84:85], v[82:83] neg_lo:[0,1] neg_hi:[0,1]
	v_mov_b32_e32 v80, v133
	v_mov_b32_e32 v69, v144
	v_pk_add_f32 v[146:147], v[132:133], v[68:69] neg_lo:[0,1] neg_hi:[0,1]
	v_mov_b32_e32 v132, v83
	v_mov_b32_e32 v133, v144
	;; [unrolled: 1-line block ×3, first 2 shown]
	v_pk_add_f32 v[80:81], v[80:81], v[132:133] neg_lo:[0,1] neg_hi:[0,1]
	v_mov_b32_e32 v87, v82
	v_pk_add_f32 v[80:81], v[86:87], v[80:81] neg_lo:[0,1] neg_hi:[0,1]
	v_mov_b32_e32 v146, v134
	v_pk_add_f32 v[82:83], v[146:147], v[80:81]
	s_mov_b32 s8, 0x33800000
	v_mov_b32_e32 v86, v83
	v_pk_add_f32 v[86:87], v[82:83], v[86:87]
	v_cmp_lt_f32_e64 s[8:9], |v71|, s8
	v_pk_add_f32 v[84:85], v[84:85], v[86:87]
	v_mov_b32_e32 v81, v86
	v_mov_b32_e32 v83, v84
	v_pk_add_f32 v[132:133], v[82:83], v[134:135] neg_lo:[0,1] neg_hi:[0,1]
	s_or_b64 vcc, vcc, s[8:9]
	v_sub_f32_e32 v69, v82, v132
	v_pk_add_f32 v[80:81], v[80:81], v[132:133] neg_lo:[0,1] neg_hi:[0,1]
	v_sub_f32_e32 v69, v134, v69
	v_add_f32_e32 v69, v80, v69
	v_add_f32_e32 v69, v69, v81
	;; [unrolled: 1-line block ×3, first 2 shown]
	v_cndmask_b32_e32 v69, v69, v71, vcc
	v_add_f32_e32 v69, v70, v69
.LBB121_250:
	s_or_b64 exec, exec, s[6:7]
	v_max_f32_e32 v70, v69, v69
	v_min_f32_e32 v71, v70, v113
	v_cmp_u_f32_e32 vcc, v69, v69
	v_max_f32_e32 v70, v70, v113
	s_movk_i32 s8, 0x1f8
	v_cndmask_b32_e32 v71, v71, v69, vcc
	v_cndmask_b32_e32 v70, v70, v69, vcc
	v_cndmask_b32_e64 v80, v71, v30, s[34:35]
	v_cndmask_b32_e64 v71, v70, v30, s[34:35]
	v_cmp_neq_f32_e32 vcc, v80, v71
	v_cmp_class_f32_e64 s[6:7], v80, s8
	s_or_b64 s[10:11], vcc, s[6:7]
	v_mov_b32_e32 v70, v69
	s_and_saveexec_b64 s[6:7], s[10:11]
	s_cbranch_execz .LBB121_252
; %bb.251:
	v_sub_f32_e32 v70, v80, v71
	s_mov_b32 s9, 0x3fb8aa3b
	v_mul_f32_e32 v80, 0x3fb8aa3b, v70
	v_fma_f32 v81, v70, s9, -v80
	v_rndne_f32_e32 v82, v80
	v_fmamk_f32 v81, v70, 0x32a5705f, v81
	v_sub_f32_e32 v80, v80, v82
	v_add_f32_e32 v80, v80, v81
	v_exp_f32_e32 v80, v80
	v_cvt_i32_f32_e32 v81, v82
	s_mov_b32 s9, 0xc2ce8ed0
	v_cmp_ngt_f32_e32 vcc, s9, v70
	s_mov_b32 s9, 0x42b17218
	v_ldexp_f32 v80, v80, v81
	v_cndmask_b32_e32 v80, 0, v80, vcc
	v_mov_b32_e32 v81, 0x7f800000
	v_cmp_nlt_f32_e32 vcc, s9, v70
	s_mov_b32 s9, 0x3f2aaaab
	s_mov_b32 s10, 0x7f800000
	v_cndmask_b32_e32 v101, v81, v80, vcc
	v_add_f32_e32 v70, 1.0, v101
	v_add_f32_e32 v80, -1.0, v70
	v_sub_f32_e32 v81, v80, v70
	v_add_f32_e32 v81, 1.0, v81
	v_sub_f32_e32 v80, v101, v80
	v_add_f32_e32 v82, v80, v81
	v_frexp_mant_f32_e32 v83, v70
	v_cvt_f64_f32_e32 v[80:81], v70
	v_frexp_exp_i32_f64_e32 v80, v[80:81]
	v_cmp_gt_f32_e32 vcc, s9, v83
	s_mov_b32 s9, 0x3f317218
	s_nop 0
	v_subbrev_co_u32_e32 v112, vcc, 0, v80, vcc
	v_sub_u32_e32 v80, 0, v112
	v_ldexp_f32 v70, v70, v80
	v_ldexp_f32 v80, v82, v80
	v_add_f32_e32 v82, -1.0, v70
	v_add_f32_e32 v81, 1.0, v82
	v_sub_f32_e32 v81, v70, v81
	v_add_f32_e32 v83, v80, v81
	v_add_f32_e32 v81, 1.0, v70
	v_add_f32_e32 v84, -1.0, v81
	v_sub_f32_e32 v70, v70, v84
	v_add_f32_e32 v70, v80, v70
	v_add_f32_e32 v113, v81, v70
	v_rcp_f32_e32 v131, v113
	v_sub_f32_e32 v80, v81, v113
	v_add_f32_e32 v81, v82, v83
	v_add_f32_e32 v70, v70, v80
	v_mul_f32_e32 v133, v81, v131
	v_sub_f32_e32 v80, v82, v81
	v_mul_f32_e32 v82, v113, v133
	v_fma_f32 v84, v133, v113, -v82
	v_fmac_f32_e32 v84, v133, v70
	v_add_f32_e32 v132, v83, v80
	v_add_f32_e32 v80, v82, v84
	v_sub_f32_e32 v83, v81, v80
	v_pk_add_f32 v[86:87], v[80:81], v[82:83] neg_lo:[0,1] neg_hi:[0,1]
	v_mov_b32_e32 v85, v80
	v_pk_add_f32 v[80:81], v[86:87], v[84:85] neg_lo:[0,1] neg_hi:[0,1]
	v_cmp_eq_f32_e32 vcc, s10, v101
	v_add_f32_e32 v81, v132, v81
	v_add_f32_e32 v80, v80, v81
	;; [unrolled: 1-line block ×3, first 2 shown]
	v_mul_f32_e32 v132, v131, v81
	v_mul_f32_e32 v82, v113, v132
	v_fma_f32 v84, v132, v113, -v82
	v_fmac_f32_e32 v84, v132, v70
	v_sub_f32_e32 v70, v83, v81
	v_add_f32_e32 v70, v80, v70
	v_add_f32_e32 v80, v82, v84
	v_sub_f32_e32 v83, v81, v80
	v_pk_add_f32 v[86:87], v[80:81], v[82:83] neg_lo:[0,1] neg_hi:[0,1]
	v_mov_b32_e32 v85, v80
	v_pk_add_f32 v[80:81], v[86:87], v[84:85] neg_lo:[0,1] neg_hi:[0,1]
	v_cvt_f32_i32_e32 v82, v112
	v_add_f32_e32 v70, v70, v81
	v_add_f32_e32 v70, v80, v70
	;; [unrolled: 1-line block ×4, first 2 shown]
	v_sub_f32_e32 v81, v80, v133
	v_mul_f32_e32 v70, v131, v70
	v_sub_f32_e32 v81, v132, v81
	v_add_f32_e32 v70, v81, v70
	v_add_f32_e32 v83, v80, v70
	v_mul_f32_e32 v84, v83, v83
	v_mov_b32_e32 v81, 0x3ecc95a3
	v_fmac_f32_e32 v81, 0x3e9b6dac, v84
	v_sub_f32_e32 v80, v83, v80
	v_fmaak_f32 v81, v84, v81, 0x3f2aaada
	v_sub_f32_e32 v70, v70, v80
	v_ldexp_f32 v85, v83, 1
	v_mul_f32_e32 v83, v83, v84
	v_mov_b32_e32 v80, 0x3f317218
	v_pk_mul_f32 v[80:81], v[82:83], v[80:81]
	v_ldexp_f32 v70, v70, 1
	v_fma_f32 v83, v82, s9, -v80
	v_fmamk_f32 v84, v82, 0xb102e308, v83
	v_pk_add_f32 v[82:83], v[80:81], v[84:85]
	v_mov_b32_e32 v86, v80
	v_sub_f32_e32 v85, v83, v85
	v_sub_f32_e32 v85, v81, v85
	v_add_f32_e32 v87, v70, v85
	v_pk_add_f32 v[80:81], v[82:83], v[80:81] neg_lo:[0,1] neg_hi:[0,1]
	v_pk_add_f32 v[112:113], v[82:83], v[86:87]
	v_mov_b32_e32 v85, v82
	v_mov_b32_e32 v81, v113
	v_pk_add_f32 v[132:133], v[84:85], v[80:81] neg_lo:[0,1] neg_hi:[0,1]
	v_pk_add_f32 v[80:81], v[84:85], v[80:81]
	s_mov_b32 s9, 0x33800000
	v_mov_b32_e32 v70, v81
	v_pk_add_f32 v[84:85], v[70:71], v[82:83] neg_lo:[0,1] neg_hi:[0,1]
	v_mov_b32_e32 v80, v113
	v_mov_b32_e32 v85, v84
	v_pk_add_f32 v[134:135], v[112:113], v[84:85] neg_lo:[0,1] neg_hi:[0,1]
	v_mov_b32_e32 v112, v83
	v_mov_b32_e32 v113, v84
	;; [unrolled: 1-line block ×3, first 2 shown]
	v_pk_add_f32 v[80:81], v[80:81], v[112:113] neg_lo:[0,1] neg_hi:[0,1]
	v_mov_b32_e32 v84, v87
	v_mov_b32_e32 v85, v82
	v_pk_add_f32 v[80:81], v[84:85], v[80:81] neg_lo:[0,1] neg_hi:[0,1]
	v_mov_b32_e32 v134, v132
	v_pk_add_f32 v[82:83], v[134:135], v[80:81]
	v_cmp_lt_f32_e64 s[10:11], |v101|, s9
	v_mov_b32_e32 v84, v83
	v_pk_add_f32 v[84:85], v[82:83], v[84:85]
	s_or_b64 vcc, vcc, s[10:11]
	v_pk_add_f32 v[86:87], v[70:71], v[84:85]
	v_mov_b32_e32 v81, v84
	v_mov_b32_e32 v83, v86
	v_pk_add_f32 v[112:113], v[82:83], v[132:133] neg_lo:[0,1] neg_hi:[0,1]
	s_nop 0
	v_sub_f32_e32 v70, v82, v112
	v_pk_add_f32 v[80:81], v[80:81], v[112:113] neg_lo:[0,1] neg_hi:[0,1]
	v_sub_f32_e32 v70, v132, v70
	v_add_f32_e32 v70, v80, v70
	v_add_f32_e32 v70, v70, v81
	;; [unrolled: 1-line block ×3, first 2 shown]
	v_cndmask_b32_e32 v70, v70, v101, vcc
	v_add_f32_e32 v70, v71, v70
.LBB121_252:
	s_or_b64 exec, exec, s[6:7]
	v_max_f32_e32 v71, v70, v70
	v_min_f32_e32 v80, v71, v114
	v_cmp_u_f32_e32 vcc, v70, v70
	v_max_f32_e32 v71, v71, v114
	s_nop 0
	v_cndmask_b32_e32 v80, v80, v70, vcc
	v_cndmask_b32_e32 v71, v71, v70, vcc
	v_cndmask_b32_e64 v81, v80, v31, s[36:37]
	v_cndmask_b32_e64 v80, v71, v31, s[36:37]
	v_cmp_neq_f32_e32 vcc, v81, v80
	v_cmp_class_f32_e64 s[6:7], v81, s8
	s_or_b64 s[8:9], vcc, s[6:7]
	v_mov_b32_e32 v71, v70
	s_and_saveexec_b64 s[6:7], s[8:9]
	s_cbranch_execz .LBB121_254
; %bb.253:
	v_sub_f32_e32 v71, v81, v80
	s_mov_b32 s8, 0x3fb8aa3b
	v_mul_f32_e32 v81, 0x3fb8aa3b, v71
	v_fma_f32 v82, v71, s8, -v81
	v_rndne_f32_e32 v83, v81
	v_fmamk_f32 v82, v71, 0x32a5705f, v82
	v_sub_f32_e32 v81, v81, v83
	v_add_f32_e32 v81, v81, v82
	v_exp_f32_e32 v81, v81
	v_cvt_i32_f32_e32 v82, v83
	s_mov_b32 s8, 0xc2ce8ed0
	v_cmp_ngt_f32_e32 vcc, s8, v71
	s_mov_b32 s8, 0x42b17218
	v_ldexp_f32 v81, v81, v82
	v_cndmask_b32_e32 v81, 0, v81, vcc
	v_mov_b32_e32 v82, 0x7f800000
	v_cmp_nlt_f32_e32 vcc, s8, v71
	s_mov_b32 s8, 0x3f2aaaab
	s_mov_b32 s9, 0x7f800000
	v_cndmask_b32_e32 v81, v82, v81, vcc
	v_add_f32_e32 v71, 1.0, v81
	v_add_f32_e32 v82, -1.0, v71
	v_sub_f32_e32 v83, v82, v71
	v_add_f32_e32 v83, 1.0, v83
	v_sub_f32_e32 v82, v81, v82
	v_add_f32_e32 v84, v82, v83
	v_frexp_mant_f32_e32 v85, v71
	v_cvt_f64_f32_e32 v[82:83], v71
	v_frexp_exp_i32_f64_e32 v82, v[82:83]
	v_cmp_gt_f32_e32 vcc, s8, v85
	s_mov_b32 s8, 0x3f317218
	s_nop 0
	v_subbrev_co_u32_e32 v101, vcc, 0, v82, vcc
	v_sub_u32_e32 v82, 0, v101
	v_ldexp_f32 v71, v71, v82
	v_ldexp_f32 v82, v84, v82
	v_add_f32_e32 v84, -1.0, v71
	v_add_f32_e32 v83, 1.0, v84
	v_sub_f32_e32 v83, v71, v83
	v_add_f32_e32 v85, v82, v83
	v_add_f32_e32 v83, 1.0, v71
	v_add_f32_e32 v86, -1.0, v83
	v_sub_f32_e32 v71, v71, v86
	v_add_f32_e32 v71, v82, v71
	v_add_f32_e32 v114, v83, v71
	v_rcp_f32_e32 v131, v114
	v_sub_f32_e32 v82, v83, v114
	v_add_f32_e32 v83, v84, v85
	v_add_f32_e32 v71, v71, v82
	v_mul_f32_e32 v133, v83, v131
	v_sub_f32_e32 v82, v84, v83
	v_mul_f32_e32 v84, v114, v133
	v_fma_f32 v86, v133, v114, -v84
	v_fmac_f32_e32 v86, v133, v71
	v_add_f32_e32 v132, v85, v82
	v_add_f32_e32 v82, v84, v86
	v_sub_f32_e32 v85, v83, v82
	v_pk_add_f32 v[112:113], v[82:83], v[84:85] neg_lo:[0,1] neg_hi:[0,1]
	v_mov_b32_e32 v87, v82
	v_pk_add_f32 v[82:83], v[112:113], v[86:87] neg_lo:[0,1] neg_hi:[0,1]
	v_cmp_eq_f32_e32 vcc, s9, v81
	v_add_f32_e32 v83, v132, v83
	v_add_f32_e32 v82, v82, v83
	;; [unrolled: 1-line block ×3, first 2 shown]
	v_mul_f32_e32 v132, v131, v83
	v_mul_f32_e32 v84, v114, v132
	v_fma_f32 v86, v132, v114, -v84
	v_fmac_f32_e32 v86, v132, v71
	v_sub_f32_e32 v71, v85, v83
	v_add_f32_e32 v71, v82, v71
	v_add_f32_e32 v82, v84, v86
	v_sub_f32_e32 v85, v83, v82
	v_pk_add_f32 v[112:113], v[82:83], v[84:85] neg_lo:[0,1] neg_hi:[0,1]
	v_mov_b32_e32 v87, v82
	v_pk_add_f32 v[82:83], v[112:113], v[86:87] neg_lo:[0,1] neg_hi:[0,1]
	v_cvt_f32_i32_e32 v84, v101
	v_add_f32_e32 v71, v71, v83
	v_add_f32_e32 v71, v82, v71
	;; [unrolled: 1-line block ×4, first 2 shown]
	v_sub_f32_e32 v83, v82, v133
	v_mul_f32_e32 v71, v131, v71
	v_sub_f32_e32 v83, v132, v83
	v_add_f32_e32 v71, v83, v71
	v_add_f32_e32 v85, v82, v71
	v_mul_f32_e32 v86, v85, v85
	v_mov_b32_e32 v83, 0x3ecc95a3
	v_fmac_f32_e32 v83, 0x3e9b6dac, v86
	v_sub_f32_e32 v82, v85, v82
	v_fmaak_f32 v83, v86, v83, 0x3f2aaada
	v_sub_f32_e32 v71, v71, v82
	v_ldexp_f32 v87, v85, 1
	v_mul_f32_e32 v85, v85, v86
	v_mov_b32_e32 v82, 0x3f317218
	v_pk_mul_f32 v[82:83], v[84:85], v[82:83]
	v_ldexp_f32 v71, v71, 1
	v_fma_f32 v85, v84, s8, -v82
	v_fmamk_f32 v86, v84, 0xb102e308, v85
	v_pk_add_f32 v[84:85], v[82:83], v[86:87]
	v_mov_b32_e32 v112, v82
	v_sub_f32_e32 v87, v85, v87
	v_sub_f32_e32 v87, v83, v87
	v_add_f32_e32 v113, v71, v87
	v_pk_add_f32 v[82:83], v[84:85], v[82:83] neg_lo:[0,1] neg_hi:[0,1]
	v_pk_add_f32 v[132:133], v[84:85], v[112:113]
	v_mov_b32_e32 v87, v84
	v_mov_b32_e32 v83, v133
	v_pk_add_f32 v[134:135], v[86:87], v[82:83] neg_lo:[0,1] neg_hi:[0,1]
	v_pk_add_f32 v[82:83], v[86:87], v[82:83]
	v_mov_b32_e32 v112, v113
	v_mov_b32_e32 v86, v83
	v_pk_add_f32 v[144:145], v[86:87], v[84:85] neg_lo:[0,1] neg_hi:[0,1]
	v_mov_b32_e32 v82, v133
	v_mov_b32_e32 v71, v144
	v_pk_add_f32 v[146:147], v[132:133], v[70:71] neg_lo:[0,1] neg_hi:[0,1]
	v_mov_b32_e32 v132, v85
	v_mov_b32_e32 v133, v144
	v_mov_b32_e32 v135, v83
	v_pk_add_f32 v[82:83], v[82:83], v[132:133] neg_lo:[0,1] neg_hi:[0,1]
	v_mov_b32_e32 v113, v84
	v_pk_add_f32 v[82:83], v[112:113], v[82:83] neg_lo:[0,1] neg_hi:[0,1]
	v_mov_b32_e32 v146, v134
	v_pk_add_f32 v[84:85], v[146:147], v[82:83]
	s_mov_b32 s8, 0x33800000
	v_mov_b32_e32 v112, v85
	v_pk_add_f32 v[112:113], v[84:85], v[112:113]
	v_cmp_lt_f32_e64 s[8:9], |v81|, s8
	v_pk_add_f32 v[86:87], v[86:87], v[112:113]
	v_mov_b32_e32 v83, v112
	v_mov_b32_e32 v85, v86
	v_pk_add_f32 v[132:133], v[84:85], v[134:135] neg_lo:[0,1] neg_hi:[0,1]
	s_or_b64 vcc, vcc, s[8:9]
	v_sub_f32_e32 v71, v84, v132
	v_pk_add_f32 v[82:83], v[82:83], v[132:133] neg_lo:[0,1] neg_hi:[0,1]
	v_sub_f32_e32 v71, v134, v71
	v_add_f32_e32 v71, v82, v71
	v_add_f32_e32 v71, v71, v83
	;; [unrolled: 1-line block ×3, first 2 shown]
	v_cndmask_b32_e32 v71, v71, v81, vcc
	v_add_f32_e32 v71, v80, v71
.LBB121_254:
	s_or_b64 exec, exec, s[6:7]
	v_max_f32_e32 v80, v71, v71
	v_min_f32_e32 v81, v80, v115
	v_cmp_u_f32_e32 vcc, v71, v71
	v_max_f32_e32 v80, v80, v115
	s_movk_i32 s8, 0x1f8
	v_cndmask_b32_e32 v81, v81, v71, vcc
	v_cndmask_b32_e32 v80, v80, v71, vcc
	v_cndmask_b32_e64 v82, v81, v24, s[38:39]
	v_cndmask_b32_e64 v81, v80, v24, s[38:39]
	v_cmp_neq_f32_e32 vcc, v82, v81
	v_cmp_class_f32_e64 s[6:7], v82, s8
	s_or_b64 s[10:11], vcc, s[6:7]
	v_mov_b32_e32 v80, v71
	s_and_saveexec_b64 s[6:7], s[10:11]
	s_cbranch_execz .LBB121_256
; %bb.255:
	v_sub_f32_e32 v80, v82, v81
	s_mov_b32 s9, 0x3fb8aa3b
	v_mul_f32_e32 v82, 0x3fb8aa3b, v80
	v_fma_f32 v83, v80, s9, -v82
	v_rndne_f32_e32 v84, v82
	v_fmamk_f32 v83, v80, 0x32a5705f, v83
	v_sub_f32_e32 v82, v82, v84
	v_add_f32_e32 v82, v82, v83
	v_exp_f32_e32 v82, v82
	v_cvt_i32_f32_e32 v83, v84
	s_mov_b32 s9, 0xc2ce8ed0
	v_cmp_ngt_f32_e32 vcc, s9, v80
	s_mov_b32 s9, 0x42b17218
	v_ldexp_f32 v82, v82, v83
	v_cndmask_b32_e32 v82, 0, v82, vcc
	v_mov_b32_e32 v83, 0x7f800000
	v_cmp_nlt_f32_e32 vcc, s9, v80
	s_mov_b32 s9, 0x3f2aaaab
	s_mov_b32 s10, 0x7f800000
	v_cndmask_b32_e32 v101, v83, v82, vcc
	v_add_f32_e32 v80, 1.0, v101
	v_add_f32_e32 v82, -1.0, v80
	v_sub_f32_e32 v83, v82, v80
	v_add_f32_e32 v83, 1.0, v83
	v_sub_f32_e32 v82, v101, v82
	v_add_f32_e32 v84, v82, v83
	v_frexp_mant_f32_e32 v85, v80
	v_cvt_f64_f32_e32 v[82:83], v80
	v_frexp_exp_i32_f64_e32 v82, v[82:83]
	v_cmp_gt_f32_e32 vcc, s9, v85
	s_mov_b32 s9, 0x3f317218
	s_nop 0
	v_subbrev_co_u32_e32 v114, vcc, 0, v82, vcc
	v_sub_u32_e32 v82, 0, v114
	v_ldexp_f32 v80, v80, v82
	v_ldexp_f32 v82, v84, v82
	v_add_f32_e32 v84, -1.0, v80
	v_add_f32_e32 v83, 1.0, v84
	v_sub_f32_e32 v83, v80, v83
	v_add_f32_e32 v85, v82, v83
	v_add_f32_e32 v83, 1.0, v80
	v_add_f32_e32 v86, -1.0, v83
	v_sub_f32_e32 v80, v80, v86
	v_add_f32_e32 v80, v82, v80
	v_add_f32_e32 v115, v83, v80
	v_rcp_f32_e32 v131, v115
	v_sub_f32_e32 v82, v83, v115
	v_add_f32_e32 v83, v84, v85
	v_add_f32_e32 v80, v80, v82
	v_mul_f32_e32 v133, v83, v131
	v_sub_f32_e32 v82, v84, v83
	v_mul_f32_e32 v84, v115, v133
	v_fma_f32 v86, v133, v115, -v84
	v_fmac_f32_e32 v86, v133, v80
	v_add_f32_e32 v132, v85, v82
	v_add_f32_e32 v82, v84, v86
	v_sub_f32_e32 v85, v83, v82
	v_pk_add_f32 v[112:113], v[82:83], v[84:85] neg_lo:[0,1] neg_hi:[0,1]
	v_mov_b32_e32 v87, v82
	v_pk_add_f32 v[82:83], v[112:113], v[86:87] neg_lo:[0,1] neg_hi:[0,1]
	v_cmp_eq_f32_e32 vcc, s10, v101
	v_add_f32_e32 v83, v132, v83
	v_add_f32_e32 v82, v82, v83
	;; [unrolled: 1-line block ×3, first 2 shown]
	v_mul_f32_e32 v132, v131, v83
	v_mul_f32_e32 v84, v115, v132
	v_fma_f32 v86, v132, v115, -v84
	v_fmac_f32_e32 v86, v132, v80
	v_sub_f32_e32 v80, v85, v83
	v_add_f32_e32 v80, v82, v80
	v_add_f32_e32 v82, v84, v86
	v_sub_f32_e32 v85, v83, v82
	v_pk_add_f32 v[112:113], v[82:83], v[84:85] neg_lo:[0,1] neg_hi:[0,1]
	v_mov_b32_e32 v87, v82
	v_pk_add_f32 v[82:83], v[112:113], v[86:87] neg_lo:[0,1] neg_hi:[0,1]
	v_cvt_f32_i32_e32 v84, v114
	v_add_f32_e32 v80, v80, v83
	v_add_f32_e32 v80, v82, v80
	;; [unrolled: 1-line block ×4, first 2 shown]
	v_sub_f32_e32 v83, v82, v133
	v_mul_f32_e32 v80, v131, v80
	v_sub_f32_e32 v83, v132, v83
	v_add_f32_e32 v80, v83, v80
	v_add_f32_e32 v85, v82, v80
	v_mul_f32_e32 v86, v85, v85
	v_mov_b32_e32 v83, 0x3ecc95a3
	v_fmac_f32_e32 v83, 0x3e9b6dac, v86
	v_sub_f32_e32 v82, v85, v82
	v_fmaak_f32 v83, v86, v83, 0x3f2aaada
	v_sub_f32_e32 v80, v80, v82
	v_ldexp_f32 v87, v85, 1
	v_mul_f32_e32 v85, v85, v86
	v_mov_b32_e32 v82, 0x3f317218
	v_pk_mul_f32 v[82:83], v[84:85], v[82:83]
	v_ldexp_f32 v80, v80, 1
	v_fma_f32 v85, v84, s9, -v82
	v_fmamk_f32 v86, v84, 0xb102e308, v85
	v_pk_add_f32 v[84:85], v[82:83], v[86:87]
	v_mov_b32_e32 v112, v82
	v_sub_f32_e32 v87, v85, v87
	v_sub_f32_e32 v87, v83, v87
	v_add_f32_e32 v113, v80, v87
	v_pk_add_f32 v[82:83], v[84:85], v[82:83] neg_lo:[0,1] neg_hi:[0,1]
	v_pk_add_f32 v[114:115], v[84:85], v[112:113]
	v_mov_b32_e32 v87, v84
	v_mov_b32_e32 v83, v115
	v_pk_add_f32 v[132:133], v[86:87], v[82:83] neg_lo:[0,1] neg_hi:[0,1]
	v_pk_add_f32 v[82:83], v[86:87], v[82:83]
	s_mov_b32 s9, 0x33800000
	v_mov_b32_e32 v80, v83
	v_pk_add_f32 v[86:87], v[80:81], v[84:85] neg_lo:[0,1] neg_hi:[0,1]
	v_mov_b32_e32 v82, v115
	v_mov_b32_e32 v87, v86
	v_pk_add_f32 v[134:135], v[114:115], v[86:87] neg_lo:[0,1] neg_hi:[0,1]
	v_mov_b32_e32 v114, v85
	v_mov_b32_e32 v115, v86
	;; [unrolled: 1-line block ×3, first 2 shown]
	v_pk_add_f32 v[82:83], v[82:83], v[114:115] neg_lo:[0,1] neg_hi:[0,1]
	v_mov_b32_e32 v86, v113
	v_mov_b32_e32 v87, v84
	v_pk_add_f32 v[82:83], v[86:87], v[82:83] neg_lo:[0,1] neg_hi:[0,1]
	v_mov_b32_e32 v134, v132
	v_pk_add_f32 v[84:85], v[134:135], v[82:83]
	v_cmp_lt_f32_e64 s[10:11], |v101|, s9
	v_mov_b32_e32 v86, v85
	v_pk_add_f32 v[86:87], v[84:85], v[86:87]
	s_or_b64 vcc, vcc, s[10:11]
	v_pk_add_f32 v[112:113], v[80:81], v[86:87]
	v_mov_b32_e32 v83, v86
	v_mov_b32_e32 v85, v112
	v_pk_add_f32 v[114:115], v[84:85], v[132:133] neg_lo:[0,1] neg_hi:[0,1]
	s_nop 0
	v_sub_f32_e32 v80, v84, v114
	v_pk_add_f32 v[82:83], v[82:83], v[114:115] neg_lo:[0,1] neg_hi:[0,1]
	v_sub_f32_e32 v80, v132, v80
	v_add_f32_e32 v80, v82, v80
	v_add_f32_e32 v80, v80, v83
	;; [unrolled: 1-line block ×3, first 2 shown]
	v_cndmask_b32_e32 v80, v80, v101, vcc
	v_add_f32_e32 v80, v81, v80
.LBB121_256:
	s_or_b64 exec, exec, s[6:7]
	v_max_f32_e32 v81, v80, v80
	v_min_f32_e32 v82, v81, v116
	v_cmp_u_f32_e32 vcc, v80, v80
	v_max_f32_e32 v81, v81, v116
	s_nop 0
	v_cndmask_b32_e32 v82, v82, v80, vcc
	v_cndmask_b32_e32 v81, v81, v80, vcc
	v_cndmask_b32_e64 v83, v82, v25, s[40:41]
	v_cndmask_b32_e64 v82, v81, v25, s[40:41]
	v_cmp_neq_f32_e32 vcc, v83, v82
	v_cmp_class_f32_e64 s[6:7], v83, s8
	s_or_b64 s[8:9], vcc, s[6:7]
	v_mov_b32_e32 v81, v80
	s_and_saveexec_b64 s[6:7], s[8:9]
	s_cbranch_execz .LBB121_258
; %bb.257:
	v_sub_f32_e32 v81, v83, v82
	s_mov_b32 s8, 0x3fb8aa3b
	v_mul_f32_e32 v83, 0x3fb8aa3b, v81
	v_fma_f32 v84, v81, s8, -v83
	v_rndne_f32_e32 v85, v83
	v_fmamk_f32 v84, v81, 0x32a5705f, v84
	v_sub_f32_e32 v83, v83, v85
	v_add_f32_e32 v83, v83, v84
	v_exp_f32_e32 v83, v83
	v_cvt_i32_f32_e32 v84, v85
	s_mov_b32 s8, 0xc2ce8ed0
	v_cmp_ngt_f32_e32 vcc, s8, v81
	s_mov_b32 s8, 0x42b17218
	v_ldexp_f32 v83, v83, v84
	v_cndmask_b32_e32 v83, 0, v83, vcc
	v_mov_b32_e32 v84, 0x7f800000
	v_cmp_nlt_f32_e32 vcc, s8, v81
	s_mov_b32 s8, 0x3f2aaaab
	s_mov_b32 s9, 0x7f800000
	v_cndmask_b32_e32 v83, v84, v83, vcc
	v_add_f32_e32 v81, 1.0, v83
	v_add_f32_e32 v84, -1.0, v81
	v_sub_f32_e32 v85, v84, v81
	v_add_f32_e32 v85, 1.0, v85
	v_sub_f32_e32 v84, v83, v84
	v_add_f32_e32 v86, v84, v85
	v_frexp_mant_f32_e32 v87, v81
	v_cvt_f64_f32_e32 v[84:85], v81
	v_frexp_exp_i32_f64_e32 v84, v[84:85]
	v_cmp_gt_f32_e32 vcc, s8, v87
	s_mov_b32 s8, 0x3f317218
	s_nop 0
	v_subbrev_co_u32_e32 v101, vcc, 0, v84, vcc
	v_sub_u32_e32 v84, 0, v101
	v_ldexp_f32 v81, v81, v84
	v_ldexp_f32 v84, v86, v84
	v_add_f32_e32 v86, -1.0, v81
	v_add_f32_e32 v85, 1.0, v86
	v_sub_f32_e32 v85, v81, v85
	v_add_f32_e32 v87, v84, v85
	v_add_f32_e32 v85, 1.0, v81
	v_add_f32_e32 v112, -1.0, v85
	v_sub_f32_e32 v81, v81, v112
	v_add_f32_e32 v81, v84, v81
	v_add_f32_e32 v116, v85, v81
	v_rcp_f32_e32 v131, v116
	v_sub_f32_e32 v84, v85, v116
	v_add_f32_e32 v85, v86, v87
	v_add_f32_e32 v81, v81, v84
	v_mul_f32_e32 v133, v85, v131
	v_sub_f32_e32 v84, v86, v85
	v_mul_f32_e32 v86, v116, v133
	v_fma_f32 v112, v133, v116, -v86
	v_fmac_f32_e32 v112, v133, v81
	v_add_f32_e32 v132, v87, v84
	v_add_f32_e32 v84, v86, v112
	v_sub_f32_e32 v87, v85, v84
	v_pk_add_f32 v[114:115], v[84:85], v[86:87] neg_lo:[0,1] neg_hi:[0,1]
	v_mov_b32_e32 v113, v84
	v_pk_add_f32 v[84:85], v[114:115], v[112:113] neg_lo:[0,1] neg_hi:[0,1]
	v_cmp_eq_f32_e32 vcc, s9, v83
	v_add_f32_e32 v85, v132, v85
	v_add_f32_e32 v84, v84, v85
	;; [unrolled: 1-line block ×3, first 2 shown]
	v_mul_f32_e32 v132, v131, v85
	v_mul_f32_e32 v86, v116, v132
	v_fma_f32 v112, v132, v116, -v86
	v_fmac_f32_e32 v112, v132, v81
	v_sub_f32_e32 v81, v87, v85
	v_add_f32_e32 v81, v84, v81
	v_add_f32_e32 v84, v86, v112
	v_sub_f32_e32 v87, v85, v84
	v_pk_add_f32 v[114:115], v[84:85], v[86:87] neg_lo:[0,1] neg_hi:[0,1]
	v_mov_b32_e32 v113, v84
	v_pk_add_f32 v[84:85], v[114:115], v[112:113] neg_lo:[0,1] neg_hi:[0,1]
	v_cvt_f32_i32_e32 v86, v101
	v_add_f32_e32 v81, v81, v85
	v_add_f32_e32 v81, v84, v81
	;; [unrolled: 1-line block ×4, first 2 shown]
	v_sub_f32_e32 v85, v84, v133
	v_mul_f32_e32 v81, v131, v81
	v_sub_f32_e32 v85, v132, v85
	v_add_f32_e32 v81, v85, v81
	v_add_f32_e32 v87, v84, v81
	v_mul_f32_e32 v112, v87, v87
	v_mov_b32_e32 v85, 0x3ecc95a3
	v_fmac_f32_e32 v85, 0x3e9b6dac, v112
	v_sub_f32_e32 v84, v87, v84
	v_fmaak_f32 v85, v112, v85, 0x3f2aaada
	v_sub_f32_e32 v81, v81, v84
	v_ldexp_f32 v113, v87, 1
	v_mul_f32_e32 v87, v87, v112
	v_mov_b32_e32 v84, 0x3f317218
	v_pk_mul_f32 v[84:85], v[86:87], v[84:85]
	v_ldexp_f32 v81, v81, 1
	v_fma_f32 v87, v86, s8, -v84
	v_fmamk_f32 v112, v86, 0xb102e308, v87
	v_pk_add_f32 v[86:87], v[84:85], v[112:113]
	v_mov_b32_e32 v114, v84
	v_sub_f32_e32 v101, v87, v113
	v_sub_f32_e32 v101, v85, v101
	v_add_f32_e32 v115, v81, v101
	v_pk_add_f32 v[84:85], v[86:87], v[84:85] neg_lo:[0,1] neg_hi:[0,1]
	v_pk_add_f32 v[132:133], v[86:87], v[114:115]
	v_mov_b32_e32 v113, v86
	v_mov_b32_e32 v85, v133
	v_pk_add_f32 v[134:135], v[112:113], v[84:85] neg_lo:[0,1] neg_hi:[0,1]
	v_pk_add_f32 v[84:85], v[112:113], v[84:85]
	v_mov_b32_e32 v114, v115
	v_mov_b32_e32 v112, v85
	v_pk_add_f32 v[144:145], v[112:113], v[86:87] neg_lo:[0,1] neg_hi:[0,1]
	v_mov_b32_e32 v84, v133
	v_mov_b32_e32 v81, v144
	v_pk_add_f32 v[146:147], v[132:133], v[80:81] neg_lo:[0,1] neg_hi:[0,1]
	v_mov_b32_e32 v132, v87
	v_mov_b32_e32 v133, v144
	v_mov_b32_e32 v135, v85
	v_pk_add_f32 v[84:85], v[84:85], v[132:133] neg_lo:[0,1] neg_hi:[0,1]
	v_mov_b32_e32 v115, v86
	v_pk_add_f32 v[84:85], v[114:115], v[84:85] neg_lo:[0,1] neg_hi:[0,1]
	v_mov_b32_e32 v146, v134
	v_pk_add_f32 v[86:87], v[146:147], v[84:85]
	s_mov_b32 s8, 0x33800000
	v_mov_b32_e32 v114, v87
	v_pk_add_f32 v[114:115], v[86:87], v[114:115]
	v_cmp_lt_f32_e64 s[8:9], |v83|, s8
	v_pk_add_f32 v[112:113], v[112:113], v[114:115]
	v_mov_b32_e32 v85, v114
	v_mov_b32_e32 v87, v112
	v_pk_add_f32 v[132:133], v[86:87], v[134:135] neg_lo:[0,1] neg_hi:[0,1]
	s_or_b64 vcc, vcc, s[8:9]
	v_sub_f32_e32 v81, v86, v132
	v_pk_add_f32 v[84:85], v[84:85], v[132:133] neg_lo:[0,1] neg_hi:[0,1]
	v_sub_f32_e32 v81, v134, v81
	v_add_f32_e32 v81, v84, v81
	v_add_f32_e32 v81, v81, v85
	;; [unrolled: 1-line block ×3, first 2 shown]
	v_cndmask_b32_e32 v81, v81, v83, vcc
	v_add_f32_e32 v81, v82, v81
.LBB121_258:
	s_or_b64 exec, exec, s[6:7]
	v_max_f32_e32 v82, v81, v81
	v_min_f32_e32 v83, v82, v117
	v_cmp_u_f32_e32 vcc, v81, v81
	v_max_f32_e32 v82, v82, v117
	s_movk_i32 s8, 0x1f8
	v_cndmask_b32_e32 v83, v83, v81, vcc
	v_cndmask_b32_e32 v82, v82, v81, vcc
	v_cndmask_b32_e64 v84, v83, v26, s[42:43]
	v_cndmask_b32_e64 v83, v82, v26, s[42:43]
	v_cmp_neq_f32_e32 vcc, v84, v83
	v_cmp_class_f32_e64 s[6:7], v84, s8
	s_or_b64 s[10:11], vcc, s[6:7]
	v_mov_b32_e32 v82, v81
	s_and_saveexec_b64 s[6:7], s[10:11]
	s_cbranch_execz .LBB121_260
; %bb.259:
	v_sub_f32_e32 v82, v84, v83
	s_mov_b32 s9, 0x3fb8aa3b
	v_mul_f32_e32 v84, 0x3fb8aa3b, v82
	v_fma_f32 v85, v82, s9, -v84
	v_rndne_f32_e32 v86, v84
	v_fmamk_f32 v85, v82, 0x32a5705f, v85
	v_sub_f32_e32 v84, v84, v86
	v_add_f32_e32 v84, v84, v85
	v_exp_f32_e32 v84, v84
	v_cvt_i32_f32_e32 v85, v86
	s_mov_b32 s9, 0xc2ce8ed0
	v_cmp_ngt_f32_e32 vcc, s9, v82
	s_mov_b32 s9, 0x42b17218
	v_ldexp_f32 v84, v84, v85
	v_cndmask_b32_e32 v84, 0, v84, vcc
	v_mov_b32_e32 v85, 0x7f800000
	v_cmp_nlt_f32_e32 vcc, s9, v82
	s_mov_b32 s9, 0x3f2aaaab
	s_mov_b32 s10, 0x7f800000
	v_cndmask_b32_e32 v131, v85, v84, vcc
	v_add_f32_e32 v82, 1.0, v131
	v_add_f32_e32 v84, -1.0, v82
	v_sub_f32_e32 v85, v84, v82
	v_add_f32_e32 v85, 1.0, v85
	v_sub_f32_e32 v84, v131, v84
	v_add_f32_e32 v86, v84, v85
	v_frexp_mant_f32_e32 v87, v82
	v_cvt_f64_f32_e32 v[84:85], v82
	v_frexp_exp_i32_f64_e32 v84, v[84:85]
	v_cmp_gt_f32_e32 vcc, s9, v87
	s_mov_b32 s9, 0x3f317218
	s_nop 0
	v_subbrev_co_u32_e32 v101, vcc, 0, v84, vcc
	v_sub_u32_e32 v84, 0, v101
	v_ldexp_f32 v82, v82, v84
	v_ldexp_f32 v84, v86, v84
	v_add_f32_e32 v86, -1.0, v82
	v_add_f32_e32 v85, 1.0, v86
	v_sub_f32_e32 v85, v82, v85
	v_add_f32_e32 v87, v84, v85
	v_add_f32_e32 v85, 1.0, v82
	v_add_f32_e32 v112, -1.0, v85
	v_sub_f32_e32 v82, v82, v112
	v_add_f32_e32 v82, v84, v82
	v_add_f32_e32 v116, v85, v82
	v_rcp_f32_e32 v117, v116
	v_sub_f32_e32 v84, v85, v116
	v_add_f32_e32 v85, v86, v87
	v_add_f32_e32 v82, v82, v84
	v_mul_f32_e32 v133, v85, v117
	v_sub_f32_e32 v84, v86, v85
	v_mul_f32_e32 v86, v116, v133
	v_fma_f32 v112, v133, v116, -v86
	v_fmac_f32_e32 v112, v133, v82
	v_add_f32_e32 v132, v87, v84
	v_add_f32_e32 v84, v86, v112
	v_sub_f32_e32 v87, v85, v84
	v_pk_add_f32 v[114:115], v[84:85], v[86:87] neg_lo:[0,1] neg_hi:[0,1]
	v_mov_b32_e32 v113, v84
	v_pk_add_f32 v[84:85], v[114:115], v[112:113] neg_lo:[0,1] neg_hi:[0,1]
	v_cmp_eq_f32_e32 vcc, s10, v131
	v_add_f32_e32 v85, v132, v85
	v_add_f32_e32 v84, v84, v85
	;; [unrolled: 1-line block ×3, first 2 shown]
	v_mul_f32_e32 v132, v117, v85
	v_mul_f32_e32 v86, v116, v132
	v_fma_f32 v112, v132, v116, -v86
	v_fmac_f32_e32 v112, v132, v82
	v_sub_f32_e32 v82, v87, v85
	v_add_f32_e32 v82, v84, v82
	v_add_f32_e32 v84, v86, v112
	v_sub_f32_e32 v87, v85, v84
	v_pk_add_f32 v[114:115], v[84:85], v[86:87] neg_lo:[0,1] neg_hi:[0,1]
	v_mov_b32_e32 v113, v84
	v_pk_add_f32 v[84:85], v[114:115], v[112:113] neg_lo:[0,1] neg_hi:[0,1]
	v_cvt_f32_i32_e32 v86, v101
	v_add_f32_e32 v82, v82, v85
	v_add_f32_e32 v82, v84, v82
	;; [unrolled: 1-line block ×4, first 2 shown]
	v_sub_f32_e32 v85, v84, v133
	v_mul_f32_e32 v82, v117, v82
	v_sub_f32_e32 v85, v132, v85
	v_add_f32_e32 v82, v85, v82
	v_add_f32_e32 v87, v84, v82
	v_mul_f32_e32 v112, v87, v87
	v_mov_b32_e32 v85, 0x3ecc95a3
	v_fmac_f32_e32 v85, 0x3e9b6dac, v112
	v_sub_f32_e32 v84, v87, v84
	v_fmaak_f32 v85, v112, v85, 0x3f2aaada
	v_sub_f32_e32 v82, v82, v84
	v_ldexp_f32 v113, v87, 1
	v_mul_f32_e32 v87, v87, v112
	v_mov_b32_e32 v84, 0x3f317218
	v_pk_mul_f32 v[84:85], v[86:87], v[84:85]
	v_ldexp_f32 v82, v82, 1
	v_fma_f32 v87, v86, s9, -v84
	v_fmamk_f32 v112, v86, 0xb102e308, v87
	v_pk_add_f32 v[86:87], v[84:85], v[112:113]
	v_mov_b32_e32 v114, v84
	v_sub_f32_e32 v101, v87, v113
	v_sub_f32_e32 v101, v85, v101
	v_add_f32_e32 v115, v82, v101
	v_pk_add_f32 v[84:85], v[86:87], v[84:85] neg_lo:[0,1] neg_hi:[0,1]
	v_pk_add_f32 v[116:117], v[86:87], v[114:115]
	v_mov_b32_e32 v113, v86
	v_mov_b32_e32 v85, v117
	v_pk_add_f32 v[132:133], v[112:113], v[84:85] neg_lo:[0,1] neg_hi:[0,1]
	v_pk_add_f32 v[84:85], v[112:113], v[84:85]
	s_mov_b32 s9, 0x33800000
	v_mov_b32_e32 v82, v85
	v_pk_add_f32 v[112:113], v[82:83], v[86:87] neg_lo:[0,1] neg_hi:[0,1]
	v_mov_b32_e32 v84, v117
	v_mov_b32_e32 v101, v112
	v_pk_add_f32 v[134:135], v[116:117], v[100:101] neg_lo:[0,1] neg_hi:[0,1]
	v_mov_b32_e32 v116, v87
	v_mov_b32_e32 v117, v112
	;; [unrolled: 1-line block ×3, first 2 shown]
	v_pk_add_f32 v[84:85], v[84:85], v[116:117] neg_lo:[0,1] neg_hi:[0,1]
	v_mov_b32_e32 v112, v115
	v_mov_b32_e32 v113, v86
	v_pk_add_f32 v[84:85], v[112:113], v[84:85] neg_lo:[0,1] neg_hi:[0,1]
	v_mov_b32_e32 v134, v132
	v_pk_add_f32 v[86:87], v[134:135], v[84:85]
	v_cmp_lt_f32_e64 s[10:11], |v131|, s9
	v_mov_b32_e32 v112, v87
	v_pk_add_f32 v[112:113], v[86:87], v[112:113]
	s_or_b64 vcc, vcc, s[10:11]
	v_pk_add_f32 v[114:115], v[82:83], v[112:113]
	v_mov_b32_e32 v85, v112
	v_mov_b32_e32 v87, v114
	v_pk_add_f32 v[116:117], v[86:87], v[132:133] neg_lo:[0,1] neg_hi:[0,1]
	s_nop 0
	v_sub_f32_e32 v82, v86, v116
	v_pk_add_f32 v[84:85], v[84:85], v[116:117] neg_lo:[0,1] neg_hi:[0,1]
	v_sub_f32_e32 v82, v132, v82
	v_add_f32_e32 v82, v84, v82
	v_add_f32_e32 v82, v82, v85
	;; [unrolled: 1-line block ×3, first 2 shown]
	v_cndmask_b32_e32 v82, v82, v131, vcc
	v_add_f32_e32 v82, v83, v82
.LBB121_260:
	s_or_b64 exec, exec, s[6:7]
	v_max_f32_e32 v83, v82, v82
	v_min_f32_e32 v84, v83, v118
	v_cmp_u_f32_e32 vcc, v82, v82
	v_max_f32_e32 v83, v83, v118
	s_nop 0
	v_cndmask_b32_e32 v84, v84, v82, vcc
	v_cndmask_b32_e32 v83, v83, v82, vcc
	v_cndmask_b32_e64 v85, v84, v27, s[44:45]
	v_cndmask_b32_e64 v84, v83, v27, s[44:45]
	v_cmp_neq_f32_e32 vcc, v85, v84
	v_cmp_class_f32_e64 s[6:7], v85, s8
	s_or_b64 s[8:9], vcc, s[6:7]
	v_mov_b32_e32 v83, v82
	s_and_saveexec_b64 s[6:7], s[8:9]
	s_cbranch_execz .LBB121_262
; %bb.261:
	v_sub_f32_e32 v83, v85, v84
	s_mov_b32 s8, 0x3fb8aa3b
	v_mul_f32_e32 v85, 0x3fb8aa3b, v83
	v_fma_f32 v86, v83, s8, -v85
	v_rndne_f32_e32 v87, v85
	v_fmamk_f32 v86, v83, 0x32a5705f, v86
	v_sub_f32_e32 v85, v85, v87
	v_add_f32_e32 v85, v85, v86
	v_exp_f32_e32 v85, v85
	v_cvt_i32_f32_e32 v86, v87
	s_mov_b32 s8, 0xc2ce8ed0
	v_cmp_ngt_f32_e32 vcc, s8, v83
	s_mov_b32 s8, 0x42b17218
	v_ldexp_f32 v85, v85, v86
	v_cndmask_b32_e32 v85, 0, v85, vcc
	v_mov_b32_e32 v86, 0x7f800000
	v_cmp_nlt_f32_e32 vcc, s8, v83
	s_mov_b32 s8, 0x3f2aaaab
	s_mov_b32 s9, 0x7f800000
	v_cndmask_b32_e32 v85, v86, v85, vcc
	v_add_f32_e32 v83, 1.0, v85
	v_add_f32_e32 v86, -1.0, v83
	v_sub_f32_e32 v87, v86, v83
	v_add_f32_e32 v87, 1.0, v87
	v_sub_f32_e32 v86, v85, v86
	v_add_f32_e32 v101, v86, v87
	v_frexp_mant_f32_e32 v112, v83
	v_cvt_f64_f32_e32 v[86:87], v83
	v_frexp_exp_i32_f64_e32 v86, v[86:87]
	v_cmp_gt_f32_e32 vcc, s8, v112
	s_mov_b32 s8, 0x3f317218
	s_nop 0
	v_subbrev_co_u32_e32 v118, vcc, 0, v86, vcc
	v_sub_u32_e32 v86, 0, v118
	v_ldexp_f32 v83, v83, v86
	v_ldexp_f32 v86, v101, v86
	v_add_f32_e32 v101, -1.0, v83
	v_add_f32_e32 v87, 1.0, v101
	v_sub_f32_e32 v87, v83, v87
	v_add_f32_e32 v112, v86, v87
	v_add_f32_e32 v87, 1.0, v83
	v_add_f32_e32 v113, -1.0, v87
	v_sub_f32_e32 v83, v83, v113
	v_add_f32_e32 v83, v86, v83
	v_add_f32_e32 v131, v87, v83
	v_rcp_f32_e32 v132, v131
	v_sub_f32_e32 v86, v87, v131
	v_add_f32_e32 v87, v101, v112
	v_add_f32_e32 v83, v83, v86
	v_sub_f32_e32 v86, v101, v87
	v_mul_f32_e32 v133, v87, v132
	v_add_f32_e32 v101, v112, v86
	v_mul_f32_e32 v112, v131, v133
	v_fma_f32 v114, v133, v131, -v112
	v_fmac_f32_e32 v114, v133, v83
	v_add_f32_e32 v86, v112, v114
	v_sub_f32_e32 v113, v87, v86
	v_pk_add_f32 v[116:117], v[86:87], v[112:113] neg_lo:[0,1] neg_hi:[0,1]
	v_mov_b32_e32 v115, v86
	v_pk_add_f32 v[86:87], v[116:117], v[114:115] neg_lo:[0,1] neg_hi:[0,1]
	v_cmp_eq_f32_e32 vcc, s9, v85
	v_add_f32_e32 v87, v101, v87
	v_add_f32_e32 v86, v86, v87
	;; [unrolled: 1-line block ×3, first 2 shown]
	v_mul_f32_e32 v101, v132, v87
	v_mul_f32_e32 v112, v131, v101
	v_fma_f32 v114, v101, v131, -v112
	v_fmac_f32_e32 v114, v101, v83
	v_sub_f32_e32 v83, v113, v87
	v_add_f32_e32 v83, v86, v83
	v_add_f32_e32 v86, v112, v114
	v_sub_f32_e32 v113, v87, v86
	v_pk_add_f32 v[116:117], v[86:87], v[112:113] neg_lo:[0,1] neg_hi:[0,1]
	v_mov_b32_e32 v115, v86
	v_pk_add_f32 v[86:87], v[116:117], v[114:115] neg_lo:[0,1] neg_hi:[0,1]
	v_cvt_f32_i32_e32 v112, v118
	v_add_f32_e32 v83, v83, v87
	v_add_f32_e32 v83, v86, v83
	v_add_f32_e32 v86, v133, v101
	v_add_f32_e32 v83, v113, v83
	v_sub_f32_e32 v87, v86, v133
	v_mul_f32_e32 v83, v132, v83
	v_sub_f32_e32 v87, v101, v87
	v_add_f32_e32 v83, v87, v83
	v_add_f32_e32 v101, v86, v83
	v_mul_f32_e32 v113, v101, v101
	v_mov_b32_e32 v87, 0x3ecc95a3
	v_fmac_f32_e32 v87, 0x3e9b6dac, v113
	v_sub_f32_e32 v86, v101, v86
	v_fmaak_f32 v87, v113, v87, 0x3f2aaada
	v_sub_f32_e32 v83, v83, v86
	v_mul_f32_e32 v113, v101, v113
	v_mov_b32_e32 v86, 0x3f317218
	v_pk_mul_f32 v[86:87], v[112:113], v[86:87]
	v_ldexp_f32 v115, v101, 1
	v_fma_f32 v101, v112, s8, -v86
	v_fmamk_f32 v114, v112, 0xb102e308, v101
	v_pk_add_f32 v[112:113], v[86:87], v[114:115]
	v_ldexp_f32 v83, v83, 1
	v_sub_f32_e32 v101, v113, v115
	v_sub_f32_e32 v101, v87, v101
	v_add_f32_e32 v117, v83, v101
	v_mov_b32_e32 v116, v86
	v_pk_add_f32 v[86:87], v[112:113], v[86:87] neg_lo:[0,1] neg_hi:[0,1]
	v_pk_add_f32 v[132:133], v[112:113], v[116:117]
	v_mov_b32_e32 v115, v112
	v_mov_b32_e32 v87, v133
	v_pk_add_f32 v[134:135], v[114:115], v[86:87] neg_lo:[0,1] neg_hi:[0,1]
	v_pk_add_f32 v[86:87], v[114:115], v[86:87]
	v_mov_b32_e32 v116, v117
	v_mov_b32_e32 v114, v87
	v_pk_add_f32 v[144:145], v[114:115], v[112:113] neg_lo:[0,1] neg_hi:[0,1]
	v_mov_b32_e32 v86, v133
	v_mov_b32_e32 v83, v144
	v_pk_add_f32 v[146:147], v[132:133], v[82:83] neg_lo:[0,1] neg_hi:[0,1]
	v_mov_b32_e32 v132, v113
	v_mov_b32_e32 v133, v144
	;; [unrolled: 1-line block ×3, first 2 shown]
	v_pk_add_f32 v[86:87], v[86:87], v[132:133] neg_lo:[0,1] neg_hi:[0,1]
	v_mov_b32_e32 v117, v112
	v_pk_add_f32 v[86:87], v[116:117], v[86:87] neg_lo:[0,1] neg_hi:[0,1]
	v_mov_b32_e32 v146, v134
	v_pk_add_f32 v[112:113], v[146:147], v[86:87]
	s_mov_b32 s8, 0x33800000
	v_mov_b32_e32 v116, v113
	v_pk_add_f32 v[116:117], v[112:113], v[116:117]
	v_cmp_lt_f32_e64 s[8:9], |v85|, s8
	v_pk_add_f32 v[114:115], v[114:115], v[116:117]
	v_mov_b32_e32 v87, v116
	v_mov_b32_e32 v113, v114
	v_pk_add_f32 v[132:133], v[112:113], v[134:135] neg_lo:[0,1] neg_hi:[0,1]
	s_or_b64 vcc, vcc, s[8:9]
	v_sub_f32_e32 v83, v112, v132
	v_pk_add_f32 v[86:87], v[86:87], v[132:133] neg_lo:[0,1] neg_hi:[0,1]
	v_sub_f32_e32 v83, v134, v83
	v_add_f32_e32 v83, v86, v83
	v_add_f32_e32 v83, v83, v87
	;; [unrolled: 1-line block ×3, first 2 shown]
	v_cndmask_b32_e32 v83, v83, v85, vcc
	v_add_f32_e32 v83, v84, v83
.LBB121_262:
	s_or_b64 exec, exec, s[6:7]
	v_max_f32_e32 v84, v83, v83
	v_min_f32_e32 v85, v84, v119
	v_cmp_u_f32_e32 vcc, v83, v83
	v_max_f32_e32 v84, v84, v119
	s_movk_i32 s8, 0x1f8
	v_cndmask_b32_e32 v85, v85, v83, vcc
	v_cndmask_b32_e32 v84, v84, v83, vcc
	v_cndmask_b32_e64 v86, v85, v20, s[46:47]
	v_cndmask_b32_e64 v85, v84, v20, s[46:47]
	v_cmp_neq_f32_e32 vcc, v86, v85
	v_cmp_class_f32_e64 s[6:7], v86, s8
	s_or_b64 s[10:11], vcc, s[6:7]
	v_mov_b32_e32 v84, v83
	s_and_saveexec_b64 s[6:7], s[10:11]
	s_cbranch_execz .LBB121_264
; %bb.263:
	v_sub_f32_e32 v84, v86, v85
	s_mov_b32 s9, 0x3fb8aa3b
	v_mul_f32_e32 v86, 0x3fb8aa3b, v84
	v_fma_f32 v87, v84, s9, -v86
	v_rndne_f32_e32 v101, v86
	v_fmamk_f32 v87, v84, 0x32a5705f, v87
	v_sub_f32_e32 v86, v86, v101
	v_add_f32_e32 v86, v86, v87
	v_exp_f32_e32 v86, v86
	v_cvt_i32_f32_e32 v87, v101
	s_mov_b32 s9, 0xc2ce8ed0
	v_cmp_ngt_f32_e32 vcc, s9, v84
	s_mov_b32 s9, 0x42b17218
	v_ldexp_f32 v86, v86, v87
	v_cndmask_b32_e32 v86, 0, v86, vcc
	v_mov_b32_e32 v87, 0x7f800000
	v_cmp_nlt_f32_e32 vcc, s9, v84
	s_mov_b32 s9, 0x3f2aaaab
	s_mov_b32 s10, 0x7f800000
	v_cndmask_b32_e32 v131, v87, v86, vcc
	v_add_f32_e32 v84, 1.0, v131
	v_add_f32_e32 v86, -1.0, v84
	v_sub_f32_e32 v87, v86, v84
	v_add_f32_e32 v87, 1.0, v87
	v_sub_f32_e32 v86, v131, v86
	v_add_f32_e32 v101, v86, v87
	v_frexp_mant_f32_e32 v112, v84
	v_cvt_f64_f32_e32 v[86:87], v84
	v_frexp_exp_i32_f64_e32 v86, v[86:87]
	v_cmp_gt_f32_e32 vcc, s9, v112
	s_mov_b32 s9, 0x3f317218
	s_nop 0
	v_subbrev_co_u32_e32 v118, vcc, 0, v86, vcc
	v_sub_u32_e32 v86, 0, v118
	v_ldexp_f32 v84, v84, v86
	v_ldexp_f32 v86, v101, v86
	v_add_f32_e32 v101, -1.0, v84
	v_add_f32_e32 v87, 1.0, v101
	v_sub_f32_e32 v87, v84, v87
	v_add_f32_e32 v112, v86, v87
	v_add_f32_e32 v87, 1.0, v84
	v_add_f32_e32 v113, -1.0, v87
	v_sub_f32_e32 v84, v84, v113
	v_add_f32_e32 v84, v86, v84
	v_add_f32_e32 v119, v87, v84
	v_rcp_f32_e32 v132, v119
	v_sub_f32_e32 v86, v87, v119
	v_add_f32_e32 v87, v101, v112
	v_add_f32_e32 v84, v84, v86
	v_sub_f32_e32 v86, v101, v87
	v_mul_f32_e32 v133, v87, v132
	v_add_f32_e32 v101, v112, v86
	v_mul_f32_e32 v112, v119, v133
	v_fma_f32 v114, v133, v119, -v112
	v_fmac_f32_e32 v114, v133, v84
	v_add_f32_e32 v86, v112, v114
	v_sub_f32_e32 v113, v87, v86
	v_pk_add_f32 v[116:117], v[86:87], v[112:113] neg_lo:[0,1] neg_hi:[0,1]
	v_mov_b32_e32 v115, v86
	v_pk_add_f32 v[86:87], v[116:117], v[114:115] neg_lo:[0,1] neg_hi:[0,1]
	v_cmp_eq_f32_e32 vcc, s10, v131
	v_add_f32_e32 v87, v101, v87
	v_add_f32_e32 v86, v86, v87
	;; [unrolled: 1-line block ×3, first 2 shown]
	v_mul_f32_e32 v101, v132, v87
	v_mul_f32_e32 v112, v119, v101
	v_fma_f32 v114, v101, v119, -v112
	v_fmac_f32_e32 v114, v101, v84
	v_sub_f32_e32 v84, v113, v87
	v_add_f32_e32 v84, v86, v84
	v_add_f32_e32 v86, v112, v114
	v_sub_f32_e32 v113, v87, v86
	v_pk_add_f32 v[116:117], v[86:87], v[112:113] neg_lo:[0,1] neg_hi:[0,1]
	v_mov_b32_e32 v115, v86
	v_pk_add_f32 v[86:87], v[116:117], v[114:115] neg_lo:[0,1] neg_hi:[0,1]
	v_cvt_f32_i32_e32 v112, v118
	v_add_f32_e32 v84, v84, v87
	v_add_f32_e32 v84, v86, v84
	;; [unrolled: 1-line block ×4, first 2 shown]
	v_sub_f32_e32 v87, v86, v133
	v_mul_f32_e32 v84, v132, v84
	v_sub_f32_e32 v87, v101, v87
	v_add_f32_e32 v84, v87, v84
	v_add_f32_e32 v101, v86, v84
	v_mul_f32_e32 v113, v101, v101
	v_mov_b32_e32 v87, 0x3ecc95a3
	v_fmac_f32_e32 v87, 0x3e9b6dac, v113
	v_sub_f32_e32 v86, v101, v86
	v_fmaak_f32 v87, v113, v87, 0x3f2aaada
	v_sub_f32_e32 v84, v84, v86
	v_mul_f32_e32 v113, v101, v113
	v_mov_b32_e32 v86, 0x3f317218
	v_pk_mul_f32 v[86:87], v[112:113], v[86:87]
	v_ldexp_f32 v115, v101, 1
	v_fma_f32 v101, v112, s9, -v86
	v_fmamk_f32 v114, v112, 0xb102e308, v101
	v_pk_add_f32 v[112:113], v[86:87], v[114:115]
	v_ldexp_f32 v84, v84, 1
	v_sub_f32_e32 v101, v113, v115
	v_sub_f32_e32 v101, v87, v101
	v_add_f32_e32 v117, v84, v101
	v_mov_b32_e32 v116, v86
	v_pk_add_f32 v[86:87], v[112:113], v[86:87] neg_lo:[0,1] neg_hi:[0,1]
	v_pk_add_f32 v[118:119], v[112:113], v[116:117]
	v_mov_b32_e32 v115, v112
	v_mov_b32_e32 v87, v119
	v_pk_add_f32 v[132:133], v[114:115], v[86:87] neg_lo:[0,1] neg_hi:[0,1]
	v_pk_add_f32 v[86:87], v[114:115], v[86:87]
	s_mov_b32 s9, 0x33800000
	v_mov_b32_e32 v84, v87
	v_pk_add_f32 v[114:115], v[84:85], v[112:113] neg_lo:[0,1] neg_hi:[0,1]
	v_mov_b32_e32 v86, v119
	v_mov_b32_e32 v101, v114
	v_pk_add_f32 v[134:135], v[118:119], v[100:101] neg_lo:[0,1] neg_hi:[0,1]
	v_mov_b32_e32 v118, v113
	v_mov_b32_e32 v119, v114
	;; [unrolled: 1-line block ×3, first 2 shown]
	v_pk_add_f32 v[86:87], v[86:87], v[118:119] neg_lo:[0,1] neg_hi:[0,1]
	v_mov_b32_e32 v114, v117
	v_mov_b32_e32 v115, v112
	v_pk_add_f32 v[86:87], v[114:115], v[86:87] neg_lo:[0,1] neg_hi:[0,1]
	v_mov_b32_e32 v134, v132
	v_pk_add_f32 v[112:113], v[134:135], v[86:87]
	v_cmp_lt_f32_e64 s[10:11], |v131|, s9
	v_mov_b32_e32 v114, v113
	v_pk_add_f32 v[114:115], v[112:113], v[114:115]
	s_or_b64 vcc, vcc, s[10:11]
	v_pk_add_f32 v[116:117], v[84:85], v[114:115]
	v_mov_b32_e32 v87, v114
	v_mov_b32_e32 v113, v116
	v_pk_add_f32 v[118:119], v[112:113], v[132:133] neg_lo:[0,1] neg_hi:[0,1]
	s_nop 0
	v_sub_f32_e32 v84, v112, v118
	v_pk_add_f32 v[86:87], v[86:87], v[118:119] neg_lo:[0,1] neg_hi:[0,1]
	v_sub_f32_e32 v84, v132, v84
	v_add_f32_e32 v84, v86, v84
	v_add_f32_e32 v84, v84, v87
	;; [unrolled: 1-line block ×3, first 2 shown]
	v_cndmask_b32_e32 v84, v84, v131, vcc
	v_add_f32_e32 v84, v85, v84
.LBB121_264:
	s_or_b64 exec, exec, s[6:7]
	v_max_f32_e32 v85, v84, v84
	v_min_f32_e32 v86, v85, v128
	v_cmp_u_f32_e32 vcc, v84, v84
	v_max_f32_e32 v85, v85, v128
	s_nop 0
	v_cndmask_b32_e32 v86, v86, v84, vcc
	v_cndmask_b32_e32 v85, v85, v84, vcc
	v_cndmask_b32_e64 v87, v86, v21, s[48:49]
	v_cndmask_b32_e64 v86, v85, v21, s[48:49]
	v_cmp_neq_f32_e32 vcc, v87, v86
	v_cmp_class_f32_e64 s[6:7], v87, s8
	s_or_b64 s[8:9], vcc, s[6:7]
	v_mov_b32_e32 v85, v84
	s_and_saveexec_b64 s[6:7], s[8:9]
	s_cbranch_execz .LBB121_266
; %bb.265:
	v_sub_f32_e32 v85, v87, v86
	s_mov_b32 s8, 0x3fb8aa3b
	v_mul_f32_e32 v87, 0x3fb8aa3b, v85
	v_fma_f32 v101, v85, s8, -v87
	v_rndne_f32_e32 v112, v87
	v_fmamk_f32 v101, v85, 0x32a5705f, v101
	v_sub_f32_e32 v87, v87, v112
	v_add_f32_e32 v87, v87, v101
	v_exp_f32_e32 v87, v87
	v_cvt_i32_f32_e32 v101, v112
	s_mov_b32 s8, 0xc2ce8ed0
	v_cmp_ngt_f32_e32 vcc, s8, v85
	s_mov_b32 s8, 0x42b17218
	v_ldexp_f32 v87, v87, v101
	v_cndmask_b32_e32 v87, 0, v87, vcc
	v_mov_b32_e32 v101, 0x7f800000
	v_cmp_nlt_f32_e32 vcc, s8, v85
	s_mov_b32 s8, 0x3f2aaaab
	s_mov_b32 s9, 0x7f800000
	v_cndmask_b32_e32 v87, v101, v87, vcc
	v_add_f32_e32 v85, 1.0, v87
	v_add_f32_e32 v101, -1.0, v85
	v_sub_f32_e32 v112, v101, v85
	v_add_f32_e32 v112, 1.0, v112
	v_sub_f32_e32 v101, v87, v101
	v_add_f32_e32 v101, v101, v112
	v_frexp_mant_f32_e32 v114, v85
	v_cvt_f64_f32_e32 v[112:113], v85
	v_frexp_exp_i32_f64_e32 v112, v[112:113]
	v_cmp_gt_f32_e32 vcc, s8, v114
	s_mov_b32 s8, 0x3f317218
	s_nop 0
	v_subbrev_co_u32_e32 v128, vcc, 0, v112, vcc
	v_sub_u32_e32 v112, 0, v128
	v_ldexp_f32 v85, v85, v112
	v_ldexp_f32 v101, v101, v112
	v_add_f32_e32 v112, -1.0, v85
	v_add_f32_e32 v113, 1.0, v112
	v_sub_f32_e32 v113, v85, v113
	v_add_f32_e32 v114, v101, v113
	v_add_f32_e32 v113, 1.0, v85
	v_add_f32_e32 v115, -1.0, v113
	v_sub_f32_e32 v85, v85, v115
	v_add_f32_e32 v85, v101, v85
	v_add_f32_e32 v101, v113, v85
	v_rcp_f32_e32 v131, v101
	v_sub_f32_e32 v113, v113, v101
	v_add_f32_e32 v85, v85, v113
	v_add_f32_e32 v113, v112, v114
	v_sub_f32_e32 v112, v112, v113
	v_mul_f32_e32 v133, v113, v131
	v_add_f32_e32 v132, v114, v112
	v_mul_f32_e32 v114, v101, v133
	v_fma_f32 v116, v133, v101, -v114
	v_fmac_f32_e32 v116, v133, v85
	v_add_f32_e32 v112, v114, v116
	v_sub_f32_e32 v115, v113, v112
	v_pk_add_f32 v[118:119], v[112:113], v[114:115] neg_lo:[0,1] neg_hi:[0,1]
	v_mov_b32_e32 v117, v112
	v_pk_add_f32 v[112:113], v[118:119], v[116:117] neg_lo:[0,1] neg_hi:[0,1]
	v_cmp_eq_f32_e32 vcc, s9, v87
	v_add_f32_e32 v113, v132, v113
	v_add_f32_e32 v112, v112, v113
	;; [unrolled: 1-line block ×3, first 2 shown]
	v_mul_f32_e32 v132, v131, v113
	v_mul_f32_e32 v114, v101, v132
	v_fma_f32 v116, v132, v101, -v114
	v_fmac_f32_e32 v116, v132, v85
	v_sub_f32_e32 v85, v115, v113
	v_add_f32_e32 v85, v112, v85
	v_add_f32_e32 v112, v114, v116
	v_sub_f32_e32 v115, v113, v112
	v_pk_add_f32 v[118:119], v[112:113], v[114:115] neg_lo:[0,1] neg_hi:[0,1]
	v_mov_b32_e32 v117, v112
	v_pk_add_f32 v[112:113], v[118:119], v[116:117] neg_lo:[0,1] neg_hi:[0,1]
	v_add_f32_e32 v101, v133, v132
	v_add_f32_e32 v85, v85, v113
	;; [unrolled: 1-line block ×4, first 2 shown]
	v_sub_f32_e32 v112, v101, v133
	v_mul_f32_e32 v85, v131, v85
	v_sub_f32_e32 v112, v132, v112
	v_add_f32_e32 v85, v112, v85
	v_add_f32_e32 v112, v101, v85
	v_cvt_f32_i32_e32 v114, v128
	v_mul_f32_e32 v115, v112, v112
	v_mov_b32_e32 v113, 0x3ecc95a3
	v_fmac_f32_e32 v113, 0x3e9b6dac, v115
	v_fmaak_f32 v113, v115, v113, 0x3f2aaada
	v_sub_f32_e32 v101, v112, v101
	v_ldexp_f32 v117, v112, 1
	v_mul_f32_e32 v115, v112, v115
	v_mov_b32_e32 v112, 0x3f317218
	v_pk_mul_f32 v[112:113], v[114:115], v[112:113]
	v_sub_f32_e32 v85, v85, v101
	v_fma_f32 v101, v114, s8, -v112
	v_fmamk_f32 v116, v114, 0xb102e308, v101
	v_pk_add_f32 v[114:115], v[112:113], v[116:117]
	v_ldexp_f32 v85, v85, 1
	v_sub_f32_e32 v101, v115, v117
	v_sub_f32_e32 v101, v113, v101
	v_add_f32_e32 v119, v85, v101
	v_mov_b32_e32 v118, v112
	v_pk_add_f32 v[112:113], v[114:115], v[112:113] neg_lo:[0,1] neg_hi:[0,1]
	v_pk_add_f32 v[132:133], v[114:115], v[118:119]
	v_mov_b32_e32 v117, v114
	v_mov_b32_e32 v113, v133
	v_pk_add_f32 v[134:135], v[116:117], v[112:113] neg_lo:[0,1] neg_hi:[0,1]
	v_pk_add_f32 v[112:113], v[116:117], v[112:113]
	v_mov_b32_e32 v118, v119
	v_mov_b32_e32 v116, v113
	v_pk_add_f32 v[144:145], v[116:117], v[114:115] neg_lo:[0,1] neg_hi:[0,1]
	v_mov_b32_e32 v112, v133
	v_mov_b32_e32 v85, v144
	v_pk_add_f32 v[146:147], v[132:133], v[84:85] neg_lo:[0,1] neg_hi:[0,1]
	v_mov_b32_e32 v132, v115
	v_mov_b32_e32 v133, v144
	;; [unrolled: 1-line block ×3, first 2 shown]
	v_pk_add_f32 v[112:113], v[112:113], v[132:133] neg_lo:[0,1] neg_hi:[0,1]
	v_mov_b32_e32 v119, v114
	v_pk_add_f32 v[112:113], v[118:119], v[112:113] neg_lo:[0,1] neg_hi:[0,1]
	v_mov_b32_e32 v146, v134
	v_pk_add_f32 v[114:115], v[146:147], v[112:113]
	s_mov_b32 s8, 0x33800000
	v_mov_b32_e32 v118, v115
	v_pk_add_f32 v[118:119], v[114:115], v[118:119]
	v_cmp_lt_f32_e64 s[8:9], |v87|, s8
	v_pk_add_f32 v[116:117], v[116:117], v[118:119]
	v_mov_b32_e32 v113, v118
	v_mov_b32_e32 v115, v116
	v_pk_add_f32 v[132:133], v[114:115], v[134:135] neg_lo:[0,1] neg_hi:[0,1]
	s_or_b64 vcc, vcc, s[8:9]
	v_sub_f32_e32 v85, v114, v132
	v_pk_add_f32 v[112:113], v[112:113], v[132:133] neg_lo:[0,1] neg_hi:[0,1]
	v_sub_f32_e32 v85, v134, v85
	v_add_f32_e32 v85, v112, v85
	v_add_f32_e32 v85, v85, v113
	v_add_f32_e32 v85, v116, v85
	v_cndmask_b32_e32 v85, v85, v87, vcc
	v_add_f32_e32 v85, v86, v85
.LBB121_266:
	s_or_b64 exec, exec, s[6:7]
	v_max_f32_e32 v86, v85, v85
	v_min_f32_e32 v87, v86, v129
	v_cmp_u_f32_e32 vcc, v85, v85
	v_max_f32_e32 v86, v86, v129
	s_movk_i32 s8, 0x1f8
	v_cndmask_b32_e32 v87, v87, v85, vcc
	v_cndmask_b32_e32 v86, v86, v85, vcc
	v_cndmask_b32_e64 v101, v87, v22, s[50:51]
	v_cndmask_b32_e64 v87, v86, v22, s[50:51]
	v_cmp_neq_f32_e32 vcc, v101, v87
	v_cmp_class_f32_e64 s[6:7], v101, s8
	s_or_b64 s[10:11], vcc, s[6:7]
	v_mov_b32_e32 v86, v85
	s_and_saveexec_b64 s[6:7], s[10:11]
	s_cbranch_execz .LBB121_268
; %bb.267:
	v_sub_f32_e32 v86, v101, v87
	s_mov_b32 s9, 0x3fb8aa3b
	v_mul_f32_e32 v101, 0x3fb8aa3b, v86
	v_fma_f32 v112, v86, s9, -v101
	v_rndne_f32_e32 v113, v101
	v_fmamk_f32 v112, v86, 0x32a5705f, v112
	v_sub_f32_e32 v101, v101, v113
	v_add_f32_e32 v101, v101, v112
	v_exp_f32_e32 v101, v101
	v_cvt_i32_f32_e32 v112, v113
	s_mov_b32 s9, 0xc2ce8ed0
	v_cmp_ngt_f32_e32 vcc, s9, v86
	s_mov_b32 s9, 0x42b17218
	v_ldexp_f32 v101, v101, v112
	v_cndmask_b32_e32 v101, 0, v101, vcc
	v_mov_b32_e32 v112, 0x7f800000
	v_cmp_nlt_f32_e32 vcc, s9, v86
	s_mov_b32 s9, 0x3f2aaaab
	s_mov_b32 s10, 0x7f800000
	v_cndmask_b32_e32 v131, v112, v101, vcc
	v_add_f32_e32 v86, 1.0, v131
	v_add_f32_e32 v101, -1.0, v86
	v_sub_f32_e32 v112, v101, v86
	v_add_f32_e32 v112, 1.0, v112
	v_sub_f32_e32 v101, v131, v101
	v_add_f32_e32 v101, v101, v112
	v_frexp_mant_f32_e32 v114, v86
	v_cvt_f64_f32_e32 v[112:113], v86
	v_frexp_exp_i32_f64_e32 v112, v[112:113]
	v_cmp_gt_f32_e32 vcc, s9, v114
	s_mov_b32 s9, 0x3f317218
	s_nop 0
	v_subbrev_co_u32_e32 v128, vcc, 0, v112, vcc
	v_sub_u32_e32 v112, 0, v128
	v_ldexp_f32 v86, v86, v112
	v_ldexp_f32 v101, v101, v112
	v_add_f32_e32 v112, -1.0, v86
	v_add_f32_e32 v113, 1.0, v112
	v_sub_f32_e32 v113, v86, v113
	v_add_f32_e32 v114, v101, v113
	v_add_f32_e32 v113, 1.0, v86
	v_add_f32_e32 v115, -1.0, v113
	v_sub_f32_e32 v86, v86, v115
	v_add_f32_e32 v86, v101, v86
	v_add_f32_e32 v101, v113, v86
	v_rcp_f32_e32 v129, v101
	v_sub_f32_e32 v113, v113, v101
	v_add_f32_e32 v86, v86, v113
	v_add_f32_e32 v113, v112, v114
	v_sub_f32_e32 v112, v112, v113
	v_mul_f32_e32 v133, v113, v129
	v_add_f32_e32 v132, v114, v112
	v_mul_f32_e32 v114, v101, v133
	v_fma_f32 v116, v133, v101, -v114
	v_fmac_f32_e32 v116, v133, v86
	v_add_f32_e32 v112, v114, v116
	v_sub_f32_e32 v115, v113, v112
	v_pk_add_f32 v[118:119], v[112:113], v[114:115] neg_lo:[0,1] neg_hi:[0,1]
	v_mov_b32_e32 v117, v112
	v_pk_add_f32 v[112:113], v[118:119], v[116:117] neg_lo:[0,1] neg_hi:[0,1]
	v_cmp_eq_f32_e32 vcc, s10, v131
	v_add_f32_e32 v113, v132, v113
	v_add_f32_e32 v112, v112, v113
	;; [unrolled: 1-line block ×3, first 2 shown]
	v_mul_f32_e32 v132, v129, v113
	v_mul_f32_e32 v114, v101, v132
	v_fma_f32 v116, v132, v101, -v114
	v_fmac_f32_e32 v116, v132, v86
	v_sub_f32_e32 v86, v115, v113
	v_add_f32_e32 v86, v112, v86
	v_add_f32_e32 v112, v114, v116
	v_sub_f32_e32 v115, v113, v112
	v_pk_add_f32 v[118:119], v[112:113], v[114:115] neg_lo:[0,1] neg_hi:[0,1]
	v_mov_b32_e32 v117, v112
	v_pk_add_f32 v[112:113], v[118:119], v[116:117] neg_lo:[0,1] neg_hi:[0,1]
	v_add_f32_e32 v101, v133, v132
	v_add_f32_e32 v86, v86, v113
	;; [unrolled: 1-line block ×4, first 2 shown]
	v_sub_f32_e32 v112, v101, v133
	v_mul_f32_e32 v86, v129, v86
	v_sub_f32_e32 v112, v132, v112
	v_add_f32_e32 v86, v112, v86
	v_add_f32_e32 v112, v101, v86
	v_cvt_f32_i32_e32 v114, v128
	v_mul_f32_e32 v115, v112, v112
	v_mov_b32_e32 v113, 0x3ecc95a3
	v_fmac_f32_e32 v113, 0x3e9b6dac, v115
	v_fmaak_f32 v113, v115, v113, 0x3f2aaada
	v_sub_f32_e32 v101, v112, v101
	v_ldexp_f32 v117, v112, 1
	v_mul_f32_e32 v115, v112, v115
	v_mov_b32_e32 v112, 0x3f317218
	v_pk_mul_f32 v[112:113], v[114:115], v[112:113]
	v_sub_f32_e32 v86, v86, v101
	v_fma_f32 v101, v114, s9, -v112
	v_fmamk_f32 v116, v114, 0xb102e308, v101
	v_pk_add_f32 v[114:115], v[112:113], v[116:117]
	v_ldexp_f32 v86, v86, 1
	v_sub_f32_e32 v101, v115, v117
	v_sub_f32_e32 v101, v113, v101
	v_add_f32_e32 v119, v86, v101
	v_mov_b32_e32 v118, v112
	v_pk_add_f32 v[112:113], v[114:115], v[112:113] neg_lo:[0,1] neg_hi:[0,1]
	v_pk_add_f32 v[128:129], v[114:115], v[118:119]
	v_mov_b32_e32 v117, v114
	v_mov_b32_e32 v113, v129
	v_pk_add_f32 v[132:133], v[116:117], v[112:113] neg_lo:[0,1] neg_hi:[0,1]
	v_pk_add_f32 v[112:113], v[116:117], v[112:113]
	s_mov_b32 s9, 0x33800000
	v_mov_b32_e32 v86, v113
	v_pk_add_f32 v[116:117], v[86:87], v[114:115] neg_lo:[0,1] neg_hi:[0,1]
	v_mov_b32_e32 v112, v129
	v_mov_b32_e32 v101, v116
	v_pk_add_f32 v[134:135], v[128:129], v[100:101] neg_lo:[0,1] neg_hi:[0,1]
	v_mov_b32_e32 v128, v115
	v_mov_b32_e32 v129, v116
	;; [unrolled: 1-line block ×3, first 2 shown]
	v_pk_add_f32 v[112:113], v[112:113], v[128:129] neg_lo:[0,1] neg_hi:[0,1]
	v_mov_b32_e32 v116, v119
	v_mov_b32_e32 v117, v114
	v_pk_add_f32 v[112:113], v[116:117], v[112:113] neg_lo:[0,1] neg_hi:[0,1]
	v_mov_b32_e32 v134, v132
	v_pk_add_f32 v[114:115], v[134:135], v[112:113]
	v_cmp_lt_f32_e64 s[10:11], |v131|, s9
	v_mov_b32_e32 v116, v115
	v_pk_add_f32 v[116:117], v[114:115], v[116:117]
	s_or_b64 vcc, vcc, s[10:11]
	v_pk_add_f32 v[118:119], v[86:87], v[116:117]
	v_mov_b32_e32 v113, v116
	v_mov_b32_e32 v115, v118
	v_pk_add_f32 v[128:129], v[114:115], v[132:133] neg_lo:[0,1] neg_hi:[0,1]
	s_nop 0
	v_sub_f32_e32 v86, v114, v128
	v_pk_add_f32 v[112:113], v[112:113], v[128:129] neg_lo:[0,1] neg_hi:[0,1]
	v_sub_f32_e32 v86, v132, v86
	v_add_f32_e32 v86, v112, v86
	v_add_f32_e32 v86, v86, v113
	;; [unrolled: 1-line block ×3, first 2 shown]
	v_cndmask_b32_e32 v86, v86, v131, vcc
	v_add_f32_e32 v86, v87, v86
.LBB121_268:
	s_or_b64 exec, exec, s[6:7]
	v_max_f32_e32 v87, v86, v86
	v_min_f32_e32 v101, v87, v130
	v_cmp_u_f32_e32 vcc, v86, v86
	v_max_f32_e32 v87, v87, v130
	s_nop 0
	v_cndmask_b32_e32 v101, v101, v86, vcc
	v_cndmask_b32_e32 v87, v87, v86, vcc
	v_cndmask_b32_e64 v112, v101, v23, s[52:53]
	v_cndmask_b32_e64 v101, v87, v23, s[52:53]
	v_cmp_neq_f32_e32 vcc, v112, v101
	v_cmp_class_f32_e64 s[6:7], v112, s8
	s_or_b64 s[8:9], vcc, s[6:7]
	v_mov_b32_e32 v87, v86
	s_and_saveexec_b64 s[6:7], s[8:9]
	s_cbranch_execz .LBB121_270
; %bb.269:
	v_sub_f32_e32 v87, v112, v101
	s_mov_b32 s8, 0x3fb8aa3b
	v_mul_f32_e32 v112, 0x3fb8aa3b, v87
	v_fma_f32 v113, v87, s8, -v112
	v_rndne_f32_e32 v114, v112
	v_fmamk_f32 v113, v87, 0x32a5705f, v113
	v_sub_f32_e32 v112, v112, v114
	v_add_f32_e32 v112, v112, v113
	v_exp_f32_e32 v112, v112
	v_cvt_i32_f32_e32 v113, v114
	s_mov_b32 s8, 0xc2ce8ed0
	v_cmp_ngt_f32_e32 vcc, s8, v87
	s_mov_b32 s8, 0x42b17218
	v_ldexp_f32 v112, v112, v113
	v_cndmask_b32_e32 v112, 0, v112, vcc
	v_mov_b32_e32 v113, 0x7f800000
	v_cmp_nlt_f32_e32 vcc, s8, v87
	s_mov_b32 s8, 0x3f2aaaab
	s_mov_b32 s9, 0x7f800000
	v_cndmask_b32_e32 v144, v113, v112, vcc
	v_add_f32_e32 v87, 1.0, v144
	v_add_f32_e32 v112, -1.0, v87
	v_sub_f32_e32 v113, v112, v87
	v_add_f32_e32 v113, 1.0, v113
	v_sub_f32_e32 v112, v144, v112
	v_add_f32_e32 v114, v112, v113
	v_frexp_mant_f32_e32 v115, v87
	v_cvt_f64_f32_e32 v[112:113], v87
	v_frexp_exp_i32_f64_e32 v112, v[112:113]
	v_cmp_gt_f32_e32 vcc, s8, v115
	s_mov_b32 s8, 0x3f317218
	s_nop 0
	v_subbrev_co_u32_e32 v128, vcc, 0, v112, vcc
	v_sub_u32_e32 v112, 0, v128
	v_ldexp_f32 v87, v87, v112
	v_ldexp_f32 v112, v114, v112
	v_add_f32_e32 v114, -1.0, v87
	v_add_f32_e32 v113, 1.0, v114
	v_sub_f32_e32 v113, v87, v113
	v_add_f32_e32 v115, v112, v113
	v_add_f32_e32 v113, 1.0, v87
	v_add_f32_e32 v116, -1.0, v113
	v_sub_f32_e32 v87, v87, v116
	v_add_f32_e32 v87, v112, v87
	v_add_f32_e32 v129, v113, v87
	v_rcp_f32_e32 v130, v129
	v_sub_f32_e32 v112, v113, v129
	v_add_f32_e32 v113, v114, v115
	v_add_f32_e32 v87, v87, v112
	v_mul_f32_e32 v132, v113, v130
	v_sub_f32_e32 v112, v114, v113
	v_mul_f32_e32 v114, v129, v132
	v_fma_f32 v116, v132, v129, -v114
	v_fmac_f32_e32 v116, v132, v87
	v_add_f32_e32 v131, v115, v112
	v_add_f32_e32 v112, v114, v116
	v_sub_f32_e32 v115, v113, v112
	v_pk_add_f32 v[118:119], v[112:113], v[114:115] neg_lo:[0,1] neg_hi:[0,1]
	v_mov_b32_e32 v117, v112
	v_pk_add_f32 v[112:113], v[118:119], v[116:117] neg_lo:[0,1] neg_hi:[0,1]
	v_cmp_eq_f32_e32 vcc, s9, v144
	v_add_f32_e32 v113, v131, v113
	v_add_f32_e32 v112, v112, v113
	;; [unrolled: 1-line block ×3, first 2 shown]
	v_mul_f32_e32 v131, v130, v113
	v_mul_f32_e32 v114, v129, v131
	v_fma_f32 v116, v131, v129, -v114
	v_fmac_f32_e32 v116, v131, v87
	v_sub_f32_e32 v87, v115, v113
	v_add_f32_e32 v87, v112, v87
	v_add_f32_e32 v112, v114, v116
	v_sub_f32_e32 v115, v113, v112
	v_pk_add_f32 v[118:119], v[112:113], v[114:115] neg_lo:[0,1] neg_hi:[0,1]
	v_mov_b32_e32 v117, v112
	v_pk_add_f32 v[112:113], v[118:119], v[116:117] neg_lo:[0,1] neg_hi:[0,1]
	v_cvt_f32_i32_e32 v114, v128
	v_add_f32_e32 v87, v87, v113
	v_add_f32_e32 v87, v112, v87
	;; [unrolled: 1-line block ×4, first 2 shown]
	v_sub_f32_e32 v113, v112, v132
	v_mul_f32_e32 v87, v130, v87
	v_sub_f32_e32 v113, v131, v113
	v_add_f32_e32 v87, v113, v87
	v_add_f32_e32 v115, v112, v87
	v_mul_f32_e32 v116, v115, v115
	v_mov_b32_e32 v113, 0x3ecc95a3
	v_fmac_f32_e32 v113, 0x3e9b6dac, v116
	v_sub_f32_e32 v112, v115, v112
	v_fmaak_f32 v113, v116, v113, 0x3f2aaada
	v_sub_f32_e32 v87, v87, v112
	v_ldexp_f32 v117, v115, 1
	v_mul_f32_e32 v115, v115, v116
	v_mov_b32_e32 v112, 0x3f317218
	v_pk_mul_f32 v[112:113], v[114:115], v[112:113]
	v_ldexp_f32 v87, v87, 1
	v_fma_f32 v115, v114, s8, -v112
	v_fmamk_f32 v116, v114, 0xb102e308, v115
	v_pk_add_f32 v[114:115], v[112:113], v[116:117]
	v_mov_b32_e32 v118, v112
	v_sub_f32_e32 v117, v115, v117
	v_sub_f32_e32 v117, v113, v117
	v_add_f32_e32 v119, v87, v117
	v_pk_add_f32 v[112:113], v[114:115], v[112:113] neg_lo:[0,1] neg_hi:[0,1]
	v_pk_add_f32 v[128:129], v[114:115], v[118:119]
	v_mov_b32_e32 v117, v114
	v_mov_b32_e32 v113, v129
	v_pk_add_f32 v[130:131], v[116:117], v[112:113] neg_lo:[0,1] neg_hi:[0,1]
	v_pk_add_f32 v[112:113], v[116:117], v[112:113]
	v_mov_b32_e32 v118, v119
	v_mov_b32_e32 v116, v113
	v_pk_add_f32 v[132:133], v[116:117], v[114:115] neg_lo:[0,1] neg_hi:[0,1]
	v_mov_b32_e32 v112, v129
	v_mov_b32_e32 v87, v132
	v_pk_add_f32 v[134:135], v[128:129], v[86:87] neg_lo:[0,1] neg_hi:[0,1]
	v_mov_b32_e32 v128, v115
	v_mov_b32_e32 v129, v132
	v_mov_b32_e32 v131, v113
	v_pk_add_f32 v[112:113], v[112:113], v[128:129] neg_lo:[0,1] neg_hi:[0,1]
	v_mov_b32_e32 v119, v114
	v_pk_add_f32 v[112:113], v[118:119], v[112:113] neg_lo:[0,1] neg_hi:[0,1]
	v_mov_b32_e32 v134, v130
	v_pk_add_f32 v[114:115], v[134:135], v[112:113]
	s_mov_b32 s8, 0x33800000
	v_mov_b32_e32 v118, v115
	v_pk_add_f32 v[118:119], v[114:115], v[118:119]
	v_cmp_lt_f32_e64 s[8:9], |v144|, s8
	v_pk_add_f32 v[116:117], v[116:117], v[118:119]
	v_mov_b32_e32 v113, v118
	v_mov_b32_e32 v115, v116
	v_pk_add_f32 v[128:129], v[114:115], v[130:131] neg_lo:[0,1] neg_hi:[0,1]
	s_or_b64 vcc, vcc, s[8:9]
	v_sub_f32_e32 v87, v114, v128
	v_pk_add_f32 v[112:113], v[112:113], v[128:129] neg_lo:[0,1] neg_hi:[0,1]
	v_sub_f32_e32 v87, v130, v87
	v_add_f32_e32 v87, v112, v87
	v_add_f32_e32 v87, v87, v113
	;; [unrolled: 1-line block ×3, first 2 shown]
	v_cndmask_b32_e32 v87, v87, v144, vcc
	v_add_f32_e32 v87, v101, v87
.LBB121_270:
	s_or_b64 exec, exec, s[6:7]
	s_branch .LBB121_417
.LBB121_271:
                                        ; implicit-def: $vgpr87
                                        ; implicit-def: $vgpr82_vgpr83
                                        ; implicit-def: $vgpr70_vgpr71
                                        ; implicit-def: $vgpr66_vgpr67
                                        ; implicit-def: $vgpr54_vgpr55
                                        ; implicit-def: $vgpr50_vgpr51
	s_cbranch_execz .LBB121_417
; %bb.272:
	v_cmp_ne_u64_e32 vcc, 0, v[6:7]
	s_and_b64 s[8:9], s[4:5], vcc
	s_and_saveexec_b64 s[6:7], s[8:9]
	s_cbranch_execz .LBB121_276
; %bb.273:
	flat_load_dword v3, v[2:3]
	v_max_f32_e32 v2, v16, v16
	s_movk_i32 s8, 0x1f8
	s_waitcnt vmcnt(0) lgkmcnt(0)
	v_max_f32_e32 v6, v3, v3
	v_min_f32_e32 v7, v6, v2
	v_max_f32_e32 v2, v6, v2
	v_cmp_u_f32_e32 vcc, v3, v3
	s_nop 1
	v_cndmask_b32_e32 v6, v7, v3, vcc
	v_cndmask_b32_e32 v2, v2, v3, vcc
	v_cmp_u_f32_e32 vcc, v16, v16
	s_nop 1
	v_cndmask_b32_e32 v6, v6, v16, vcc
	v_cndmask_b32_e32 v2, v2, v16, vcc
	v_cmp_neq_f32_e32 vcc, v6, v2
	v_cmp_class_f32_e64 s[8:9], v6, s8
	s_or_b64 s[10:11], vcc, s[8:9]
	s_and_saveexec_b64 s[8:9], s[10:11]
	s_cbranch_execz .LBB121_275
; %bb.274:
	v_sub_f32_e32 v3, v6, v2
	s_mov_b32 s10, 0x3fb8aa3b
	v_mul_f32_e32 v6, 0x3fb8aa3b, v3
	v_fma_f32 v7, v3, s10, -v6
	v_rndne_f32_e32 v16, v6
	v_fmamk_f32 v7, v3, 0x32a5705f, v7
	v_sub_f32_e32 v6, v6, v16
	v_add_f32_e32 v6, v6, v7
	v_exp_f32_e32 v6, v6
	v_cvt_i32_f32_e32 v7, v16
	s_mov_b32 s10, 0xc2ce8ed0
	v_cmp_ngt_f32_e32 vcc, s10, v3
	s_mov_b32 s10, 0x42b17218
	v_ldexp_f32 v6, v6, v7
	v_cndmask_b32_e32 v6, 0, v6, vcc
	v_mov_b32_e32 v7, 0x7f800000
	v_cmp_nlt_f32_e32 vcc, s10, v3
	s_mov_b32 s10, 0x3f2aaaab
	s_mov_b32 s11, 0x7f800000
	v_cndmask_b32_e32 v68, v7, v6, vcc
	v_add_f32_e32 v3, 1.0, v68
	v_add_f32_e32 v6, -1.0, v3
	v_sub_f32_e32 v7, v6, v3
	v_add_f32_e32 v7, 1.0, v7
	v_sub_f32_e32 v6, v68, v6
	v_add_f32_e32 v16, v6, v7
	v_frexp_mant_f32_e32 v48, v3
	v_cvt_f64_f32_e32 v[6:7], v3
	v_frexp_exp_i32_f64_e32 v6, v[6:7]
	v_cmp_gt_f32_e32 vcc, s10, v48
	s_mov_b32 s10, 0x3f317218
	s_nop 0
	v_subbrev_co_u32_e32 v54, vcc, 0, v6, vcc
	v_sub_u32_e32 v6, 0, v54
	v_ldexp_f32 v3, v3, v6
	v_ldexp_f32 v6, v16, v6
	v_add_f32_e32 v16, -1.0, v3
	v_add_f32_e32 v7, 1.0, v16
	v_sub_f32_e32 v7, v3, v7
	v_add_f32_e32 v48, v6, v7
	v_add_f32_e32 v7, 1.0, v3
	v_add_f32_e32 v49, -1.0, v7
	v_sub_f32_e32 v3, v3, v49
	v_add_f32_e32 v3, v6, v3
	v_add_f32_e32 v55, v7, v3
	v_rcp_f32_e32 v64, v55
	v_sub_f32_e32 v6, v7, v55
	v_add_f32_e32 v7, v16, v48
	v_add_f32_e32 v3, v3, v6
	v_sub_f32_e32 v6, v16, v7
	v_mul_f32_e32 v65, v7, v64
	v_add_f32_e32 v16, v48, v6
	v_mul_f32_e32 v48, v55, v65
	v_fma_f32 v50, v65, v55, -v48
	v_fmac_f32_e32 v50, v65, v3
	v_add_f32_e32 v6, v48, v50
	v_sub_f32_e32 v49, v7, v6
	v_pk_add_f32 v[52:53], v[6:7], v[48:49] neg_lo:[0,1] neg_hi:[0,1]
	v_mov_b32_e32 v51, v6
	v_pk_add_f32 v[6:7], v[52:53], v[50:51] neg_lo:[0,1] neg_hi:[0,1]
	v_cmp_eq_f32_e32 vcc, s11, v68
	v_add_f32_e32 v7, v16, v7
	v_add_f32_e32 v6, v6, v7
	;; [unrolled: 1-line block ×3, first 2 shown]
	v_mul_f32_e32 v16, v64, v7
	v_mul_f32_e32 v48, v55, v16
	v_fma_f32 v50, v16, v55, -v48
	v_fmac_f32_e32 v50, v16, v3
	v_sub_f32_e32 v3, v49, v7
	v_add_f32_e32 v3, v6, v3
	v_add_f32_e32 v6, v48, v50
	v_sub_f32_e32 v49, v7, v6
	v_pk_add_f32 v[52:53], v[6:7], v[48:49] neg_lo:[0,1] neg_hi:[0,1]
	v_mov_b32_e32 v51, v6
	v_pk_add_f32 v[6:7], v[52:53], v[50:51] neg_lo:[0,1] neg_hi:[0,1]
	v_cvt_f32_i32_e32 v48, v54
	v_add_f32_e32 v3, v3, v7
	v_add_f32_e32 v3, v6, v3
	v_add_f32_e32 v6, v65, v16
	v_add_f32_e32 v3, v49, v3
	v_sub_f32_e32 v7, v6, v65
	v_mul_f32_e32 v3, v64, v3
	v_sub_f32_e32 v7, v16, v7
	v_add_f32_e32 v3, v7, v3
	v_add_f32_e32 v16, v6, v3
	v_mul_f32_e32 v49, v16, v16
	v_mov_b32_e32 v7, 0x3ecc95a3
	v_fmac_f32_e32 v7, 0x3e9b6dac, v49
	v_sub_f32_e32 v6, v16, v6
	v_fmaak_f32 v7, v49, v7, 0x3f2aaada
	v_sub_f32_e32 v3, v3, v6
	v_mul_f32_e32 v49, v16, v49
	v_mov_b32_e32 v6, 0x3f317218
	v_pk_mul_f32 v[6:7], v[48:49], v[6:7]
	v_ldexp_f32 v51, v16, 1
	v_fma_f32 v16, v48, s10, -v6
	v_fmamk_f32 v50, v48, 0xb102e308, v16
	v_pk_add_f32 v[48:49], v[6:7], v[50:51]
	v_ldexp_f32 v3, v3, 1
	v_sub_f32_e32 v16, v49, v51
	v_sub_f32_e32 v16, v7, v16
	v_add_f32_e32 v53, v3, v16
	v_mov_b32_e32 v52, v6
	v_pk_add_f32 v[6:7], v[48:49], v[6:7] neg_lo:[0,1] neg_hi:[0,1]
	v_pk_add_f32 v[54:55], v[48:49], v[52:53]
	v_mov_b32_e32 v51, v48
	v_mov_b32_e32 v7, v55
	v_pk_add_f32 v[64:65], v[50:51], v[6:7] neg_lo:[0,1] neg_hi:[0,1]
	v_pk_add_f32 v[6:7], v[50:51], v[6:7]
	s_mov_b32 s10, 0x33800000
	v_mov_b32_e32 v16, v7
	v_pk_add_f32 v[50:51], v[16:17], v[48:49] neg_lo:[0,1] neg_hi:[0,1]
	v_mov_b32_e32 v6, v55
	v_mov_b32_e32 v3, v50
	v_pk_add_f32 v[66:67], v[54:55], v[2:3] neg_lo:[0,1] neg_hi:[0,1]
	v_mov_b32_e32 v54, v49
	v_mov_b32_e32 v55, v50
	v_mov_b32_e32 v65, v7
	v_pk_add_f32 v[6:7], v[6:7], v[54:55] neg_lo:[0,1] neg_hi:[0,1]
	v_mov_b32_e32 v50, v53
	v_mov_b32_e32 v51, v48
	v_pk_add_f32 v[6:7], v[50:51], v[6:7] neg_lo:[0,1] neg_hi:[0,1]
	v_mov_b32_e32 v66, v64
	v_pk_add_f32 v[48:49], v[66:67], v[6:7]
	v_cmp_lt_f32_e64 s[10:11], |v68|, s10
	v_mov_b32_e32 v50, v49
	v_pk_add_f32 v[50:51], v[48:49], v[50:51]
	s_or_b64 vcc, vcc, s[10:11]
	v_pk_add_f32 v[52:53], v[16:17], v[50:51]
	v_mov_b32_e32 v7, v50
	v_mov_b32_e32 v49, v52
	v_pk_add_f32 v[54:55], v[48:49], v[64:65] neg_lo:[0,1] neg_hi:[0,1]
	s_nop 0
	v_sub_f32_e32 v3, v48, v54
	v_pk_add_f32 v[6:7], v[6:7], v[54:55] neg_lo:[0,1] neg_hi:[0,1]
	v_sub_f32_e32 v3, v64, v3
	v_add_f32_e32 v3, v6, v3
	v_add_f32_e32 v3, v3, v7
	;; [unrolled: 1-line block ×3, first 2 shown]
	v_cndmask_b32_e32 v3, v3, v68, vcc
	v_add_f32_e32 v3, v2, v3
.LBB121_275:
	s_or_b64 exec, exec, s[8:9]
	v_mov_b32_e32 v16, v3
.LBB121_276:
	s_or_b64 exec, exec, s[6:7]
	v_max_f32_e32 v51, v16, v16
	v_min_f32_e32 v50, v51, v99
	v_cmp_u_f32_e64 s[52:53], v16, v16
	v_cmp_u_f32_e32 vcc, v17, v17
	v_max_f32_e32 v52, v51, v99
	v_cndmask_b32_e64 v2, v50, v16, s[52:53]
	v_cndmask_b32_e32 v3, v2, v17, vcc
	v_cndmask_b32_e64 v2, v52, v16, s[52:53]
	v_cndmask_b32_e32 v2, v2, v17, vcc
	s_movk_i32 s10, 0x1f8
	v_cmp_neq_f32_e64 s[6:7], v3, v2
	v_cmp_class_f32_e64 s[8:9], v3, s10
	s_or_b64 s[6:7], s[6:7], s[8:9]
	v_mov_b32_e32 v53, v16
	s_and_saveexec_b64 s[8:9], s[6:7]
	s_cbranch_execz .LBB121_278
; %bb.277:
	v_sub_f32_e32 v3, v3, v2
	s_mov_b32 s6, 0x3fb8aa3b
	v_mul_f32_e32 v6, 0x3fb8aa3b, v3
	v_fma_f32 v7, v3, s6, -v6
	v_rndne_f32_e32 v48, v6
	v_fmamk_f32 v7, v3, 0x32a5705f, v7
	v_sub_f32_e32 v6, v6, v48
	v_add_f32_e32 v6, v6, v7
	v_exp_f32_e32 v6, v6
	v_cvt_i32_f32_e32 v7, v48
	s_mov_b32 s6, 0xc2ce8ed0
	v_cmp_ngt_f32_e64 s[6:7], s6, v3
	s_mov_b32 s11, 0x7f800000
	v_ldexp_f32 v6, v6, v7
	v_cndmask_b32_e64 v6, 0, v6, s[6:7]
	s_mov_b32 s6, 0x42b17218
	v_mov_b32_e32 v7, 0x7f800000
	v_cmp_nlt_f32_e64 s[6:7], s6, v3
	s_nop 1
	v_cndmask_b32_e64 v53, v7, v6, s[6:7]
	v_add_f32_e32 v3, 1.0, v53
	v_add_f32_e32 v6, -1.0, v3
	v_sub_f32_e32 v7, v6, v3
	v_add_f32_e32 v7, 1.0, v7
	v_sub_f32_e32 v6, v53, v6
	v_add_f32_e32 v48, v6, v7
	v_frexp_mant_f32_e32 v49, v3
	s_mov_b32 s6, 0x3f2aaaab
	v_cvt_f64_f32_e32 v[6:7], v3
	v_frexp_exp_i32_f64_e32 v6, v[6:7]
	v_cmp_gt_f32_e64 s[6:7], s6, v49
	s_nop 1
	v_subbrev_co_u32_e64 v66, s[6:7], 0, v6, s[6:7]
	v_sub_u32_e32 v6, 0, v66
	v_ldexp_f32 v3, v3, v6
	v_ldexp_f32 v6, v48, v6
	v_add_f32_e32 v48, -1.0, v3
	v_add_f32_e32 v7, 1.0, v48
	v_sub_f32_e32 v7, v3, v7
	v_add_f32_e32 v49, v6, v7
	v_add_f32_e32 v7, 1.0, v3
	v_add_f32_e32 v54, -1.0, v7
	v_sub_f32_e32 v3, v3, v54
	v_add_f32_e32 v3, v6, v3
	v_add_f32_e32 v67, v7, v3
	v_rcp_f32_e32 v68, v67
	v_sub_f32_e32 v6, v7, v67
	v_add_f32_e32 v7, v48, v49
	v_add_f32_e32 v3, v3, v6
	v_mul_f32_e32 v70, v7, v68
	v_sub_f32_e32 v6, v48, v7
	v_mul_f32_e32 v48, v67, v70
	v_fma_f32 v54, v70, v67, -v48
	v_fmac_f32_e32 v54, v70, v3
	v_add_f32_e32 v69, v49, v6
	v_add_f32_e32 v6, v48, v54
	v_sub_f32_e32 v49, v7, v6
	v_pk_add_f32 v[64:65], v[6:7], v[48:49] neg_lo:[0,1] neg_hi:[0,1]
	v_mov_b32_e32 v55, v6
	v_pk_add_f32 v[6:7], v[64:65], v[54:55] neg_lo:[0,1] neg_hi:[0,1]
	s_mov_b32 s6, 0x3f317218
	v_add_f32_e32 v7, v69, v7
	v_add_f32_e32 v6, v6, v7
	;; [unrolled: 1-line block ×3, first 2 shown]
	v_mul_f32_e32 v69, v68, v7
	v_mul_f32_e32 v48, v67, v69
	v_fma_f32 v54, v69, v67, -v48
	v_fmac_f32_e32 v54, v69, v3
	v_sub_f32_e32 v3, v49, v7
	v_add_f32_e32 v3, v6, v3
	v_add_f32_e32 v6, v48, v54
	v_sub_f32_e32 v49, v7, v6
	v_pk_add_f32 v[64:65], v[6:7], v[48:49] neg_lo:[0,1] neg_hi:[0,1]
	v_mov_b32_e32 v55, v6
	v_pk_add_f32 v[6:7], v[64:65], v[54:55] neg_lo:[0,1] neg_hi:[0,1]
	v_cvt_f32_i32_e32 v48, v66
	v_add_f32_e32 v3, v3, v7
	v_add_f32_e32 v3, v6, v3
	;; [unrolled: 1-line block ×4, first 2 shown]
	v_sub_f32_e32 v7, v6, v70
	v_mul_f32_e32 v3, v68, v3
	v_sub_f32_e32 v7, v69, v7
	v_add_f32_e32 v3, v7, v3
	v_add_f32_e32 v49, v6, v3
	v_mul_f32_e32 v54, v49, v49
	v_mov_b32_e32 v7, 0x3ecc95a3
	v_fmac_f32_e32 v7, 0x3e9b6dac, v54
	v_sub_f32_e32 v6, v49, v6
	v_fmaak_f32 v7, v54, v7, 0x3f2aaada
	v_sub_f32_e32 v3, v3, v6
	v_ldexp_f32 v55, v49, 1
	v_mul_f32_e32 v49, v49, v54
	v_mov_b32_e32 v6, 0x3f317218
	v_pk_mul_f32 v[6:7], v[48:49], v[6:7]
	v_ldexp_f32 v3, v3, 1
	v_fma_f32 v49, v48, s6, -v6
	v_fmamk_f32 v54, v48, 0xb102e308, v49
	v_pk_add_f32 v[48:49], v[6:7], v[54:55]
	v_mov_b32_e32 v64, v6
	v_sub_f32_e32 v55, v49, v55
	v_sub_f32_e32 v55, v7, v55
	v_add_f32_e32 v65, v3, v55
	v_pk_add_f32 v[6:7], v[48:49], v[6:7] neg_lo:[0,1] neg_hi:[0,1]
	v_pk_add_f32 v[66:67], v[48:49], v[64:65]
	v_mov_b32_e32 v55, v48
	v_mov_b32_e32 v7, v67
	v_pk_add_f32 v[68:69], v[54:55], v[6:7] neg_lo:[0,1] neg_hi:[0,1]
	v_pk_add_f32 v[6:7], v[54:55], v[6:7]
	v_mov_b32_e32 v64, v65
	v_mov_b32_e32 v54, v7
	v_pk_add_f32 v[70:71], v[54:55], v[48:49] neg_lo:[0,1] neg_hi:[0,1]
	v_mov_b32_e32 v6, v67
	v_mov_b32_e32 v3, v70
	v_pk_add_f32 v[80:81], v[66:67], v[2:3] neg_lo:[0,1] neg_hi:[0,1]
	v_mov_b32_e32 v66, v49
	v_mov_b32_e32 v67, v70
	;; [unrolled: 1-line block ×3, first 2 shown]
	v_pk_add_f32 v[6:7], v[6:7], v[66:67] neg_lo:[0,1] neg_hi:[0,1]
	v_mov_b32_e32 v65, v48
	v_pk_add_f32 v[6:7], v[64:65], v[6:7] neg_lo:[0,1] neg_hi:[0,1]
	v_mov_b32_e32 v80, v68
	v_pk_add_f32 v[48:49], v[80:81], v[6:7]
	v_cmp_eq_f32_e64 s[6:7], s11, v53
	v_mov_b32_e32 v64, v49
	v_pk_add_f32 v[64:65], v[48:49], v[64:65]
	s_mov_b32 s11, 0x33800000
	v_pk_add_f32 v[54:55], v[54:55], v[64:65]
	v_mov_b32_e32 v7, v64
	v_mov_b32_e32 v49, v54
	v_pk_add_f32 v[66:67], v[48:49], v[68:69] neg_lo:[0,1] neg_hi:[0,1]
	v_cmp_lt_f32_e64 s[12:13], |v53|, s11
	v_sub_f32_e32 v3, v48, v66
	v_pk_add_f32 v[6:7], v[6:7], v[66:67] neg_lo:[0,1] neg_hi:[0,1]
	v_sub_f32_e32 v3, v68, v3
	v_add_f32_e32 v3, v6, v3
	v_add_f32_e32 v3, v3, v7
	;; [unrolled: 1-line block ×3, first 2 shown]
	s_or_b64 s[6:7], s[6:7], s[12:13]
	v_cndmask_b32_e64 v3, v3, v53, s[6:7]
	v_add_f32_e32 v53, v2, v3
.LBB121_278:
	s_or_b64 exec, exec, s[8:9]
	v_max_f32_e32 v6, v18, v18
	v_max_f32_e32 v2, v53, v53
	v_min_f32_e32 v3, v2, v6
	v_cmp_u_f32_e64 s[8:9], v53, v53
	v_max_f32_e32 v2, v2, v6
	v_cmp_u_f32_e64 s[6:7], v18, v18
	v_cndmask_b32_e64 v3, v3, v53, s[8:9]
	v_cndmask_b32_e64 v2, v2, v53, s[8:9]
	;; [unrolled: 1-line block ×4, first 2 shown]
	v_cmp_neq_f32_e64 s[8:9], v3, v2
	v_cmp_class_f32_e64 s[10:11], v3, s10
	s_or_b64 s[8:9], s[8:9], s[10:11]
	s_and_saveexec_b64 s[10:11], s[8:9]
	s_cbranch_execz .LBB121_280
; %bb.279:
	v_sub_f32_e32 v3, v3, v2
	s_mov_b32 s8, 0x3fb8aa3b
	v_mul_f32_e32 v7, 0x3fb8aa3b, v3
	v_fma_f32 v48, v3, s8, -v7
	v_rndne_f32_e32 v49, v7
	v_fmamk_f32 v48, v3, 0x32a5705f, v48
	v_sub_f32_e32 v7, v7, v49
	v_add_f32_e32 v7, v7, v48
	v_exp_f32_e32 v7, v7
	v_cvt_i32_f32_e32 v48, v49
	s_mov_b32 s8, 0xc2ce8ed0
	v_cmp_ngt_f32_e64 s[8:9], s8, v3
	s_mov_b32 s12, 0x7f800000
	v_ldexp_f32 v7, v7, v48
	v_cndmask_b32_e64 v7, 0, v7, s[8:9]
	s_mov_b32 s8, 0x42b17218
	v_mov_b32_e32 v48, 0x7f800000
	v_cmp_nlt_f32_e64 s[8:9], s8, v3
	s_nop 1
	v_cndmask_b32_e64 v7, v48, v7, s[8:9]
	v_add_f32_e32 v3, 1.0, v7
	v_add_f32_e32 v48, -1.0, v3
	v_sub_f32_e32 v49, v48, v3
	v_add_f32_e32 v49, 1.0, v49
	v_sub_f32_e32 v48, v7, v48
	v_add_f32_e32 v53, v48, v49
	v_frexp_mant_f32_e32 v54, v3
	s_mov_b32 s8, 0x3f2aaaab
	v_cvt_f64_f32_e32 v[48:49], v3
	v_frexp_exp_i32_f64_e32 v48, v[48:49]
	v_cmp_gt_f32_e64 s[8:9], s8, v54
	s_nop 1
	v_subbrev_co_u32_e64 v68, s[8:9], 0, v48, s[8:9]
	v_sub_u32_e32 v48, 0, v68
	v_ldexp_f32 v3, v3, v48
	v_ldexp_f32 v48, v53, v48
	v_add_f32_e32 v53, -1.0, v3
	v_add_f32_e32 v49, 1.0, v53
	v_sub_f32_e32 v49, v3, v49
	v_add_f32_e32 v54, v48, v49
	v_add_f32_e32 v49, 1.0, v3
	v_add_f32_e32 v55, -1.0, v49
	v_sub_f32_e32 v3, v3, v55
	v_add_f32_e32 v3, v48, v3
	v_add_f32_e32 v69, v49, v3
	v_rcp_f32_e32 v70, v69
	v_sub_f32_e32 v48, v49, v69
	v_add_f32_e32 v49, v53, v54
	v_add_f32_e32 v3, v3, v48
	v_sub_f32_e32 v48, v53, v49
	v_mul_f32_e32 v71, v49, v70
	v_add_f32_e32 v53, v54, v48
	v_mul_f32_e32 v54, v69, v71
	v_fma_f32 v64, v71, v69, -v54
	v_fmac_f32_e32 v64, v71, v3
	v_add_f32_e32 v48, v54, v64
	v_sub_f32_e32 v55, v49, v48
	v_pk_add_f32 v[66:67], v[48:49], v[54:55] neg_lo:[0,1] neg_hi:[0,1]
	v_mov_b32_e32 v65, v48
	v_pk_add_f32 v[48:49], v[66:67], v[64:65] neg_lo:[0,1] neg_hi:[0,1]
	s_mov_b32 s8, 0x3f317218
	v_add_f32_e32 v49, v53, v49
	v_add_f32_e32 v48, v48, v49
	;; [unrolled: 1-line block ×3, first 2 shown]
	v_mul_f32_e32 v53, v70, v49
	v_mul_f32_e32 v54, v69, v53
	v_fma_f32 v64, v53, v69, -v54
	v_fmac_f32_e32 v64, v53, v3
	v_sub_f32_e32 v3, v55, v49
	v_add_f32_e32 v3, v48, v3
	v_add_f32_e32 v48, v54, v64
	v_sub_f32_e32 v55, v49, v48
	v_pk_add_f32 v[66:67], v[48:49], v[54:55] neg_lo:[0,1] neg_hi:[0,1]
	v_mov_b32_e32 v65, v48
	v_pk_add_f32 v[48:49], v[66:67], v[64:65] neg_lo:[0,1] neg_hi:[0,1]
	v_cvt_f32_i32_e32 v54, v68
	v_add_f32_e32 v3, v3, v49
	v_add_f32_e32 v3, v48, v3
	;; [unrolled: 1-line block ×4, first 2 shown]
	v_sub_f32_e32 v49, v48, v71
	v_mul_f32_e32 v3, v70, v3
	v_sub_f32_e32 v49, v53, v49
	v_add_f32_e32 v3, v49, v3
	v_add_f32_e32 v53, v48, v3
	v_mul_f32_e32 v55, v53, v53
	v_mov_b32_e32 v49, 0x3ecc95a3
	v_fmac_f32_e32 v49, 0x3e9b6dac, v55
	v_sub_f32_e32 v48, v53, v48
	v_fmaak_f32 v49, v55, v49, 0x3f2aaada
	v_sub_f32_e32 v3, v3, v48
	v_mul_f32_e32 v55, v53, v55
	v_mov_b32_e32 v48, 0x3f317218
	v_pk_mul_f32 v[48:49], v[54:55], v[48:49]
	v_ldexp_f32 v65, v53, 1
	v_fma_f32 v53, v54, s8, -v48
	v_fmamk_f32 v64, v54, 0xb102e308, v53
	v_pk_add_f32 v[54:55], v[48:49], v[64:65]
	v_ldexp_f32 v3, v3, 1
	v_sub_f32_e32 v53, v55, v65
	v_sub_f32_e32 v53, v49, v53
	v_add_f32_e32 v67, v3, v53
	v_mov_b32_e32 v66, v48
	v_pk_add_f32 v[48:49], v[54:55], v[48:49] neg_lo:[0,1] neg_hi:[0,1]
	v_pk_add_f32 v[68:69], v[54:55], v[66:67]
	v_mov_b32_e32 v65, v54
	v_mov_b32_e32 v49, v69
	v_pk_add_f32 v[70:71], v[64:65], v[48:49] neg_lo:[0,1] neg_hi:[0,1]
	v_pk_add_f32 v[48:49], v[64:65], v[48:49]
	v_mov_b32_e32 v66, v67
	v_mov_b32_e32 v64, v49
	v_pk_add_f32 v[80:81], v[64:65], v[54:55] neg_lo:[0,1] neg_hi:[0,1]
	v_mov_b32_e32 v48, v69
	v_mov_b32_e32 v3, v80
	v_pk_add_f32 v[82:83], v[68:69], v[2:3] neg_lo:[0,1] neg_hi:[0,1]
	v_mov_b32_e32 v68, v55
	v_mov_b32_e32 v69, v80
	;; [unrolled: 1-line block ×3, first 2 shown]
	v_pk_add_f32 v[48:49], v[48:49], v[68:69] neg_lo:[0,1] neg_hi:[0,1]
	v_mov_b32_e32 v67, v54
	v_pk_add_f32 v[48:49], v[66:67], v[48:49] neg_lo:[0,1] neg_hi:[0,1]
	v_mov_b32_e32 v82, v70
	v_pk_add_f32 v[54:55], v[82:83], v[48:49]
	v_cmp_eq_f32_e64 s[8:9], s12, v7
	v_mov_b32_e32 v66, v55
	v_pk_add_f32 v[66:67], v[54:55], v[66:67]
	s_mov_b32 s12, 0x33800000
	v_pk_add_f32 v[64:65], v[64:65], v[66:67]
	v_mov_b32_e32 v49, v66
	v_mov_b32_e32 v55, v64
	v_pk_add_f32 v[68:69], v[54:55], v[70:71] neg_lo:[0,1] neg_hi:[0,1]
	v_cmp_lt_f32_e64 s[12:13], |v7|, s12
	v_sub_f32_e32 v3, v54, v68
	v_pk_add_f32 v[48:49], v[48:49], v[68:69] neg_lo:[0,1] neg_hi:[0,1]
	v_sub_f32_e32 v3, v70, v3
	v_add_f32_e32 v3, v48, v3
	v_add_f32_e32 v3, v3, v49
	;; [unrolled: 1-line block ×3, first 2 shown]
	s_or_b64 s[8:9], s[8:9], s[12:13]
	v_cndmask_b32_e64 v3, v3, v7, s[8:9]
	v_add_f32_e32 v53, v2, v3
.LBB121_280:
	s_or_b64 exec, exec, s[10:11]
	v_max_f32_e32 v7, v19, v19
	v_max_f32_e32 v2, v53, v53
	v_min_f32_e32 v3, v2, v7
	v_cmp_u_f32_e64 s[10:11], v53, v53
	v_max_f32_e32 v2, v2, v7
	v_cmp_u_f32_e64 s[8:9], v19, v19
	v_cndmask_b32_e64 v3, v3, v53, s[10:11]
	v_cndmask_b32_e64 v2, v2, v53, s[10:11]
	;; [unrolled: 1-line block ×4, first 2 shown]
	s_movk_i32 s14, 0x1f8
	v_cmp_neq_f32_e64 s[10:11], v3, v2
	v_cmp_class_f32_e64 s[12:13], v3, s14
	s_or_b64 s[10:11], s[10:11], s[12:13]
	s_and_saveexec_b64 s[12:13], s[10:11]
	s_cbranch_execz .LBB121_282
; %bb.281:
	v_sub_f32_e32 v3, v3, v2
	s_mov_b32 s10, 0x3fb8aa3b
	v_mul_f32_e32 v48, 0x3fb8aa3b, v3
	v_fma_f32 v49, v3, s10, -v48
	v_rndne_f32_e32 v53, v48
	v_fmamk_f32 v49, v3, 0x32a5705f, v49
	v_sub_f32_e32 v48, v48, v53
	v_add_f32_e32 v48, v48, v49
	v_exp_f32_e32 v48, v48
	v_cvt_i32_f32_e32 v49, v53
	s_mov_b32 s10, 0xc2ce8ed0
	v_cmp_ngt_f32_e64 s[10:11], s10, v3
	s_mov_b32 s15, 0x7f800000
	v_ldexp_f32 v48, v48, v49
	v_cndmask_b32_e64 v48, 0, v48, s[10:11]
	s_mov_b32 s10, 0x42b17218
	v_mov_b32_e32 v49, 0x7f800000
	v_cmp_nlt_f32_e64 s[10:11], s10, v3
	s_nop 1
	v_cndmask_b32_e64 v53, v49, v48, s[10:11]
	v_add_f32_e32 v3, 1.0, v53
	v_add_f32_e32 v48, -1.0, v3
	v_sub_f32_e32 v49, v48, v3
	v_add_f32_e32 v49, 1.0, v49
	v_sub_f32_e32 v48, v53, v48
	v_add_f32_e32 v54, v48, v49
	v_frexp_mant_f32_e32 v55, v3
	s_mov_b32 s10, 0x3f2aaaab
	v_cvt_f64_f32_e32 v[48:49], v3
	v_frexp_exp_i32_f64_e32 v48, v[48:49]
	v_cmp_gt_f32_e64 s[10:11], s10, v55
	s_nop 1
	v_subbrev_co_u32_e64 v68, s[10:11], 0, v48, s[10:11]
	v_sub_u32_e32 v48, 0, v68
	v_ldexp_f32 v3, v3, v48
	v_ldexp_f32 v48, v54, v48
	v_add_f32_e32 v54, -1.0, v3
	v_add_f32_e32 v49, 1.0, v54
	v_sub_f32_e32 v49, v3, v49
	v_add_f32_e32 v55, v48, v49
	v_add_f32_e32 v49, 1.0, v3
	v_add_f32_e32 v64, -1.0, v49
	v_sub_f32_e32 v3, v3, v64
	v_add_f32_e32 v3, v48, v3
	v_add_f32_e32 v69, v49, v3
	v_rcp_f32_e32 v70, v69
	v_sub_f32_e32 v48, v49, v69
	v_add_f32_e32 v49, v54, v55
	v_add_f32_e32 v3, v3, v48
	v_mul_f32_e32 v80, v49, v70
	v_sub_f32_e32 v48, v54, v49
	v_mul_f32_e32 v54, v69, v80
	v_fma_f32 v64, v80, v69, -v54
	v_fmac_f32_e32 v64, v80, v3
	v_add_f32_e32 v71, v55, v48
	v_add_f32_e32 v48, v54, v64
	v_sub_f32_e32 v55, v49, v48
	v_pk_add_f32 v[66:67], v[48:49], v[54:55] neg_lo:[0,1] neg_hi:[0,1]
	v_mov_b32_e32 v65, v48
	v_pk_add_f32 v[48:49], v[66:67], v[64:65] neg_lo:[0,1] neg_hi:[0,1]
	s_mov_b32 s10, 0x3f317218
	v_add_f32_e32 v49, v71, v49
	v_add_f32_e32 v48, v48, v49
	;; [unrolled: 1-line block ×3, first 2 shown]
	v_mul_f32_e32 v71, v70, v49
	v_mul_f32_e32 v54, v69, v71
	v_fma_f32 v64, v71, v69, -v54
	v_fmac_f32_e32 v64, v71, v3
	v_sub_f32_e32 v3, v55, v49
	v_add_f32_e32 v3, v48, v3
	v_add_f32_e32 v48, v54, v64
	v_sub_f32_e32 v55, v49, v48
	v_pk_add_f32 v[66:67], v[48:49], v[54:55] neg_lo:[0,1] neg_hi:[0,1]
	v_mov_b32_e32 v65, v48
	v_pk_add_f32 v[48:49], v[66:67], v[64:65] neg_lo:[0,1] neg_hi:[0,1]
	v_cvt_f32_i32_e32 v54, v68
	v_add_f32_e32 v3, v3, v49
	v_add_f32_e32 v3, v48, v3
	;; [unrolled: 1-line block ×4, first 2 shown]
	v_sub_f32_e32 v49, v48, v80
	v_mul_f32_e32 v3, v70, v3
	v_sub_f32_e32 v49, v71, v49
	v_add_f32_e32 v3, v49, v3
	v_add_f32_e32 v55, v48, v3
	v_mul_f32_e32 v64, v55, v55
	v_mov_b32_e32 v49, 0x3ecc95a3
	v_fmac_f32_e32 v49, 0x3e9b6dac, v64
	v_sub_f32_e32 v48, v55, v48
	v_fmaak_f32 v49, v64, v49, 0x3f2aaada
	v_sub_f32_e32 v3, v3, v48
	v_ldexp_f32 v65, v55, 1
	v_mul_f32_e32 v55, v55, v64
	v_mov_b32_e32 v48, 0x3f317218
	v_pk_mul_f32 v[48:49], v[54:55], v[48:49]
	v_ldexp_f32 v3, v3, 1
	v_fma_f32 v55, v54, s10, -v48
	v_fmamk_f32 v64, v54, 0xb102e308, v55
	v_pk_add_f32 v[54:55], v[48:49], v[64:65]
	v_mov_b32_e32 v66, v48
	v_sub_f32_e32 v65, v55, v65
	v_sub_f32_e32 v65, v49, v65
	v_add_f32_e32 v67, v3, v65
	v_pk_add_f32 v[48:49], v[54:55], v[48:49] neg_lo:[0,1] neg_hi:[0,1]
	v_pk_add_f32 v[68:69], v[54:55], v[66:67]
	v_mov_b32_e32 v65, v54
	v_mov_b32_e32 v49, v69
	v_pk_add_f32 v[70:71], v[64:65], v[48:49] neg_lo:[0,1] neg_hi:[0,1]
	v_pk_add_f32 v[48:49], v[64:65], v[48:49]
	v_mov_b32_e32 v66, v67
	v_mov_b32_e32 v64, v49
	v_pk_add_f32 v[80:81], v[64:65], v[54:55] neg_lo:[0,1] neg_hi:[0,1]
	v_mov_b32_e32 v48, v69
	v_mov_b32_e32 v3, v80
	v_pk_add_f32 v[82:83], v[68:69], v[2:3] neg_lo:[0,1] neg_hi:[0,1]
	v_mov_b32_e32 v68, v55
	v_mov_b32_e32 v69, v80
	;; [unrolled: 1-line block ×3, first 2 shown]
	v_pk_add_f32 v[48:49], v[48:49], v[68:69] neg_lo:[0,1] neg_hi:[0,1]
	v_mov_b32_e32 v67, v54
	v_pk_add_f32 v[48:49], v[66:67], v[48:49] neg_lo:[0,1] neg_hi:[0,1]
	v_mov_b32_e32 v82, v70
	v_pk_add_f32 v[54:55], v[82:83], v[48:49]
	v_cmp_eq_f32_e64 s[10:11], s15, v53
	v_mov_b32_e32 v66, v55
	v_pk_add_f32 v[66:67], v[54:55], v[66:67]
	s_mov_b32 s15, 0x33800000
	v_pk_add_f32 v[64:65], v[64:65], v[66:67]
	v_mov_b32_e32 v49, v66
	v_mov_b32_e32 v55, v64
	v_pk_add_f32 v[68:69], v[54:55], v[70:71] neg_lo:[0,1] neg_hi:[0,1]
	v_cmp_lt_f32_e64 s[16:17], |v53|, s15
	v_sub_f32_e32 v3, v54, v68
	v_pk_add_f32 v[48:49], v[48:49], v[68:69] neg_lo:[0,1] neg_hi:[0,1]
	v_sub_f32_e32 v3, v70, v3
	v_add_f32_e32 v3, v48, v3
	v_add_f32_e32 v3, v3, v49
	v_add_f32_e32 v3, v64, v3
	s_or_b64 s[10:11], s[10:11], s[16:17]
	v_cndmask_b32_e64 v3, v3, v53, s[10:11]
	v_add_f32_e32 v53, v2, v3
.LBB121_282:
	s_or_b64 exec, exec, s[12:13]
	v_max_f32_e32 v48, v36, v36
	v_max_f32_e32 v2, v53, v53
	v_min_f32_e32 v3, v2, v48
	v_cmp_u_f32_e64 s[12:13], v53, v53
	v_max_f32_e32 v2, v2, v48
	v_cmp_u_f32_e64 s[10:11], v36, v36
	v_cndmask_b32_e64 v3, v3, v53, s[12:13]
	v_cndmask_b32_e64 v2, v2, v53, s[12:13]
	;; [unrolled: 1-line block ×4, first 2 shown]
	v_cmp_neq_f32_e64 s[12:13], v3, v2
	v_cmp_class_f32_e64 s[14:15], v3, s14
	s_or_b64 s[12:13], s[12:13], s[14:15]
	s_and_saveexec_b64 s[14:15], s[12:13]
	s_cbranch_execz .LBB121_284
; %bb.283:
	v_sub_f32_e32 v3, v3, v2
	s_mov_b32 s12, 0x3fb8aa3b
	v_mul_f32_e32 v49, 0x3fb8aa3b, v3
	v_fma_f32 v53, v3, s12, -v49
	v_rndne_f32_e32 v54, v49
	v_fmamk_f32 v53, v3, 0x32a5705f, v53
	v_sub_f32_e32 v49, v49, v54
	v_add_f32_e32 v49, v49, v53
	v_exp_f32_e32 v49, v49
	v_cvt_i32_f32_e32 v53, v54
	s_mov_b32 s12, 0xc2ce8ed0
	v_cmp_ngt_f32_e64 s[12:13], s12, v3
	s_mov_b32 s16, 0x7f800000
	v_ldexp_f32 v49, v49, v53
	v_cndmask_b32_e64 v49, 0, v49, s[12:13]
	s_mov_b32 s12, 0x42b17218
	v_mov_b32_e32 v53, 0x7f800000
	v_cmp_nlt_f32_e64 s[12:13], s12, v3
	s_nop 1
	v_cndmask_b32_e64 v49, v53, v49, s[12:13]
	v_add_f32_e32 v3, 1.0, v49
	v_add_f32_e32 v53, -1.0, v3
	v_sub_f32_e32 v54, v53, v3
	v_add_f32_e32 v54, 1.0, v54
	v_sub_f32_e32 v53, v49, v53
	v_add_f32_e32 v53, v53, v54
	v_frexp_mant_f32_e32 v64, v3
	s_mov_b32 s12, 0x3f2aaaab
	v_cvt_f64_f32_e32 v[54:55], v3
	v_frexp_exp_i32_f64_e32 v54, v[54:55]
	v_cmp_gt_f32_e64 s[12:13], s12, v64
	s_nop 1
	v_subbrev_co_u32_e64 v70, s[12:13], 0, v54, s[12:13]
	v_sub_u32_e32 v54, 0, v70
	v_ldexp_f32 v3, v3, v54
	v_ldexp_f32 v53, v53, v54
	v_add_f32_e32 v54, -1.0, v3
	v_add_f32_e32 v55, 1.0, v54
	v_sub_f32_e32 v55, v3, v55
	v_add_f32_e32 v64, v53, v55
	v_add_f32_e32 v55, 1.0, v3
	v_add_f32_e32 v65, -1.0, v55
	v_sub_f32_e32 v3, v3, v65
	v_add_f32_e32 v3, v53, v3
	v_add_f32_e32 v53, v55, v3
	v_rcp_f32_e32 v71, v53
	v_sub_f32_e32 v55, v55, v53
	v_add_f32_e32 v3, v3, v55
	v_add_f32_e32 v55, v54, v64
	v_sub_f32_e32 v54, v54, v55
	v_mul_f32_e32 v81, v55, v71
	v_add_f32_e32 v80, v64, v54
	v_mul_f32_e32 v64, v53, v81
	v_fma_f32 v66, v81, v53, -v64
	v_fmac_f32_e32 v66, v81, v3
	v_add_f32_e32 v54, v64, v66
	v_sub_f32_e32 v65, v55, v54
	v_pk_add_f32 v[68:69], v[54:55], v[64:65] neg_lo:[0,1] neg_hi:[0,1]
	v_mov_b32_e32 v67, v54
	v_pk_add_f32 v[54:55], v[68:69], v[66:67] neg_lo:[0,1] neg_hi:[0,1]
	s_mov_b32 s12, 0x3f317218
	v_add_f32_e32 v55, v80, v55
	v_add_f32_e32 v54, v54, v55
	;; [unrolled: 1-line block ×3, first 2 shown]
	v_mul_f32_e32 v80, v71, v55
	v_mul_f32_e32 v64, v53, v80
	v_fma_f32 v66, v80, v53, -v64
	v_fmac_f32_e32 v66, v80, v3
	v_sub_f32_e32 v3, v65, v55
	v_add_f32_e32 v3, v54, v3
	v_add_f32_e32 v54, v64, v66
	v_sub_f32_e32 v65, v55, v54
	v_pk_add_f32 v[68:69], v[54:55], v[64:65] neg_lo:[0,1] neg_hi:[0,1]
	v_mov_b32_e32 v67, v54
	v_pk_add_f32 v[54:55], v[68:69], v[66:67] neg_lo:[0,1] neg_hi:[0,1]
	v_add_f32_e32 v53, v81, v80
	v_add_f32_e32 v3, v3, v55
	;; [unrolled: 1-line block ×4, first 2 shown]
	v_sub_f32_e32 v54, v53, v81
	v_mul_f32_e32 v3, v71, v3
	v_sub_f32_e32 v54, v80, v54
	v_add_f32_e32 v3, v54, v3
	v_add_f32_e32 v54, v53, v3
	v_cvt_f32_i32_e32 v64, v70
	v_mul_f32_e32 v65, v54, v54
	v_mov_b32_e32 v55, 0x3ecc95a3
	v_fmac_f32_e32 v55, 0x3e9b6dac, v65
	v_fmaak_f32 v55, v65, v55, 0x3f2aaada
	v_sub_f32_e32 v53, v54, v53
	v_ldexp_f32 v67, v54, 1
	v_mul_f32_e32 v65, v54, v65
	v_mov_b32_e32 v54, 0x3f317218
	v_pk_mul_f32 v[54:55], v[64:65], v[54:55]
	v_sub_f32_e32 v3, v3, v53
	v_fma_f32 v53, v64, s12, -v54
	v_fmamk_f32 v66, v64, 0xb102e308, v53
	v_pk_add_f32 v[64:65], v[54:55], v[66:67]
	v_ldexp_f32 v3, v3, 1
	v_sub_f32_e32 v53, v65, v67
	v_sub_f32_e32 v53, v55, v53
	v_add_f32_e32 v69, v3, v53
	v_mov_b32_e32 v68, v54
	v_pk_add_f32 v[54:55], v[64:65], v[54:55] neg_lo:[0,1] neg_hi:[0,1]
	v_pk_add_f32 v[70:71], v[64:65], v[68:69]
	v_mov_b32_e32 v67, v64
	v_mov_b32_e32 v55, v71
	v_pk_add_f32 v[80:81], v[66:67], v[54:55] neg_lo:[0,1] neg_hi:[0,1]
	v_pk_add_f32 v[54:55], v[66:67], v[54:55]
	v_mov_b32_e32 v68, v69
	v_mov_b32_e32 v66, v55
	v_pk_add_f32 v[82:83], v[66:67], v[64:65] neg_lo:[0,1] neg_hi:[0,1]
	v_mov_b32_e32 v54, v71
	v_mov_b32_e32 v3, v82
	v_pk_add_f32 v[84:85], v[70:71], v[2:3] neg_lo:[0,1] neg_hi:[0,1]
	v_mov_b32_e32 v70, v65
	v_mov_b32_e32 v71, v82
	;; [unrolled: 1-line block ×3, first 2 shown]
	v_pk_add_f32 v[54:55], v[54:55], v[70:71] neg_lo:[0,1] neg_hi:[0,1]
	v_mov_b32_e32 v69, v64
	v_pk_add_f32 v[54:55], v[68:69], v[54:55] neg_lo:[0,1] neg_hi:[0,1]
	v_mov_b32_e32 v84, v80
	v_pk_add_f32 v[64:65], v[84:85], v[54:55]
	v_cmp_eq_f32_e64 s[12:13], s16, v49
	v_mov_b32_e32 v68, v65
	v_pk_add_f32 v[68:69], v[64:65], v[68:69]
	s_mov_b32 s16, 0x33800000
	v_pk_add_f32 v[66:67], v[66:67], v[68:69]
	v_mov_b32_e32 v55, v68
	v_mov_b32_e32 v65, v66
	v_pk_add_f32 v[70:71], v[64:65], v[80:81] neg_lo:[0,1] neg_hi:[0,1]
	v_cmp_lt_f32_e64 s[16:17], |v49|, s16
	v_sub_f32_e32 v3, v64, v70
	v_pk_add_f32 v[54:55], v[54:55], v[70:71] neg_lo:[0,1] neg_hi:[0,1]
	v_sub_f32_e32 v3, v80, v3
	v_add_f32_e32 v3, v54, v3
	v_add_f32_e32 v3, v3, v55
	;; [unrolled: 1-line block ×3, first 2 shown]
	s_or_b64 s[12:13], s[12:13], s[16:17]
	v_cndmask_b32_e64 v3, v3, v49, s[12:13]
	v_add_f32_e32 v53, v2, v3
.LBB121_284:
	s_or_b64 exec, exec, s[14:15]
	v_max_f32_e32 v49, v37, v37
	v_max_f32_e32 v2, v53, v53
	v_min_f32_e32 v3, v2, v49
	v_cmp_u_f32_e64 s[14:15], v53, v53
	v_max_f32_e32 v2, v2, v49
	v_cmp_u_f32_e64 s[12:13], v37, v37
	v_cndmask_b32_e64 v3, v3, v53, s[14:15]
	v_cndmask_b32_e64 v2, v2, v53, s[14:15]
	;; [unrolled: 1-line block ×4, first 2 shown]
	s_movk_i32 s18, 0x1f8
	v_cmp_neq_f32_e64 s[14:15], v3, v2
	v_cmp_class_f32_e64 s[16:17], v3, s18
	s_or_b64 s[14:15], s[14:15], s[16:17]
	s_and_saveexec_b64 s[16:17], s[14:15]
	s_cbranch_execz .LBB121_286
; %bb.285:
	v_sub_f32_e32 v3, v3, v2
	s_mov_b32 s14, 0x3fb8aa3b
	v_mul_f32_e32 v53, 0x3fb8aa3b, v3
	v_fma_f32 v54, v3, s14, -v53
	v_rndne_f32_e32 v55, v53
	v_fmamk_f32 v54, v3, 0x32a5705f, v54
	v_sub_f32_e32 v53, v53, v55
	v_add_f32_e32 v53, v53, v54
	v_exp_f32_e32 v53, v53
	v_cvt_i32_f32_e32 v54, v55
	s_mov_b32 s14, 0xc2ce8ed0
	v_cmp_ngt_f32_e64 s[14:15], s14, v3
	s_mov_b32 s19, 0x7f800000
	v_ldexp_f32 v53, v53, v54
	v_cndmask_b32_e64 v53, 0, v53, s[14:15]
	s_mov_b32 s14, 0x42b17218
	v_mov_b32_e32 v54, 0x7f800000
	v_cmp_nlt_f32_e64 s[14:15], s14, v3
	s_nop 1
	v_cndmask_b32_e64 v53, v54, v53, s[14:15]
	v_add_f32_e32 v3, 1.0, v53
	v_add_f32_e32 v54, -1.0, v3
	v_sub_f32_e32 v55, v54, v3
	v_add_f32_e32 v55, 1.0, v55
	v_sub_f32_e32 v54, v53, v54
	v_add_f32_e32 v64, v54, v55
	v_frexp_mant_f32_e32 v65, v3
	s_mov_b32 s14, 0x3f2aaaab
	v_cvt_f64_f32_e32 v[54:55], v3
	v_frexp_exp_i32_f64_e32 v54, v[54:55]
	v_cmp_gt_f32_e64 s[14:15], s14, v65
	s_nop 1
	v_subbrev_co_u32_e64 v70, s[14:15], 0, v54, s[14:15]
	v_sub_u32_e32 v54, 0, v70
	v_ldexp_f32 v3, v3, v54
	v_ldexp_f32 v54, v64, v54
	v_add_f32_e32 v64, -1.0, v3
	v_add_f32_e32 v55, 1.0, v64
	v_sub_f32_e32 v55, v3, v55
	v_add_f32_e32 v65, v54, v55
	v_add_f32_e32 v55, 1.0, v3
	v_add_f32_e32 v66, -1.0, v55
	v_sub_f32_e32 v3, v3, v66
	v_add_f32_e32 v3, v54, v3
	v_add_f32_e32 v71, v55, v3
	v_rcp_f32_e32 v80, v71
	v_sub_f32_e32 v54, v55, v71
	v_add_f32_e32 v55, v64, v65
	v_add_f32_e32 v3, v3, v54
	v_mul_f32_e32 v82, v55, v80
	v_sub_f32_e32 v54, v64, v55
	v_mul_f32_e32 v64, v71, v82
	v_fma_f32 v66, v82, v71, -v64
	v_fmac_f32_e32 v66, v82, v3
	v_add_f32_e32 v81, v65, v54
	v_add_f32_e32 v54, v64, v66
	v_sub_f32_e32 v65, v55, v54
	v_pk_add_f32 v[68:69], v[54:55], v[64:65] neg_lo:[0,1] neg_hi:[0,1]
	v_mov_b32_e32 v67, v54
	v_pk_add_f32 v[54:55], v[68:69], v[66:67] neg_lo:[0,1] neg_hi:[0,1]
	s_mov_b32 s14, 0x3f317218
	v_add_f32_e32 v55, v81, v55
	v_add_f32_e32 v54, v54, v55
	;; [unrolled: 1-line block ×3, first 2 shown]
	v_mul_f32_e32 v81, v80, v55
	v_mul_f32_e32 v64, v71, v81
	v_fma_f32 v66, v81, v71, -v64
	v_fmac_f32_e32 v66, v81, v3
	v_sub_f32_e32 v3, v65, v55
	v_add_f32_e32 v3, v54, v3
	v_add_f32_e32 v54, v64, v66
	v_sub_f32_e32 v65, v55, v54
	v_pk_add_f32 v[68:69], v[54:55], v[64:65] neg_lo:[0,1] neg_hi:[0,1]
	v_mov_b32_e32 v67, v54
	v_pk_add_f32 v[54:55], v[68:69], v[66:67] neg_lo:[0,1] neg_hi:[0,1]
	v_cvt_f32_i32_e32 v64, v70
	v_add_f32_e32 v3, v3, v55
	v_add_f32_e32 v3, v54, v3
	;; [unrolled: 1-line block ×4, first 2 shown]
	v_sub_f32_e32 v55, v54, v82
	v_mul_f32_e32 v3, v80, v3
	v_sub_f32_e32 v55, v81, v55
	v_add_f32_e32 v3, v55, v3
	v_add_f32_e32 v65, v54, v3
	v_mul_f32_e32 v66, v65, v65
	v_mov_b32_e32 v55, 0x3ecc95a3
	v_fmac_f32_e32 v55, 0x3e9b6dac, v66
	v_sub_f32_e32 v54, v65, v54
	v_fmaak_f32 v55, v66, v55, 0x3f2aaada
	v_sub_f32_e32 v3, v3, v54
	v_ldexp_f32 v67, v65, 1
	v_mul_f32_e32 v65, v65, v66
	v_mov_b32_e32 v54, 0x3f317218
	v_pk_mul_f32 v[54:55], v[64:65], v[54:55]
	v_ldexp_f32 v3, v3, 1
	v_fma_f32 v65, v64, s14, -v54
	v_fmamk_f32 v66, v64, 0xb102e308, v65
	v_pk_add_f32 v[64:65], v[54:55], v[66:67]
	v_mov_b32_e32 v68, v54
	v_sub_f32_e32 v67, v65, v67
	v_sub_f32_e32 v67, v55, v67
	v_add_f32_e32 v69, v3, v67
	v_pk_add_f32 v[54:55], v[64:65], v[54:55] neg_lo:[0,1] neg_hi:[0,1]
	v_pk_add_f32 v[70:71], v[64:65], v[68:69]
	v_mov_b32_e32 v67, v64
	v_mov_b32_e32 v55, v71
	v_pk_add_f32 v[80:81], v[66:67], v[54:55] neg_lo:[0,1] neg_hi:[0,1]
	v_pk_add_f32 v[54:55], v[66:67], v[54:55]
	v_mov_b32_e32 v68, v69
	v_mov_b32_e32 v66, v55
	v_pk_add_f32 v[82:83], v[66:67], v[64:65] neg_lo:[0,1] neg_hi:[0,1]
	v_mov_b32_e32 v54, v71
	v_mov_b32_e32 v3, v82
	v_pk_add_f32 v[84:85], v[70:71], v[2:3] neg_lo:[0,1] neg_hi:[0,1]
	v_mov_b32_e32 v70, v65
	v_mov_b32_e32 v71, v82
	;; [unrolled: 1-line block ×3, first 2 shown]
	v_pk_add_f32 v[54:55], v[54:55], v[70:71] neg_lo:[0,1] neg_hi:[0,1]
	v_mov_b32_e32 v69, v64
	v_pk_add_f32 v[54:55], v[68:69], v[54:55] neg_lo:[0,1] neg_hi:[0,1]
	v_mov_b32_e32 v84, v80
	v_pk_add_f32 v[64:65], v[84:85], v[54:55]
	v_cmp_eq_f32_e64 s[14:15], s19, v53
	v_mov_b32_e32 v68, v65
	v_pk_add_f32 v[68:69], v[64:65], v[68:69]
	s_mov_b32 s19, 0x33800000
	v_pk_add_f32 v[66:67], v[66:67], v[68:69]
	v_mov_b32_e32 v55, v68
	v_mov_b32_e32 v65, v66
	v_pk_add_f32 v[70:71], v[64:65], v[80:81] neg_lo:[0,1] neg_hi:[0,1]
	v_cmp_lt_f32_e64 s[20:21], |v53|, s19
	v_sub_f32_e32 v3, v64, v70
	v_pk_add_f32 v[54:55], v[54:55], v[70:71] neg_lo:[0,1] neg_hi:[0,1]
	v_sub_f32_e32 v3, v80, v3
	v_add_f32_e32 v3, v54, v3
	v_add_f32_e32 v3, v3, v55
	;; [unrolled: 1-line block ×3, first 2 shown]
	s_or_b64 s[14:15], s[14:15], s[20:21]
	v_cndmask_b32_e64 v3, v3, v53, s[14:15]
	v_add_f32_e32 v53, v2, v3
.LBB121_286:
	s_or_b64 exec, exec, s[16:17]
	v_max_f32_e32 v54, v38, v38
	v_max_f32_e32 v2, v53, v53
	v_min_f32_e32 v3, v2, v54
	v_cmp_u_f32_e64 s[16:17], v53, v53
	v_max_f32_e32 v2, v2, v54
	v_cmp_u_f32_e64 s[14:15], v38, v38
	v_cndmask_b32_e64 v3, v3, v53, s[16:17]
	v_cndmask_b32_e64 v2, v2, v53, s[16:17]
	;; [unrolled: 1-line block ×4, first 2 shown]
	v_cmp_neq_f32_e64 s[16:17], v3, v2
	v_cmp_class_f32_e64 s[18:19], v3, s18
	s_or_b64 s[16:17], s[16:17], s[18:19]
	s_and_saveexec_b64 s[18:19], s[16:17]
	s_cbranch_execz .LBB121_288
; %bb.287:
	v_sub_f32_e32 v3, v3, v2
	s_mov_b32 s16, 0x3fb8aa3b
	v_mul_f32_e32 v53, 0x3fb8aa3b, v3
	v_fma_f32 v55, v3, s16, -v53
	v_rndne_f32_e32 v64, v53
	v_fmamk_f32 v55, v3, 0x32a5705f, v55
	v_sub_f32_e32 v53, v53, v64
	v_add_f32_e32 v53, v53, v55
	v_exp_f32_e32 v53, v53
	v_cvt_i32_f32_e32 v55, v64
	s_mov_b32 s16, 0xc2ce8ed0
	v_cmp_ngt_f32_e64 s[16:17], s16, v3
	s_mov_b32 s20, 0x7f800000
	v_ldexp_f32 v53, v53, v55
	v_cndmask_b32_e64 v53, 0, v53, s[16:17]
	s_mov_b32 s16, 0x42b17218
	v_mov_b32_e32 v55, 0x7f800000
	v_cmp_nlt_f32_e64 s[16:17], s16, v3
	s_nop 1
	v_cndmask_b32_e64 v53, v55, v53, s[16:17]
	v_add_f32_e32 v3, 1.0, v53
	v_add_f32_e32 v55, -1.0, v3
	v_sub_f32_e32 v64, v55, v3
	v_add_f32_e32 v64, 1.0, v64
	v_sub_f32_e32 v55, v53, v55
	v_add_f32_e32 v55, v55, v64
	v_frexp_mant_f32_e32 v66, v3
	s_mov_b32 s16, 0x3f2aaaab
	v_cvt_f64_f32_e32 v[64:65], v3
	v_frexp_exp_i32_f64_e32 v64, v[64:65]
	v_cmp_gt_f32_e64 s[16:17], s16, v66
	s_nop 1
	v_subbrev_co_u32_e64 v80, s[16:17], 0, v64, s[16:17]
	v_sub_u32_e32 v64, 0, v80
	v_ldexp_f32 v3, v3, v64
	v_ldexp_f32 v55, v55, v64
	v_add_f32_e32 v64, -1.0, v3
	v_add_f32_e32 v65, 1.0, v64
	v_sub_f32_e32 v65, v3, v65
	v_add_f32_e32 v66, v55, v65
	v_add_f32_e32 v65, 1.0, v3
	v_add_f32_e32 v67, -1.0, v65
	v_sub_f32_e32 v3, v3, v67
	v_add_f32_e32 v3, v55, v3
	v_add_f32_e32 v55, v65, v3
	v_rcp_f32_e32 v81, v55
	v_sub_f32_e32 v65, v65, v55
	v_add_f32_e32 v3, v3, v65
	v_add_f32_e32 v65, v64, v66
	v_sub_f32_e32 v64, v64, v65
	v_mul_f32_e32 v83, v65, v81
	v_add_f32_e32 v82, v66, v64
	v_mul_f32_e32 v66, v55, v83
	v_fma_f32 v68, v83, v55, -v66
	v_fmac_f32_e32 v68, v83, v3
	v_add_f32_e32 v64, v66, v68
	v_sub_f32_e32 v67, v65, v64
	v_pk_add_f32 v[70:71], v[64:65], v[66:67] neg_lo:[0,1] neg_hi:[0,1]
	v_mov_b32_e32 v69, v64
	v_pk_add_f32 v[64:65], v[70:71], v[68:69] neg_lo:[0,1] neg_hi:[0,1]
	s_mov_b32 s16, 0x3f317218
	v_add_f32_e32 v65, v82, v65
	v_add_f32_e32 v64, v64, v65
	;; [unrolled: 1-line block ×3, first 2 shown]
	v_mul_f32_e32 v82, v81, v65
	v_mul_f32_e32 v66, v55, v82
	v_fma_f32 v68, v82, v55, -v66
	v_fmac_f32_e32 v68, v82, v3
	v_sub_f32_e32 v3, v67, v65
	v_add_f32_e32 v3, v64, v3
	v_add_f32_e32 v64, v66, v68
	v_sub_f32_e32 v67, v65, v64
	v_pk_add_f32 v[70:71], v[64:65], v[66:67] neg_lo:[0,1] neg_hi:[0,1]
	v_mov_b32_e32 v69, v64
	v_pk_add_f32 v[64:65], v[70:71], v[68:69] neg_lo:[0,1] neg_hi:[0,1]
	v_add_f32_e32 v55, v83, v82
	v_add_f32_e32 v3, v3, v65
	;; [unrolled: 1-line block ×4, first 2 shown]
	v_sub_f32_e32 v64, v55, v83
	v_mul_f32_e32 v3, v81, v3
	v_sub_f32_e32 v64, v82, v64
	v_add_f32_e32 v3, v64, v3
	v_add_f32_e32 v64, v55, v3
	v_cvt_f32_i32_e32 v66, v80
	v_mul_f32_e32 v67, v64, v64
	v_mov_b32_e32 v65, 0x3ecc95a3
	v_fmac_f32_e32 v65, 0x3e9b6dac, v67
	v_fmaak_f32 v65, v67, v65, 0x3f2aaada
	v_sub_f32_e32 v55, v64, v55
	v_ldexp_f32 v69, v64, 1
	v_mul_f32_e32 v67, v64, v67
	v_mov_b32_e32 v64, 0x3f317218
	v_pk_mul_f32 v[64:65], v[66:67], v[64:65]
	v_sub_f32_e32 v3, v3, v55
	v_fma_f32 v55, v66, s16, -v64
	v_fmamk_f32 v68, v66, 0xb102e308, v55
	v_pk_add_f32 v[66:67], v[64:65], v[68:69]
	v_ldexp_f32 v3, v3, 1
	v_sub_f32_e32 v55, v67, v69
	v_sub_f32_e32 v55, v65, v55
	v_add_f32_e32 v71, v3, v55
	v_mov_b32_e32 v70, v64
	v_pk_add_f32 v[64:65], v[66:67], v[64:65] neg_lo:[0,1] neg_hi:[0,1]
	v_pk_add_f32 v[80:81], v[66:67], v[70:71]
	v_mov_b32_e32 v69, v66
	v_mov_b32_e32 v65, v81
	v_pk_add_f32 v[82:83], v[68:69], v[64:65] neg_lo:[0,1] neg_hi:[0,1]
	v_pk_add_f32 v[64:65], v[68:69], v[64:65]
	v_mov_b32_e32 v70, v71
	v_mov_b32_e32 v68, v65
	v_pk_add_f32 v[84:85], v[68:69], v[66:67] neg_lo:[0,1] neg_hi:[0,1]
	v_mov_b32_e32 v64, v81
	v_mov_b32_e32 v3, v84
	v_pk_add_f32 v[86:87], v[80:81], v[2:3] neg_lo:[0,1] neg_hi:[0,1]
	v_mov_b32_e32 v80, v67
	v_mov_b32_e32 v81, v84
	;; [unrolled: 1-line block ×3, first 2 shown]
	v_pk_add_f32 v[64:65], v[64:65], v[80:81] neg_lo:[0,1] neg_hi:[0,1]
	v_mov_b32_e32 v71, v66
	v_pk_add_f32 v[64:65], v[70:71], v[64:65] neg_lo:[0,1] neg_hi:[0,1]
	v_mov_b32_e32 v86, v82
	v_pk_add_f32 v[66:67], v[86:87], v[64:65]
	v_cmp_eq_f32_e64 s[16:17], s20, v53
	v_mov_b32_e32 v70, v67
	v_pk_add_f32 v[70:71], v[66:67], v[70:71]
	s_mov_b32 s20, 0x33800000
	v_pk_add_f32 v[68:69], v[68:69], v[70:71]
	v_mov_b32_e32 v65, v70
	v_mov_b32_e32 v67, v68
	v_pk_add_f32 v[80:81], v[66:67], v[82:83] neg_lo:[0,1] neg_hi:[0,1]
	v_cmp_lt_f32_e64 s[20:21], |v53|, s20
	v_sub_f32_e32 v3, v66, v80
	v_pk_add_f32 v[64:65], v[64:65], v[80:81] neg_lo:[0,1] neg_hi:[0,1]
	v_sub_f32_e32 v3, v82, v3
	v_add_f32_e32 v3, v64, v3
	v_add_f32_e32 v3, v3, v65
	;; [unrolled: 1-line block ×3, first 2 shown]
	s_or_b64 s[16:17], s[16:17], s[20:21]
	v_cndmask_b32_e64 v3, v3, v53, s[16:17]
	v_add_f32_e32 v53, v2, v3
.LBB121_288:
	s_or_b64 exec, exec, s[18:19]
	v_max_f32_e32 v55, v39, v39
	v_max_f32_e32 v2, v53, v53
	v_min_f32_e32 v3, v2, v55
	v_cmp_u_f32_e64 s[18:19], v53, v53
	v_max_f32_e32 v2, v2, v55
	v_cmp_u_f32_e64 s[16:17], v39, v39
	v_cndmask_b32_e64 v3, v3, v53, s[18:19]
	v_cndmask_b32_e64 v2, v2, v53, s[18:19]
	;; [unrolled: 1-line block ×4, first 2 shown]
	s_movk_i32 s22, 0x1f8
	v_cmp_neq_f32_e64 s[18:19], v3, v2
	v_cmp_class_f32_e64 s[20:21], v3, s22
	s_or_b64 s[18:19], s[18:19], s[20:21]
	s_and_saveexec_b64 s[20:21], s[18:19]
	s_cbranch_execz .LBB121_290
; %bb.289:
	v_sub_f32_e32 v3, v3, v2
	s_mov_b32 s18, 0x3fb8aa3b
	v_mul_f32_e32 v53, 0x3fb8aa3b, v3
	v_fma_f32 v64, v3, s18, -v53
	v_rndne_f32_e32 v65, v53
	v_fmamk_f32 v64, v3, 0x32a5705f, v64
	v_sub_f32_e32 v53, v53, v65
	v_add_f32_e32 v53, v53, v64
	v_exp_f32_e32 v53, v53
	v_cvt_i32_f32_e32 v64, v65
	s_mov_b32 s18, 0xc2ce8ed0
	v_cmp_ngt_f32_e64 s[18:19], s18, v3
	s_mov_b32 s23, 0x7f800000
	v_ldexp_f32 v53, v53, v64
	v_cndmask_b32_e64 v53, 0, v53, s[18:19]
	s_mov_b32 s18, 0x42b17218
	v_mov_b32_e32 v64, 0x7f800000
	v_cmp_nlt_f32_e64 s[18:19], s18, v3
	s_nop 1
	v_cndmask_b32_e64 v53, v64, v53, s[18:19]
	v_add_f32_e32 v3, 1.0, v53
	v_add_f32_e32 v64, -1.0, v3
	v_sub_f32_e32 v65, v64, v3
	v_add_f32_e32 v65, 1.0, v65
	v_sub_f32_e32 v64, v53, v64
	v_add_f32_e32 v66, v64, v65
	v_frexp_mant_f32_e32 v67, v3
	s_mov_b32 s18, 0x3f2aaaab
	v_cvt_f64_f32_e32 v[64:65], v3
	v_frexp_exp_i32_f64_e32 v64, v[64:65]
	v_cmp_gt_f32_e64 s[18:19], s18, v67
	s_nop 1
	v_subbrev_co_u32_e64 v80, s[18:19], 0, v64, s[18:19]
	v_sub_u32_e32 v64, 0, v80
	v_ldexp_f32 v3, v3, v64
	v_ldexp_f32 v64, v66, v64
	v_add_f32_e32 v66, -1.0, v3
	v_add_f32_e32 v65, 1.0, v66
	v_sub_f32_e32 v65, v3, v65
	v_add_f32_e32 v67, v64, v65
	v_add_f32_e32 v65, 1.0, v3
	v_add_f32_e32 v68, -1.0, v65
	v_sub_f32_e32 v3, v3, v68
	v_add_f32_e32 v3, v64, v3
	v_add_f32_e32 v81, v65, v3
	v_rcp_f32_e32 v82, v81
	v_sub_f32_e32 v64, v65, v81
	v_add_f32_e32 v65, v66, v67
	v_add_f32_e32 v3, v3, v64
	v_mul_f32_e32 v84, v65, v82
	v_sub_f32_e32 v64, v66, v65
	v_mul_f32_e32 v66, v81, v84
	v_fma_f32 v68, v84, v81, -v66
	v_fmac_f32_e32 v68, v84, v3
	v_add_f32_e32 v83, v67, v64
	v_add_f32_e32 v64, v66, v68
	v_sub_f32_e32 v67, v65, v64
	v_pk_add_f32 v[70:71], v[64:65], v[66:67] neg_lo:[0,1] neg_hi:[0,1]
	v_mov_b32_e32 v69, v64
	v_pk_add_f32 v[64:65], v[70:71], v[68:69] neg_lo:[0,1] neg_hi:[0,1]
	s_mov_b32 s18, 0x3f317218
	v_add_f32_e32 v65, v83, v65
	v_add_f32_e32 v64, v64, v65
	;; [unrolled: 1-line block ×3, first 2 shown]
	v_mul_f32_e32 v83, v82, v65
	v_mul_f32_e32 v66, v81, v83
	v_fma_f32 v68, v83, v81, -v66
	v_fmac_f32_e32 v68, v83, v3
	v_sub_f32_e32 v3, v67, v65
	v_add_f32_e32 v3, v64, v3
	v_add_f32_e32 v64, v66, v68
	v_sub_f32_e32 v67, v65, v64
	v_pk_add_f32 v[70:71], v[64:65], v[66:67] neg_lo:[0,1] neg_hi:[0,1]
	v_mov_b32_e32 v69, v64
	v_pk_add_f32 v[64:65], v[70:71], v[68:69] neg_lo:[0,1] neg_hi:[0,1]
	v_cvt_f32_i32_e32 v66, v80
	v_add_f32_e32 v3, v3, v65
	v_add_f32_e32 v3, v64, v3
	;; [unrolled: 1-line block ×4, first 2 shown]
	v_sub_f32_e32 v65, v64, v84
	v_mul_f32_e32 v3, v82, v3
	v_sub_f32_e32 v65, v83, v65
	v_add_f32_e32 v3, v65, v3
	v_add_f32_e32 v67, v64, v3
	v_mul_f32_e32 v68, v67, v67
	v_mov_b32_e32 v65, 0x3ecc95a3
	v_fmac_f32_e32 v65, 0x3e9b6dac, v68
	v_sub_f32_e32 v64, v67, v64
	v_fmaak_f32 v65, v68, v65, 0x3f2aaada
	v_sub_f32_e32 v3, v3, v64
	v_ldexp_f32 v69, v67, 1
	v_mul_f32_e32 v67, v67, v68
	v_mov_b32_e32 v64, 0x3f317218
	v_pk_mul_f32 v[64:65], v[66:67], v[64:65]
	v_ldexp_f32 v3, v3, 1
	v_fma_f32 v67, v66, s18, -v64
	v_fmamk_f32 v68, v66, 0xb102e308, v67
	v_pk_add_f32 v[66:67], v[64:65], v[68:69]
	v_mov_b32_e32 v70, v64
	v_sub_f32_e32 v69, v67, v69
	v_sub_f32_e32 v69, v65, v69
	v_add_f32_e32 v71, v3, v69
	v_pk_add_f32 v[64:65], v[66:67], v[64:65] neg_lo:[0,1] neg_hi:[0,1]
	v_pk_add_f32 v[80:81], v[66:67], v[70:71]
	v_mov_b32_e32 v69, v66
	v_mov_b32_e32 v65, v81
	v_pk_add_f32 v[82:83], v[68:69], v[64:65] neg_lo:[0,1] neg_hi:[0,1]
	v_pk_add_f32 v[64:65], v[68:69], v[64:65]
	v_mov_b32_e32 v70, v71
	v_mov_b32_e32 v68, v65
	v_pk_add_f32 v[84:85], v[68:69], v[66:67] neg_lo:[0,1] neg_hi:[0,1]
	v_mov_b32_e32 v64, v81
	v_mov_b32_e32 v3, v84
	v_pk_add_f32 v[86:87], v[80:81], v[2:3] neg_lo:[0,1] neg_hi:[0,1]
	v_mov_b32_e32 v80, v67
	v_mov_b32_e32 v81, v84
	;; [unrolled: 1-line block ×3, first 2 shown]
	v_pk_add_f32 v[64:65], v[64:65], v[80:81] neg_lo:[0,1] neg_hi:[0,1]
	v_mov_b32_e32 v71, v66
	v_pk_add_f32 v[64:65], v[70:71], v[64:65] neg_lo:[0,1] neg_hi:[0,1]
	v_mov_b32_e32 v86, v82
	v_pk_add_f32 v[66:67], v[86:87], v[64:65]
	v_cmp_eq_f32_e64 s[18:19], s23, v53
	v_mov_b32_e32 v70, v67
	v_pk_add_f32 v[70:71], v[66:67], v[70:71]
	s_mov_b32 s23, 0x33800000
	v_pk_add_f32 v[68:69], v[68:69], v[70:71]
	v_mov_b32_e32 v65, v70
	v_mov_b32_e32 v67, v68
	v_pk_add_f32 v[80:81], v[66:67], v[82:83] neg_lo:[0,1] neg_hi:[0,1]
	v_cmp_lt_f32_e64 s[24:25], |v53|, s23
	v_sub_f32_e32 v3, v66, v80
	v_pk_add_f32 v[64:65], v[64:65], v[80:81] neg_lo:[0,1] neg_hi:[0,1]
	v_sub_f32_e32 v3, v82, v3
	v_add_f32_e32 v3, v64, v3
	v_add_f32_e32 v3, v3, v65
	;; [unrolled: 1-line block ×3, first 2 shown]
	s_or_b64 s[18:19], s[18:19], s[24:25]
	v_cndmask_b32_e64 v3, v3, v53, s[18:19]
	v_add_f32_e32 v53, v2, v3
.LBB121_290:
	s_or_b64 exec, exec, s[20:21]
	v_max_f32_e32 v64, v32, v32
	v_max_f32_e32 v2, v53, v53
	v_min_f32_e32 v3, v2, v64
	v_cmp_u_f32_e64 s[20:21], v53, v53
	v_max_f32_e32 v2, v2, v64
	v_cmp_u_f32_e64 s[18:19], v32, v32
	v_cndmask_b32_e64 v3, v3, v53, s[20:21]
	v_cndmask_b32_e64 v2, v2, v53, s[20:21]
	;; [unrolled: 1-line block ×4, first 2 shown]
	v_cmp_neq_f32_e64 s[20:21], v3, v2
	v_cmp_class_f32_e64 s[22:23], v3, s22
	s_or_b64 s[20:21], s[20:21], s[22:23]
	s_and_saveexec_b64 s[22:23], s[20:21]
	s_cbranch_execz .LBB121_292
; %bb.291:
	v_sub_f32_e32 v3, v3, v2
	s_mov_b32 s20, 0x3fb8aa3b
	v_mul_f32_e32 v53, 0x3fb8aa3b, v3
	v_fma_f32 v65, v3, s20, -v53
	v_rndne_f32_e32 v66, v53
	v_fmamk_f32 v65, v3, 0x32a5705f, v65
	v_sub_f32_e32 v53, v53, v66
	v_add_f32_e32 v53, v53, v65
	v_exp_f32_e32 v53, v53
	v_cvt_i32_f32_e32 v65, v66
	s_mov_b32 s20, 0xc2ce8ed0
	v_cmp_ngt_f32_e64 s[20:21], s20, v3
	s_mov_b32 s24, 0x7f800000
	v_ldexp_f32 v53, v53, v65
	v_cndmask_b32_e64 v53, 0, v53, s[20:21]
	s_mov_b32 s20, 0x42b17218
	v_mov_b32_e32 v65, 0x7f800000
	v_cmp_nlt_f32_e64 s[20:21], s20, v3
	s_nop 1
	v_cndmask_b32_e64 v53, v65, v53, s[20:21]
	v_add_f32_e32 v3, 1.0, v53
	v_add_f32_e32 v65, -1.0, v3
	v_sub_f32_e32 v66, v65, v3
	v_add_f32_e32 v66, 1.0, v66
	v_sub_f32_e32 v65, v53, v65
	v_add_f32_e32 v65, v65, v66
	v_frexp_mant_f32_e32 v68, v3
	s_mov_b32 s20, 0x3f2aaaab
	v_cvt_f64_f32_e32 v[66:67], v3
	v_frexp_exp_i32_f64_e32 v66, v[66:67]
	v_cmp_gt_f32_e64 s[20:21], s20, v68
	s_nop 1
	v_subbrev_co_u32_e64 v82, s[20:21], 0, v66, s[20:21]
	v_sub_u32_e32 v66, 0, v82
	v_ldexp_f32 v3, v3, v66
	v_ldexp_f32 v65, v65, v66
	v_add_f32_e32 v66, -1.0, v3
	v_add_f32_e32 v67, 1.0, v66
	v_sub_f32_e32 v67, v3, v67
	v_add_f32_e32 v68, v65, v67
	v_add_f32_e32 v67, 1.0, v3
	v_add_f32_e32 v69, -1.0, v67
	v_sub_f32_e32 v3, v3, v69
	v_add_f32_e32 v3, v65, v3
	v_add_f32_e32 v65, v67, v3
	v_rcp_f32_e32 v83, v65
	v_sub_f32_e32 v67, v67, v65
	v_add_f32_e32 v3, v3, v67
	v_add_f32_e32 v67, v66, v68
	v_sub_f32_e32 v66, v66, v67
	v_mul_f32_e32 v85, v67, v83
	v_add_f32_e32 v84, v68, v66
	v_mul_f32_e32 v68, v65, v85
	v_fma_f32 v70, v85, v65, -v68
	v_fmac_f32_e32 v70, v85, v3
	v_add_f32_e32 v66, v68, v70
	v_sub_f32_e32 v69, v67, v66
	v_pk_add_f32 v[80:81], v[66:67], v[68:69] neg_lo:[0,1] neg_hi:[0,1]
	v_mov_b32_e32 v71, v66
	v_pk_add_f32 v[66:67], v[80:81], v[70:71] neg_lo:[0,1] neg_hi:[0,1]
	s_mov_b32 s20, 0x3f317218
	v_add_f32_e32 v67, v84, v67
	v_add_f32_e32 v66, v66, v67
	v_add_f32_e32 v67, v69, v66
	v_mul_f32_e32 v84, v83, v67
	v_mul_f32_e32 v68, v65, v84
	v_fma_f32 v70, v84, v65, -v68
	v_fmac_f32_e32 v70, v84, v3
	v_sub_f32_e32 v3, v69, v67
	v_add_f32_e32 v3, v66, v3
	v_add_f32_e32 v66, v68, v70
	v_sub_f32_e32 v69, v67, v66
	v_pk_add_f32 v[80:81], v[66:67], v[68:69] neg_lo:[0,1] neg_hi:[0,1]
	v_mov_b32_e32 v71, v66
	v_pk_add_f32 v[66:67], v[80:81], v[70:71] neg_lo:[0,1] neg_hi:[0,1]
	v_add_f32_e32 v65, v85, v84
	v_add_f32_e32 v3, v3, v67
	;; [unrolled: 1-line block ×4, first 2 shown]
	v_sub_f32_e32 v66, v65, v85
	v_mul_f32_e32 v3, v83, v3
	v_sub_f32_e32 v66, v84, v66
	v_add_f32_e32 v3, v66, v3
	v_add_f32_e32 v66, v65, v3
	v_cvt_f32_i32_e32 v68, v82
	v_mul_f32_e32 v69, v66, v66
	v_mov_b32_e32 v67, 0x3ecc95a3
	v_fmac_f32_e32 v67, 0x3e9b6dac, v69
	v_fmaak_f32 v67, v69, v67, 0x3f2aaada
	v_sub_f32_e32 v65, v66, v65
	v_ldexp_f32 v71, v66, 1
	v_mul_f32_e32 v69, v66, v69
	v_mov_b32_e32 v66, 0x3f317218
	v_pk_mul_f32 v[66:67], v[68:69], v[66:67]
	v_sub_f32_e32 v3, v3, v65
	v_fma_f32 v65, v68, s20, -v66
	v_fmamk_f32 v70, v68, 0xb102e308, v65
	v_pk_add_f32 v[68:69], v[66:67], v[70:71]
	v_ldexp_f32 v3, v3, 1
	v_sub_f32_e32 v65, v69, v71
	v_sub_f32_e32 v65, v67, v65
	v_add_f32_e32 v81, v3, v65
	v_mov_b32_e32 v80, v66
	v_pk_add_f32 v[66:67], v[68:69], v[66:67] neg_lo:[0,1] neg_hi:[0,1]
	v_pk_add_f32 v[82:83], v[68:69], v[80:81]
	v_mov_b32_e32 v71, v68
	v_mov_b32_e32 v67, v83
	v_pk_add_f32 v[84:85], v[70:71], v[66:67] neg_lo:[0,1] neg_hi:[0,1]
	v_pk_add_f32 v[66:67], v[70:71], v[66:67]
	v_mov_b32_e32 v80, v81
	v_mov_b32_e32 v70, v67
	v_pk_add_f32 v[86:87], v[70:71], v[68:69] neg_lo:[0,1] neg_hi:[0,1]
	v_mov_b32_e32 v66, v83
	v_mov_b32_e32 v3, v86
	v_pk_add_f32 v[112:113], v[82:83], v[2:3] neg_lo:[0,1] neg_hi:[0,1]
	v_mov_b32_e32 v82, v69
	v_mov_b32_e32 v83, v86
	;; [unrolled: 1-line block ×3, first 2 shown]
	v_pk_add_f32 v[66:67], v[66:67], v[82:83] neg_lo:[0,1] neg_hi:[0,1]
	v_mov_b32_e32 v81, v68
	v_pk_add_f32 v[66:67], v[80:81], v[66:67] neg_lo:[0,1] neg_hi:[0,1]
	v_mov_b32_e32 v112, v84
	v_pk_add_f32 v[68:69], v[112:113], v[66:67]
	v_cmp_eq_f32_e64 s[20:21], s24, v53
	v_mov_b32_e32 v80, v69
	v_pk_add_f32 v[80:81], v[68:69], v[80:81]
	s_mov_b32 s24, 0x33800000
	v_pk_add_f32 v[70:71], v[70:71], v[80:81]
	v_mov_b32_e32 v67, v80
	v_mov_b32_e32 v69, v70
	v_pk_add_f32 v[82:83], v[68:69], v[84:85] neg_lo:[0,1] neg_hi:[0,1]
	v_cmp_lt_f32_e64 s[24:25], |v53|, s24
	v_sub_f32_e32 v3, v68, v82
	v_pk_add_f32 v[66:67], v[66:67], v[82:83] neg_lo:[0,1] neg_hi:[0,1]
	v_sub_f32_e32 v3, v84, v3
	v_add_f32_e32 v3, v66, v3
	v_add_f32_e32 v3, v3, v67
	;; [unrolled: 1-line block ×3, first 2 shown]
	s_or_b64 s[20:21], s[20:21], s[24:25]
	v_cndmask_b32_e64 v3, v3, v53, s[20:21]
	v_add_f32_e32 v53, v2, v3
.LBB121_292:
	s_or_b64 exec, exec, s[22:23]
	v_max_f32_e32 v65, v33, v33
	v_max_f32_e32 v2, v53, v53
	v_min_f32_e32 v3, v2, v65
	v_cmp_u_f32_e64 s[22:23], v53, v53
	v_max_f32_e32 v2, v2, v65
	v_cmp_u_f32_e64 s[20:21], v33, v33
	v_cndmask_b32_e64 v3, v3, v53, s[22:23]
	v_cndmask_b32_e64 v2, v2, v53, s[22:23]
	;; [unrolled: 1-line block ×4, first 2 shown]
	s_movk_i32 s26, 0x1f8
	v_cmp_neq_f32_e64 s[22:23], v3, v2
	v_cmp_class_f32_e64 s[24:25], v3, s26
	s_or_b64 s[22:23], s[22:23], s[24:25]
	s_and_saveexec_b64 s[24:25], s[22:23]
	s_cbranch_execz .LBB121_294
; %bb.293:
	v_sub_f32_e32 v3, v3, v2
	s_mov_b32 s22, 0x3fb8aa3b
	v_mul_f32_e32 v53, 0x3fb8aa3b, v3
	v_fma_f32 v66, v3, s22, -v53
	v_rndne_f32_e32 v67, v53
	v_fmamk_f32 v66, v3, 0x32a5705f, v66
	v_sub_f32_e32 v53, v53, v67
	v_add_f32_e32 v53, v53, v66
	v_exp_f32_e32 v53, v53
	v_cvt_i32_f32_e32 v66, v67
	s_mov_b32 s22, 0xc2ce8ed0
	v_cmp_ngt_f32_e64 s[22:23], s22, v3
	s_mov_b32 s27, 0x7f800000
	v_ldexp_f32 v53, v53, v66
	v_cndmask_b32_e64 v53, 0, v53, s[22:23]
	s_mov_b32 s22, 0x42b17218
	v_mov_b32_e32 v66, 0x7f800000
	v_cmp_nlt_f32_e64 s[22:23], s22, v3
	s_nop 1
	v_cndmask_b32_e64 v53, v66, v53, s[22:23]
	v_add_f32_e32 v3, 1.0, v53
	v_add_f32_e32 v66, -1.0, v3
	v_sub_f32_e32 v67, v66, v3
	v_add_f32_e32 v67, 1.0, v67
	v_sub_f32_e32 v66, v53, v66
	v_add_f32_e32 v68, v66, v67
	v_frexp_mant_f32_e32 v69, v3
	s_mov_b32 s22, 0x3f2aaaab
	v_cvt_f64_f32_e32 v[66:67], v3
	v_frexp_exp_i32_f64_e32 v66, v[66:67]
	v_cmp_gt_f32_e64 s[22:23], s22, v69
	s_nop 1
	v_subbrev_co_u32_e64 v82, s[22:23], 0, v66, s[22:23]
	v_sub_u32_e32 v66, 0, v82
	v_ldexp_f32 v3, v3, v66
	v_ldexp_f32 v66, v68, v66
	v_add_f32_e32 v68, -1.0, v3
	v_add_f32_e32 v67, 1.0, v68
	v_sub_f32_e32 v67, v3, v67
	v_add_f32_e32 v69, v66, v67
	v_add_f32_e32 v67, 1.0, v3
	v_add_f32_e32 v70, -1.0, v67
	v_sub_f32_e32 v3, v3, v70
	v_add_f32_e32 v3, v66, v3
	v_add_f32_e32 v83, v67, v3
	v_rcp_f32_e32 v84, v83
	v_sub_f32_e32 v66, v67, v83
	v_add_f32_e32 v67, v68, v69
	v_add_f32_e32 v3, v3, v66
	v_mul_f32_e32 v86, v67, v84
	v_sub_f32_e32 v66, v68, v67
	v_mul_f32_e32 v68, v83, v86
	v_fma_f32 v70, v86, v83, -v68
	v_fmac_f32_e32 v70, v86, v3
	v_add_f32_e32 v85, v69, v66
	v_add_f32_e32 v66, v68, v70
	v_sub_f32_e32 v69, v67, v66
	v_pk_add_f32 v[80:81], v[66:67], v[68:69] neg_lo:[0,1] neg_hi:[0,1]
	v_mov_b32_e32 v71, v66
	v_pk_add_f32 v[66:67], v[80:81], v[70:71] neg_lo:[0,1] neg_hi:[0,1]
	s_mov_b32 s22, 0x3f317218
	v_add_f32_e32 v67, v85, v67
	v_add_f32_e32 v66, v66, v67
	v_add_f32_e32 v67, v69, v66
	v_mul_f32_e32 v85, v84, v67
	v_mul_f32_e32 v68, v83, v85
	v_fma_f32 v70, v85, v83, -v68
	v_fmac_f32_e32 v70, v85, v3
	v_sub_f32_e32 v3, v69, v67
	v_add_f32_e32 v3, v66, v3
	v_add_f32_e32 v66, v68, v70
	v_sub_f32_e32 v69, v67, v66
	v_pk_add_f32 v[80:81], v[66:67], v[68:69] neg_lo:[0,1] neg_hi:[0,1]
	v_mov_b32_e32 v71, v66
	v_pk_add_f32 v[66:67], v[80:81], v[70:71] neg_lo:[0,1] neg_hi:[0,1]
	v_cvt_f32_i32_e32 v68, v82
	v_add_f32_e32 v3, v3, v67
	v_add_f32_e32 v3, v66, v3
	;; [unrolled: 1-line block ×4, first 2 shown]
	v_sub_f32_e32 v67, v66, v86
	v_mul_f32_e32 v3, v84, v3
	v_sub_f32_e32 v67, v85, v67
	v_add_f32_e32 v3, v67, v3
	v_add_f32_e32 v69, v66, v3
	v_mul_f32_e32 v70, v69, v69
	v_mov_b32_e32 v67, 0x3ecc95a3
	v_fmac_f32_e32 v67, 0x3e9b6dac, v70
	v_sub_f32_e32 v66, v69, v66
	v_fmaak_f32 v67, v70, v67, 0x3f2aaada
	v_sub_f32_e32 v3, v3, v66
	v_ldexp_f32 v71, v69, 1
	v_mul_f32_e32 v69, v69, v70
	v_mov_b32_e32 v66, 0x3f317218
	v_pk_mul_f32 v[66:67], v[68:69], v[66:67]
	v_ldexp_f32 v3, v3, 1
	v_fma_f32 v69, v68, s22, -v66
	v_fmamk_f32 v70, v68, 0xb102e308, v69
	v_pk_add_f32 v[68:69], v[66:67], v[70:71]
	v_mov_b32_e32 v80, v66
	v_sub_f32_e32 v71, v69, v71
	v_sub_f32_e32 v71, v67, v71
	v_add_f32_e32 v81, v3, v71
	v_pk_add_f32 v[66:67], v[68:69], v[66:67] neg_lo:[0,1] neg_hi:[0,1]
	v_pk_add_f32 v[82:83], v[68:69], v[80:81]
	v_mov_b32_e32 v71, v68
	v_mov_b32_e32 v67, v83
	v_pk_add_f32 v[84:85], v[70:71], v[66:67] neg_lo:[0,1] neg_hi:[0,1]
	v_pk_add_f32 v[66:67], v[70:71], v[66:67]
	v_mov_b32_e32 v80, v81
	v_mov_b32_e32 v70, v67
	v_pk_add_f32 v[86:87], v[70:71], v[68:69] neg_lo:[0,1] neg_hi:[0,1]
	v_mov_b32_e32 v66, v83
	v_mov_b32_e32 v3, v86
	v_pk_add_f32 v[112:113], v[82:83], v[2:3] neg_lo:[0,1] neg_hi:[0,1]
	v_mov_b32_e32 v82, v69
	v_mov_b32_e32 v83, v86
	;; [unrolled: 1-line block ×3, first 2 shown]
	v_pk_add_f32 v[66:67], v[66:67], v[82:83] neg_lo:[0,1] neg_hi:[0,1]
	v_mov_b32_e32 v81, v68
	v_pk_add_f32 v[66:67], v[80:81], v[66:67] neg_lo:[0,1] neg_hi:[0,1]
	v_mov_b32_e32 v112, v84
	v_pk_add_f32 v[68:69], v[112:113], v[66:67]
	v_cmp_eq_f32_e64 s[22:23], s27, v53
	v_mov_b32_e32 v80, v69
	v_pk_add_f32 v[80:81], v[68:69], v[80:81]
	s_mov_b32 s27, 0x33800000
	v_pk_add_f32 v[70:71], v[70:71], v[80:81]
	v_mov_b32_e32 v67, v80
	v_mov_b32_e32 v69, v70
	v_pk_add_f32 v[82:83], v[68:69], v[84:85] neg_lo:[0,1] neg_hi:[0,1]
	v_cmp_lt_f32_e64 s[28:29], |v53|, s27
	v_sub_f32_e32 v3, v68, v82
	v_pk_add_f32 v[66:67], v[66:67], v[82:83] neg_lo:[0,1] neg_hi:[0,1]
	v_sub_f32_e32 v3, v84, v3
	v_add_f32_e32 v3, v66, v3
	v_add_f32_e32 v3, v3, v67
	;; [unrolled: 1-line block ×3, first 2 shown]
	s_or_b64 s[22:23], s[22:23], s[28:29]
	v_cndmask_b32_e64 v3, v3, v53, s[22:23]
	v_add_f32_e32 v53, v2, v3
.LBB121_294:
	s_or_b64 exec, exec, s[24:25]
	v_max_f32_e32 v66, v34, v34
	v_max_f32_e32 v2, v53, v53
	v_min_f32_e32 v3, v2, v66
	v_cmp_u_f32_e64 s[24:25], v53, v53
	v_max_f32_e32 v2, v2, v66
	v_cmp_u_f32_e64 s[22:23], v34, v34
	v_cndmask_b32_e64 v3, v3, v53, s[24:25]
	v_cndmask_b32_e64 v2, v2, v53, s[24:25]
	;; [unrolled: 1-line block ×4, first 2 shown]
	v_cmp_neq_f32_e64 s[24:25], v3, v2
	v_cmp_class_f32_e64 s[26:27], v3, s26
	s_or_b64 s[24:25], s[24:25], s[26:27]
	s_and_saveexec_b64 s[26:27], s[24:25]
	s_cbranch_execz .LBB121_296
; %bb.295:
	v_sub_f32_e32 v3, v3, v2
	s_mov_b32 s24, 0x3fb8aa3b
	v_mul_f32_e32 v53, 0x3fb8aa3b, v3
	v_fma_f32 v67, v3, s24, -v53
	v_rndne_f32_e32 v68, v53
	v_fmamk_f32 v67, v3, 0x32a5705f, v67
	v_sub_f32_e32 v53, v53, v68
	v_add_f32_e32 v53, v53, v67
	v_exp_f32_e32 v53, v53
	v_cvt_i32_f32_e32 v67, v68
	s_mov_b32 s24, 0xc2ce8ed0
	v_cmp_ngt_f32_e64 s[24:25], s24, v3
	s_mov_b32 s28, 0x7f800000
	v_ldexp_f32 v53, v53, v67
	v_cndmask_b32_e64 v53, 0, v53, s[24:25]
	s_mov_b32 s24, 0x42b17218
	v_mov_b32_e32 v67, 0x7f800000
	v_cmp_nlt_f32_e64 s[24:25], s24, v3
	s_nop 1
	v_cndmask_b32_e64 v53, v67, v53, s[24:25]
	v_add_f32_e32 v3, 1.0, v53
	v_add_f32_e32 v67, -1.0, v3
	v_sub_f32_e32 v68, v67, v3
	v_add_f32_e32 v68, 1.0, v68
	v_sub_f32_e32 v67, v53, v67
	v_add_f32_e32 v67, v67, v68
	v_frexp_mant_f32_e32 v70, v3
	s_mov_b32 s24, 0x3f2aaaab
	v_cvt_f64_f32_e32 v[68:69], v3
	v_frexp_exp_i32_f64_e32 v68, v[68:69]
	v_cmp_gt_f32_e64 s[24:25], s24, v70
	s_nop 1
	v_subbrev_co_u32_e64 v84, s[24:25], 0, v68, s[24:25]
	v_sub_u32_e32 v68, 0, v84
	v_ldexp_f32 v3, v3, v68
	v_ldexp_f32 v67, v67, v68
	v_add_f32_e32 v68, -1.0, v3
	v_add_f32_e32 v69, 1.0, v68
	v_sub_f32_e32 v69, v3, v69
	v_add_f32_e32 v70, v67, v69
	v_add_f32_e32 v69, 1.0, v3
	v_add_f32_e32 v71, -1.0, v69
	v_sub_f32_e32 v3, v3, v71
	v_add_f32_e32 v3, v67, v3
	v_add_f32_e32 v67, v69, v3
	v_rcp_f32_e32 v85, v67
	v_sub_f32_e32 v69, v69, v67
	v_add_f32_e32 v3, v3, v69
	v_add_f32_e32 v69, v68, v70
	v_sub_f32_e32 v68, v68, v69
	v_mul_f32_e32 v87, v69, v85
	v_add_f32_e32 v86, v70, v68
	v_mul_f32_e32 v70, v67, v87
	v_fma_f32 v80, v87, v67, -v70
	v_fmac_f32_e32 v80, v87, v3
	v_add_f32_e32 v68, v70, v80
	v_sub_f32_e32 v71, v69, v68
	v_pk_add_f32 v[82:83], v[68:69], v[70:71] neg_lo:[0,1] neg_hi:[0,1]
	v_mov_b32_e32 v81, v68
	v_pk_add_f32 v[68:69], v[82:83], v[80:81] neg_lo:[0,1] neg_hi:[0,1]
	s_mov_b32 s24, 0x3f317218
	v_add_f32_e32 v69, v86, v69
	v_add_f32_e32 v68, v68, v69
	;; [unrolled: 1-line block ×3, first 2 shown]
	v_mul_f32_e32 v86, v85, v69
	v_mul_f32_e32 v70, v67, v86
	v_fma_f32 v80, v86, v67, -v70
	v_fmac_f32_e32 v80, v86, v3
	v_sub_f32_e32 v3, v71, v69
	v_add_f32_e32 v3, v68, v3
	v_add_f32_e32 v68, v70, v80
	v_sub_f32_e32 v71, v69, v68
	v_pk_add_f32 v[82:83], v[68:69], v[70:71] neg_lo:[0,1] neg_hi:[0,1]
	v_mov_b32_e32 v81, v68
	v_pk_add_f32 v[68:69], v[82:83], v[80:81] neg_lo:[0,1] neg_hi:[0,1]
	v_add_f32_e32 v67, v87, v86
	v_add_f32_e32 v3, v3, v69
	;; [unrolled: 1-line block ×4, first 2 shown]
	v_sub_f32_e32 v68, v67, v87
	v_mul_f32_e32 v3, v85, v3
	v_sub_f32_e32 v68, v86, v68
	v_add_f32_e32 v3, v68, v3
	v_add_f32_e32 v68, v67, v3
	v_cvt_f32_i32_e32 v70, v84
	v_mul_f32_e32 v71, v68, v68
	v_mov_b32_e32 v69, 0x3ecc95a3
	v_fmac_f32_e32 v69, 0x3e9b6dac, v71
	v_fmaak_f32 v69, v71, v69, 0x3f2aaada
	v_sub_f32_e32 v67, v68, v67
	v_ldexp_f32 v81, v68, 1
	v_mul_f32_e32 v71, v68, v71
	v_mov_b32_e32 v68, 0x3f317218
	v_pk_mul_f32 v[68:69], v[70:71], v[68:69]
	v_sub_f32_e32 v3, v3, v67
	v_fma_f32 v67, v70, s24, -v68
	v_fmamk_f32 v80, v70, 0xb102e308, v67
	v_pk_add_f32 v[70:71], v[68:69], v[80:81]
	v_ldexp_f32 v3, v3, 1
	v_sub_f32_e32 v67, v71, v81
	v_sub_f32_e32 v67, v69, v67
	v_add_f32_e32 v83, v3, v67
	v_mov_b32_e32 v82, v68
	v_pk_add_f32 v[68:69], v[70:71], v[68:69] neg_lo:[0,1] neg_hi:[0,1]
	v_pk_add_f32 v[84:85], v[70:71], v[82:83]
	v_mov_b32_e32 v81, v70
	v_mov_b32_e32 v69, v85
	v_pk_add_f32 v[86:87], v[80:81], v[68:69] neg_lo:[0,1] neg_hi:[0,1]
	v_pk_add_f32 v[68:69], v[80:81], v[68:69]
	v_mov_b32_e32 v82, v83
	v_mov_b32_e32 v80, v69
	v_pk_add_f32 v[112:113], v[80:81], v[70:71] neg_lo:[0,1] neg_hi:[0,1]
	v_mov_b32_e32 v68, v85
	v_mov_b32_e32 v3, v112
	v_pk_add_f32 v[114:115], v[84:85], v[2:3] neg_lo:[0,1] neg_hi:[0,1]
	v_mov_b32_e32 v84, v71
	v_mov_b32_e32 v85, v112
	v_mov_b32_e32 v87, v69
	v_pk_add_f32 v[68:69], v[68:69], v[84:85] neg_lo:[0,1] neg_hi:[0,1]
	v_mov_b32_e32 v83, v70
	v_pk_add_f32 v[68:69], v[82:83], v[68:69] neg_lo:[0,1] neg_hi:[0,1]
	v_mov_b32_e32 v114, v86
	v_pk_add_f32 v[70:71], v[114:115], v[68:69]
	v_cmp_eq_f32_e64 s[24:25], s28, v53
	v_mov_b32_e32 v82, v71
	v_pk_add_f32 v[82:83], v[70:71], v[82:83]
	s_mov_b32 s28, 0x33800000
	v_pk_add_f32 v[80:81], v[80:81], v[82:83]
	v_mov_b32_e32 v69, v82
	v_mov_b32_e32 v71, v80
	v_pk_add_f32 v[84:85], v[70:71], v[86:87] neg_lo:[0,1] neg_hi:[0,1]
	v_cmp_lt_f32_e64 s[28:29], |v53|, s28
	v_sub_f32_e32 v3, v70, v84
	v_pk_add_f32 v[68:69], v[68:69], v[84:85] neg_lo:[0,1] neg_hi:[0,1]
	v_sub_f32_e32 v3, v86, v3
	v_add_f32_e32 v3, v68, v3
	v_add_f32_e32 v3, v3, v69
	;; [unrolled: 1-line block ×3, first 2 shown]
	s_or_b64 s[24:25], s[24:25], s[28:29]
	v_cndmask_b32_e64 v3, v3, v53, s[24:25]
	v_add_f32_e32 v53, v2, v3
.LBB121_296:
	s_or_b64 exec, exec, s[26:27]
	v_max_f32_e32 v67, v35, v35
	v_max_f32_e32 v2, v53, v53
	v_min_f32_e32 v3, v2, v67
	v_cmp_u_f32_e64 s[26:27], v53, v53
	v_max_f32_e32 v2, v2, v67
	v_cmp_u_f32_e64 s[24:25], v35, v35
	v_cndmask_b32_e64 v3, v3, v53, s[26:27]
	v_cndmask_b32_e64 v2, v2, v53, s[26:27]
	;; [unrolled: 1-line block ×4, first 2 shown]
	s_movk_i32 s30, 0x1f8
	v_cmp_neq_f32_e64 s[26:27], v3, v2
	v_cmp_class_f32_e64 s[28:29], v3, s30
	s_or_b64 s[26:27], s[26:27], s[28:29]
	s_and_saveexec_b64 s[28:29], s[26:27]
	s_cbranch_execz .LBB121_298
; %bb.297:
	v_sub_f32_e32 v3, v3, v2
	s_mov_b32 s26, 0x3fb8aa3b
	v_mul_f32_e32 v53, 0x3fb8aa3b, v3
	v_fma_f32 v68, v3, s26, -v53
	v_rndne_f32_e32 v69, v53
	v_fmamk_f32 v68, v3, 0x32a5705f, v68
	v_sub_f32_e32 v53, v53, v69
	v_add_f32_e32 v53, v53, v68
	v_exp_f32_e32 v53, v53
	v_cvt_i32_f32_e32 v68, v69
	s_mov_b32 s26, 0xc2ce8ed0
	v_cmp_ngt_f32_e64 s[26:27], s26, v3
	s_mov_b32 s31, 0x7f800000
	v_ldexp_f32 v53, v53, v68
	v_cndmask_b32_e64 v53, 0, v53, s[26:27]
	s_mov_b32 s26, 0x42b17218
	v_mov_b32_e32 v68, 0x7f800000
	v_cmp_nlt_f32_e64 s[26:27], s26, v3
	s_nop 1
	v_cndmask_b32_e64 v53, v68, v53, s[26:27]
	v_add_f32_e32 v3, 1.0, v53
	v_add_f32_e32 v68, -1.0, v3
	v_sub_f32_e32 v69, v68, v3
	v_add_f32_e32 v69, 1.0, v69
	v_sub_f32_e32 v68, v53, v68
	v_add_f32_e32 v70, v68, v69
	v_frexp_mant_f32_e32 v71, v3
	s_mov_b32 s26, 0x3f2aaaab
	v_cvt_f64_f32_e32 v[68:69], v3
	v_frexp_exp_i32_f64_e32 v68, v[68:69]
	v_cmp_gt_f32_e64 s[26:27], s26, v71
	s_nop 1
	v_subbrev_co_u32_e64 v84, s[26:27], 0, v68, s[26:27]
	v_sub_u32_e32 v68, 0, v84
	v_ldexp_f32 v3, v3, v68
	v_ldexp_f32 v68, v70, v68
	v_add_f32_e32 v70, -1.0, v3
	v_add_f32_e32 v69, 1.0, v70
	v_sub_f32_e32 v69, v3, v69
	v_add_f32_e32 v71, v68, v69
	v_add_f32_e32 v69, 1.0, v3
	v_add_f32_e32 v80, -1.0, v69
	v_sub_f32_e32 v3, v3, v80
	v_add_f32_e32 v3, v68, v3
	v_add_f32_e32 v85, v69, v3
	v_rcp_f32_e32 v86, v85
	v_sub_f32_e32 v68, v69, v85
	v_add_f32_e32 v69, v70, v71
	v_add_f32_e32 v3, v3, v68
	v_mul_f32_e32 v101, v69, v86
	v_sub_f32_e32 v68, v70, v69
	v_mul_f32_e32 v70, v85, v101
	v_fma_f32 v80, v101, v85, -v70
	v_fmac_f32_e32 v80, v101, v3
	v_add_f32_e32 v87, v71, v68
	v_add_f32_e32 v68, v70, v80
	v_sub_f32_e32 v71, v69, v68
	v_pk_add_f32 v[82:83], v[68:69], v[70:71] neg_lo:[0,1] neg_hi:[0,1]
	v_mov_b32_e32 v81, v68
	v_pk_add_f32 v[68:69], v[82:83], v[80:81] neg_lo:[0,1] neg_hi:[0,1]
	s_mov_b32 s26, 0x3f317218
	v_add_f32_e32 v69, v87, v69
	v_add_f32_e32 v68, v68, v69
	;; [unrolled: 1-line block ×3, first 2 shown]
	v_mul_f32_e32 v87, v86, v69
	v_mul_f32_e32 v70, v85, v87
	v_fma_f32 v80, v87, v85, -v70
	v_fmac_f32_e32 v80, v87, v3
	v_sub_f32_e32 v3, v71, v69
	v_add_f32_e32 v3, v68, v3
	v_add_f32_e32 v68, v70, v80
	v_sub_f32_e32 v71, v69, v68
	v_pk_add_f32 v[82:83], v[68:69], v[70:71] neg_lo:[0,1] neg_hi:[0,1]
	v_mov_b32_e32 v81, v68
	v_pk_add_f32 v[68:69], v[82:83], v[80:81] neg_lo:[0,1] neg_hi:[0,1]
	v_cvt_f32_i32_e32 v70, v84
	v_add_f32_e32 v3, v3, v69
	v_add_f32_e32 v3, v68, v3
	;; [unrolled: 1-line block ×4, first 2 shown]
	v_sub_f32_e32 v69, v68, v101
	v_mul_f32_e32 v3, v86, v3
	v_sub_f32_e32 v69, v87, v69
	v_add_f32_e32 v3, v69, v3
	v_add_f32_e32 v71, v68, v3
	v_mul_f32_e32 v80, v71, v71
	v_mov_b32_e32 v69, 0x3ecc95a3
	v_fmac_f32_e32 v69, 0x3e9b6dac, v80
	v_sub_f32_e32 v68, v71, v68
	v_fmaak_f32 v69, v80, v69, 0x3f2aaada
	v_sub_f32_e32 v3, v3, v68
	v_ldexp_f32 v81, v71, 1
	v_mul_f32_e32 v71, v71, v80
	v_mov_b32_e32 v68, 0x3f317218
	v_pk_mul_f32 v[68:69], v[70:71], v[68:69]
	v_ldexp_f32 v3, v3, 1
	v_fma_f32 v71, v70, s26, -v68
	v_fmamk_f32 v80, v70, 0xb102e308, v71
	v_pk_add_f32 v[70:71], v[68:69], v[80:81]
	v_mov_b32_e32 v82, v68
	v_sub_f32_e32 v81, v71, v81
	v_sub_f32_e32 v81, v69, v81
	v_add_f32_e32 v83, v3, v81
	v_pk_add_f32 v[68:69], v[70:71], v[68:69] neg_lo:[0,1] neg_hi:[0,1]
	v_pk_add_f32 v[84:85], v[70:71], v[82:83]
	v_mov_b32_e32 v81, v70
	v_mov_b32_e32 v69, v85
	v_pk_add_f32 v[86:87], v[80:81], v[68:69] neg_lo:[0,1] neg_hi:[0,1]
	v_pk_add_f32 v[68:69], v[80:81], v[68:69]
	v_mov_b32_e32 v82, v83
	v_mov_b32_e32 v80, v69
	v_pk_add_f32 v[112:113], v[80:81], v[70:71] neg_lo:[0,1] neg_hi:[0,1]
	v_mov_b32_e32 v68, v85
	v_mov_b32_e32 v3, v112
	v_pk_add_f32 v[114:115], v[84:85], v[2:3] neg_lo:[0,1] neg_hi:[0,1]
	v_mov_b32_e32 v84, v71
	v_mov_b32_e32 v85, v112
	;; [unrolled: 1-line block ×3, first 2 shown]
	v_pk_add_f32 v[68:69], v[68:69], v[84:85] neg_lo:[0,1] neg_hi:[0,1]
	v_mov_b32_e32 v83, v70
	v_pk_add_f32 v[68:69], v[82:83], v[68:69] neg_lo:[0,1] neg_hi:[0,1]
	v_mov_b32_e32 v114, v86
	v_pk_add_f32 v[70:71], v[114:115], v[68:69]
	v_cmp_eq_f32_e64 s[26:27], s31, v53
	v_mov_b32_e32 v82, v71
	v_pk_add_f32 v[82:83], v[70:71], v[82:83]
	s_mov_b32 s31, 0x33800000
	v_pk_add_f32 v[80:81], v[80:81], v[82:83]
	v_mov_b32_e32 v69, v82
	v_mov_b32_e32 v71, v80
	v_pk_add_f32 v[84:85], v[70:71], v[86:87] neg_lo:[0,1] neg_hi:[0,1]
	v_cmp_lt_f32_e64 s[34:35], |v53|, s31
	v_sub_f32_e32 v3, v70, v84
	v_pk_add_f32 v[68:69], v[68:69], v[84:85] neg_lo:[0,1] neg_hi:[0,1]
	v_sub_f32_e32 v3, v86, v3
	v_add_f32_e32 v3, v68, v3
	v_add_f32_e32 v3, v3, v69
	;; [unrolled: 1-line block ×3, first 2 shown]
	s_or_b64 s[26:27], s[26:27], s[34:35]
	v_cndmask_b32_e64 v3, v3, v53, s[26:27]
	v_add_f32_e32 v53, v2, v3
.LBB121_298:
	s_or_b64 exec, exec, s[28:29]
	v_max_f32_e32 v68, v28, v28
	v_max_f32_e32 v2, v53, v53
	v_min_f32_e32 v3, v2, v68
	v_cmp_u_f32_e64 s[28:29], v53, v53
	v_max_f32_e32 v2, v2, v68
	v_cmp_u_f32_e64 s[26:27], v28, v28
	v_cndmask_b32_e64 v3, v3, v53, s[28:29]
	v_cndmask_b32_e64 v2, v2, v53, s[28:29]
	;; [unrolled: 1-line block ×4, first 2 shown]
	v_cmp_neq_f32_e64 s[28:29], v3, v2
	v_cmp_class_f32_e64 s[30:31], v3, s30
	s_or_b64 s[28:29], s[28:29], s[30:31]
	s_and_saveexec_b64 s[30:31], s[28:29]
	s_cbranch_execz .LBB121_300
; %bb.299:
	v_sub_f32_e32 v3, v3, v2
	s_mov_b32 s28, 0x3fb8aa3b
	v_mul_f32_e32 v53, 0x3fb8aa3b, v3
	v_fma_f32 v69, v3, s28, -v53
	v_rndne_f32_e32 v70, v53
	v_fmamk_f32 v69, v3, 0x32a5705f, v69
	v_sub_f32_e32 v53, v53, v70
	v_add_f32_e32 v53, v53, v69
	v_exp_f32_e32 v53, v53
	v_cvt_i32_f32_e32 v69, v70
	s_mov_b32 s28, 0xc2ce8ed0
	v_cmp_ngt_f32_e64 s[28:29], s28, v3
	s_mov_b32 s34, 0x7f800000
	v_ldexp_f32 v53, v53, v69
	v_cndmask_b32_e64 v53, 0, v53, s[28:29]
	s_mov_b32 s28, 0x42b17218
	v_mov_b32_e32 v69, 0x7f800000
	v_cmp_nlt_f32_e64 s[28:29], s28, v3
	s_nop 1
	v_cndmask_b32_e64 v53, v69, v53, s[28:29]
	v_add_f32_e32 v3, 1.0, v53
	v_add_f32_e32 v69, -1.0, v3
	v_sub_f32_e32 v70, v69, v3
	v_add_f32_e32 v70, 1.0, v70
	v_sub_f32_e32 v69, v53, v69
	v_add_f32_e32 v69, v69, v70
	v_frexp_mant_f32_e32 v80, v3
	s_mov_b32 s28, 0x3f2aaaab
	v_cvt_f64_f32_e32 v[70:71], v3
	v_frexp_exp_i32_f64_e32 v70, v[70:71]
	v_cmp_gt_f32_e64 s[28:29], s28, v80
	s_nop 1
	v_subbrev_co_u32_e64 v86, s[28:29], 0, v70, s[28:29]
	v_sub_u32_e32 v70, 0, v86
	v_ldexp_f32 v3, v3, v70
	v_ldexp_f32 v69, v69, v70
	v_add_f32_e32 v70, -1.0, v3
	v_add_f32_e32 v71, 1.0, v70
	v_sub_f32_e32 v71, v3, v71
	v_add_f32_e32 v80, v69, v71
	v_add_f32_e32 v71, 1.0, v3
	v_add_f32_e32 v81, -1.0, v71
	v_sub_f32_e32 v3, v3, v81
	v_add_f32_e32 v3, v69, v3
	v_add_f32_e32 v69, v71, v3
	v_rcp_f32_e32 v87, v69
	v_sub_f32_e32 v71, v71, v69
	v_add_f32_e32 v3, v3, v71
	v_add_f32_e32 v71, v70, v80
	v_sub_f32_e32 v70, v70, v71
	v_mul_f32_e32 v112, v71, v87
	v_add_f32_e32 v101, v80, v70
	v_mul_f32_e32 v80, v69, v112
	v_fma_f32 v82, v112, v69, -v80
	v_fmac_f32_e32 v82, v112, v3
	v_add_f32_e32 v70, v80, v82
	v_sub_f32_e32 v81, v71, v70
	v_pk_add_f32 v[84:85], v[70:71], v[80:81] neg_lo:[0,1] neg_hi:[0,1]
	v_mov_b32_e32 v83, v70
	v_pk_add_f32 v[70:71], v[84:85], v[82:83] neg_lo:[0,1] neg_hi:[0,1]
	s_mov_b32 s28, 0x3f317218
	v_add_f32_e32 v71, v101, v71
	v_add_f32_e32 v70, v70, v71
	;; [unrolled: 1-line block ×3, first 2 shown]
	v_mul_f32_e32 v101, v87, v71
	v_mul_f32_e32 v80, v69, v101
	v_fma_f32 v82, v101, v69, -v80
	v_fmac_f32_e32 v82, v101, v3
	v_sub_f32_e32 v3, v81, v71
	v_add_f32_e32 v3, v70, v3
	v_add_f32_e32 v70, v80, v82
	v_sub_f32_e32 v81, v71, v70
	v_pk_add_f32 v[84:85], v[70:71], v[80:81] neg_lo:[0,1] neg_hi:[0,1]
	v_mov_b32_e32 v83, v70
	v_pk_add_f32 v[70:71], v[84:85], v[82:83] neg_lo:[0,1] neg_hi:[0,1]
	v_add_f32_e32 v69, v112, v101
	v_add_f32_e32 v3, v3, v71
	;; [unrolled: 1-line block ×4, first 2 shown]
	v_sub_f32_e32 v70, v69, v112
	v_mul_f32_e32 v3, v87, v3
	v_sub_f32_e32 v70, v101, v70
	v_add_f32_e32 v3, v70, v3
	v_add_f32_e32 v70, v69, v3
	v_cvt_f32_i32_e32 v80, v86
	v_mul_f32_e32 v81, v70, v70
	v_mov_b32_e32 v71, 0x3ecc95a3
	v_fmac_f32_e32 v71, 0x3e9b6dac, v81
	v_fmaak_f32 v71, v81, v71, 0x3f2aaada
	v_sub_f32_e32 v69, v70, v69
	v_ldexp_f32 v83, v70, 1
	v_mul_f32_e32 v81, v70, v81
	v_mov_b32_e32 v70, 0x3f317218
	v_pk_mul_f32 v[70:71], v[80:81], v[70:71]
	v_sub_f32_e32 v3, v3, v69
	v_fma_f32 v69, v80, s28, -v70
	v_fmamk_f32 v82, v80, 0xb102e308, v69
	v_pk_add_f32 v[80:81], v[70:71], v[82:83]
	v_ldexp_f32 v3, v3, 1
	v_sub_f32_e32 v69, v81, v83
	v_sub_f32_e32 v69, v71, v69
	v_add_f32_e32 v85, v3, v69
	v_mov_b32_e32 v84, v70
	v_pk_add_f32 v[70:71], v[80:81], v[70:71] neg_lo:[0,1] neg_hi:[0,1]
	v_pk_add_f32 v[86:87], v[80:81], v[84:85]
	v_mov_b32_e32 v83, v80
	v_mov_b32_e32 v71, v87
	v_pk_add_f32 v[112:113], v[82:83], v[70:71] neg_lo:[0,1] neg_hi:[0,1]
	v_pk_add_f32 v[70:71], v[82:83], v[70:71]
	v_mov_b32_e32 v84, v85
	v_mov_b32_e32 v82, v71
	v_pk_add_f32 v[114:115], v[82:83], v[80:81] neg_lo:[0,1] neg_hi:[0,1]
	v_mov_b32_e32 v70, v87
	v_mov_b32_e32 v3, v114
	v_pk_add_f32 v[116:117], v[86:87], v[2:3] neg_lo:[0,1] neg_hi:[0,1]
	v_mov_b32_e32 v86, v81
	v_mov_b32_e32 v87, v114
	;; [unrolled: 1-line block ×3, first 2 shown]
	v_pk_add_f32 v[70:71], v[70:71], v[86:87] neg_lo:[0,1] neg_hi:[0,1]
	v_mov_b32_e32 v85, v80
	v_pk_add_f32 v[70:71], v[84:85], v[70:71] neg_lo:[0,1] neg_hi:[0,1]
	v_mov_b32_e32 v116, v112
	v_pk_add_f32 v[80:81], v[116:117], v[70:71]
	v_cmp_eq_f32_e64 s[28:29], s34, v53
	v_mov_b32_e32 v84, v81
	v_pk_add_f32 v[84:85], v[80:81], v[84:85]
	s_mov_b32 s34, 0x33800000
	v_pk_add_f32 v[82:83], v[82:83], v[84:85]
	v_mov_b32_e32 v71, v84
	v_mov_b32_e32 v81, v82
	v_pk_add_f32 v[86:87], v[80:81], v[112:113] neg_lo:[0,1] neg_hi:[0,1]
	v_cmp_lt_f32_e64 s[34:35], |v53|, s34
	v_sub_f32_e32 v3, v80, v86
	v_pk_add_f32 v[70:71], v[70:71], v[86:87] neg_lo:[0,1] neg_hi:[0,1]
	v_sub_f32_e32 v3, v112, v3
	v_add_f32_e32 v3, v70, v3
	v_add_f32_e32 v3, v3, v71
	;; [unrolled: 1-line block ×3, first 2 shown]
	s_or_b64 s[28:29], s[28:29], s[34:35]
	v_cndmask_b32_e64 v3, v3, v53, s[28:29]
	v_add_f32_e32 v53, v2, v3
.LBB121_300:
	s_or_b64 exec, exec, s[30:31]
	v_max_f32_e32 v69, v29, v29
	v_max_f32_e32 v2, v53, v53
	v_min_f32_e32 v3, v2, v69
	v_cmp_u_f32_e64 s[30:31], v53, v53
	v_max_f32_e32 v2, v2, v69
	v_cmp_u_f32_e64 s[28:29], v29, v29
	v_cndmask_b32_e64 v3, v3, v53, s[30:31]
	v_cndmask_b32_e64 v2, v2, v53, s[30:31]
	;; [unrolled: 1-line block ×4, first 2 shown]
	s_movk_i32 s36, 0x1f8
	v_cmp_neq_f32_e64 s[30:31], v3, v2
	v_cmp_class_f32_e64 s[34:35], v3, s36
	s_or_b64 s[30:31], s[30:31], s[34:35]
	s_and_saveexec_b64 s[34:35], s[30:31]
	s_cbranch_execz .LBB121_302
; %bb.301:
	v_sub_f32_e32 v3, v3, v2
	s_mov_b32 s30, 0x3fb8aa3b
	v_mul_f32_e32 v53, 0x3fb8aa3b, v3
	v_fma_f32 v70, v3, s30, -v53
	v_rndne_f32_e32 v71, v53
	v_fmamk_f32 v70, v3, 0x32a5705f, v70
	v_sub_f32_e32 v53, v53, v71
	v_add_f32_e32 v53, v53, v70
	v_exp_f32_e32 v53, v53
	v_cvt_i32_f32_e32 v70, v71
	s_mov_b32 s30, 0xc2ce8ed0
	v_cmp_ngt_f32_e64 s[30:31], s30, v3
	s_mov_b32 s37, 0x7f800000
	v_ldexp_f32 v53, v53, v70
	v_cndmask_b32_e64 v53, 0, v53, s[30:31]
	s_mov_b32 s30, 0x42b17218
	v_mov_b32_e32 v70, 0x7f800000
	v_cmp_nlt_f32_e64 s[30:31], s30, v3
	s_nop 1
	v_cndmask_b32_e64 v53, v70, v53, s[30:31]
	v_add_f32_e32 v3, 1.0, v53
	v_add_f32_e32 v70, -1.0, v3
	v_sub_f32_e32 v71, v70, v3
	v_add_f32_e32 v71, 1.0, v71
	v_sub_f32_e32 v70, v53, v70
	v_add_f32_e32 v80, v70, v71
	v_frexp_mant_f32_e32 v81, v3
	s_mov_b32 s30, 0x3f2aaaab
	v_cvt_f64_f32_e32 v[70:71], v3
	v_frexp_exp_i32_f64_e32 v70, v[70:71]
	v_cmp_gt_f32_e64 s[30:31], s30, v81
	s_nop 1
	v_subbrev_co_u32_e64 v86, s[30:31], 0, v70, s[30:31]
	v_sub_u32_e32 v70, 0, v86
	v_ldexp_f32 v3, v3, v70
	v_ldexp_f32 v70, v80, v70
	v_add_f32_e32 v80, -1.0, v3
	v_add_f32_e32 v71, 1.0, v80
	v_sub_f32_e32 v71, v3, v71
	v_add_f32_e32 v81, v70, v71
	v_add_f32_e32 v71, 1.0, v3
	v_add_f32_e32 v82, -1.0, v71
	v_sub_f32_e32 v3, v3, v82
	v_add_f32_e32 v3, v70, v3
	v_add_f32_e32 v87, v71, v3
	v_rcp_f32_e32 v101, v87
	v_sub_f32_e32 v70, v71, v87
	v_add_f32_e32 v71, v80, v81
	v_add_f32_e32 v3, v3, v70
	v_mul_f32_e32 v113, v71, v101
	v_sub_f32_e32 v70, v80, v71
	v_mul_f32_e32 v80, v87, v113
	v_fma_f32 v82, v113, v87, -v80
	v_fmac_f32_e32 v82, v113, v3
	v_add_f32_e32 v112, v81, v70
	v_add_f32_e32 v70, v80, v82
	v_sub_f32_e32 v81, v71, v70
	v_pk_add_f32 v[84:85], v[70:71], v[80:81] neg_lo:[0,1] neg_hi:[0,1]
	v_mov_b32_e32 v83, v70
	v_pk_add_f32 v[70:71], v[84:85], v[82:83] neg_lo:[0,1] neg_hi:[0,1]
	s_mov_b32 s30, 0x3f317218
	v_add_f32_e32 v71, v112, v71
	v_add_f32_e32 v70, v70, v71
	;; [unrolled: 1-line block ×3, first 2 shown]
	v_mul_f32_e32 v112, v101, v71
	v_mul_f32_e32 v80, v87, v112
	v_fma_f32 v82, v112, v87, -v80
	v_fmac_f32_e32 v82, v112, v3
	v_sub_f32_e32 v3, v81, v71
	v_add_f32_e32 v3, v70, v3
	v_add_f32_e32 v70, v80, v82
	v_sub_f32_e32 v81, v71, v70
	v_pk_add_f32 v[84:85], v[70:71], v[80:81] neg_lo:[0,1] neg_hi:[0,1]
	v_mov_b32_e32 v83, v70
	v_pk_add_f32 v[70:71], v[84:85], v[82:83] neg_lo:[0,1] neg_hi:[0,1]
	v_cvt_f32_i32_e32 v80, v86
	v_add_f32_e32 v3, v3, v71
	v_add_f32_e32 v3, v70, v3
	;; [unrolled: 1-line block ×4, first 2 shown]
	v_sub_f32_e32 v71, v70, v113
	v_mul_f32_e32 v3, v101, v3
	v_sub_f32_e32 v71, v112, v71
	v_add_f32_e32 v3, v71, v3
	v_add_f32_e32 v81, v70, v3
	v_mul_f32_e32 v82, v81, v81
	v_mov_b32_e32 v71, 0x3ecc95a3
	v_fmac_f32_e32 v71, 0x3e9b6dac, v82
	v_sub_f32_e32 v70, v81, v70
	v_fmaak_f32 v71, v82, v71, 0x3f2aaada
	v_sub_f32_e32 v3, v3, v70
	v_ldexp_f32 v83, v81, 1
	v_mul_f32_e32 v81, v81, v82
	v_mov_b32_e32 v70, 0x3f317218
	v_pk_mul_f32 v[70:71], v[80:81], v[70:71]
	v_ldexp_f32 v3, v3, 1
	v_fma_f32 v81, v80, s30, -v70
	v_fmamk_f32 v82, v80, 0xb102e308, v81
	v_pk_add_f32 v[80:81], v[70:71], v[82:83]
	v_mov_b32_e32 v84, v70
	v_sub_f32_e32 v83, v81, v83
	v_sub_f32_e32 v83, v71, v83
	v_add_f32_e32 v85, v3, v83
	v_pk_add_f32 v[70:71], v[80:81], v[70:71] neg_lo:[0,1] neg_hi:[0,1]
	v_pk_add_f32 v[86:87], v[80:81], v[84:85]
	v_mov_b32_e32 v83, v80
	v_mov_b32_e32 v71, v87
	v_pk_add_f32 v[112:113], v[82:83], v[70:71] neg_lo:[0,1] neg_hi:[0,1]
	v_pk_add_f32 v[70:71], v[82:83], v[70:71]
	v_mov_b32_e32 v84, v85
	v_mov_b32_e32 v82, v71
	v_pk_add_f32 v[114:115], v[82:83], v[80:81] neg_lo:[0,1] neg_hi:[0,1]
	v_mov_b32_e32 v70, v87
	v_mov_b32_e32 v3, v114
	v_pk_add_f32 v[116:117], v[86:87], v[2:3] neg_lo:[0,1] neg_hi:[0,1]
	v_mov_b32_e32 v86, v81
	v_mov_b32_e32 v87, v114
	;; [unrolled: 1-line block ×3, first 2 shown]
	v_pk_add_f32 v[70:71], v[70:71], v[86:87] neg_lo:[0,1] neg_hi:[0,1]
	v_mov_b32_e32 v85, v80
	v_pk_add_f32 v[70:71], v[84:85], v[70:71] neg_lo:[0,1] neg_hi:[0,1]
	v_mov_b32_e32 v116, v112
	v_pk_add_f32 v[80:81], v[116:117], v[70:71]
	v_cmp_eq_f32_e64 s[30:31], s37, v53
	v_mov_b32_e32 v84, v81
	v_pk_add_f32 v[84:85], v[80:81], v[84:85]
	s_mov_b32 s37, 0x33800000
	v_pk_add_f32 v[82:83], v[82:83], v[84:85]
	v_mov_b32_e32 v71, v84
	v_mov_b32_e32 v81, v82
	v_pk_add_f32 v[86:87], v[80:81], v[112:113] neg_lo:[0,1] neg_hi:[0,1]
	v_cmp_lt_f32_e64 s[38:39], |v53|, s37
	v_sub_f32_e32 v3, v80, v86
	v_pk_add_f32 v[70:71], v[70:71], v[86:87] neg_lo:[0,1] neg_hi:[0,1]
	v_sub_f32_e32 v3, v112, v3
	v_add_f32_e32 v3, v70, v3
	v_add_f32_e32 v3, v3, v71
	;; [unrolled: 1-line block ×3, first 2 shown]
	s_or_b64 s[30:31], s[30:31], s[38:39]
	v_cndmask_b32_e64 v3, v3, v53, s[30:31]
	v_add_f32_e32 v53, v2, v3
.LBB121_302:
	s_or_b64 exec, exec, s[34:35]
	v_max_f32_e32 v70, v30, v30
	v_max_f32_e32 v2, v53, v53
	v_min_f32_e32 v3, v2, v70
	v_cmp_u_f32_e64 s[34:35], v53, v53
	v_max_f32_e32 v2, v2, v70
	v_cmp_u_f32_e64 s[30:31], v30, v30
	v_cndmask_b32_e64 v3, v3, v53, s[34:35]
	v_cndmask_b32_e64 v2, v2, v53, s[34:35]
	;; [unrolled: 1-line block ×4, first 2 shown]
	v_cmp_neq_f32_e64 s[34:35], v3, v2
	v_cmp_class_f32_e64 s[36:37], v3, s36
	s_or_b64 s[34:35], s[34:35], s[36:37]
	s_and_saveexec_b64 s[36:37], s[34:35]
	s_cbranch_execz .LBB121_304
; %bb.303:
	v_sub_f32_e32 v3, v3, v2
	s_mov_b32 s34, 0x3fb8aa3b
	v_mul_f32_e32 v53, 0x3fb8aa3b, v3
	v_fma_f32 v71, v3, s34, -v53
	v_rndne_f32_e32 v80, v53
	v_fmamk_f32 v71, v3, 0x32a5705f, v71
	v_sub_f32_e32 v53, v53, v80
	v_add_f32_e32 v53, v53, v71
	v_exp_f32_e32 v53, v53
	v_cvt_i32_f32_e32 v71, v80
	s_mov_b32 s34, 0xc2ce8ed0
	v_cmp_ngt_f32_e64 s[34:35], s34, v3
	s_mov_b32 s38, 0x7f800000
	v_ldexp_f32 v53, v53, v71
	v_cndmask_b32_e64 v53, 0, v53, s[34:35]
	s_mov_b32 s34, 0x42b17218
	v_mov_b32_e32 v71, 0x7f800000
	v_cmp_nlt_f32_e64 s[34:35], s34, v3
	s_nop 1
	v_cndmask_b32_e64 v53, v71, v53, s[34:35]
	v_add_f32_e32 v3, 1.0, v53
	v_add_f32_e32 v71, -1.0, v3
	v_sub_f32_e32 v80, v71, v3
	v_add_f32_e32 v80, 1.0, v80
	v_sub_f32_e32 v71, v53, v71
	v_add_f32_e32 v71, v71, v80
	v_frexp_mant_f32_e32 v82, v3
	s_mov_b32 s34, 0x3f2aaaab
	v_cvt_f64_f32_e32 v[80:81], v3
	v_frexp_exp_i32_f64_e32 v80, v[80:81]
	v_cmp_gt_f32_e64 s[34:35], s34, v82
	s_nop 1
	v_subbrev_co_u32_e64 v101, s[34:35], 0, v80, s[34:35]
	v_sub_u32_e32 v80, 0, v101
	v_ldexp_f32 v3, v3, v80
	v_ldexp_f32 v71, v71, v80
	v_add_f32_e32 v80, -1.0, v3
	v_add_f32_e32 v81, 1.0, v80
	v_sub_f32_e32 v81, v3, v81
	v_add_f32_e32 v82, v71, v81
	v_add_f32_e32 v81, 1.0, v3
	v_add_f32_e32 v83, -1.0, v81
	v_sub_f32_e32 v3, v3, v83
	v_add_f32_e32 v3, v71, v3
	v_add_f32_e32 v71, v81, v3
	v_rcp_f32_e32 v112, v71
	v_sub_f32_e32 v81, v81, v71
	v_add_f32_e32 v3, v3, v81
	v_add_f32_e32 v81, v80, v82
	v_sub_f32_e32 v80, v80, v81
	v_mul_f32_e32 v114, v81, v112
	v_add_f32_e32 v113, v82, v80
	v_mul_f32_e32 v82, v71, v114
	v_fma_f32 v84, v114, v71, -v82
	v_fmac_f32_e32 v84, v114, v3
	v_add_f32_e32 v80, v82, v84
	v_sub_f32_e32 v83, v81, v80
	v_pk_add_f32 v[86:87], v[80:81], v[82:83] neg_lo:[0,1] neg_hi:[0,1]
	v_mov_b32_e32 v85, v80
	v_pk_add_f32 v[80:81], v[86:87], v[84:85] neg_lo:[0,1] neg_hi:[0,1]
	s_mov_b32 s34, 0x3f317218
	v_add_f32_e32 v81, v113, v81
	v_add_f32_e32 v80, v80, v81
	;; [unrolled: 1-line block ×3, first 2 shown]
	v_mul_f32_e32 v113, v112, v81
	v_mul_f32_e32 v82, v71, v113
	v_fma_f32 v84, v113, v71, -v82
	v_fmac_f32_e32 v84, v113, v3
	v_sub_f32_e32 v3, v83, v81
	v_add_f32_e32 v3, v80, v3
	v_add_f32_e32 v80, v82, v84
	v_sub_f32_e32 v83, v81, v80
	v_pk_add_f32 v[86:87], v[80:81], v[82:83] neg_lo:[0,1] neg_hi:[0,1]
	v_mov_b32_e32 v85, v80
	v_pk_add_f32 v[80:81], v[86:87], v[84:85] neg_lo:[0,1] neg_hi:[0,1]
	v_add_f32_e32 v71, v114, v113
	v_add_f32_e32 v3, v3, v81
	;; [unrolled: 1-line block ×4, first 2 shown]
	v_sub_f32_e32 v80, v71, v114
	v_mul_f32_e32 v3, v112, v3
	v_sub_f32_e32 v80, v113, v80
	v_add_f32_e32 v3, v80, v3
	v_add_f32_e32 v80, v71, v3
	v_cvt_f32_i32_e32 v82, v101
	v_mul_f32_e32 v83, v80, v80
	v_mov_b32_e32 v81, 0x3ecc95a3
	v_fmac_f32_e32 v81, 0x3e9b6dac, v83
	v_fmaak_f32 v81, v83, v81, 0x3f2aaada
	v_sub_f32_e32 v71, v80, v71
	v_ldexp_f32 v85, v80, 1
	v_mul_f32_e32 v83, v80, v83
	v_mov_b32_e32 v80, 0x3f317218
	v_pk_mul_f32 v[80:81], v[82:83], v[80:81]
	v_sub_f32_e32 v3, v3, v71
	v_fma_f32 v71, v82, s34, -v80
	v_fmamk_f32 v84, v82, 0xb102e308, v71
	v_pk_add_f32 v[82:83], v[80:81], v[84:85]
	v_ldexp_f32 v3, v3, 1
	v_sub_f32_e32 v71, v83, v85
	v_sub_f32_e32 v71, v81, v71
	v_add_f32_e32 v87, v3, v71
	v_mov_b32_e32 v86, v80
	v_pk_add_f32 v[80:81], v[82:83], v[80:81] neg_lo:[0,1] neg_hi:[0,1]
	v_pk_add_f32 v[112:113], v[82:83], v[86:87]
	v_mov_b32_e32 v85, v82
	v_mov_b32_e32 v81, v113
	v_pk_add_f32 v[114:115], v[84:85], v[80:81] neg_lo:[0,1] neg_hi:[0,1]
	v_pk_add_f32 v[80:81], v[84:85], v[80:81]
	v_mov_b32_e32 v86, v87
	v_mov_b32_e32 v84, v81
	v_pk_add_f32 v[116:117], v[84:85], v[82:83] neg_lo:[0,1] neg_hi:[0,1]
	v_mov_b32_e32 v80, v113
	v_mov_b32_e32 v3, v116
	v_pk_add_f32 v[118:119], v[112:113], v[2:3] neg_lo:[0,1] neg_hi:[0,1]
	v_mov_b32_e32 v112, v83
	v_mov_b32_e32 v113, v116
	;; [unrolled: 1-line block ×3, first 2 shown]
	v_pk_add_f32 v[80:81], v[80:81], v[112:113] neg_lo:[0,1] neg_hi:[0,1]
	v_mov_b32_e32 v87, v82
	v_pk_add_f32 v[80:81], v[86:87], v[80:81] neg_lo:[0,1] neg_hi:[0,1]
	v_mov_b32_e32 v118, v114
	v_pk_add_f32 v[82:83], v[118:119], v[80:81]
	v_cmp_eq_f32_e64 s[34:35], s38, v53
	v_mov_b32_e32 v86, v83
	v_pk_add_f32 v[86:87], v[82:83], v[86:87]
	s_mov_b32 s38, 0x33800000
	v_pk_add_f32 v[84:85], v[84:85], v[86:87]
	v_mov_b32_e32 v81, v86
	v_mov_b32_e32 v83, v84
	v_pk_add_f32 v[112:113], v[82:83], v[114:115] neg_lo:[0,1] neg_hi:[0,1]
	v_cmp_lt_f32_e64 s[38:39], |v53|, s38
	v_sub_f32_e32 v3, v82, v112
	v_pk_add_f32 v[80:81], v[80:81], v[112:113] neg_lo:[0,1] neg_hi:[0,1]
	v_sub_f32_e32 v3, v114, v3
	v_add_f32_e32 v3, v80, v3
	v_add_f32_e32 v3, v3, v81
	v_add_f32_e32 v3, v84, v3
	s_or_b64 s[34:35], s[34:35], s[38:39]
	v_cndmask_b32_e64 v3, v3, v53, s[34:35]
	v_add_f32_e32 v53, v2, v3
.LBB121_304:
	s_or_b64 exec, exec, s[36:37]
	v_max_f32_e32 v71, v31, v31
	v_max_f32_e32 v2, v53, v53
	v_min_f32_e32 v3, v2, v71
	v_cmp_u_f32_e64 s[36:37], v53, v53
	v_max_f32_e32 v2, v2, v71
	v_cmp_u_f32_e64 s[34:35], v31, v31
	v_cndmask_b32_e64 v3, v3, v53, s[36:37]
	v_cndmask_b32_e64 v2, v2, v53, s[36:37]
	;; [unrolled: 1-line block ×4, first 2 shown]
	s_movk_i32 s40, 0x1f8
	v_cmp_neq_f32_e64 s[36:37], v3, v2
	v_cmp_class_f32_e64 s[38:39], v3, s40
	s_or_b64 s[36:37], s[36:37], s[38:39]
	s_and_saveexec_b64 s[38:39], s[36:37]
	s_cbranch_execz .LBB121_306
; %bb.305:
	v_sub_f32_e32 v3, v3, v2
	s_mov_b32 s36, 0x3fb8aa3b
	v_mul_f32_e32 v53, 0x3fb8aa3b, v3
	v_fma_f32 v80, v3, s36, -v53
	v_rndne_f32_e32 v81, v53
	v_fmamk_f32 v80, v3, 0x32a5705f, v80
	v_sub_f32_e32 v53, v53, v81
	v_add_f32_e32 v53, v53, v80
	v_exp_f32_e32 v53, v53
	v_cvt_i32_f32_e32 v80, v81
	s_mov_b32 s36, 0xc2ce8ed0
	v_cmp_ngt_f32_e64 s[36:37], s36, v3
	s_mov_b32 s41, 0x7f800000
	v_ldexp_f32 v53, v53, v80
	v_cndmask_b32_e64 v53, 0, v53, s[36:37]
	s_mov_b32 s36, 0x42b17218
	v_mov_b32_e32 v80, 0x7f800000
	v_cmp_nlt_f32_e64 s[36:37], s36, v3
	s_nop 1
	v_cndmask_b32_e64 v53, v80, v53, s[36:37]
	v_add_f32_e32 v3, 1.0, v53
	v_add_f32_e32 v80, -1.0, v3
	v_sub_f32_e32 v81, v80, v3
	v_add_f32_e32 v81, 1.0, v81
	v_sub_f32_e32 v80, v53, v80
	v_add_f32_e32 v82, v80, v81
	v_frexp_mant_f32_e32 v83, v3
	s_mov_b32 s36, 0x3f2aaaab
	v_cvt_f64_f32_e32 v[80:81], v3
	v_frexp_exp_i32_f64_e32 v80, v[80:81]
	v_cmp_gt_f32_e64 s[36:37], s36, v83
	s_nop 1
	v_subbrev_co_u32_e64 v101, s[36:37], 0, v80, s[36:37]
	v_sub_u32_e32 v80, 0, v101
	v_ldexp_f32 v3, v3, v80
	v_ldexp_f32 v80, v82, v80
	v_add_f32_e32 v82, -1.0, v3
	v_add_f32_e32 v81, 1.0, v82
	v_sub_f32_e32 v81, v3, v81
	v_add_f32_e32 v83, v80, v81
	v_add_f32_e32 v81, 1.0, v3
	v_add_f32_e32 v84, -1.0, v81
	v_sub_f32_e32 v3, v3, v84
	v_add_f32_e32 v3, v80, v3
	v_add_f32_e32 v112, v81, v3
	v_rcp_f32_e32 v113, v112
	v_sub_f32_e32 v80, v81, v112
	v_add_f32_e32 v81, v82, v83
	v_add_f32_e32 v3, v3, v80
	v_mul_f32_e32 v115, v81, v113
	v_sub_f32_e32 v80, v82, v81
	v_mul_f32_e32 v82, v112, v115
	v_fma_f32 v84, v115, v112, -v82
	v_fmac_f32_e32 v84, v115, v3
	v_add_f32_e32 v114, v83, v80
	v_add_f32_e32 v80, v82, v84
	v_sub_f32_e32 v83, v81, v80
	v_pk_add_f32 v[86:87], v[80:81], v[82:83] neg_lo:[0,1] neg_hi:[0,1]
	v_mov_b32_e32 v85, v80
	v_pk_add_f32 v[80:81], v[86:87], v[84:85] neg_lo:[0,1] neg_hi:[0,1]
	s_mov_b32 s36, 0x3f317218
	v_add_f32_e32 v81, v114, v81
	v_add_f32_e32 v80, v80, v81
	;; [unrolled: 1-line block ×3, first 2 shown]
	v_mul_f32_e32 v114, v113, v81
	v_mul_f32_e32 v82, v112, v114
	v_fma_f32 v84, v114, v112, -v82
	v_fmac_f32_e32 v84, v114, v3
	v_sub_f32_e32 v3, v83, v81
	v_add_f32_e32 v3, v80, v3
	v_add_f32_e32 v80, v82, v84
	v_sub_f32_e32 v83, v81, v80
	v_pk_add_f32 v[86:87], v[80:81], v[82:83] neg_lo:[0,1] neg_hi:[0,1]
	v_mov_b32_e32 v85, v80
	v_pk_add_f32 v[80:81], v[86:87], v[84:85] neg_lo:[0,1] neg_hi:[0,1]
	v_cvt_f32_i32_e32 v82, v101
	v_add_f32_e32 v3, v3, v81
	v_add_f32_e32 v3, v80, v3
	;; [unrolled: 1-line block ×4, first 2 shown]
	v_sub_f32_e32 v81, v80, v115
	v_mul_f32_e32 v3, v113, v3
	v_sub_f32_e32 v81, v114, v81
	v_add_f32_e32 v3, v81, v3
	v_add_f32_e32 v83, v80, v3
	v_mul_f32_e32 v84, v83, v83
	v_mov_b32_e32 v81, 0x3ecc95a3
	v_fmac_f32_e32 v81, 0x3e9b6dac, v84
	v_sub_f32_e32 v80, v83, v80
	v_fmaak_f32 v81, v84, v81, 0x3f2aaada
	v_sub_f32_e32 v3, v3, v80
	v_ldexp_f32 v85, v83, 1
	v_mul_f32_e32 v83, v83, v84
	v_mov_b32_e32 v80, 0x3f317218
	v_pk_mul_f32 v[80:81], v[82:83], v[80:81]
	v_ldexp_f32 v3, v3, 1
	v_fma_f32 v83, v82, s36, -v80
	v_fmamk_f32 v84, v82, 0xb102e308, v83
	v_pk_add_f32 v[82:83], v[80:81], v[84:85]
	v_mov_b32_e32 v86, v80
	v_sub_f32_e32 v85, v83, v85
	v_sub_f32_e32 v85, v81, v85
	v_add_f32_e32 v87, v3, v85
	v_pk_add_f32 v[80:81], v[82:83], v[80:81] neg_lo:[0,1] neg_hi:[0,1]
	v_pk_add_f32 v[112:113], v[82:83], v[86:87]
	v_mov_b32_e32 v85, v82
	v_mov_b32_e32 v81, v113
	v_pk_add_f32 v[114:115], v[84:85], v[80:81] neg_lo:[0,1] neg_hi:[0,1]
	v_pk_add_f32 v[80:81], v[84:85], v[80:81]
	v_mov_b32_e32 v86, v87
	v_mov_b32_e32 v84, v81
	v_pk_add_f32 v[116:117], v[84:85], v[82:83] neg_lo:[0,1] neg_hi:[0,1]
	v_mov_b32_e32 v80, v113
	v_mov_b32_e32 v3, v116
	v_pk_add_f32 v[118:119], v[112:113], v[2:3] neg_lo:[0,1] neg_hi:[0,1]
	v_mov_b32_e32 v112, v83
	v_mov_b32_e32 v113, v116
	;; [unrolled: 1-line block ×3, first 2 shown]
	v_pk_add_f32 v[80:81], v[80:81], v[112:113] neg_lo:[0,1] neg_hi:[0,1]
	v_mov_b32_e32 v87, v82
	v_pk_add_f32 v[80:81], v[86:87], v[80:81] neg_lo:[0,1] neg_hi:[0,1]
	v_mov_b32_e32 v118, v114
	v_pk_add_f32 v[82:83], v[118:119], v[80:81]
	v_cmp_eq_f32_e64 s[36:37], s41, v53
	v_mov_b32_e32 v86, v83
	v_pk_add_f32 v[86:87], v[82:83], v[86:87]
	s_mov_b32 s41, 0x33800000
	v_pk_add_f32 v[84:85], v[84:85], v[86:87]
	v_mov_b32_e32 v81, v86
	v_mov_b32_e32 v83, v84
	v_pk_add_f32 v[112:113], v[82:83], v[114:115] neg_lo:[0,1] neg_hi:[0,1]
	v_cmp_lt_f32_e64 s[42:43], |v53|, s41
	v_sub_f32_e32 v3, v82, v112
	v_pk_add_f32 v[80:81], v[80:81], v[112:113] neg_lo:[0,1] neg_hi:[0,1]
	v_sub_f32_e32 v3, v114, v3
	v_add_f32_e32 v3, v80, v3
	v_add_f32_e32 v3, v3, v81
	;; [unrolled: 1-line block ×3, first 2 shown]
	s_or_b64 s[36:37], s[36:37], s[42:43]
	v_cndmask_b32_e64 v3, v3, v53, s[36:37]
	v_add_f32_e32 v53, v2, v3
.LBB121_306:
	s_or_b64 exec, exec, s[38:39]
	v_max_f32_e32 v80, v24, v24
	v_max_f32_e32 v2, v53, v53
	v_min_f32_e32 v3, v2, v80
	v_cmp_u_f32_e64 s[38:39], v53, v53
	v_max_f32_e32 v2, v2, v80
	v_cmp_u_f32_e64 s[36:37], v24, v24
	v_cndmask_b32_e64 v3, v3, v53, s[38:39]
	v_cndmask_b32_e64 v2, v2, v53, s[38:39]
	;; [unrolled: 1-line block ×4, first 2 shown]
	v_cmp_neq_f32_e64 s[38:39], v3, v2
	v_cmp_class_f32_e64 s[40:41], v3, s40
	s_or_b64 s[38:39], s[38:39], s[40:41]
	s_and_saveexec_b64 s[40:41], s[38:39]
	s_cbranch_execz .LBB121_308
; %bb.307:
	v_sub_f32_e32 v3, v3, v2
	s_mov_b32 s38, 0x3fb8aa3b
	v_mul_f32_e32 v53, 0x3fb8aa3b, v3
	v_fma_f32 v81, v3, s38, -v53
	v_rndne_f32_e32 v82, v53
	v_fmamk_f32 v81, v3, 0x32a5705f, v81
	v_sub_f32_e32 v53, v53, v82
	v_add_f32_e32 v53, v53, v81
	v_exp_f32_e32 v53, v53
	v_cvt_i32_f32_e32 v81, v82
	s_mov_b32 s38, 0xc2ce8ed0
	v_cmp_ngt_f32_e64 s[38:39], s38, v3
	s_mov_b32 s42, 0x7f800000
	v_ldexp_f32 v53, v53, v81
	v_cndmask_b32_e64 v53, 0, v53, s[38:39]
	s_mov_b32 s38, 0x42b17218
	v_mov_b32_e32 v81, 0x7f800000
	v_cmp_nlt_f32_e64 s[38:39], s38, v3
	s_nop 1
	v_cndmask_b32_e64 v53, v81, v53, s[38:39]
	v_add_f32_e32 v3, 1.0, v53
	v_add_f32_e32 v81, -1.0, v3
	v_sub_f32_e32 v82, v81, v3
	v_add_f32_e32 v82, 1.0, v82
	v_sub_f32_e32 v81, v53, v81
	v_add_f32_e32 v81, v81, v82
	v_frexp_mant_f32_e32 v84, v3
	s_mov_b32 s38, 0x3f2aaaab
	v_cvt_f64_f32_e32 v[82:83], v3
	v_frexp_exp_i32_f64_e32 v82, v[82:83]
	v_cmp_gt_f32_e64 s[38:39], s38, v84
	s_nop 1
	v_subbrev_co_u32_e64 v101, s[38:39], 0, v82, s[38:39]
	v_sub_u32_e32 v82, 0, v101
	v_ldexp_f32 v3, v3, v82
	v_ldexp_f32 v81, v81, v82
	v_add_f32_e32 v82, -1.0, v3
	v_add_f32_e32 v83, 1.0, v82
	v_sub_f32_e32 v83, v3, v83
	v_add_f32_e32 v84, v81, v83
	v_add_f32_e32 v83, 1.0, v3
	v_add_f32_e32 v85, -1.0, v83
	v_sub_f32_e32 v3, v3, v85
	v_add_f32_e32 v3, v81, v3
	v_add_f32_e32 v81, v83, v3
	v_rcp_f32_e32 v114, v81
	v_sub_f32_e32 v83, v83, v81
	v_add_f32_e32 v3, v3, v83
	v_add_f32_e32 v83, v82, v84
	v_sub_f32_e32 v82, v82, v83
	v_mul_f32_e32 v116, v83, v114
	v_add_f32_e32 v115, v84, v82
	v_mul_f32_e32 v84, v81, v116
	v_fma_f32 v86, v116, v81, -v84
	v_fmac_f32_e32 v86, v116, v3
	v_add_f32_e32 v82, v84, v86
	v_sub_f32_e32 v85, v83, v82
	v_pk_add_f32 v[112:113], v[82:83], v[84:85] neg_lo:[0,1] neg_hi:[0,1]
	v_mov_b32_e32 v87, v82
	v_pk_add_f32 v[82:83], v[112:113], v[86:87] neg_lo:[0,1] neg_hi:[0,1]
	s_mov_b32 s38, 0x3f317218
	v_add_f32_e32 v83, v115, v83
	v_add_f32_e32 v82, v82, v83
	;; [unrolled: 1-line block ×3, first 2 shown]
	v_mul_f32_e32 v115, v114, v83
	v_mul_f32_e32 v84, v81, v115
	v_fma_f32 v86, v115, v81, -v84
	v_fmac_f32_e32 v86, v115, v3
	v_sub_f32_e32 v3, v85, v83
	v_add_f32_e32 v3, v82, v3
	v_add_f32_e32 v82, v84, v86
	v_sub_f32_e32 v85, v83, v82
	v_pk_add_f32 v[112:113], v[82:83], v[84:85] neg_lo:[0,1] neg_hi:[0,1]
	v_mov_b32_e32 v87, v82
	v_pk_add_f32 v[82:83], v[112:113], v[86:87] neg_lo:[0,1] neg_hi:[0,1]
	v_add_f32_e32 v81, v116, v115
	v_add_f32_e32 v3, v3, v83
	;; [unrolled: 1-line block ×4, first 2 shown]
	v_sub_f32_e32 v82, v81, v116
	v_mul_f32_e32 v3, v114, v3
	v_sub_f32_e32 v82, v115, v82
	v_add_f32_e32 v3, v82, v3
	v_add_f32_e32 v82, v81, v3
	v_cvt_f32_i32_e32 v84, v101
	v_mul_f32_e32 v85, v82, v82
	v_mov_b32_e32 v83, 0x3ecc95a3
	v_fmac_f32_e32 v83, 0x3e9b6dac, v85
	v_fmaak_f32 v83, v85, v83, 0x3f2aaada
	v_sub_f32_e32 v81, v82, v81
	v_ldexp_f32 v87, v82, 1
	v_mul_f32_e32 v85, v82, v85
	v_mov_b32_e32 v82, 0x3f317218
	v_pk_mul_f32 v[82:83], v[84:85], v[82:83]
	v_sub_f32_e32 v3, v3, v81
	v_fma_f32 v81, v84, s38, -v82
	v_fmamk_f32 v86, v84, 0xb102e308, v81
	v_pk_add_f32 v[84:85], v[82:83], v[86:87]
	v_ldexp_f32 v3, v3, 1
	v_sub_f32_e32 v81, v85, v87
	v_sub_f32_e32 v81, v83, v81
	v_add_f32_e32 v113, v3, v81
	v_mov_b32_e32 v112, v82
	v_pk_add_f32 v[82:83], v[84:85], v[82:83] neg_lo:[0,1] neg_hi:[0,1]
	v_pk_add_f32 v[114:115], v[84:85], v[112:113]
	v_mov_b32_e32 v87, v84
	v_mov_b32_e32 v83, v115
	v_pk_add_f32 v[116:117], v[86:87], v[82:83] neg_lo:[0,1] neg_hi:[0,1]
	v_pk_add_f32 v[82:83], v[86:87], v[82:83]
	v_mov_b32_e32 v112, v113
	v_mov_b32_e32 v86, v83
	v_pk_add_f32 v[118:119], v[86:87], v[84:85] neg_lo:[0,1] neg_hi:[0,1]
	v_mov_b32_e32 v82, v115
	v_mov_b32_e32 v3, v118
	v_pk_add_f32 v[128:129], v[114:115], v[2:3] neg_lo:[0,1] neg_hi:[0,1]
	v_mov_b32_e32 v114, v85
	v_mov_b32_e32 v115, v118
	;; [unrolled: 1-line block ×3, first 2 shown]
	v_pk_add_f32 v[82:83], v[82:83], v[114:115] neg_lo:[0,1] neg_hi:[0,1]
	v_mov_b32_e32 v113, v84
	v_pk_add_f32 v[82:83], v[112:113], v[82:83] neg_lo:[0,1] neg_hi:[0,1]
	v_mov_b32_e32 v128, v116
	v_pk_add_f32 v[84:85], v[128:129], v[82:83]
	v_cmp_eq_f32_e64 s[38:39], s42, v53
	v_mov_b32_e32 v112, v85
	v_pk_add_f32 v[112:113], v[84:85], v[112:113]
	s_mov_b32 s42, 0x33800000
	v_pk_add_f32 v[86:87], v[86:87], v[112:113]
	v_mov_b32_e32 v83, v112
	v_mov_b32_e32 v85, v86
	v_pk_add_f32 v[114:115], v[84:85], v[116:117] neg_lo:[0,1] neg_hi:[0,1]
	v_cmp_lt_f32_e64 s[42:43], |v53|, s42
	v_sub_f32_e32 v3, v84, v114
	v_pk_add_f32 v[82:83], v[82:83], v[114:115] neg_lo:[0,1] neg_hi:[0,1]
	v_sub_f32_e32 v3, v116, v3
	v_add_f32_e32 v3, v82, v3
	v_add_f32_e32 v3, v3, v83
	;; [unrolled: 1-line block ×3, first 2 shown]
	s_or_b64 s[38:39], s[38:39], s[42:43]
	v_cndmask_b32_e64 v3, v3, v53, s[38:39]
	v_add_f32_e32 v53, v2, v3
.LBB121_308:
	s_or_b64 exec, exec, s[40:41]
	v_max_f32_e32 v81, v25, v25
	v_max_f32_e32 v2, v53, v53
	v_min_f32_e32 v3, v2, v81
	v_cmp_u_f32_e64 s[40:41], v53, v53
	v_max_f32_e32 v2, v2, v81
	v_cmp_u_f32_e64 s[38:39], v25, v25
	v_cndmask_b32_e64 v3, v3, v53, s[40:41]
	v_cndmask_b32_e64 v2, v2, v53, s[40:41]
	;; [unrolled: 1-line block ×4, first 2 shown]
	s_movk_i32 s44, 0x1f8
	v_cmp_neq_f32_e64 s[40:41], v3, v2
	v_cmp_class_f32_e64 s[42:43], v3, s44
	s_or_b64 s[40:41], s[40:41], s[42:43]
	s_and_saveexec_b64 s[42:43], s[40:41]
	s_cbranch_execz .LBB121_310
; %bb.309:
	v_sub_f32_e32 v3, v3, v2
	s_mov_b32 s40, 0x3fb8aa3b
	v_mul_f32_e32 v53, 0x3fb8aa3b, v3
	v_fma_f32 v82, v3, s40, -v53
	v_rndne_f32_e32 v83, v53
	v_fmamk_f32 v82, v3, 0x32a5705f, v82
	v_sub_f32_e32 v53, v53, v83
	v_add_f32_e32 v53, v53, v82
	v_exp_f32_e32 v53, v53
	v_cvt_i32_f32_e32 v82, v83
	s_mov_b32 s40, 0xc2ce8ed0
	v_cmp_ngt_f32_e64 s[40:41], s40, v3
	s_mov_b32 s45, 0x7f800000
	v_ldexp_f32 v53, v53, v82
	v_cndmask_b32_e64 v53, 0, v53, s[40:41]
	s_mov_b32 s40, 0x42b17218
	v_mov_b32_e32 v82, 0x7f800000
	v_cmp_nlt_f32_e64 s[40:41], s40, v3
	s_nop 1
	v_cndmask_b32_e64 v53, v82, v53, s[40:41]
	v_add_f32_e32 v3, 1.0, v53
	v_add_f32_e32 v82, -1.0, v3
	v_sub_f32_e32 v83, v82, v3
	v_add_f32_e32 v83, 1.0, v83
	v_sub_f32_e32 v82, v53, v82
	v_add_f32_e32 v84, v82, v83
	v_frexp_mant_f32_e32 v85, v3
	s_mov_b32 s40, 0x3f2aaaab
	v_cvt_f64_f32_e32 v[82:83], v3
	v_frexp_exp_i32_f64_e32 v82, v[82:83]
	v_cmp_gt_f32_e64 s[40:41], s40, v85
	s_nop 1
	v_subbrev_co_u32_e64 v101, s[40:41], 0, v82, s[40:41]
	v_sub_u32_e32 v82, 0, v101
	v_ldexp_f32 v3, v3, v82
	v_ldexp_f32 v82, v84, v82
	v_add_f32_e32 v84, -1.0, v3
	v_add_f32_e32 v83, 1.0, v84
	v_sub_f32_e32 v83, v3, v83
	v_add_f32_e32 v85, v82, v83
	v_add_f32_e32 v83, 1.0, v3
	v_add_f32_e32 v86, -1.0, v83
	v_sub_f32_e32 v3, v3, v86
	v_add_f32_e32 v3, v82, v3
	v_add_f32_e32 v114, v83, v3
	v_rcp_f32_e32 v115, v114
	v_sub_f32_e32 v82, v83, v114
	v_add_f32_e32 v83, v84, v85
	v_add_f32_e32 v3, v3, v82
	v_mul_f32_e32 v117, v83, v115
	v_sub_f32_e32 v82, v84, v83
	v_mul_f32_e32 v84, v114, v117
	v_fma_f32 v86, v117, v114, -v84
	v_fmac_f32_e32 v86, v117, v3
	v_add_f32_e32 v116, v85, v82
	v_add_f32_e32 v82, v84, v86
	v_sub_f32_e32 v85, v83, v82
	v_pk_add_f32 v[112:113], v[82:83], v[84:85] neg_lo:[0,1] neg_hi:[0,1]
	v_mov_b32_e32 v87, v82
	v_pk_add_f32 v[82:83], v[112:113], v[86:87] neg_lo:[0,1] neg_hi:[0,1]
	s_mov_b32 s40, 0x3f317218
	v_add_f32_e32 v83, v116, v83
	v_add_f32_e32 v82, v82, v83
	;; [unrolled: 1-line block ×3, first 2 shown]
	v_mul_f32_e32 v116, v115, v83
	v_mul_f32_e32 v84, v114, v116
	v_fma_f32 v86, v116, v114, -v84
	v_fmac_f32_e32 v86, v116, v3
	v_sub_f32_e32 v3, v85, v83
	v_add_f32_e32 v3, v82, v3
	v_add_f32_e32 v82, v84, v86
	v_sub_f32_e32 v85, v83, v82
	v_pk_add_f32 v[112:113], v[82:83], v[84:85] neg_lo:[0,1] neg_hi:[0,1]
	v_mov_b32_e32 v87, v82
	v_pk_add_f32 v[82:83], v[112:113], v[86:87] neg_lo:[0,1] neg_hi:[0,1]
	v_cvt_f32_i32_e32 v84, v101
	v_add_f32_e32 v3, v3, v83
	v_add_f32_e32 v3, v82, v3
	;; [unrolled: 1-line block ×4, first 2 shown]
	v_sub_f32_e32 v83, v82, v117
	v_mul_f32_e32 v3, v115, v3
	v_sub_f32_e32 v83, v116, v83
	v_add_f32_e32 v3, v83, v3
	v_add_f32_e32 v85, v82, v3
	v_mul_f32_e32 v86, v85, v85
	v_mov_b32_e32 v83, 0x3ecc95a3
	v_fmac_f32_e32 v83, 0x3e9b6dac, v86
	v_sub_f32_e32 v82, v85, v82
	v_fmaak_f32 v83, v86, v83, 0x3f2aaada
	v_sub_f32_e32 v3, v3, v82
	v_ldexp_f32 v87, v85, 1
	v_mul_f32_e32 v85, v85, v86
	v_mov_b32_e32 v82, 0x3f317218
	v_pk_mul_f32 v[82:83], v[84:85], v[82:83]
	v_ldexp_f32 v3, v3, 1
	v_fma_f32 v85, v84, s40, -v82
	v_fmamk_f32 v86, v84, 0xb102e308, v85
	v_pk_add_f32 v[84:85], v[82:83], v[86:87]
	v_mov_b32_e32 v112, v82
	v_sub_f32_e32 v87, v85, v87
	v_sub_f32_e32 v87, v83, v87
	v_add_f32_e32 v113, v3, v87
	v_pk_add_f32 v[82:83], v[84:85], v[82:83] neg_lo:[0,1] neg_hi:[0,1]
	v_pk_add_f32 v[114:115], v[84:85], v[112:113]
	v_mov_b32_e32 v87, v84
	v_mov_b32_e32 v83, v115
	v_pk_add_f32 v[116:117], v[86:87], v[82:83] neg_lo:[0,1] neg_hi:[0,1]
	v_pk_add_f32 v[82:83], v[86:87], v[82:83]
	v_mov_b32_e32 v112, v113
	v_mov_b32_e32 v86, v83
	v_pk_add_f32 v[118:119], v[86:87], v[84:85] neg_lo:[0,1] neg_hi:[0,1]
	v_mov_b32_e32 v82, v115
	v_mov_b32_e32 v3, v118
	v_pk_add_f32 v[128:129], v[114:115], v[2:3] neg_lo:[0,1] neg_hi:[0,1]
	v_mov_b32_e32 v114, v85
	v_mov_b32_e32 v115, v118
	;; [unrolled: 1-line block ×3, first 2 shown]
	v_pk_add_f32 v[82:83], v[82:83], v[114:115] neg_lo:[0,1] neg_hi:[0,1]
	v_mov_b32_e32 v113, v84
	v_pk_add_f32 v[82:83], v[112:113], v[82:83] neg_lo:[0,1] neg_hi:[0,1]
	v_mov_b32_e32 v128, v116
	v_pk_add_f32 v[84:85], v[128:129], v[82:83]
	v_cmp_eq_f32_e64 s[40:41], s45, v53
	v_mov_b32_e32 v112, v85
	v_pk_add_f32 v[112:113], v[84:85], v[112:113]
	s_mov_b32 s45, 0x33800000
	v_pk_add_f32 v[86:87], v[86:87], v[112:113]
	v_mov_b32_e32 v83, v112
	v_mov_b32_e32 v85, v86
	v_pk_add_f32 v[114:115], v[84:85], v[116:117] neg_lo:[0,1] neg_hi:[0,1]
	v_cmp_lt_f32_e64 s[46:47], |v53|, s45
	v_sub_f32_e32 v3, v84, v114
	v_pk_add_f32 v[82:83], v[82:83], v[114:115] neg_lo:[0,1] neg_hi:[0,1]
	v_sub_f32_e32 v3, v116, v3
	v_add_f32_e32 v3, v82, v3
	v_add_f32_e32 v3, v3, v83
	;; [unrolled: 1-line block ×3, first 2 shown]
	s_or_b64 s[40:41], s[40:41], s[46:47]
	v_cndmask_b32_e64 v3, v3, v53, s[40:41]
	v_add_f32_e32 v53, v2, v3
.LBB121_310:
	s_or_b64 exec, exec, s[42:43]
	v_max_f32_e32 v82, v26, v26
	v_max_f32_e32 v2, v53, v53
	v_min_f32_e32 v3, v2, v82
	v_cmp_u_f32_e64 s[42:43], v53, v53
	v_max_f32_e32 v2, v2, v82
	v_cmp_u_f32_e64 s[40:41], v26, v26
	v_cndmask_b32_e64 v3, v3, v53, s[42:43]
	v_cndmask_b32_e64 v2, v2, v53, s[42:43]
	;; [unrolled: 1-line block ×4, first 2 shown]
	v_cmp_neq_f32_e64 s[42:43], v3, v2
	v_cmp_class_f32_e64 s[44:45], v3, s44
	s_or_b64 s[42:43], s[42:43], s[44:45]
	s_and_saveexec_b64 s[44:45], s[42:43]
	s_cbranch_execz .LBB121_312
; %bb.311:
	v_sub_f32_e32 v3, v3, v2
	s_mov_b32 s42, 0x3fb8aa3b
	v_mul_f32_e32 v53, 0x3fb8aa3b, v3
	v_fma_f32 v83, v3, s42, -v53
	v_rndne_f32_e32 v84, v53
	v_fmamk_f32 v83, v3, 0x32a5705f, v83
	v_sub_f32_e32 v53, v53, v84
	v_add_f32_e32 v53, v53, v83
	v_exp_f32_e32 v53, v53
	v_cvt_i32_f32_e32 v83, v84
	s_mov_b32 s42, 0xc2ce8ed0
	v_cmp_ngt_f32_e64 s[42:43], s42, v3
	s_mov_b32 s46, 0x7f800000
	v_ldexp_f32 v53, v53, v83
	v_cndmask_b32_e64 v53, 0, v53, s[42:43]
	s_mov_b32 s42, 0x42b17218
	v_mov_b32_e32 v83, 0x7f800000
	v_cmp_nlt_f32_e64 s[42:43], s42, v3
	s_nop 1
	v_cndmask_b32_e64 v53, v83, v53, s[42:43]
	v_add_f32_e32 v3, 1.0, v53
	v_add_f32_e32 v83, -1.0, v3
	v_sub_f32_e32 v84, v83, v3
	v_add_f32_e32 v84, 1.0, v84
	v_sub_f32_e32 v83, v53, v83
	v_add_f32_e32 v83, v83, v84
	v_frexp_mant_f32_e32 v86, v3
	s_mov_b32 s42, 0x3f2aaaab
	v_cvt_f64_f32_e32 v[84:85], v3
	v_frexp_exp_i32_f64_e32 v84, v[84:85]
	v_cmp_gt_f32_e64 s[42:43], s42, v86
	s_nop 1
	v_subbrev_co_u32_e64 v101, s[42:43], 0, v84, s[42:43]
	v_sub_u32_e32 v84, 0, v101
	v_ldexp_f32 v3, v3, v84
	v_ldexp_f32 v83, v83, v84
	v_add_f32_e32 v84, -1.0, v3
	v_add_f32_e32 v85, 1.0, v84
	v_sub_f32_e32 v85, v3, v85
	v_add_f32_e32 v86, v83, v85
	v_add_f32_e32 v85, 1.0, v3
	v_add_f32_e32 v87, -1.0, v85
	v_sub_f32_e32 v3, v3, v87
	v_add_f32_e32 v3, v83, v3
	v_add_f32_e32 v83, v85, v3
	v_rcp_f32_e32 v116, v83
	v_sub_f32_e32 v85, v85, v83
	v_add_f32_e32 v3, v3, v85
	v_add_f32_e32 v85, v84, v86
	v_sub_f32_e32 v84, v84, v85
	v_mul_f32_e32 v118, v85, v116
	v_add_f32_e32 v117, v86, v84
	v_mul_f32_e32 v86, v83, v118
	v_fma_f32 v112, v118, v83, -v86
	v_fmac_f32_e32 v112, v118, v3
	v_add_f32_e32 v84, v86, v112
	v_sub_f32_e32 v87, v85, v84
	v_pk_add_f32 v[114:115], v[84:85], v[86:87] neg_lo:[0,1] neg_hi:[0,1]
	v_mov_b32_e32 v113, v84
	v_pk_add_f32 v[84:85], v[114:115], v[112:113] neg_lo:[0,1] neg_hi:[0,1]
	s_mov_b32 s42, 0x3f317218
	v_add_f32_e32 v85, v117, v85
	v_add_f32_e32 v84, v84, v85
	;; [unrolled: 1-line block ×3, first 2 shown]
	v_mul_f32_e32 v117, v116, v85
	v_mul_f32_e32 v86, v83, v117
	v_fma_f32 v112, v117, v83, -v86
	v_fmac_f32_e32 v112, v117, v3
	v_sub_f32_e32 v3, v87, v85
	v_add_f32_e32 v3, v84, v3
	v_add_f32_e32 v84, v86, v112
	v_sub_f32_e32 v87, v85, v84
	v_pk_add_f32 v[114:115], v[84:85], v[86:87] neg_lo:[0,1] neg_hi:[0,1]
	v_mov_b32_e32 v113, v84
	v_pk_add_f32 v[84:85], v[114:115], v[112:113] neg_lo:[0,1] neg_hi:[0,1]
	v_add_f32_e32 v83, v118, v117
	v_add_f32_e32 v3, v3, v85
	;; [unrolled: 1-line block ×4, first 2 shown]
	v_sub_f32_e32 v84, v83, v118
	v_mul_f32_e32 v3, v116, v3
	v_sub_f32_e32 v84, v117, v84
	v_add_f32_e32 v3, v84, v3
	v_add_f32_e32 v84, v83, v3
	v_cvt_f32_i32_e32 v86, v101
	v_mul_f32_e32 v87, v84, v84
	v_mov_b32_e32 v85, 0x3ecc95a3
	v_fmac_f32_e32 v85, 0x3e9b6dac, v87
	v_fmaak_f32 v85, v87, v85, 0x3f2aaada
	v_sub_f32_e32 v83, v84, v83
	v_ldexp_f32 v113, v84, 1
	v_mul_f32_e32 v87, v84, v87
	v_mov_b32_e32 v84, 0x3f317218
	v_pk_mul_f32 v[84:85], v[86:87], v[84:85]
	v_sub_f32_e32 v3, v3, v83
	v_fma_f32 v83, v86, s42, -v84
	v_fmamk_f32 v112, v86, 0xb102e308, v83
	v_pk_add_f32 v[86:87], v[84:85], v[112:113]
	v_ldexp_f32 v3, v3, 1
	v_sub_f32_e32 v83, v87, v113
	v_sub_f32_e32 v83, v85, v83
	v_add_f32_e32 v115, v3, v83
	v_mov_b32_e32 v114, v84
	v_pk_add_f32 v[84:85], v[86:87], v[84:85] neg_lo:[0,1] neg_hi:[0,1]
	v_pk_add_f32 v[116:117], v[86:87], v[114:115]
	v_mov_b32_e32 v113, v86
	v_mov_b32_e32 v85, v117
	v_pk_add_f32 v[118:119], v[112:113], v[84:85] neg_lo:[0,1] neg_hi:[0,1]
	v_pk_add_f32 v[84:85], v[112:113], v[84:85]
	v_mov_b32_e32 v114, v115
	v_mov_b32_e32 v112, v85
	v_pk_add_f32 v[128:129], v[112:113], v[86:87] neg_lo:[0,1] neg_hi:[0,1]
	v_mov_b32_e32 v84, v117
	v_mov_b32_e32 v3, v128
	v_pk_add_f32 v[130:131], v[116:117], v[2:3] neg_lo:[0,1] neg_hi:[0,1]
	v_mov_b32_e32 v116, v87
	v_mov_b32_e32 v117, v128
	;; [unrolled: 1-line block ×3, first 2 shown]
	v_pk_add_f32 v[84:85], v[84:85], v[116:117] neg_lo:[0,1] neg_hi:[0,1]
	v_mov_b32_e32 v115, v86
	v_pk_add_f32 v[84:85], v[114:115], v[84:85] neg_lo:[0,1] neg_hi:[0,1]
	v_mov_b32_e32 v130, v118
	v_pk_add_f32 v[86:87], v[130:131], v[84:85]
	v_cmp_eq_f32_e64 s[42:43], s46, v53
	v_mov_b32_e32 v114, v87
	v_pk_add_f32 v[114:115], v[86:87], v[114:115]
	s_mov_b32 s46, 0x33800000
	v_pk_add_f32 v[112:113], v[112:113], v[114:115]
	v_mov_b32_e32 v85, v114
	v_mov_b32_e32 v87, v112
	v_pk_add_f32 v[116:117], v[86:87], v[118:119] neg_lo:[0,1] neg_hi:[0,1]
	v_cmp_lt_f32_e64 s[46:47], |v53|, s46
	v_sub_f32_e32 v3, v86, v116
	v_pk_add_f32 v[84:85], v[84:85], v[116:117] neg_lo:[0,1] neg_hi:[0,1]
	v_sub_f32_e32 v3, v118, v3
	v_add_f32_e32 v3, v84, v3
	v_add_f32_e32 v3, v3, v85
	;; [unrolled: 1-line block ×3, first 2 shown]
	s_or_b64 s[42:43], s[42:43], s[46:47]
	v_cndmask_b32_e64 v3, v3, v53, s[42:43]
	v_add_f32_e32 v53, v2, v3
.LBB121_312:
	s_or_b64 exec, exec, s[44:45]
	v_max_f32_e32 v83, v27, v27
	v_max_f32_e32 v2, v53, v53
	v_min_f32_e32 v3, v2, v83
	v_cmp_u_f32_e64 s[44:45], v53, v53
	v_max_f32_e32 v2, v2, v83
	v_cmp_u_f32_e64 s[42:43], v27, v27
	v_cndmask_b32_e64 v3, v3, v53, s[44:45]
	v_cndmask_b32_e64 v2, v2, v53, s[44:45]
	;; [unrolled: 1-line block ×4, first 2 shown]
	s_movk_i32 s48, 0x1f8
	v_cmp_neq_f32_e64 s[44:45], v3, v2
	v_cmp_class_f32_e64 s[46:47], v3, s48
	s_or_b64 s[44:45], s[44:45], s[46:47]
	s_and_saveexec_b64 s[46:47], s[44:45]
	s_cbranch_execz .LBB121_314
; %bb.313:
	v_sub_f32_e32 v3, v3, v2
	s_mov_b32 s44, 0x3fb8aa3b
	v_mul_f32_e32 v53, 0x3fb8aa3b, v3
	v_fma_f32 v84, v3, s44, -v53
	v_rndne_f32_e32 v85, v53
	v_fmamk_f32 v84, v3, 0x32a5705f, v84
	v_sub_f32_e32 v53, v53, v85
	v_add_f32_e32 v53, v53, v84
	v_exp_f32_e32 v53, v53
	v_cvt_i32_f32_e32 v84, v85
	s_mov_b32 s44, 0xc2ce8ed0
	v_cmp_ngt_f32_e64 s[44:45], s44, v3
	s_mov_b32 s49, 0x7f800000
	v_ldexp_f32 v53, v53, v84
	v_cndmask_b32_e64 v53, 0, v53, s[44:45]
	s_mov_b32 s44, 0x42b17218
	v_mov_b32_e32 v84, 0x7f800000
	v_cmp_nlt_f32_e64 s[44:45], s44, v3
	s_nop 1
	v_cndmask_b32_e64 v53, v84, v53, s[44:45]
	v_add_f32_e32 v3, 1.0, v53
	v_add_f32_e32 v84, -1.0, v3
	v_sub_f32_e32 v85, v84, v3
	v_add_f32_e32 v85, 1.0, v85
	v_sub_f32_e32 v84, v53, v84
	v_add_f32_e32 v86, v84, v85
	v_frexp_mant_f32_e32 v87, v3
	s_mov_b32 s44, 0x3f2aaaab
	v_cvt_f64_f32_e32 v[84:85], v3
	v_frexp_exp_i32_f64_e32 v84, v[84:85]
	v_cmp_gt_f32_e64 s[44:45], s44, v87
	s_nop 1
	v_subbrev_co_u32_e64 v101, s[44:45], 0, v84, s[44:45]
	v_sub_u32_e32 v84, 0, v101
	v_ldexp_f32 v3, v3, v84
	v_ldexp_f32 v84, v86, v84
	v_add_f32_e32 v86, -1.0, v3
	v_add_f32_e32 v85, 1.0, v86
	v_sub_f32_e32 v85, v3, v85
	v_add_f32_e32 v87, v84, v85
	v_add_f32_e32 v85, 1.0, v3
	v_add_f32_e32 v112, -1.0, v85
	v_sub_f32_e32 v3, v3, v112
	v_add_f32_e32 v3, v84, v3
	v_add_f32_e32 v116, v85, v3
	v_rcp_f32_e32 v117, v116
	v_sub_f32_e32 v84, v85, v116
	v_add_f32_e32 v85, v86, v87
	v_add_f32_e32 v3, v3, v84
	v_mul_f32_e32 v119, v85, v117
	v_sub_f32_e32 v84, v86, v85
	v_mul_f32_e32 v86, v116, v119
	v_fma_f32 v112, v119, v116, -v86
	v_fmac_f32_e32 v112, v119, v3
	v_add_f32_e32 v118, v87, v84
	v_add_f32_e32 v84, v86, v112
	v_sub_f32_e32 v87, v85, v84
	v_pk_add_f32 v[114:115], v[84:85], v[86:87] neg_lo:[0,1] neg_hi:[0,1]
	v_mov_b32_e32 v113, v84
	v_pk_add_f32 v[84:85], v[114:115], v[112:113] neg_lo:[0,1] neg_hi:[0,1]
	s_mov_b32 s44, 0x3f317218
	v_add_f32_e32 v85, v118, v85
	v_add_f32_e32 v84, v84, v85
	;; [unrolled: 1-line block ×3, first 2 shown]
	v_mul_f32_e32 v118, v117, v85
	v_mul_f32_e32 v86, v116, v118
	v_fma_f32 v112, v118, v116, -v86
	v_fmac_f32_e32 v112, v118, v3
	v_sub_f32_e32 v3, v87, v85
	v_add_f32_e32 v3, v84, v3
	v_add_f32_e32 v84, v86, v112
	v_sub_f32_e32 v87, v85, v84
	v_pk_add_f32 v[114:115], v[84:85], v[86:87] neg_lo:[0,1] neg_hi:[0,1]
	v_mov_b32_e32 v113, v84
	v_pk_add_f32 v[84:85], v[114:115], v[112:113] neg_lo:[0,1] neg_hi:[0,1]
	v_cvt_f32_i32_e32 v86, v101
	v_add_f32_e32 v3, v3, v85
	v_add_f32_e32 v3, v84, v3
	v_add_f32_e32 v84, v119, v118
	v_add_f32_e32 v3, v87, v3
	v_sub_f32_e32 v85, v84, v119
	v_mul_f32_e32 v3, v117, v3
	v_sub_f32_e32 v85, v118, v85
	v_add_f32_e32 v3, v85, v3
	v_add_f32_e32 v87, v84, v3
	v_mul_f32_e32 v112, v87, v87
	v_mov_b32_e32 v85, 0x3ecc95a3
	v_fmac_f32_e32 v85, 0x3e9b6dac, v112
	v_sub_f32_e32 v84, v87, v84
	v_fmaak_f32 v85, v112, v85, 0x3f2aaada
	v_sub_f32_e32 v3, v3, v84
	v_ldexp_f32 v113, v87, 1
	v_mul_f32_e32 v87, v87, v112
	v_mov_b32_e32 v84, 0x3f317218
	v_pk_mul_f32 v[84:85], v[86:87], v[84:85]
	v_ldexp_f32 v3, v3, 1
	v_fma_f32 v87, v86, s44, -v84
	v_fmamk_f32 v112, v86, 0xb102e308, v87
	v_pk_add_f32 v[86:87], v[84:85], v[112:113]
	v_mov_b32_e32 v114, v84
	v_sub_f32_e32 v101, v87, v113
	v_sub_f32_e32 v101, v85, v101
	v_add_f32_e32 v115, v3, v101
	v_pk_add_f32 v[84:85], v[86:87], v[84:85] neg_lo:[0,1] neg_hi:[0,1]
	v_pk_add_f32 v[116:117], v[86:87], v[114:115]
	v_mov_b32_e32 v113, v86
	v_mov_b32_e32 v85, v117
	v_pk_add_f32 v[118:119], v[112:113], v[84:85] neg_lo:[0,1] neg_hi:[0,1]
	v_pk_add_f32 v[84:85], v[112:113], v[84:85]
	v_mov_b32_e32 v114, v115
	v_mov_b32_e32 v112, v85
	v_pk_add_f32 v[128:129], v[112:113], v[86:87] neg_lo:[0,1] neg_hi:[0,1]
	v_mov_b32_e32 v84, v117
	v_mov_b32_e32 v3, v128
	v_pk_add_f32 v[130:131], v[116:117], v[2:3] neg_lo:[0,1] neg_hi:[0,1]
	v_mov_b32_e32 v116, v87
	v_mov_b32_e32 v117, v128
	;; [unrolled: 1-line block ×3, first 2 shown]
	v_pk_add_f32 v[84:85], v[84:85], v[116:117] neg_lo:[0,1] neg_hi:[0,1]
	v_mov_b32_e32 v115, v86
	v_pk_add_f32 v[84:85], v[114:115], v[84:85] neg_lo:[0,1] neg_hi:[0,1]
	v_mov_b32_e32 v130, v118
	v_pk_add_f32 v[86:87], v[130:131], v[84:85]
	v_cmp_eq_f32_e64 s[44:45], s49, v53
	v_mov_b32_e32 v114, v87
	v_pk_add_f32 v[114:115], v[86:87], v[114:115]
	s_mov_b32 s49, 0x33800000
	v_pk_add_f32 v[112:113], v[112:113], v[114:115]
	v_mov_b32_e32 v85, v114
	v_mov_b32_e32 v87, v112
	v_pk_add_f32 v[116:117], v[86:87], v[118:119] neg_lo:[0,1] neg_hi:[0,1]
	v_cmp_lt_f32_e64 s[50:51], |v53|, s49
	v_sub_f32_e32 v3, v86, v116
	v_pk_add_f32 v[84:85], v[84:85], v[116:117] neg_lo:[0,1] neg_hi:[0,1]
	v_sub_f32_e32 v3, v118, v3
	v_add_f32_e32 v3, v84, v3
	v_add_f32_e32 v3, v3, v85
	;; [unrolled: 1-line block ×3, first 2 shown]
	s_or_b64 s[44:45], s[44:45], s[50:51]
	v_cndmask_b32_e64 v3, v3, v53, s[44:45]
	v_add_f32_e32 v53, v2, v3
.LBB121_314:
	s_or_b64 exec, exec, s[46:47]
	v_max_f32_e32 v84, v20, v20
	v_max_f32_e32 v2, v53, v53
	v_min_f32_e32 v3, v2, v84
	v_cmp_u_f32_e64 s[46:47], v53, v53
	v_max_f32_e32 v2, v2, v84
	v_cmp_u_f32_e64 s[44:45], v20, v20
	v_cndmask_b32_e64 v3, v3, v53, s[46:47]
	v_cndmask_b32_e64 v2, v2, v53, s[46:47]
	;; [unrolled: 1-line block ×4, first 2 shown]
	v_cmp_neq_f32_e64 s[46:47], v3, v2
	v_cmp_class_f32_e64 s[48:49], v3, s48
	s_or_b64 s[46:47], s[46:47], s[48:49]
	s_and_saveexec_b64 s[48:49], s[46:47]
	s_cbranch_execz .LBB121_316
; %bb.315:
	v_sub_f32_e32 v3, v3, v2
	s_mov_b32 s46, 0x3fb8aa3b
	v_mul_f32_e32 v53, 0x3fb8aa3b, v3
	v_fma_f32 v85, v3, s46, -v53
	v_rndne_f32_e32 v86, v53
	v_fmamk_f32 v85, v3, 0x32a5705f, v85
	v_sub_f32_e32 v53, v53, v86
	v_add_f32_e32 v53, v53, v85
	v_exp_f32_e32 v53, v53
	v_cvt_i32_f32_e32 v85, v86
	s_mov_b32 s46, 0xc2ce8ed0
	v_cmp_ngt_f32_e64 s[46:47], s46, v3
	s_mov_b32 s50, 0x7f800000
	v_ldexp_f32 v53, v53, v85
	v_cndmask_b32_e64 v53, 0, v53, s[46:47]
	s_mov_b32 s46, 0x42b17218
	v_mov_b32_e32 v85, 0x7f800000
	v_cmp_nlt_f32_e64 s[46:47], s46, v3
	s_nop 1
	v_cndmask_b32_e64 v53, v85, v53, s[46:47]
	v_add_f32_e32 v3, 1.0, v53
	v_add_f32_e32 v85, -1.0, v3
	v_sub_f32_e32 v86, v85, v3
	v_add_f32_e32 v86, 1.0, v86
	v_sub_f32_e32 v85, v53, v85
	v_add_f32_e32 v85, v85, v86
	v_frexp_mant_f32_e32 v101, v3
	s_mov_b32 s46, 0x3f2aaaab
	v_cvt_f64_f32_e32 v[86:87], v3
	v_frexp_exp_i32_f64_e32 v86, v[86:87]
	v_cmp_gt_f32_e64 s[46:47], s46, v101
	s_nop 1
	v_subbrev_co_u32_e64 v101, s[46:47], 0, v86, s[46:47]
	v_sub_u32_e32 v86, 0, v101
	v_ldexp_f32 v3, v3, v86
	v_ldexp_f32 v85, v85, v86
	v_add_f32_e32 v86, -1.0, v3
	v_add_f32_e32 v87, 1.0, v86
	v_sub_f32_e32 v87, v3, v87
	v_add_f32_e32 v112, v85, v87
	v_add_f32_e32 v87, 1.0, v3
	v_add_f32_e32 v113, -1.0, v87
	v_sub_f32_e32 v3, v3, v113
	v_add_f32_e32 v3, v85, v3
	v_add_f32_e32 v85, v87, v3
	v_rcp_f32_e32 v118, v85
	v_sub_f32_e32 v87, v87, v85
	v_add_f32_e32 v3, v3, v87
	v_add_f32_e32 v87, v86, v112
	v_sub_f32_e32 v86, v86, v87
	v_mul_f32_e32 v128, v87, v118
	v_add_f32_e32 v119, v112, v86
	v_mul_f32_e32 v112, v85, v128
	v_fma_f32 v114, v128, v85, -v112
	v_fmac_f32_e32 v114, v128, v3
	v_add_f32_e32 v86, v112, v114
	v_sub_f32_e32 v113, v87, v86
	v_pk_add_f32 v[116:117], v[86:87], v[112:113] neg_lo:[0,1] neg_hi:[0,1]
	v_mov_b32_e32 v115, v86
	v_pk_add_f32 v[86:87], v[116:117], v[114:115] neg_lo:[0,1] neg_hi:[0,1]
	s_mov_b32 s46, 0x3f317218
	v_add_f32_e32 v87, v119, v87
	v_add_f32_e32 v86, v86, v87
	;; [unrolled: 1-line block ×3, first 2 shown]
	v_mul_f32_e32 v119, v118, v87
	v_mul_f32_e32 v112, v85, v119
	v_fma_f32 v114, v119, v85, -v112
	v_fmac_f32_e32 v114, v119, v3
	v_sub_f32_e32 v3, v113, v87
	v_add_f32_e32 v3, v86, v3
	v_add_f32_e32 v86, v112, v114
	v_sub_f32_e32 v113, v87, v86
	v_pk_add_f32 v[116:117], v[86:87], v[112:113] neg_lo:[0,1] neg_hi:[0,1]
	v_mov_b32_e32 v115, v86
	v_pk_add_f32 v[86:87], v[116:117], v[114:115] neg_lo:[0,1] neg_hi:[0,1]
	v_add_f32_e32 v85, v128, v119
	v_add_f32_e32 v3, v3, v87
	;; [unrolled: 1-line block ×4, first 2 shown]
	v_sub_f32_e32 v86, v85, v128
	v_mul_f32_e32 v3, v118, v3
	v_sub_f32_e32 v86, v119, v86
	v_add_f32_e32 v3, v86, v3
	v_add_f32_e32 v86, v85, v3
	v_cvt_f32_i32_e32 v112, v101
	v_mul_f32_e32 v113, v86, v86
	v_mov_b32_e32 v87, 0x3ecc95a3
	v_fmac_f32_e32 v87, 0x3e9b6dac, v113
	v_fmaak_f32 v87, v113, v87, 0x3f2aaada
	v_sub_f32_e32 v85, v86, v85
	v_ldexp_f32 v115, v86, 1
	v_mul_f32_e32 v113, v86, v113
	v_mov_b32_e32 v86, 0x3f317218
	v_pk_mul_f32 v[86:87], v[112:113], v[86:87]
	v_sub_f32_e32 v3, v3, v85
	v_fma_f32 v85, v112, s46, -v86
	v_fmamk_f32 v114, v112, 0xb102e308, v85
	v_pk_add_f32 v[112:113], v[86:87], v[114:115]
	v_ldexp_f32 v3, v3, 1
	v_sub_f32_e32 v85, v113, v115
	v_sub_f32_e32 v85, v87, v85
	v_add_f32_e32 v117, v3, v85
	v_mov_b32_e32 v116, v86
	v_pk_add_f32 v[86:87], v[112:113], v[86:87] neg_lo:[0,1] neg_hi:[0,1]
	v_pk_add_f32 v[118:119], v[112:113], v[116:117]
	v_mov_b32_e32 v115, v112
	v_mov_b32_e32 v87, v119
	v_pk_add_f32 v[128:129], v[114:115], v[86:87] neg_lo:[0,1] neg_hi:[0,1]
	v_pk_add_f32 v[86:87], v[114:115], v[86:87]
	v_mov_b32_e32 v116, v117
	v_mov_b32_e32 v114, v87
	v_pk_add_f32 v[130:131], v[114:115], v[112:113] neg_lo:[0,1] neg_hi:[0,1]
	v_mov_b32_e32 v86, v119
	v_mov_b32_e32 v3, v130
	v_pk_add_f32 v[132:133], v[118:119], v[2:3] neg_lo:[0,1] neg_hi:[0,1]
	v_mov_b32_e32 v118, v113
	v_mov_b32_e32 v119, v130
	;; [unrolled: 1-line block ×3, first 2 shown]
	v_pk_add_f32 v[86:87], v[86:87], v[118:119] neg_lo:[0,1] neg_hi:[0,1]
	v_mov_b32_e32 v117, v112
	v_pk_add_f32 v[86:87], v[116:117], v[86:87] neg_lo:[0,1] neg_hi:[0,1]
	v_mov_b32_e32 v132, v128
	v_pk_add_f32 v[112:113], v[132:133], v[86:87]
	v_cmp_eq_f32_e64 s[46:47], s50, v53
	v_mov_b32_e32 v116, v113
	v_pk_add_f32 v[116:117], v[112:113], v[116:117]
	s_mov_b32 s50, 0x33800000
	v_pk_add_f32 v[114:115], v[114:115], v[116:117]
	v_mov_b32_e32 v87, v116
	v_mov_b32_e32 v113, v114
	v_pk_add_f32 v[118:119], v[112:113], v[128:129] neg_lo:[0,1] neg_hi:[0,1]
	v_cmp_lt_f32_e64 s[50:51], |v53|, s50
	v_sub_f32_e32 v3, v112, v118
	v_pk_add_f32 v[86:87], v[86:87], v[118:119] neg_lo:[0,1] neg_hi:[0,1]
	v_sub_f32_e32 v3, v128, v3
	v_add_f32_e32 v3, v86, v3
	v_add_f32_e32 v3, v3, v87
	;; [unrolled: 1-line block ×3, first 2 shown]
	s_or_b64 s[46:47], s[46:47], s[50:51]
	v_cndmask_b32_e64 v3, v3, v53, s[46:47]
	v_add_f32_e32 v53, v2, v3
.LBB121_316:
	s_or_b64 exec, exec, s[48:49]
	v_max_f32_e32 v85, v21, v21
	v_max_f32_e32 v2, v53, v53
	v_min_f32_e32 v3, v2, v85
	v_cmp_u_f32_e64 s[48:49], v53, v53
	v_max_f32_e32 v2, v2, v85
	v_cmp_u_f32_e64 s[46:47], v21, v21
	v_cndmask_b32_e64 v3, v3, v53, s[48:49]
	v_cndmask_b32_e64 v2, v2, v53, s[48:49]
	;; [unrolled: 1-line block ×4, first 2 shown]
	s_movk_i32 s54, 0x1f8
	v_cmp_neq_f32_e64 s[48:49], v3, v2
	v_cmp_class_f32_e64 s[50:51], v3, s54
	s_or_b64 s[48:49], s[48:49], s[50:51]
	s_and_saveexec_b64 s[50:51], s[48:49]
	s_cbranch_execz .LBB121_318
; %bb.317:
	v_sub_f32_e32 v3, v3, v2
	s_mov_b32 s48, 0x3fb8aa3b
	v_mul_f32_e32 v53, 0x3fb8aa3b, v3
	v_fma_f32 v86, v3, s48, -v53
	v_rndne_f32_e32 v87, v53
	v_fmamk_f32 v86, v3, 0x32a5705f, v86
	v_sub_f32_e32 v53, v53, v87
	v_add_f32_e32 v53, v53, v86
	v_exp_f32_e32 v53, v53
	v_cvt_i32_f32_e32 v86, v87
	s_mov_b32 s48, 0xc2ce8ed0
	v_cmp_ngt_f32_e64 s[48:49], s48, v3
	s_mov_b32 s55, 0x7f800000
	v_ldexp_f32 v53, v53, v86
	v_cndmask_b32_e64 v53, 0, v53, s[48:49]
	s_mov_b32 s48, 0x42b17218
	v_mov_b32_e32 v86, 0x7f800000
	v_cmp_nlt_f32_e64 s[48:49], s48, v3
	s_nop 1
	v_cndmask_b32_e64 v53, v86, v53, s[48:49]
	v_add_f32_e32 v3, 1.0, v53
	v_add_f32_e32 v86, -1.0, v3
	v_sub_f32_e32 v87, v86, v3
	v_add_f32_e32 v87, 1.0, v87
	v_sub_f32_e32 v86, v53, v86
	v_add_f32_e32 v101, v86, v87
	v_frexp_mant_f32_e32 v112, v3
	s_mov_b32 s48, 0x3f2aaaab
	v_cvt_f64_f32_e32 v[86:87], v3
	v_frexp_exp_i32_f64_e32 v86, v[86:87]
	v_cmp_gt_f32_e64 s[48:49], s48, v112
	s_nop 1
	v_subbrev_co_u32_e64 v118, s[48:49], 0, v86, s[48:49]
	v_sub_u32_e32 v86, 0, v118
	v_ldexp_f32 v3, v3, v86
	v_ldexp_f32 v86, v101, v86
	v_add_f32_e32 v101, -1.0, v3
	v_add_f32_e32 v87, 1.0, v101
	v_sub_f32_e32 v87, v3, v87
	v_add_f32_e32 v112, v86, v87
	v_add_f32_e32 v87, 1.0, v3
	v_add_f32_e32 v113, -1.0, v87
	v_sub_f32_e32 v3, v3, v113
	v_add_f32_e32 v3, v86, v3
	v_add_f32_e32 v119, v87, v3
	v_rcp_f32_e32 v128, v119
	v_sub_f32_e32 v86, v87, v119
	v_add_f32_e32 v87, v101, v112
	v_add_f32_e32 v3, v3, v86
	v_sub_f32_e32 v86, v101, v87
	v_mul_f32_e32 v129, v87, v128
	v_add_f32_e32 v101, v112, v86
	v_mul_f32_e32 v112, v119, v129
	v_fma_f32 v114, v129, v119, -v112
	v_fmac_f32_e32 v114, v129, v3
	v_add_f32_e32 v86, v112, v114
	v_sub_f32_e32 v113, v87, v86
	v_pk_add_f32 v[116:117], v[86:87], v[112:113] neg_lo:[0,1] neg_hi:[0,1]
	v_mov_b32_e32 v115, v86
	v_pk_add_f32 v[86:87], v[116:117], v[114:115] neg_lo:[0,1] neg_hi:[0,1]
	s_mov_b32 s48, 0x3f317218
	v_add_f32_e32 v87, v101, v87
	v_add_f32_e32 v86, v86, v87
	;; [unrolled: 1-line block ×3, first 2 shown]
	v_mul_f32_e32 v101, v128, v87
	v_mul_f32_e32 v112, v119, v101
	v_fma_f32 v114, v101, v119, -v112
	v_fmac_f32_e32 v114, v101, v3
	v_sub_f32_e32 v3, v113, v87
	v_add_f32_e32 v3, v86, v3
	v_add_f32_e32 v86, v112, v114
	v_sub_f32_e32 v113, v87, v86
	v_pk_add_f32 v[116:117], v[86:87], v[112:113] neg_lo:[0,1] neg_hi:[0,1]
	v_mov_b32_e32 v115, v86
	v_pk_add_f32 v[86:87], v[116:117], v[114:115] neg_lo:[0,1] neg_hi:[0,1]
	v_cvt_f32_i32_e32 v112, v118
	v_add_f32_e32 v3, v3, v87
	v_add_f32_e32 v3, v86, v3
	;; [unrolled: 1-line block ×4, first 2 shown]
	v_sub_f32_e32 v87, v86, v129
	v_mul_f32_e32 v3, v128, v3
	v_sub_f32_e32 v87, v101, v87
	v_add_f32_e32 v3, v87, v3
	v_add_f32_e32 v101, v86, v3
	v_mul_f32_e32 v113, v101, v101
	v_mov_b32_e32 v87, 0x3ecc95a3
	v_fmac_f32_e32 v87, 0x3e9b6dac, v113
	v_sub_f32_e32 v86, v101, v86
	v_fmaak_f32 v87, v113, v87, 0x3f2aaada
	v_sub_f32_e32 v3, v3, v86
	v_mul_f32_e32 v113, v101, v113
	v_mov_b32_e32 v86, 0x3f317218
	v_pk_mul_f32 v[86:87], v[112:113], v[86:87]
	v_ldexp_f32 v115, v101, 1
	v_fma_f32 v101, v112, s48, -v86
	v_fmamk_f32 v114, v112, 0xb102e308, v101
	v_pk_add_f32 v[112:113], v[86:87], v[114:115]
	v_ldexp_f32 v3, v3, 1
	v_sub_f32_e32 v101, v113, v115
	v_sub_f32_e32 v101, v87, v101
	v_add_f32_e32 v117, v3, v101
	v_mov_b32_e32 v116, v86
	v_pk_add_f32 v[86:87], v[112:113], v[86:87] neg_lo:[0,1] neg_hi:[0,1]
	v_pk_add_f32 v[118:119], v[112:113], v[116:117]
	v_mov_b32_e32 v115, v112
	v_mov_b32_e32 v87, v119
	v_pk_add_f32 v[128:129], v[114:115], v[86:87] neg_lo:[0,1] neg_hi:[0,1]
	v_pk_add_f32 v[86:87], v[114:115], v[86:87]
	v_mov_b32_e32 v116, v117
	v_mov_b32_e32 v114, v87
	v_pk_add_f32 v[130:131], v[114:115], v[112:113] neg_lo:[0,1] neg_hi:[0,1]
	v_mov_b32_e32 v86, v119
	v_mov_b32_e32 v3, v130
	v_pk_add_f32 v[132:133], v[118:119], v[2:3] neg_lo:[0,1] neg_hi:[0,1]
	v_mov_b32_e32 v118, v113
	v_mov_b32_e32 v119, v130
	;; [unrolled: 1-line block ×3, first 2 shown]
	v_pk_add_f32 v[86:87], v[86:87], v[118:119] neg_lo:[0,1] neg_hi:[0,1]
	v_mov_b32_e32 v117, v112
	v_pk_add_f32 v[86:87], v[116:117], v[86:87] neg_lo:[0,1] neg_hi:[0,1]
	v_mov_b32_e32 v132, v128
	v_pk_add_f32 v[112:113], v[132:133], v[86:87]
	v_cmp_eq_f32_e64 s[48:49], s55, v53
	v_mov_b32_e32 v116, v113
	v_pk_add_f32 v[116:117], v[112:113], v[116:117]
	s_mov_b32 s55, 0x33800000
	v_pk_add_f32 v[114:115], v[114:115], v[116:117]
	v_mov_b32_e32 v87, v116
	v_mov_b32_e32 v113, v114
	v_pk_add_f32 v[118:119], v[112:113], v[128:129] neg_lo:[0,1] neg_hi:[0,1]
	v_cmp_lt_f32_e64 s[56:57], |v53|, s55
	v_sub_f32_e32 v3, v112, v118
	v_pk_add_f32 v[86:87], v[86:87], v[118:119] neg_lo:[0,1] neg_hi:[0,1]
	v_sub_f32_e32 v3, v128, v3
	v_add_f32_e32 v3, v86, v3
	v_add_f32_e32 v3, v3, v87
	;; [unrolled: 1-line block ×3, first 2 shown]
	s_or_b64 s[48:49], s[48:49], s[56:57]
	v_cndmask_b32_e64 v3, v3, v53, s[48:49]
	v_add_f32_e32 v53, v2, v3
.LBB121_318:
	s_or_b64 exec, exec, s[50:51]
	v_max_f32_e32 v86, v22, v22
	v_max_f32_e32 v2, v53, v53
	v_min_f32_e32 v3, v2, v86
	v_cmp_u_f32_e64 s[50:51], v53, v53
	v_max_f32_e32 v2, v2, v86
	v_cmp_u_f32_e64 s[48:49], v22, v22
	v_cndmask_b32_e64 v3, v3, v53, s[50:51]
	v_cndmask_b32_e64 v2, v2, v53, s[50:51]
	;; [unrolled: 1-line block ×4, first 2 shown]
	v_cmp_neq_f32_e64 s[50:51], v3, v2
	v_cmp_class_f32_e64 s[54:55], v3, s54
	s_or_b64 s[50:51], s[50:51], s[54:55]
	s_and_saveexec_b64 s[54:55], s[50:51]
	s_cbranch_execz .LBB121_320
; %bb.319:
	v_sub_f32_e32 v3, v3, v2
	s_mov_b32 s50, 0x3fb8aa3b
	v_mul_f32_e32 v53, 0x3fb8aa3b, v3
	v_fma_f32 v87, v3, s50, -v53
	v_rndne_f32_e32 v101, v53
	v_fmamk_f32 v87, v3, 0x32a5705f, v87
	v_sub_f32_e32 v53, v53, v101
	v_add_f32_e32 v53, v53, v87
	v_exp_f32_e32 v53, v53
	v_cvt_i32_f32_e32 v87, v101
	s_mov_b32 s50, 0xc2ce8ed0
	v_cmp_ngt_f32_e64 s[50:51], s50, v3
	s_mov_b32 s56, 0x7f800000
	v_ldexp_f32 v53, v53, v87
	v_cndmask_b32_e64 v53, 0, v53, s[50:51]
	s_mov_b32 s50, 0x42b17218
	v_mov_b32_e32 v87, 0x7f800000
	v_cmp_nlt_f32_e64 s[50:51], s50, v3
	s_nop 1
	v_cndmask_b32_e64 v53, v87, v53, s[50:51]
	v_add_f32_e32 v3, 1.0, v53
	v_add_f32_e32 v87, -1.0, v3
	v_sub_f32_e32 v101, v87, v3
	v_add_f32_e32 v101, 1.0, v101
	v_sub_f32_e32 v87, v53, v87
	v_add_f32_e32 v87, v87, v101
	v_frexp_mant_f32_e32 v101, v3
	s_mov_b32 s50, 0x3f2aaaab
	v_cvt_f64_f32_e32 v[112:113], v3
	v_frexp_exp_i32_f64_e32 v112, v[112:113]
	v_cmp_gt_f32_e64 s[50:51], s50, v101
	s_nop 1
	v_subbrev_co_u32_e64 v101, s[50:51], 0, v112, s[50:51]
	v_sub_u32_e32 v112, 0, v101
	v_ldexp_f32 v3, v3, v112
	v_ldexp_f32 v87, v87, v112
	v_add_f32_e32 v112, -1.0, v3
	v_add_f32_e32 v113, 1.0, v112
	v_sub_f32_e32 v113, v3, v113
	v_add_f32_e32 v114, v87, v113
	v_add_f32_e32 v113, 1.0, v3
	v_add_f32_e32 v115, -1.0, v113
	v_sub_f32_e32 v3, v3, v115
	v_add_f32_e32 v3, v87, v3
	v_add_f32_e32 v87, v113, v3
	v_rcp_f32_e32 v128, v87
	v_sub_f32_e32 v113, v113, v87
	v_add_f32_e32 v3, v3, v113
	v_add_f32_e32 v113, v112, v114
	v_sub_f32_e32 v112, v112, v113
	v_mul_f32_e32 v130, v113, v128
	v_add_f32_e32 v129, v114, v112
	v_mul_f32_e32 v114, v87, v130
	v_fma_f32 v116, v130, v87, -v114
	v_fmac_f32_e32 v116, v130, v3
	v_add_f32_e32 v112, v114, v116
	v_sub_f32_e32 v115, v113, v112
	v_pk_add_f32 v[118:119], v[112:113], v[114:115] neg_lo:[0,1] neg_hi:[0,1]
	v_mov_b32_e32 v117, v112
	v_pk_add_f32 v[112:113], v[118:119], v[116:117] neg_lo:[0,1] neg_hi:[0,1]
	s_mov_b32 s50, 0x3f317218
	v_add_f32_e32 v113, v129, v113
	v_add_f32_e32 v112, v112, v113
	;; [unrolled: 1-line block ×3, first 2 shown]
	v_mul_f32_e32 v129, v128, v113
	v_mul_f32_e32 v114, v87, v129
	v_fma_f32 v116, v129, v87, -v114
	v_fmac_f32_e32 v116, v129, v3
	v_sub_f32_e32 v3, v115, v113
	v_add_f32_e32 v3, v112, v3
	v_add_f32_e32 v112, v114, v116
	v_sub_f32_e32 v115, v113, v112
	v_pk_add_f32 v[118:119], v[112:113], v[114:115] neg_lo:[0,1] neg_hi:[0,1]
	v_mov_b32_e32 v117, v112
	v_pk_add_f32 v[112:113], v[118:119], v[116:117] neg_lo:[0,1] neg_hi:[0,1]
	v_add_f32_e32 v87, v130, v129
	v_add_f32_e32 v3, v3, v113
	;; [unrolled: 1-line block ×4, first 2 shown]
	v_sub_f32_e32 v112, v87, v130
	v_mul_f32_e32 v3, v128, v3
	v_sub_f32_e32 v112, v129, v112
	v_add_f32_e32 v3, v112, v3
	v_add_f32_e32 v112, v87, v3
	v_cvt_f32_i32_e32 v114, v101
	v_mul_f32_e32 v115, v112, v112
	v_mov_b32_e32 v113, 0x3ecc95a3
	v_fmac_f32_e32 v113, 0x3e9b6dac, v115
	v_fmaak_f32 v113, v115, v113, 0x3f2aaada
	v_sub_f32_e32 v87, v112, v87
	v_ldexp_f32 v117, v112, 1
	v_mul_f32_e32 v115, v112, v115
	v_mov_b32_e32 v112, 0x3f317218
	v_pk_mul_f32 v[112:113], v[114:115], v[112:113]
	v_sub_f32_e32 v3, v3, v87
	v_fma_f32 v87, v114, s50, -v112
	v_fmamk_f32 v116, v114, 0xb102e308, v87
	v_pk_add_f32 v[114:115], v[112:113], v[116:117]
	v_ldexp_f32 v3, v3, 1
	v_sub_f32_e32 v87, v115, v117
	v_sub_f32_e32 v87, v113, v87
	v_add_f32_e32 v119, v3, v87
	v_mov_b32_e32 v118, v112
	v_pk_add_f32 v[112:113], v[114:115], v[112:113] neg_lo:[0,1] neg_hi:[0,1]
	v_pk_add_f32 v[128:129], v[114:115], v[118:119]
	v_mov_b32_e32 v117, v114
	v_mov_b32_e32 v113, v129
	v_pk_add_f32 v[130:131], v[116:117], v[112:113] neg_lo:[0,1] neg_hi:[0,1]
	v_pk_add_f32 v[112:113], v[116:117], v[112:113]
	v_mov_b32_e32 v118, v119
	v_mov_b32_e32 v116, v113
	v_pk_add_f32 v[132:133], v[116:117], v[114:115] neg_lo:[0,1] neg_hi:[0,1]
	v_mov_b32_e32 v112, v129
	v_mov_b32_e32 v3, v132
	v_pk_add_f32 v[134:135], v[128:129], v[2:3] neg_lo:[0,1] neg_hi:[0,1]
	v_mov_b32_e32 v128, v115
	v_mov_b32_e32 v129, v132
	v_mov_b32_e32 v131, v113
	v_pk_add_f32 v[112:113], v[112:113], v[128:129] neg_lo:[0,1] neg_hi:[0,1]
	v_mov_b32_e32 v119, v114
	v_pk_add_f32 v[112:113], v[118:119], v[112:113] neg_lo:[0,1] neg_hi:[0,1]
	v_mov_b32_e32 v134, v130
	v_pk_add_f32 v[114:115], v[134:135], v[112:113]
	v_cmp_eq_f32_e64 s[50:51], s56, v53
	v_mov_b32_e32 v118, v115
	v_pk_add_f32 v[118:119], v[114:115], v[118:119]
	s_mov_b32 s56, 0x33800000
	v_pk_add_f32 v[116:117], v[116:117], v[118:119]
	v_mov_b32_e32 v113, v118
	v_mov_b32_e32 v115, v116
	v_pk_add_f32 v[128:129], v[114:115], v[130:131] neg_lo:[0,1] neg_hi:[0,1]
	v_cmp_lt_f32_e64 s[56:57], |v53|, s56
	v_sub_f32_e32 v3, v114, v128
	v_pk_add_f32 v[112:113], v[112:113], v[128:129] neg_lo:[0,1] neg_hi:[0,1]
	v_sub_f32_e32 v3, v130, v3
	v_add_f32_e32 v3, v112, v3
	v_add_f32_e32 v3, v3, v113
	;; [unrolled: 1-line block ×3, first 2 shown]
	s_or_b64 s[50:51], s[50:51], s[56:57]
	v_cndmask_b32_e64 v3, v3, v53, s[50:51]
	v_add_f32_e32 v53, v2, v3
.LBB121_320:
	s_or_b64 exec, exec, s[54:55]
	v_max_f32_e32 v87, v23, v23
	v_max_f32_e32 v2, v53, v53
	v_min_f32_e32 v3, v2, v87
	v_cmp_u_f32_e64 s[54:55], v53, v53
	v_max_f32_e32 v2, v2, v87
	v_cmp_u_f32_e64 s[50:51], v23, v23
	v_cndmask_b32_e64 v3, v3, v53, s[54:55]
	v_cndmask_b32_e64 v2, v2, v53, s[54:55]
	;; [unrolled: 1-line block ×4, first 2 shown]
	s_movk_i32 s56, 0x1f8
	v_cmp_neq_f32_e64 s[54:55], v3, v2
	v_cmp_class_f32_e64 s[56:57], v3, s56
	s_or_b64 s[54:55], s[54:55], s[56:57]
	s_and_saveexec_b64 s[56:57], s[54:55]
	s_cbranch_execz .LBB121_322
; %bb.321:
	v_sub_f32_e32 v3, v3, v2
	s_mov_b32 s54, 0x3fb8aa3b
	v_mul_f32_e32 v53, 0x3fb8aa3b, v3
	v_fma_f32 v101, v3, s54, -v53
	v_rndne_f32_e32 v112, v53
	v_fmamk_f32 v101, v3, 0x32a5705f, v101
	v_sub_f32_e32 v53, v53, v112
	v_add_f32_e32 v53, v53, v101
	v_exp_f32_e32 v53, v53
	v_cvt_i32_f32_e32 v101, v112
	s_mov_b32 s54, 0xc2ce8ed0
	v_cmp_ngt_f32_e64 s[54:55], s54, v3
	s_mov_b32 s58, 0x7f800000
	v_ldexp_f32 v53, v53, v101
	v_cndmask_b32_e64 v53, 0, v53, s[54:55]
	s_mov_b32 s54, 0x42b17218
	v_mov_b32_e32 v101, 0x7f800000
	v_cmp_nlt_f32_e64 s[54:55], s54, v3
	s_nop 1
	v_cndmask_b32_e64 v53, v101, v53, s[54:55]
	v_add_f32_e32 v3, 1.0, v53
	v_add_f32_e32 v101, -1.0, v3
	v_sub_f32_e32 v112, v101, v3
	v_add_f32_e32 v112, 1.0, v112
	v_sub_f32_e32 v101, v53, v101
	v_add_f32_e32 v101, v101, v112
	v_frexp_mant_f32_e32 v114, v3
	s_mov_b32 s54, 0x3f2aaaab
	v_cvt_f64_f32_e32 v[112:113], v3
	v_frexp_exp_i32_f64_e32 v112, v[112:113]
	v_cmp_gt_f32_e64 s[54:55], s54, v114
	s_nop 1
	v_subbrev_co_u32_e64 v128, s[54:55], 0, v112, s[54:55]
	v_sub_u32_e32 v112, 0, v128
	v_ldexp_f32 v3, v3, v112
	v_ldexp_f32 v101, v101, v112
	v_add_f32_e32 v112, -1.0, v3
	v_add_f32_e32 v113, 1.0, v112
	v_sub_f32_e32 v113, v3, v113
	v_add_f32_e32 v114, v101, v113
	v_add_f32_e32 v113, 1.0, v3
	v_add_f32_e32 v115, -1.0, v113
	v_sub_f32_e32 v3, v3, v115
	v_add_f32_e32 v3, v101, v3
	v_add_f32_e32 v101, v113, v3
	v_rcp_f32_e32 v129, v101
	v_sub_f32_e32 v113, v113, v101
	v_add_f32_e32 v3, v3, v113
	v_add_f32_e32 v113, v112, v114
	v_sub_f32_e32 v112, v112, v113
	v_mul_f32_e32 v131, v113, v129
	v_add_f32_e32 v130, v114, v112
	v_mul_f32_e32 v114, v101, v131
	v_fma_f32 v116, v131, v101, -v114
	v_fmac_f32_e32 v116, v131, v3
	v_add_f32_e32 v112, v114, v116
	v_sub_f32_e32 v115, v113, v112
	v_pk_add_f32 v[118:119], v[112:113], v[114:115] neg_lo:[0,1] neg_hi:[0,1]
	v_mov_b32_e32 v117, v112
	v_pk_add_f32 v[112:113], v[118:119], v[116:117] neg_lo:[0,1] neg_hi:[0,1]
	s_mov_b32 s54, 0x3f317218
	v_add_f32_e32 v113, v130, v113
	v_add_f32_e32 v112, v112, v113
	v_add_f32_e32 v113, v115, v112
	v_mul_f32_e32 v130, v129, v113
	v_mul_f32_e32 v114, v101, v130
	v_fma_f32 v116, v130, v101, -v114
	v_fmac_f32_e32 v116, v130, v3
	v_sub_f32_e32 v3, v115, v113
	v_add_f32_e32 v3, v112, v3
	v_add_f32_e32 v112, v114, v116
	v_sub_f32_e32 v115, v113, v112
	v_pk_add_f32 v[118:119], v[112:113], v[114:115] neg_lo:[0,1] neg_hi:[0,1]
	v_mov_b32_e32 v117, v112
	v_pk_add_f32 v[112:113], v[118:119], v[116:117] neg_lo:[0,1] neg_hi:[0,1]
	v_add_f32_e32 v101, v131, v130
	v_add_f32_e32 v3, v3, v113
	;; [unrolled: 1-line block ×4, first 2 shown]
	v_sub_f32_e32 v112, v101, v131
	v_mul_f32_e32 v3, v129, v3
	v_sub_f32_e32 v112, v130, v112
	v_add_f32_e32 v3, v112, v3
	v_add_f32_e32 v112, v101, v3
	v_cvt_f32_i32_e32 v114, v128
	v_mul_f32_e32 v115, v112, v112
	v_mov_b32_e32 v113, 0x3ecc95a3
	v_fmac_f32_e32 v113, 0x3e9b6dac, v115
	v_fmaak_f32 v113, v115, v113, 0x3f2aaada
	v_sub_f32_e32 v101, v112, v101
	v_ldexp_f32 v117, v112, 1
	v_mul_f32_e32 v115, v112, v115
	v_mov_b32_e32 v112, 0x3f317218
	v_pk_mul_f32 v[112:113], v[114:115], v[112:113]
	v_sub_f32_e32 v3, v3, v101
	v_fma_f32 v101, v114, s54, -v112
	v_fmamk_f32 v116, v114, 0xb102e308, v101
	v_pk_add_f32 v[114:115], v[112:113], v[116:117]
	v_ldexp_f32 v3, v3, 1
	v_sub_f32_e32 v101, v115, v117
	v_sub_f32_e32 v101, v113, v101
	v_add_f32_e32 v119, v3, v101
	v_mov_b32_e32 v118, v112
	v_pk_add_f32 v[112:113], v[114:115], v[112:113] neg_lo:[0,1] neg_hi:[0,1]
	v_pk_add_f32 v[128:129], v[114:115], v[118:119]
	v_mov_b32_e32 v117, v114
	v_mov_b32_e32 v113, v129
	v_pk_add_f32 v[130:131], v[116:117], v[112:113] neg_lo:[0,1] neg_hi:[0,1]
	v_pk_add_f32 v[112:113], v[116:117], v[112:113]
	v_mov_b32_e32 v118, v119
	v_mov_b32_e32 v116, v113
	v_pk_add_f32 v[132:133], v[116:117], v[114:115] neg_lo:[0,1] neg_hi:[0,1]
	v_mov_b32_e32 v112, v129
	v_mov_b32_e32 v3, v132
	v_pk_add_f32 v[134:135], v[128:129], v[2:3] neg_lo:[0,1] neg_hi:[0,1]
	v_mov_b32_e32 v128, v115
	v_mov_b32_e32 v129, v132
	;; [unrolled: 1-line block ×3, first 2 shown]
	v_pk_add_f32 v[112:113], v[112:113], v[128:129] neg_lo:[0,1] neg_hi:[0,1]
	v_mov_b32_e32 v119, v114
	v_pk_add_f32 v[112:113], v[118:119], v[112:113] neg_lo:[0,1] neg_hi:[0,1]
	v_mov_b32_e32 v134, v130
	v_pk_add_f32 v[114:115], v[134:135], v[112:113]
	v_cmp_eq_f32_e64 s[54:55], s58, v53
	v_mov_b32_e32 v118, v115
	v_pk_add_f32 v[118:119], v[114:115], v[118:119]
	s_mov_b32 s58, 0x33800000
	v_pk_add_f32 v[116:117], v[116:117], v[118:119]
	v_mov_b32_e32 v113, v118
	v_mov_b32_e32 v115, v116
	v_pk_add_f32 v[128:129], v[114:115], v[130:131] neg_lo:[0,1] neg_hi:[0,1]
	v_cmp_lt_f32_e64 s[58:59], |v53|, s58
	v_sub_f32_e32 v3, v114, v128
	v_pk_add_f32 v[112:113], v[112:113], v[128:129] neg_lo:[0,1] neg_hi:[0,1]
	v_sub_f32_e32 v3, v130, v3
	v_add_f32_e32 v3, v112, v3
	v_add_f32_e32 v3, v3, v113
	;; [unrolled: 1-line block ×3, first 2 shown]
	s_or_b64 s[54:55], s[54:55], s[58:59]
	v_cndmask_b32_e64 v3, v3, v53, s[54:55]
	v_add_f32_e32 v53, v2, v3
.LBB121_322:
	s_or_b64 exec, exec, s[56:57]
	v_lshrrev_b32_e32 v2, 5, v100
	v_add_lshl_u32 v2, v2, v100, 2
	v_cmp_gt_u32_e64 s[54:55], 64, v100
	ds_write_b32 v2, v53
	s_waitcnt lgkmcnt(0)
	s_barrier
	s_and_saveexec_b64 s[60:61], s[54:55]
	s_cbranch_execz .LBB121_362
; %bb.323:
	v_lshrrev_b32_e32 v2, 3, v100
	v_add_lshl_u32 v101, v2, v0, 2
	ds_read2_b32 v[2:3], v101 offset1:1
	s_movk_i32 s62, 0x1f8
	s_waitcnt lgkmcnt(0)
	v_max_f32_e32 v113, v3, v3
	v_max_f32_e32 v112, v2, v2
	v_min_f32_e32 v114, v112, v113
	v_max_f32_e32 v115, v112, v113
	v_cmp_u_f32_e64 s[54:55], v2, v2
	v_cmp_u_f32_e64 s[56:57], v3, v3
	s_nop 0
	v_cndmask_b32_e64 v113, v114, v2, s[54:55]
	v_cndmask_b32_e64 v114, v115, v2, s[54:55]
	v_cndmask_b32_e64 v113, v113, v3, s[56:57]
	v_cndmask_b32_e64 v3, v114, v3, s[56:57]
	v_cmp_neq_f32_e64 s[56:57], v113, v3
	v_cmp_class_f32_e64 s[58:59], v113, s62
	s_or_b64 s[56:57], s[56:57], s[58:59]
	v_mov_b32_e32 v114, v2
	s_and_saveexec_b64 s[58:59], s[56:57]
	s_cbranch_execz .LBB121_325
; %bb.324:
	v_sub_f32_e32 v113, v113, v3
	s_mov_b32 s56, 0x3fb8aa3b
	v_mul_f32_e32 v114, 0x3fb8aa3b, v113
	v_fma_f32 v115, v113, s56, -v114
	v_rndne_f32_e32 v116, v114
	v_fmamk_f32 v115, v113, 0x32a5705f, v115
	v_sub_f32_e32 v114, v114, v116
	v_add_f32_e32 v114, v114, v115
	v_exp_f32_e32 v114, v114
	v_cvt_i32_f32_e32 v115, v116
	s_mov_b32 s56, 0xc2ce8ed0
	v_cmp_ngt_f32_e64 s[56:57], s56, v113
	s_mov_b32 s63, 0x7f800000
	v_ldexp_f32 v114, v114, v115
	v_cndmask_b32_e64 v114, 0, v114, s[56:57]
	s_mov_b32 s56, 0x42b17218
	v_mov_b32_e32 v115, 0x7f800000
	v_cmp_nlt_f32_e64 s[56:57], s56, v113
	s_nop 1
	v_cndmask_b32_e64 v146, v115, v114, s[56:57]
	v_add_f32_e32 v113, 1.0, v146
	v_add_f32_e32 v114, -1.0, v113
	v_sub_f32_e32 v115, v114, v113
	v_add_f32_e32 v115, 1.0, v115
	v_sub_f32_e32 v114, v146, v114
	v_add_f32_e32 v116, v114, v115
	v_frexp_mant_f32_e32 v117, v113
	s_mov_b32 s56, 0x3f2aaaab
	v_cvt_f64_f32_e32 v[114:115], v113
	v_frexp_exp_i32_f64_e32 v114, v[114:115]
	v_cmp_gt_f32_e64 s[56:57], s56, v117
	s_nop 1
	v_subbrev_co_u32_e64 v130, s[56:57], 0, v114, s[56:57]
	v_sub_u32_e32 v114, 0, v130
	v_ldexp_f32 v113, v113, v114
	v_ldexp_f32 v114, v116, v114
	v_add_f32_e32 v116, -1.0, v113
	v_add_f32_e32 v115, 1.0, v116
	v_sub_f32_e32 v115, v113, v115
	v_add_f32_e32 v117, v114, v115
	v_add_f32_e32 v115, 1.0, v113
	v_add_f32_e32 v118, -1.0, v115
	v_sub_f32_e32 v113, v113, v118
	v_add_f32_e32 v113, v114, v113
	v_add_f32_e32 v131, v115, v113
	v_rcp_f32_e32 v132, v131
	v_sub_f32_e32 v114, v115, v131
	v_add_f32_e32 v115, v116, v117
	v_add_f32_e32 v113, v113, v114
	v_mul_f32_e32 v134, v115, v132
	v_sub_f32_e32 v114, v116, v115
	v_mul_f32_e32 v116, v131, v134
	v_fma_f32 v118, v134, v131, -v116
	v_fmac_f32_e32 v118, v134, v113
	v_add_f32_e32 v133, v117, v114
	v_add_f32_e32 v114, v116, v118
	v_sub_f32_e32 v117, v115, v114
	v_pk_add_f32 v[128:129], v[114:115], v[116:117] neg_lo:[0,1] neg_hi:[0,1]
	v_mov_b32_e32 v119, v114
	v_pk_add_f32 v[114:115], v[128:129], v[118:119] neg_lo:[0,1] neg_hi:[0,1]
	s_mov_b32 s56, 0x3f317218
	v_add_f32_e32 v115, v133, v115
	v_add_f32_e32 v114, v114, v115
	;; [unrolled: 1-line block ×3, first 2 shown]
	v_mul_f32_e32 v133, v132, v115
	v_mul_f32_e32 v116, v131, v133
	v_fma_f32 v118, v133, v131, -v116
	v_fmac_f32_e32 v118, v133, v113
	v_sub_f32_e32 v113, v117, v115
	v_add_f32_e32 v113, v114, v113
	v_add_f32_e32 v114, v116, v118
	v_sub_f32_e32 v117, v115, v114
	v_pk_add_f32 v[128:129], v[114:115], v[116:117] neg_lo:[0,1] neg_hi:[0,1]
	v_mov_b32_e32 v119, v114
	v_pk_add_f32 v[114:115], v[128:129], v[118:119] neg_lo:[0,1] neg_hi:[0,1]
	v_cvt_f32_i32_e32 v116, v130
	v_add_f32_e32 v113, v113, v115
	v_add_f32_e32 v113, v114, v113
	;; [unrolled: 1-line block ×4, first 2 shown]
	v_sub_f32_e32 v115, v114, v134
	v_mul_f32_e32 v113, v132, v113
	v_sub_f32_e32 v115, v133, v115
	v_add_f32_e32 v113, v115, v113
	v_add_f32_e32 v117, v114, v113
	v_mul_f32_e32 v118, v117, v117
	v_mov_b32_e32 v115, 0x3ecc95a3
	v_fmac_f32_e32 v115, 0x3e9b6dac, v118
	v_sub_f32_e32 v114, v117, v114
	v_fmaak_f32 v115, v118, v115, 0x3f2aaada
	v_sub_f32_e32 v113, v113, v114
	v_ldexp_f32 v119, v117, 1
	v_mul_f32_e32 v117, v117, v118
	v_mov_b32_e32 v114, 0x3f317218
	v_pk_mul_f32 v[114:115], v[116:117], v[114:115]
	v_ldexp_f32 v113, v113, 1
	v_fma_f32 v117, v116, s56, -v114
	v_fmamk_f32 v118, v116, 0xb102e308, v117
	v_pk_add_f32 v[116:117], v[114:115], v[118:119]
	v_mov_b32_e32 v128, v114
	v_sub_f32_e32 v119, v117, v119
	v_sub_f32_e32 v119, v115, v119
	v_add_f32_e32 v129, v113, v119
	v_pk_add_f32 v[114:115], v[116:117], v[114:115] neg_lo:[0,1] neg_hi:[0,1]
	v_pk_add_f32 v[130:131], v[116:117], v[128:129]
	v_mov_b32_e32 v119, v116
	v_mov_b32_e32 v115, v131
	v_pk_add_f32 v[132:133], v[118:119], v[114:115] neg_lo:[0,1] neg_hi:[0,1]
	v_pk_add_f32 v[114:115], v[118:119], v[114:115]
	v_mov_b32_e32 v128, v129
	v_mov_b32_e32 v118, v115
	v_pk_add_f32 v[134:135], v[118:119], v[116:117] neg_lo:[0,1] neg_hi:[0,1]
	v_mov_b32_e32 v114, v131
	v_mov_b32_e32 v113, v134
	v_pk_add_f32 v[144:145], v[130:131], v[112:113] neg_lo:[0,1] neg_hi:[0,1]
	v_mov_b32_e32 v130, v117
	v_mov_b32_e32 v131, v134
	;; [unrolled: 1-line block ×3, first 2 shown]
	v_pk_add_f32 v[114:115], v[114:115], v[130:131] neg_lo:[0,1] neg_hi:[0,1]
	v_mov_b32_e32 v129, v116
	v_pk_add_f32 v[114:115], v[128:129], v[114:115] neg_lo:[0,1] neg_hi:[0,1]
	v_mov_b32_e32 v144, v132
	v_pk_add_f32 v[116:117], v[144:145], v[114:115]
	v_cmp_eq_f32_e64 s[56:57], s63, v146
	v_mov_b32_e32 v128, v117
	v_pk_add_f32 v[128:129], v[116:117], v[128:129]
	s_mov_b32 s63, 0x33800000
	v_pk_add_f32 v[118:119], v[118:119], v[128:129]
	v_mov_b32_e32 v115, v128
	v_mov_b32_e32 v117, v118
	v_pk_add_f32 v[130:131], v[116:117], v[132:133] neg_lo:[0,1] neg_hi:[0,1]
	v_cmp_lt_f32_e64 s[64:65], |v146|, s63
	v_sub_f32_e32 v113, v116, v130
	v_pk_add_f32 v[114:115], v[114:115], v[130:131] neg_lo:[0,1] neg_hi:[0,1]
	v_sub_f32_e32 v113, v132, v113
	v_add_f32_e32 v113, v114, v113
	v_add_f32_e32 v113, v113, v115
	;; [unrolled: 1-line block ×3, first 2 shown]
	s_or_b64 s[56:57], s[56:57], s[64:65]
	v_cndmask_b32_e64 v113, v113, v146, s[56:57]
	v_add_f32_e32 v114, v3, v113
.LBB121_325:
	s_or_b64 exec, exec, s[58:59]
	ds_read_b32 v3, v101 offset:8
	v_max_f32_e32 v113, v114, v114
	v_cmp_u_f32_e64 s[56:57], v114, v114
	s_waitcnt lgkmcnt(0)
	v_max_f32_e32 v115, v3, v3
	v_min_f32_e32 v116, v113, v115
	v_max_f32_e32 v115, v113, v115
	v_cndmask_b32_e64 v113, v116, v114, s[56:57]
	v_cmp_u_f32_e64 s[58:59], v3, v3
	v_cndmask_b32_e64 v115, v115, v114, s[56:57]
	s_nop 0
	v_cndmask_b32_e64 v113, v113, v3, s[58:59]
	v_cndmask_b32_e64 v3, v115, v3, s[58:59]
	v_cmp_neq_f32_e64 s[56:57], v113, v3
	v_cmp_class_f32_e64 s[58:59], v113, s62
	s_or_b64 s[56:57], s[56:57], s[58:59]
	s_and_saveexec_b64 s[58:59], s[56:57]
	s_cbranch_execz .LBB121_327
; %bb.326:
	v_sub_f32_e32 v113, v113, v3
	s_mov_b32 s56, 0x3fb8aa3b
	v_mul_f32_e32 v114, 0x3fb8aa3b, v113
	v_fma_f32 v115, v113, s56, -v114
	v_rndne_f32_e32 v116, v114
	v_fmamk_f32 v115, v113, 0x32a5705f, v115
	v_sub_f32_e32 v114, v114, v116
	v_add_f32_e32 v114, v114, v115
	v_exp_f32_e32 v114, v114
	v_cvt_i32_f32_e32 v115, v116
	s_mov_b32 s56, 0xc2ce8ed0
	v_cmp_ngt_f32_e64 s[56:57], s56, v113
	s_mov_b32 s62, 0x7f800000
	v_ldexp_f32 v114, v114, v115
	v_cndmask_b32_e64 v114, 0, v114, s[56:57]
	s_mov_b32 s56, 0x42b17218
	v_mov_b32_e32 v115, 0x7f800000
	v_cmp_nlt_f32_e64 s[56:57], s56, v113
	s_nop 1
	v_cndmask_b32_e64 v146, v115, v114, s[56:57]
	v_add_f32_e32 v113, 1.0, v146
	v_add_f32_e32 v114, -1.0, v113
	v_sub_f32_e32 v115, v114, v113
	v_add_f32_e32 v115, 1.0, v115
	v_sub_f32_e32 v114, v146, v114
	v_add_f32_e32 v116, v114, v115
	v_frexp_mant_f32_e32 v117, v113
	s_mov_b32 s56, 0x3f2aaaab
	v_cvt_f64_f32_e32 v[114:115], v113
	v_frexp_exp_i32_f64_e32 v114, v[114:115]
	v_cmp_gt_f32_e64 s[56:57], s56, v117
	s_nop 1
	v_subbrev_co_u32_e64 v130, s[56:57], 0, v114, s[56:57]
	v_sub_u32_e32 v114, 0, v130
	v_ldexp_f32 v113, v113, v114
	v_ldexp_f32 v114, v116, v114
	v_add_f32_e32 v116, -1.0, v113
	v_add_f32_e32 v115, 1.0, v116
	v_sub_f32_e32 v115, v113, v115
	v_add_f32_e32 v117, v114, v115
	v_add_f32_e32 v115, 1.0, v113
	v_add_f32_e32 v118, -1.0, v115
	v_sub_f32_e32 v113, v113, v118
	v_add_f32_e32 v113, v114, v113
	v_add_f32_e32 v131, v115, v113
	v_rcp_f32_e32 v132, v131
	v_sub_f32_e32 v114, v115, v131
	v_add_f32_e32 v115, v116, v117
	v_add_f32_e32 v113, v113, v114
	v_mul_f32_e32 v134, v115, v132
	v_sub_f32_e32 v114, v116, v115
	v_mul_f32_e32 v116, v131, v134
	v_fma_f32 v118, v134, v131, -v116
	v_fmac_f32_e32 v118, v134, v113
	v_add_f32_e32 v133, v117, v114
	v_add_f32_e32 v114, v116, v118
	v_sub_f32_e32 v117, v115, v114
	v_pk_add_f32 v[128:129], v[114:115], v[116:117] neg_lo:[0,1] neg_hi:[0,1]
	v_mov_b32_e32 v119, v114
	v_pk_add_f32 v[114:115], v[128:129], v[118:119] neg_lo:[0,1] neg_hi:[0,1]
	s_mov_b32 s56, 0x3f317218
	v_add_f32_e32 v115, v133, v115
	v_add_f32_e32 v114, v114, v115
	;; [unrolled: 1-line block ×3, first 2 shown]
	v_mul_f32_e32 v133, v132, v115
	v_mul_f32_e32 v116, v131, v133
	v_fma_f32 v118, v133, v131, -v116
	v_fmac_f32_e32 v118, v133, v113
	v_sub_f32_e32 v113, v117, v115
	v_add_f32_e32 v113, v114, v113
	v_add_f32_e32 v114, v116, v118
	v_sub_f32_e32 v117, v115, v114
	v_pk_add_f32 v[128:129], v[114:115], v[116:117] neg_lo:[0,1] neg_hi:[0,1]
	v_mov_b32_e32 v119, v114
	v_pk_add_f32 v[114:115], v[128:129], v[118:119] neg_lo:[0,1] neg_hi:[0,1]
	v_cvt_f32_i32_e32 v116, v130
	v_add_f32_e32 v113, v113, v115
	v_add_f32_e32 v113, v114, v113
	;; [unrolled: 1-line block ×4, first 2 shown]
	v_sub_f32_e32 v115, v114, v134
	v_mul_f32_e32 v113, v132, v113
	v_sub_f32_e32 v115, v133, v115
	v_add_f32_e32 v113, v115, v113
	v_add_f32_e32 v117, v114, v113
	v_mul_f32_e32 v118, v117, v117
	v_mov_b32_e32 v115, 0x3ecc95a3
	v_fmac_f32_e32 v115, 0x3e9b6dac, v118
	v_sub_f32_e32 v114, v117, v114
	v_fmaak_f32 v115, v118, v115, 0x3f2aaada
	v_sub_f32_e32 v113, v113, v114
	v_ldexp_f32 v119, v117, 1
	v_mul_f32_e32 v117, v117, v118
	v_mov_b32_e32 v114, 0x3f317218
	v_pk_mul_f32 v[114:115], v[116:117], v[114:115]
	v_ldexp_f32 v113, v113, 1
	v_fma_f32 v117, v116, s56, -v114
	v_fmamk_f32 v118, v116, 0xb102e308, v117
	v_pk_add_f32 v[116:117], v[114:115], v[118:119]
	v_mov_b32_e32 v128, v114
	v_sub_f32_e32 v119, v117, v119
	v_sub_f32_e32 v119, v115, v119
	v_add_f32_e32 v129, v113, v119
	v_pk_add_f32 v[114:115], v[116:117], v[114:115] neg_lo:[0,1] neg_hi:[0,1]
	v_pk_add_f32 v[130:131], v[116:117], v[128:129]
	v_mov_b32_e32 v119, v116
	v_mov_b32_e32 v115, v131
	v_pk_add_f32 v[132:133], v[118:119], v[114:115] neg_lo:[0,1] neg_hi:[0,1]
	v_pk_add_f32 v[114:115], v[118:119], v[114:115]
	v_mov_b32_e32 v128, v129
	v_mov_b32_e32 v118, v115
	v_pk_add_f32 v[134:135], v[118:119], v[116:117] neg_lo:[0,1] neg_hi:[0,1]
	v_mov_b32_e32 v114, v131
	v_mov_b32_e32 v113, v134
	v_pk_add_f32 v[144:145], v[130:131], v[112:113] neg_lo:[0,1] neg_hi:[0,1]
	v_mov_b32_e32 v130, v117
	v_mov_b32_e32 v131, v134
	;; [unrolled: 1-line block ×3, first 2 shown]
	v_pk_add_f32 v[114:115], v[114:115], v[130:131] neg_lo:[0,1] neg_hi:[0,1]
	v_mov_b32_e32 v129, v116
	v_pk_add_f32 v[114:115], v[128:129], v[114:115] neg_lo:[0,1] neg_hi:[0,1]
	v_mov_b32_e32 v144, v132
	v_pk_add_f32 v[116:117], v[144:145], v[114:115]
	v_cmp_eq_f32_e64 s[56:57], s62, v146
	v_mov_b32_e32 v128, v117
	v_pk_add_f32 v[128:129], v[116:117], v[128:129]
	s_mov_b32 s62, 0x33800000
	v_pk_add_f32 v[118:119], v[118:119], v[128:129]
	v_mov_b32_e32 v115, v128
	v_mov_b32_e32 v117, v118
	v_pk_add_f32 v[130:131], v[116:117], v[132:133] neg_lo:[0,1] neg_hi:[0,1]
	v_cmp_lt_f32_e64 s[62:63], |v146|, s62
	v_sub_f32_e32 v113, v116, v130
	v_pk_add_f32 v[114:115], v[114:115], v[130:131] neg_lo:[0,1] neg_hi:[0,1]
	v_sub_f32_e32 v113, v132, v113
	v_add_f32_e32 v113, v114, v113
	v_add_f32_e32 v113, v113, v115
	;; [unrolled: 1-line block ×3, first 2 shown]
	s_or_b64 s[56:57], s[56:57], s[62:63]
	v_cndmask_b32_e64 v113, v113, v146, s[56:57]
	v_add_f32_e32 v114, v3, v113
.LBB121_327:
	s_or_b64 exec, exec, s[58:59]
	ds_read_b32 v3, v101 offset:12
	v_max_f32_e32 v113, v114, v114
	v_cmp_u_f32_e64 s[56:57], v114, v114
	s_waitcnt lgkmcnt(0)
	v_max_f32_e32 v115, v3, v3
	v_min_f32_e32 v116, v113, v115
	v_max_f32_e32 v115, v113, v115
	v_cndmask_b32_e64 v113, v116, v114, s[56:57]
	v_cmp_u_f32_e64 s[58:59], v3, v3
	v_cndmask_b32_e64 v115, v115, v114, s[56:57]
	s_nop 0
	v_cndmask_b32_e64 v113, v113, v3, s[58:59]
	v_cndmask_b32_e64 v3, v115, v3, s[58:59]
	s_movk_i32 s58, 0x1f8
	v_cmp_neq_f32_e64 s[56:57], v113, v3
	v_cmp_class_f32_e64 s[58:59], v113, s58
	s_or_b64 s[56:57], s[56:57], s[58:59]
	s_and_saveexec_b64 s[58:59], s[56:57]
	s_cbranch_execz .LBB121_329
; %bb.328:
	v_sub_f32_e32 v113, v113, v3
	s_mov_b32 s56, 0x3fb8aa3b
	v_mul_f32_e32 v114, 0x3fb8aa3b, v113
	v_fma_f32 v115, v113, s56, -v114
	v_rndne_f32_e32 v116, v114
	v_fmamk_f32 v115, v113, 0x32a5705f, v115
	v_sub_f32_e32 v114, v114, v116
	v_add_f32_e32 v114, v114, v115
	v_exp_f32_e32 v114, v114
	v_cvt_i32_f32_e32 v115, v116
	s_mov_b32 s56, 0xc2ce8ed0
	v_cmp_ngt_f32_e64 s[56:57], s56, v113
	s_mov_b32 s62, 0x7f800000
	v_ldexp_f32 v114, v114, v115
	v_cndmask_b32_e64 v114, 0, v114, s[56:57]
	s_mov_b32 s56, 0x42b17218
	v_mov_b32_e32 v115, 0x7f800000
	v_cmp_nlt_f32_e64 s[56:57], s56, v113
	s_nop 1
	v_cndmask_b32_e64 v146, v115, v114, s[56:57]
	v_add_f32_e32 v113, 1.0, v146
	v_add_f32_e32 v114, -1.0, v113
	v_sub_f32_e32 v115, v114, v113
	v_add_f32_e32 v115, 1.0, v115
	v_sub_f32_e32 v114, v146, v114
	v_add_f32_e32 v116, v114, v115
	v_frexp_mant_f32_e32 v117, v113
	s_mov_b32 s56, 0x3f2aaaab
	v_cvt_f64_f32_e32 v[114:115], v113
	v_frexp_exp_i32_f64_e32 v114, v[114:115]
	v_cmp_gt_f32_e64 s[56:57], s56, v117
	s_nop 1
	v_subbrev_co_u32_e64 v130, s[56:57], 0, v114, s[56:57]
	v_sub_u32_e32 v114, 0, v130
	v_ldexp_f32 v113, v113, v114
	v_ldexp_f32 v114, v116, v114
	v_add_f32_e32 v116, -1.0, v113
	v_add_f32_e32 v115, 1.0, v116
	v_sub_f32_e32 v115, v113, v115
	v_add_f32_e32 v117, v114, v115
	v_add_f32_e32 v115, 1.0, v113
	v_add_f32_e32 v118, -1.0, v115
	v_sub_f32_e32 v113, v113, v118
	v_add_f32_e32 v113, v114, v113
	v_add_f32_e32 v131, v115, v113
	v_rcp_f32_e32 v132, v131
	v_sub_f32_e32 v114, v115, v131
	v_add_f32_e32 v115, v116, v117
	v_add_f32_e32 v113, v113, v114
	v_mul_f32_e32 v134, v115, v132
	v_sub_f32_e32 v114, v116, v115
	v_mul_f32_e32 v116, v131, v134
	v_fma_f32 v118, v134, v131, -v116
	v_fmac_f32_e32 v118, v134, v113
	v_add_f32_e32 v133, v117, v114
	v_add_f32_e32 v114, v116, v118
	v_sub_f32_e32 v117, v115, v114
	v_pk_add_f32 v[128:129], v[114:115], v[116:117] neg_lo:[0,1] neg_hi:[0,1]
	v_mov_b32_e32 v119, v114
	v_pk_add_f32 v[114:115], v[128:129], v[118:119] neg_lo:[0,1] neg_hi:[0,1]
	s_mov_b32 s56, 0x3f317218
	v_add_f32_e32 v115, v133, v115
	v_add_f32_e32 v114, v114, v115
	;; [unrolled: 1-line block ×3, first 2 shown]
	v_mul_f32_e32 v133, v132, v115
	v_mul_f32_e32 v116, v131, v133
	v_fma_f32 v118, v133, v131, -v116
	v_fmac_f32_e32 v118, v133, v113
	v_sub_f32_e32 v113, v117, v115
	v_add_f32_e32 v113, v114, v113
	v_add_f32_e32 v114, v116, v118
	v_sub_f32_e32 v117, v115, v114
	v_pk_add_f32 v[128:129], v[114:115], v[116:117] neg_lo:[0,1] neg_hi:[0,1]
	v_mov_b32_e32 v119, v114
	v_pk_add_f32 v[114:115], v[128:129], v[118:119] neg_lo:[0,1] neg_hi:[0,1]
	v_cvt_f32_i32_e32 v116, v130
	v_add_f32_e32 v113, v113, v115
	v_add_f32_e32 v113, v114, v113
	;; [unrolled: 1-line block ×4, first 2 shown]
	v_sub_f32_e32 v115, v114, v134
	v_mul_f32_e32 v113, v132, v113
	v_sub_f32_e32 v115, v133, v115
	v_add_f32_e32 v113, v115, v113
	v_add_f32_e32 v117, v114, v113
	v_mul_f32_e32 v118, v117, v117
	v_mov_b32_e32 v115, 0x3ecc95a3
	v_fmac_f32_e32 v115, 0x3e9b6dac, v118
	v_sub_f32_e32 v114, v117, v114
	v_fmaak_f32 v115, v118, v115, 0x3f2aaada
	v_sub_f32_e32 v113, v113, v114
	v_ldexp_f32 v119, v117, 1
	v_mul_f32_e32 v117, v117, v118
	v_mov_b32_e32 v114, 0x3f317218
	v_pk_mul_f32 v[114:115], v[116:117], v[114:115]
	v_ldexp_f32 v113, v113, 1
	v_fma_f32 v117, v116, s56, -v114
	v_fmamk_f32 v118, v116, 0xb102e308, v117
	v_pk_add_f32 v[116:117], v[114:115], v[118:119]
	v_mov_b32_e32 v128, v114
	v_sub_f32_e32 v119, v117, v119
	v_sub_f32_e32 v119, v115, v119
	v_add_f32_e32 v129, v113, v119
	v_pk_add_f32 v[114:115], v[116:117], v[114:115] neg_lo:[0,1] neg_hi:[0,1]
	v_pk_add_f32 v[130:131], v[116:117], v[128:129]
	v_mov_b32_e32 v119, v116
	v_mov_b32_e32 v115, v131
	v_pk_add_f32 v[132:133], v[118:119], v[114:115] neg_lo:[0,1] neg_hi:[0,1]
	v_pk_add_f32 v[114:115], v[118:119], v[114:115]
	v_mov_b32_e32 v128, v129
	v_mov_b32_e32 v118, v115
	v_pk_add_f32 v[134:135], v[118:119], v[116:117] neg_lo:[0,1] neg_hi:[0,1]
	v_mov_b32_e32 v114, v131
	v_mov_b32_e32 v113, v134
	v_pk_add_f32 v[144:145], v[130:131], v[112:113] neg_lo:[0,1] neg_hi:[0,1]
	v_mov_b32_e32 v130, v117
	v_mov_b32_e32 v131, v134
	;; [unrolled: 1-line block ×3, first 2 shown]
	v_pk_add_f32 v[114:115], v[114:115], v[130:131] neg_lo:[0,1] neg_hi:[0,1]
	v_mov_b32_e32 v129, v116
	v_pk_add_f32 v[114:115], v[128:129], v[114:115] neg_lo:[0,1] neg_hi:[0,1]
	v_mov_b32_e32 v144, v132
	v_pk_add_f32 v[116:117], v[144:145], v[114:115]
	v_cmp_eq_f32_e64 s[56:57], s62, v146
	v_mov_b32_e32 v128, v117
	v_pk_add_f32 v[128:129], v[116:117], v[128:129]
	s_mov_b32 s62, 0x33800000
	v_pk_add_f32 v[118:119], v[118:119], v[128:129]
	v_mov_b32_e32 v115, v128
	v_mov_b32_e32 v117, v118
	v_pk_add_f32 v[130:131], v[116:117], v[132:133] neg_lo:[0,1] neg_hi:[0,1]
	v_cmp_lt_f32_e64 s[62:63], |v146|, s62
	v_sub_f32_e32 v113, v116, v130
	v_pk_add_f32 v[114:115], v[114:115], v[130:131] neg_lo:[0,1] neg_hi:[0,1]
	v_sub_f32_e32 v113, v132, v113
	v_add_f32_e32 v113, v114, v113
	v_add_f32_e32 v113, v113, v115
	;; [unrolled: 1-line block ×3, first 2 shown]
	s_or_b64 s[56:57], s[56:57], s[62:63]
	v_cndmask_b32_e64 v113, v113, v146, s[56:57]
	v_add_f32_e32 v114, v3, v113
.LBB121_329:
	s_or_b64 exec, exec, s[58:59]
	v_mbcnt_lo_u32_b32 v3, -1, 0
	v_mbcnt_hi_u32_b32 v3, -1, v3
	v_and_b32_e32 v113, 15, v3
	v_mov_b32_dpp v115, v114 row_shr:1 row_mask:0xf bank_mask:0xf
	v_cmp_ne_u32_e64 s[56:57], 0, v113
	s_and_saveexec_b64 s[58:59], s[56:57]
	s_xor_b64 s[62:63], exec, s[58:59]
	s_cbranch_execz .LBB121_333
; %bb.330:
	v_max_f32_e32 v117, v114, v114
	v_max_f32_e32 v118, v115, v115
	v_min_f32_e32 v116, v118, v117
	v_cmp_u_f32_e64 s[56:57], v115, v115
	v_max_f32_e32 v117, v118, v117
	v_cmp_u_f32_e64 s[58:59], v114, v114
	v_cndmask_b32_e64 v116, v116, v115, s[56:57]
	v_cndmask_b32_e64 v117, v117, v115, s[56:57]
	;; [unrolled: 1-line block ×4, first 2 shown]
	s_movk_i32 s58, 0x1f8
	v_cmp_neq_f32_e64 s[56:57], v116, v114
	v_cmp_class_f32_e64 s[58:59], v116, s58
	s_or_b64 s[56:57], s[56:57], s[58:59]
	s_and_saveexec_b64 s[58:59], s[56:57]
	s_cbranch_execz .LBB121_332
; %bb.331:
	v_sub_f32_e32 v115, v116, v114
	s_mov_b32 s56, 0x3fb8aa3b
	v_mul_f32_e32 v116, 0x3fb8aa3b, v115
	v_fma_f32 v117, v115, s56, -v116
	v_rndne_f32_e32 v118, v116
	v_fmamk_f32 v117, v115, 0x32a5705f, v117
	v_sub_f32_e32 v116, v116, v118
	v_add_f32_e32 v116, v116, v117
	v_exp_f32_e32 v116, v116
	v_cvt_i32_f32_e32 v117, v118
	s_mov_b32 s56, 0xc2ce8ed0
	v_cmp_ngt_f32_e64 s[56:57], s56, v115
	s_mov_b32 s64, 0x7f800000
	v_ldexp_f32 v116, v116, v117
	v_cndmask_b32_e64 v116, 0, v116, s[56:57]
	s_mov_b32 s56, 0x42b17218
	v_mov_b32_e32 v117, 0x7f800000
	v_cmp_nlt_f32_e64 s[56:57], s56, v115
	s_nop 1
	v_cndmask_b32_e64 v148, v117, v116, s[56:57]
	v_add_f32_e32 v115, 1.0, v148
	v_add_f32_e32 v116, -1.0, v115
	v_sub_f32_e32 v117, v116, v115
	v_add_f32_e32 v117, 1.0, v117
	v_sub_f32_e32 v116, v148, v116
	v_add_f32_e32 v118, v116, v117
	v_frexp_mant_f32_e32 v119, v115
	s_mov_b32 s56, 0x3f2aaaab
	v_cvt_f64_f32_e32 v[116:117], v115
	v_frexp_exp_i32_f64_e32 v116, v[116:117]
	v_cmp_gt_f32_e64 s[56:57], s56, v119
	s_nop 1
	v_subbrev_co_u32_e64 v132, s[56:57], 0, v116, s[56:57]
	v_sub_u32_e32 v116, 0, v132
	v_ldexp_f32 v115, v115, v116
	v_ldexp_f32 v116, v118, v116
	v_add_f32_e32 v118, -1.0, v115
	v_add_f32_e32 v117, 1.0, v118
	v_sub_f32_e32 v117, v115, v117
	v_add_f32_e32 v119, v116, v117
	v_add_f32_e32 v117, 1.0, v115
	v_add_f32_e32 v128, -1.0, v117
	v_sub_f32_e32 v115, v115, v128
	v_add_f32_e32 v115, v116, v115
	v_add_f32_e32 v133, v117, v115
	v_rcp_f32_e32 v134, v133
	v_sub_f32_e32 v116, v117, v133
	v_add_f32_e32 v117, v118, v119
	v_add_f32_e32 v115, v115, v116
	v_mul_f32_e32 v144, v117, v134
	v_sub_f32_e32 v116, v118, v117
	v_mul_f32_e32 v118, v133, v144
	v_fma_f32 v128, v144, v133, -v118
	v_fmac_f32_e32 v128, v144, v115
	v_add_f32_e32 v135, v119, v116
	v_add_f32_e32 v116, v118, v128
	v_sub_f32_e32 v119, v117, v116
	v_pk_add_f32 v[130:131], v[116:117], v[118:119] neg_lo:[0,1] neg_hi:[0,1]
	v_mov_b32_e32 v129, v116
	v_pk_add_f32 v[116:117], v[130:131], v[128:129] neg_lo:[0,1] neg_hi:[0,1]
	s_mov_b32 s56, 0x3f317218
	v_add_f32_e32 v117, v135, v117
	v_add_f32_e32 v116, v116, v117
	;; [unrolled: 1-line block ×3, first 2 shown]
	v_mul_f32_e32 v135, v134, v117
	v_mul_f32_e32 v118, v133, v135
	v_fma_f32 v128, v135, v133, -v118
	v_fmac_f32_e32 v128, v135, v115
	v_sub_f32_e32 v115, v119, v117
	v_add_f32_e32 v115, v116, v115
	v_add_f32_e32 v116, v118, v128
	v_sub_f32_e32 v119, v117, v116
	v_pk_add_f32 v[130:131], v[116:117], v[118:119] neg_lo:[0,1] neg_hi:[0,1]
	v_mov_b32_e32 v129, v116
	v_pk_add_f32 v[116:117], v[130:131], v[128:129] neg_lo:[0,1] neg_hi:[0,1]
	v_cvt_f32_i32_e32 v118, v132
	v_add_f32_e32 v115, v115, v117
	v_add_f32_e32 v115, v116, v115
	;; [unrolled: 1-line block ×4, first 2 shown]
	v_sub_f32_e32 v117, v116, v144
	v_mul_f32_e32 v115, v134, v115
	v_sub_f32_e32 v117, v135, v117
	v_add_f32_e32 v115, v117, v115
	v_add_f32_e32 v119, v116, v115
	v_mul_f32_e32 v128, v119, v119
	v_mov_b32_e32 v117, 0x3ecc95a3
	v_fmac_f32_e32 v117, 0x3e9b6dac, v128
	v_sub_f32_e32 v116, v119, v116
	v_fmaak_f32 v117, v128, v117, 0x3f2aaada
	v_sub_f32_e32 v115, v115, v116
	v_ldexp_f32 v129, v119, 1
	v_mul_f32_e32 v119, v119, v128
	v_mov_b32_e32 v116, 0x3f317218
	v_pk_mul_f32 v[116:117], v[118:119], v[116:117]
	v_ldexp_f32 v115, v115, 1
	v_fma_f32 v119, v118, s56, -v116
	v_fmamk_f32 v128, v118, 0xb102e308, v119
	v_pk_add_f32 v[118:119], v[116:117], v[128:129]
	v_mov_b32_e32 v130, v116
	v_sub_f32_e32 v129, v119, v129
	v_sub_f32_e32 v129, v117, v129
	v_add_f32_e32 v131, v115, v129
	v_pk_add_f32 v[116:117], v[118:119], v[116:117] neg_lo:[0,1] neg_hi:[0,1]
	v_pk_add_f32 v[132:133], v[118:119], v[130:131]
	v_mov_b32_e32 v129, v118
	v_mov_b32_e32 v117, v133
	v_pk_add_f32 v[134:135], v[128:129], v[116:117] neg_lo:[0,1] neg_hi:[0,1]
	v_pk_add_f32 v[116:117], v[128:129], v[116:117]
	v_mov_b32_e32 v130, v131
	v_mov_b32_e32 v128, v117
	v_pk_add_f32 v[144:145], v[128:129], v[118:119] neg_lo:[0,1] neg_hi:[0,1]
	v_mov_b32_e32 v116, v133
	v_mov_b32_e32 v115, v144
	v_pk_add_f32 v[146:147], v[132:133], v[114:115] neg_lo:[0,1] neg_hi:[0,1]
	v_mov_b32_e32 v132, v119
	v_mov_b32_e32 v133, v144
	;; [unrolled: 1-line block ×3, first 2 shown]
	v_pk_add_f32 v[116:117], v[116:117], v[132:133] neg_lo:[0,1] neg_hi:[0,1]
	v_mov_b32_e32 v131, v118
	v_pk_add_f32 v[116:117], v[130:131], v[116:117] neg_lo:[0,1] neg_hi:[0,1]
	v_mov_b32_e32 v146, v134
	v_pk_add_f32 v[118:119], v[146:147], v[116:117]
	v_cmp_eq_f32_e64 s[56:57], s64, v148
	v_mov_b32_e32 v130, v119
	v_pk_add_f32 v[130:131], v[118:119], v[130:131]
	s_mov_b32 s64, 0x33800000
	v_pk_add_f32 v[128:129], v[128:129], v[130:131]
	v_mov_b32_e32 v117, v130
	v_mov_b32_e32 v119, v128
	v_pk_add_f32 v[132:133], v[118:119], v[134:135] neg_lo:[0,1] neg_hi:[0,1]
	v_cmp_lt_f32_e64 s[64:65], |v148|, s64
	v_sub_f32_e32 v115, v118, v132
	v_pk_add_f32 v[116:117], v[116:117], v[132:133] neg_lo:[0,1] neg_hi:[0,1]
	v_sub_f32_e32 v115, v134, v115
	v_add_f32_e32 v115, v116, v115
	v_add_f32_e32 v115, v115, v117
	;; [unrolled: 1-line block ×3, first 2 shown]
	s_or_b64 s[56:57], s[56:57], s[64:65]
	v_cndmask_b32_e64 v115, v115, v148, s[56:57]
	v_add_f32_e32 v115, v114, v115
.LBB121_332:
	s_or_b64 exec, exec, s[58:59]
	v_mov_b32_e32 v114, v115
.LBB121_333:
	s_or_b64 exec, exec, s[62:63]
	s_nop 0
	v_mov_b32_dpp v115, v114 row_shr:2 row_mask:0xf bank_mask:0xf
	v_cmp_lt_u32_e64 s[56:57], 1, v113
	s_and_saveexec_b64 s[62:63], s[56:57]
	s_cbranch_execz .LBB121_337
; %bb.334:
	v_max_f32_e32 v117, v114, v114
	v_max_f32_e32 v118, v115, v115
	v_min_f32_e32 v116, v118, v117
	v_cmp_u_f32_e64 s[56:57], v115, v115
	v_max_f32_e32 v117, v118, v117
	v_cmp_u_f32_e64 s[58:59], v114, v114
	v_cndmask_b32_e64 v116, v116, v115, s[56:57]
	v_cndmask_b32_e64 v117, v117, v115, s[56:57]
	v_cndmask_b32_e64 v116, v116, v114, s[58:59]
	v_cndmask_b32_e64 v114, v117, v114, s[58:59]
	s_movk_i32 s58, 0x1f8
	v_cmp_neq_f32_e64 s[56:57], v116, v114
	v_cmp_class_f32_e64 s[58:59], v116, s58
	s_or_b64 s[56:57], s[56:57], s[58:59]
	s_and_saveexec_b64 s[58:59], s[56:57]
	s_cbranch_execz .LBB121_336
; %bb.335:
	v_sub_f32_e32 v115, v116, v114
	s_mov_b32 s56, 0x3fb8aa3b
	v_mul_f32_e32 v116, 0x3fb8aa3b, v115
	v_fma_f32 v117, v115, s56, -v116
	v_rndne_f32_e32 v118, v116
	v_fmamk_f32 v117, v115, 0x32a5705f, v117
	v_sub_f32_e32 v116, v116, v118
	v_add_f32_e32 v116, v116, v117
	v_exp_f32_e32 v116, v116
	v_cvt_i32_f32_e32 v117, v118
	s_mov_b32 s56, 0xc2ce8ed0
	v_cmp_ngt_f32_e64 s[56:57], s56, v115
	s_mov_b32 s64, 0x7f800000
	v_ldexp_f32 v116, v116, v117
	v_cndmask_b32_e64 v116, 0, v116, s[56:57]
	s_mov_b32 s56, 0x42b17218
	v_mov_b32_e32 v117, 0x7f800000
	v_cmp_nlt_f32_e64 s[56:57], s56, v115
	s_nop 1
	v_cndmask_b32_e64 v148, v117, v116, s[56:57]
	v_add_f32_e32 v115, 1.0, v148
	v_add_f32_e32 v116, -1.0, v115
	v_sub_f32_e32 v117, v116, v115
	v_add_f32_e32 v117, 1.0, v117
	v_sub_f32_e32 v116, v148, v116
	v_add_f32_e32 v118, v116, v117
	v_frexp_mant_f32_e32 v119, v115
	s_mov_b32 s56, 0x3f2aaaab
	v_cvt_f64_f32_e32 v[116:117], v115
	v_frexp_exp_i32_f64_e32 v116, v[116:117]
	v_cmp_gt_f32_e64 s[56:57], s56, v119
	s_nop 1
	v_subbrev_co_u32_e64 v132, s[56:57], 0, v116, s[56:57]
	v_sub_u32_e32 v116, 0, v132
	v_ldexp_f32 v115, v115, v116
	v_ldexp_f32 v116, v118, v116
	v_add_f32_e32 v118, -1.0, v115
	v_add_f32_e32 v117, 1.0, v118
	v_sub_f32_e32 v117, v115, v117
	v_add_f32_e32 v119, v116, v117
	v_add_f32_e32 v117, 1.0, v115
	v_add_f32_e32 v128, -1.0, v117
	v_sub_f32_e32 v115, v115, v128
	v_add_f32_e32 v115, v116, v115
	v_add_f32_e32 v133, v117, v115
	v_rcp_f32_e32 v134, v133
	v_sub_f32_e32 v116, v117, v133
	v_add_f32_e32 v117, v118, v119
	v_add_f32_e32 v115, v115, v116
	v_mul_f32_e32 v144, v117, v134
	v_sub_f32_e32 v116, v118, v117
	v_mul_f32_e32 v118, v133, v144
	v_fma_f32 v128, v144, v133, -v118
	v_fmac_f32_e32 v128, v144, v115
	v_add_f32_e32 v135, v119, v116
	v_add_f32_e32 v116, v118, v128
	v_sub_f32_e32 v119, v117, v116
	v_pk_add_f32 v[130:131], v[116:117], v[118:119] neg_lo:[0,1] neg_hi:[0,1]
	v_mov_b32_e32 v129, v116
	v_pk_add_f32 v[116:117], v[130:131], v[128:129] neg_lo:[0,1] neg_hi:[0,1]
	s_mov_b32 s56, 0x3f317218
	v_add_f32_e32 v117, v135, v117
	v_add_f32_e32 v116, v116, v117
	;; [unrolled: 1-line block ×3, first 2 shown]
	v_mul_f32_e32 v135, v134, v117
	v_mul_f32_e32 v118, v133, v135
	v_fma_f32 v128, v135, v133, -v118
	v_fmac_f32_e32 v128, v135, v115
	v_sub_f32_e32 v115, v119, v117
	v_add_f32_e32 v115, v116, v115
	v_add_f32_e32 v116, v118, v128
	v_sub_f32_e32 v119, v117, v116
	v_pk_add_f32 v[130:131], v[116:117], v[118:119] neg_lo:[0,1] neg_hi:[0,1]
	v_mov_b32_e32 v129, v116
	v_pk_add_f32 v[116:117], v[130:131], v[128:129] neg_lo:[0,1] neg_hi:[0,1]
	v_cvt_f32_i32_e32 v118, v132
	v_add_f32_e32 v115, v115, v117
	v_add_f32_e32 v115, v116, v115
	;; [unrolled: 1-line block ×4, first 2 shown]
	v_sub_f32_e32 v117, v116, v144
	v_mul_f32_e32 v115, v134, v115
	v_sub_f32_e32 v117, v135, v117
	v_add_f32_e32 v115, v117, v115
	v_add_f32_e32 v119, v116, v115
	v_mul_f32_e32 v128, v119, v119
	v_mov_b32_e32 v117, 0x3ecc95a3
	v_fmac_f32_e32 v117, 0x3e9b6dac, v128
	v_sub_f32_e32 v116, v119, v116
	v_fmaak_f32 v117, v128, v117, 0x3f2aaada
	v_sub_f32_e32 v115, v115, v116
	v_ldexp_f32 v129, v119, 1
	v_mul_f32_e32 v119, v119, v128
	v_mov_b32_e32 v116, 0x3f317218
	v_pk_mul_f32 v[116:117], v[118:119], v[116:117]
	v_ldexp_f32 v115, v115, 1
	v_fma_f32 v119, v118, s56, -v116
	v_fmamk_f32 v128, v118, 0xb102e308, v119
	v_pk_add_f32 v[118:119], v[116:117], v[128:129]
	v_mov_b32_e32 v130, v116
	v_sub_f32_e32 v129, v119, v129
	v_sub_f32_e32 v129, v117, v129
	v_add_f32_e32 v131, v115, v129
	v_pk_add_f32 v[116:117], v[118:119], v[116:117] neg_lo:[0,1] neg_hi:[0,1]
	v_pk_add_f32 v[132:133], v[118:119], v[130:131]
	v_mov_b32_e32 v129, v118
	v_mov_b32_e32 v117, v133
	v_pk_add_f32 v[134:135], v[128:129], v[116:117] neg_lo:[0,1] neg_hi:[0,1]
	v_pk_add_f32 v[116:117], v[128:129], v[116:117]
	v_mov_b32_e32 v130, v131
	v_mov_b32_e32 v128, v117
	v_pk_add_f32 v[144:145], v[128:129], v[118:119] neg_lo:[0,1] neg_hi:[0,1]
	v_mov_b32_e32 v116, v133
	v_mov_b32_e32 v115, v144
	v_pk_add_f32 v[146:147], v[132:133], v[114:115] neg_lo:[0,1] neg_hi:[0,1]
	v_mov_b32_e32 v132, v119
	v_mov_b32_e32 v133, v144
	;; [unrolled: 1-line block ×3, first 2 shown]
	v_pk_add_f32 v[116:117], v[116:117], v[132:133] neg_lo:[0,1] neg_hi:[0,1]
	v_mov_b32_e32 v131, v118
	v_pk_add_f32 v[116:117], v[130:131], v[116:117] neg_lo:[0,1] neg_hi:[0,1]
	v_mov_b32_e32 v146, v134
	v_pk_add_f32 v[118:119], v[146:147], v[116:117]
	v_cmp_eq_f32_e64 s[56:57], s64, v148
	v_mov_b32_e32 v130, v119
	v_pk_add_f32 v[130:131], v[118:119], v[130:131]
	s_mov_b32 s64, 0x33800000
	v_pk_add_f32 v[128:129], v[128:129], v[130:131]
	v_mov_b32_e32 v117, v130
	v_mov_b32_e32 v119, v128
	v_pk_add_f32 v[132:133], v[118:119], v[134:135] neg_lo:[0,1] neg_hi:[0,1]
	v_cmp_lt_f32_e64 s[64:65], |v148|, s64
	v_sub_f32_e32 v115, v118, v132
	v_pk_add_f32 v[116:117], v[116:117], v[132:133] neg_lo:[0,1] neg_hi:[0,1]
	v_sub_f32_e32 v115, v134, v115
	v_add_f32_e32 v115, v116, v115
	v_add_f32_e32 v115, v115, v117
	;; [unrolled: 1-line block ×3, first 2 shown]
	s_or_b64 s[56:57], s[56:57], s[64:65]
	v_cndmask_b32_e64 v115, v115, v148, s[56:57]
	v_add_f32_e32 v115, v114, v115
.LBB121_336:
	s_or_b64 exec, exec, s[58:59]
	v_mov_b32_e32 v114, v115
.LBB121_337:
	s_or_b64 exec, exec, s[62:63]
	s_nop 0
	v_mov_b32_dpp v115, v114 row_shr:4 row_mask:0xf bank_mask:0xf
	v_cmp_lt_u32_e64 s[56:57], 3, v113
	s_and_saveexec_b64 s[62:63], s[56:57]
	s_cbranch_execz .LBB121_341
; %bb.338:
	v_max_f32_e32 v117, v114, v114
	v_max_f32_e32 v118, v115, v115
	v_min_f32_e32 v116, v118, v117
	v_cmp_u_f32_e64 s[56:57], v115, v115
	v_max_f32_e32 v117, v118, v117
	v_cmp_u_f32_e64 s[58:59], v114, v114
	v_cndmask_b32_e64 v116, v116, v115, s[56:57]
	v_cndmask_b32_e64 v117, v117, v115, s[56:57]
	;; [unrolled: 1-line block ×4, first 2 shown]
	s_movk_i32 s58, 0x1f8
	v_cmp_neq_f32_e64 s[56:57], v116, v114
	v_cmp_class_f32_e64 s[58:59], v116, s58
	s_or_b64 s[56:57], s[56:57], s[58:59]
	s_and_saveexec_b64 s[58:59], s[56:57]
	s_cbranch_execz .LBB121_340
; %bb.339:
	v_sub_f32_e32 v115, v116, v114
	s_mov_b32 s56, 0x3fb8aa3b
	v_mul_f32_e32 v116, 0x3fb8aa3b, v115
	v_fma_f32 v117, v115, s56, -v116
	v_rndne_f32_e32 v118, v116
	v_fmamk_f32 v117, v115, 0x32a5705f, v117
	v_sub_f32_e32 v116, v116, v118
	v_add_f32_e32 v116, v116, v117
	v_exp_f32_e32 v116, v116
	v_cvt_i32_f32_e32 v117, v118
	s_mov_b32 s56, 0xc2ce8ed0
	v_cmp_ngt_f32_e64 s[56:57], s56, v115
	s_mov_b32 s64, 0x7f800000
	v_ldexp_f32 v116, v116, v117
	v_cndmask_b32_e64 v116, 0, v116, s[56:57]
	s_mov_b32 s56, 0x42b17218
	v_mov_b32_e32 v117, 0x7f800000
	v_cmp_nlt_f32_e64 s[56:57], s56, v115
	s_nop 1
	v_cndmask_b32_e64 v148, v117, v116, s[56:57]
	v_add_f32_e32 v115, 1.0, v148
	v_add_f32_e32 v116, -1.0, v115
	v_sub_f32_e32 v117, v116, v115
	v_add_f32_e32 v117, 1.0, v117
	v_sub_f32_e32 v116, v148, v116
	v_add_f32_e32 v118, v116, v117
	v_frexp_mant_f32_e32 v119, v115
	s_mov_b32 s56, 0x3f2aaaab
	v_cvt_f64_f32_e32 v[116:117], v115
	v_frexp_exp_i32_f64_e32 v116, v[116:117]
	v_cmp_gt_f32_e64 s[56:57], s56, v119
	s_nop 1
	v_subbrev_co_u32_e64 v132, s[56:57], 0, v116, s[56:57]
	v_sub_u32_e32 v116, 0, v132
	v_ldexp_f32 v115, v115, v116
	v_ldexp_f32 v116, v118, v116
	v_add_f32_e32 v118, -1.0, v115
	v_add_f32_e32 v117, 1.0, v118
	v_sub_f32_e32 v117, v115, v117
	v_add_f32_e32 v119, v116, v117
	v_add_f32_e32 v117, 1.0, v115
	v_add_f32_e32 v128, -1.0, v117
	v_sub_f32_e32 v115, v115, v128
	v_add_f32_e32 v115, v116, v115
	v_add_f32_e32 v133, v117, v115
	v_rcp_f32_e32 v134, v133
	v_sub_f32_e32 v116, v117, v133
	v_add_f32_e32 v117, v118, v119
	v_add_f32_e32 v115, v115, v116
	v_mul_f32_e32 v144, v117, v134
	v_sub_f32_e32 v116, v118, v117
	v_mul_f32_e32 v118, v133, v144
	v_fma_f32 v128, v144, v133, -v118
	v_fmac_f32_e32 v128, v144, v115
	v_add_f32_e32 v135, v119, v116
	v_add_f32_e32 v116, v118, v128
	v_sub_f32_e32 v119, v117, v116
	v_pk_add_f32 v[130:131], v[116:117], v[118:119] neg_lo:[0,1] neg_hi:[0,1]
	v_mov_b32_e32 v129, v116
	v_pk_add_f32 v[116:117], v[130:131], v[128:129] neg_lo:[0,1] neg_hi:[0,1]
	s_mov_b32 s56, 0x3f317218
	v_add_f32_e32 v117, v135, v117
	v_add_f32_e32 v116, v116, v117
	;; [unrolled: 1-line block ×3, first 2 shown]
	v_mul_f32_e32 v135, v134, v117
	v_mul_f32_e32 v118, v133, v135
	v_fma_f32 v128, v135, v133, -v118
	v_fmac_f32_e32 v128, v135, v115
	v_sub_f32_e32 v115, v119, v117
	v_add_f32_e32 v115, v116, v115
	v_add_f32_e32 v116, v118, v128
	v_sub_f32_e32 v119, v117, v116
	v_pk_add_f32 v[130:131], v[116:117], v[118:119] neg_lo:[0,1] neg_hi:[0,1]
	v_mov_b32_e32 v129, v116
	v_pk_add_f32 v[116:117], v[130:131], v[128:129] neg_lo:[0,1] neg_hi:[0,1]
	v_cvt_f32_i32_e32 v118, v132
	v_add_f32_e32 v115, v115, v117
	v_add_f32_e32 v115, v116, v115
	;; [unrolled: 1-line block ×4, first 2 shown]
	v_sub_f32_e32 v117, v116, v144
	v_mul_f32_e32 v115, v134, v115
	v_sub_f32_e32 v117, v135, v117
	v_add_f32_e32 v115, v117, v115
	v_add_f32_e32 v119, v116, v115
	v_mul_f32_e32 v128, v119, v119
	v_mov_b32_e32 v117, 0x3ecc95a3
	v_fmac_f32_e32 v117, 0x3e9b6dac, v128
	v_sub_f32_e32 v116, v119, v116
	v_fmaak_f32 v117, v128, v117, 0x3f2aaada
	v_sub_f32_e32 v115, v115, v116
	v_ldexp_f32 v129, v119, 1
	v_mul_f32_e32 v119, v119, v128
	v_mov_b32_e32 v116, 0x3f317218
	v_pk_mul_f32 v[116:117], v[118:119], v[116:117]
	v_ldexp_f32 v115, v115, 1
	v_fma_f32 v119, v118, s56, -v116
	v_fmamk_f32 v128, v118, 0xb102e308, v119
	v_pk_add_f32 v[118:119], v[116:117], v[128:129]
	v_mov_b32_e32 v130, v116
	v_sub_f32_e32 v129, v119, v129
	v_sub_f32_e32 v129, v117, v129
	v_add_f32_e32 v131, v115, v129
	v_pk_add_f32 v[116:117], v[118:119], v[116:117] neg_lo:[0,1] neg_hi:[0,1]
	v_pk_add_f32 v[132:133], v[118:119], v[130:131]
	v_mov_b32_e32 v129, v118
	v_mov_b32_e32 v117, v133
	v_pk_add_f32 v[134:135], v[128:129], v[116:117] neg_lo:[0,1] neg_hi:[0,1]
	v_pk_add_f32 v[116:117], v[128:129], v[116:117]
	v_mov_b32_e32 v130, v131
	v_mov_b32_e32 v128, v117
	v_pk_add_f32 v[144:145], v[128:129], v[118:119] neg_lo:[0,1] neg_hi:[0,1]
	v_mov_b32_e32 v116, v133
	v_mov_b32_e32 v115, v144
	v_pk_add_f32 v[146:147], v[132:133], v[114:115] neg_lo:[0,1] neg_hi:[0,1]
	v_mov_b32_e32 v132, v119
	v_mov_b32_e32 v133, v144
	;; [unrolled: 1-line block ×3, first 2 shown]
	v_pk_add_f32 v[116:117], v[116:117], v[132:133] neg_lo:[0,1] neg_hi:[0,1]
	v_mov_b32_e32 v131, v118
	v_pk_add_f32 v[116:117], v[130:131], v[116:117] neg_lo:[0,1] neg_hi:[0,1]
	v_mov_b32_e32 v146, v134
	v_pk_add_f32 v[118:119], v[146:147], v[116:117]
	v_cmp_eq_f32_e64 s[56:57], s64, v148
	v_mov_b32_e32 v130, v119
	v_pk_add_f32 v[130:131], v[118:119], v[130:131]
	s_mov_b32 s64, 0x33800000
	v_pk_add_f32 v[128:129], v[128:129], v[130:131]
	v_mov_b32_e32 v117, v130
	v_mov_b32_e32 v119, v128
	v_pk_add_f32 v[132:133], v[118:119], v[134:135] neg_lo:[0,1] neg_hi:[0,1]
	v_cmp_lt_f32_e64 s[64:65], |v148|, s64
	v_sub_f32_e32 v115, v118, v132
	v_pk_add_f32 v[116:117], v[116:117], v[132:133] neg_lo:[0,1] neg_hi:[0,1]
	v_sub_f32_e32 v115, v134, v115
	v_add_f32_e32 v115, v116, v115
	v_add_f32_e32 v115, v115, v117
	v_add_f32_e32 v115, v128, v115
	s_or_b64 s[56:57], s[56:57], s[64:65]
	v_cndmask_b32_e64 v115, v115, v148, s[56:57]
	v_add_f32_e32 v115, v114, v115
.LBB121_340:
	s_or_b64 exec, exec, s[58:59]
	v_mov_b32_e32 v114, v115
.LBB121_341:
	s_or_b64 exec, exec, s[62:63]
	s_nop 0
	v_mov_b32_dpp v115, v114 row_shr:8 row_mask:0xf bank_mask:0xf
	v_cmp_lt_u32_e64 s[56:57], 7, v113
	s_and_saveexec_b64 s[62:63], s[56:57]
	s_cbranch_execz .LBB121_345
; %bb.342:
	v_max_f32_e32 v113, v114, v114
	v_max_f32_e32 v117, v115, v115
	v_min_f32_e32 v116, v117, v113
	v_cmp_u_f32_e64 s[56:57], v115, v115
	v_max_f32_e32 v113, v117, v113
	v_cmp_u_f32_e64 s[58:59], v114, v114
	v_cndmask_b32_e64 v116, v116, v115, s[56:57]
	v_cndmask_b32_e64 v113, v113, v115, s[56:57]
	;; [unrolled: 1-line block ×4, first 2 shown]
	s_movk_i32 s58, 0x1f8
	v_cmp_neq_f32_e64 s[56:57], v116, v113
	v_cmp_class_f32_e64 s[58:59], v116, s58
	s_or_b64 s[56:57], s[56:57], s[58:59]
	s_and_saveexec_b64 s[58:59], s[56:57]
	s_cbranch_execz .LBB121_344
; %bb.343:
	v_sub_f32_e32 v114, v116, v113
	s_mov_b32 s56, 0x3fb8aa3b
	v_mul_f32_e32 v115, 0x3fb8aa3b, v114
	v_fma_f32 v116, v114, s56, -v115
	v_rndne_f32_e32 v117, v115
	v_fmamk_f32 v116, v114, 0x32a5705f, v116
	v_sub_f32_e32 v115, v115, v117
	v_add_f32_e32 v115, v115, v116
	v_exp_f32_e32 v115, v115
	v_cvt_i32_f32_e32 v116, v117
	s_mov_b32 s56, 0xc2ce8ed0
	v_cmp_ngt_f32_e64 s[56:57], s56, v114
	s_mov_b32 s64, 0x7f800000
	v_ldexp_f32 v115, v115, v116
	v_cndmask_b32_e64 v115, 0, v115, s[56:57]
	s_mov_b32 s56, 0x42b17218
	v_mov_b32_e32 v116, 0x7f800000
	v_cmp_nlt_f32_e64 s[56:57], s56, v114
	s_nop 1
	v_cndmask_b32_e64 v146, v116, v115, s[56:57]
	v_add_f32_e32 v116, 1.0, v146
	v_add_f32_e32 v114, -1.0, v116
	v_sub_f32_e32 v115, v114, v116
	v_add_f32_e32 v115, 1.0, v115
	v_sub_f32_e32 v114, v146, v114
	v_add_f32_e32 v117, v114, v115
	v_frexp_mant_f32_e32 v118, v116
	s_mov_b32 s56, 0x3f2aaaab
	v_cvt_f64_f32_e32 v[114:115], v116
	v_frexp_exp_i32_f64_e32 v114, v[114:115]
	v_cmp_gt_f32_e64 s[56:57], s56, v118
	s_nop 1
	v_subbrev_co_u32_e64 v130, s[56:57], 0, v114, s[56:57]
	v_sub_u32_e32 v114, 0, v130
	v_ldexp_f32 v115, v116, v114
	v_add_f32_e32 v116, -1.0, v115
	v_add_f32_e32 v118, 1.0, v115
	v_ldexp_f32 v114, v117, v114
	v_add_f32_e32 v117, 1.0, v116
	v_add_f32_e32 v119, -1.0, v118
	v_sub_f32_e32 v117, v115, v117
	v_sub_f32_e32 v115, v115, v119
	v_add_f32_e32 v117, v114, v117
	v_add_f32_e32 v114, v114, v115
	;; [unrolled: 1-line block ×3, first 2 shown]
	v_rcp_f32_e32 v133, v131
	v_sub_f32_e32 v115, v118, v131
	v_add_f32_e32 v132, v114, v115
	v_add_f32_e32 v115, v116, v117
	v_mul_f32_e32 v135, v115, v133
	v_sub_f32_e32 v114, v116, v115
	v_mul_f32_e32 v116, v131, v135
	v_fma_f32 v118, v135, v131, -v116
	v_fmac_f32_e32 v118, v135, v132
	v_add_f32_e32 v134, v117, v114
	v_add_f32_e32 v114, v116, v118
	v_sub_f32_e32 v117, v115, v114
	v_pk_add_f32 v[128:129], v[114:115], v[116:117] neg_lo:[0,1] neg_hi:[0,1]
	v_mov_b32_e32 v119, v114
	v_pk_add_f32 v[114:115], v[128:129], v[118:119] neg_lo:[0,1] neg_hi:[0,1]
	s_mov_b32 s56, 0x3f317218
	v_add_f32_e32 v115, v134, v115
	v_add_f32_e32 v114, v114, v115
	;; [unrolled: 1-line block ×3, first 2 shown]
	v_mul_f32_e32 v134, v133, v115
	v_mul_f32_e32 v116, v131, v134
	v_fma_f32 v118, v134, v131, -v116
	v_fmac_f32_e32 v118, v134, v132
	v_sub_f32_e32 v117, v117, v115
	v_add_f32_e32 v131, v114, v117
	v_add_f32_e32 v114, v116, v118
	v_sub_f32_e32 v117, v115, v114
	v_pk_add_f32 v[128:129], v[114:115], v[116:117] neg_lo:[0,1] neg_hi:[0,1]
	v_mov_b32_e32 v119, v114
	v_pk_add_f32 v[114:115], v[128:129], v[118:119] neg_lo:[0,1] neg_hi:[0,1]
	v_cvt_f32_i32_e32 v116, v130
	v_add_f32_e32 v115, v131, v115
	v_add_f32_e32 v114, v114, v115
	;; [unrolled: 1-line block ×4, first 2 shown]
	v_sub_f32_e32 v115, v117, v135
	v_mul_f32_e32 v114, v133, v114
	v_sub_f32_e32 v115, v134, v115
	v_add_f32_e32 v114, v115, v114
	v_add_f32_e32 v118, v117, v114
	v_mul_f32_e32 v128, v118, v118
	v_mov_b32_e32 v115, 0x3ecc95a3
	v_sub_f32_e32 v117, v118, v117
	v_fmac_f32_e32 v115, 0x3e9b6dac, v128
	v_sub_f32_e32 v114, v114, v117
	v_fmaak_f32 v115, v128, v115, 0x3f2aaada
	v_ldexp_f32 v129, v114, 1
	v_mul_f32_e32 v117, v118, v128
	v_mov_b32_e32 v114, 0x3f317218
	v_pk_mul_f32 v[114:115], v[116:117], v[114:115]
	v_ldexp_f32 v119, v118, 1
	v_fma_f32 v117, v116, s56, -v114
	v_fmamk_f32 v118, v116, 0xb102e308, v117
	v_pk_add_f32 v[116:117], v[114:115], v[118:119]
	v_mov_b32_e32 v128, v114
	v_sub_f32_e32 v119, v117, v119
	v_sub_f32_e32 v119, v115, v119
	v_add_f32_e32 v129, v129, v119
	v_pk_add_f32 v[114:115], v[116:117], v[114:115] neg_lo:[0,1] neg_hi:[0,1]
	v_pk_add_f32 v[130:131], v[116:117], v[128:129]
	v_mov_b32_e32 v119, v116
	v_mov_b32_e32 v115, v131
	v_pk_add_f32 v[132:133], v[118:119], v[114:115] neg_lo:[0,1] neg_hi:[0,1]
	v_pk_add_f32 v[114:115], v[118:119], v[114:115]
	v_mov_b32_e32 v128, v129
	v_mov_b32_e32 v118, v115
	v_pk_add_f32 v[134:135], v[118:119], v[116:117] neg_lo:[0,1] neg_hi:[0,1]
	v_mov_b32_e32 v114, v131
	v_mov_b32_e32 v119, v134
	v_pk_add_f32 v[144:145], v[130:131], v[118:119] neg_lo:[0,1] neg_hi:[0,1]
	v_mov_b32_e32 v130, v117
	v_mov_b32_e32 v131, v134
	;; [unrolled: 1-line block ×3, first 2 shown]
	v_pk_add_f32 v[114:115], v[114:115], v[130:131] neg_lo:[0,1] neg_hi:[0,1]
	v_mov_b32_e32 v129, v116
	v_pk_add_f32 v[114:115], v[128:129], v[114:115] neg_lo:[0,1] neg_hi:[0,1]
	v_mov_b32_e32 v144, v132
	v_pk_add_f32 v[116:117], v[144:145], v[114:115]
	v_cmp_eq_f32_e64 s[56:57], s64, v146
	v_mov_b32_e32 v128, v117
	v_pk_add_f32 v[128:129], v[116:117], v[128:129]
	s_mov_b32 s64, 0x33800000
	v_pk_add_f32 v[118:119], v[118:119], v[128:129]
	v_mov_b32_e32 v115, v128
	v_mov_b32_e32 v117, v118
	v_pk_add_f32 v[130:131], v[116:117], v[132:133] neg_lo:[0,1] neg_hi:[0,1]
	v_cmp_lt_f32_e64 s[64:65], |v146|, s64
	v_sub_f32_e32 v116, v116, v130
	v_pk_add_f32 v[114:115], v[114:115], v[130:131] neg_lo:[0,1] neg_hi:[0,1]
	v_sub_f32_e32 v116, v132, v116
	v_add_f32_e32 v114, v114, v116
	v_add_f32_e32 v114, v114, v115
	;; [unrolled: 1-line block ×3, first 2 shown]
	s_or_b64 s[56:57], s[56:57], s[64:65]
	v_cndmask_b32_e64 v114, v114, v146, s[56:57]
	v_add_f32_e32 v115, v113, v114
.LBB121_344:
	s_or_b64 exec, exec, s[58:59]
	v_mov_b32_e32 v114, v115
.LBB121_345:
	s_or_b64 exec, exec, s[62:63]
	v_and_b32_e32 v113, 16, v3
	v_mov_b32_dpp v115, v114 row_bcast:15 row_mask:0xf bank_mask:0xf
	v_cmp_ne_u32_e64 s[56:57], 0, v113
	s_and_saveexec_b64 s[62:63], s[56:57]
	s_cbranch_execz .LBB121_349
; %bb.346:
	v_max_f32_e32 v113, v114, v114
	v_max_f32_e32 v117, v115, v115
	v_min_f32_e32 v116, v117, v113
	v_cmp_u_f32_e64 s[56:57], v115, v115
	v_max_f32_e32 v113, v117, v113
	v_cmp_u_f32_e64 s[58:59], v114, v114
	v_cndmask_b32_e64 v116, v116, v115, s[56:57]
	v_cndmask_b32_e64 v113, v113, v115, s[56:57]
	;; [unrolled: 1-line block ×4, first 2 shown]
	s_movk_i32 s58, 0x1f8
	v_cmp_neq_f32_e64 s[56:57], v116, v113
	v_cmp_class_f32_e64 s[58:59], v116, s58
	s_or_b64 s[56:57], s[56:57], s[58:59]
	s_and_saveexec_b64 s[58:59], s[56:57]
	s_cbranch_execz .LBB121_348
; %bb.347:
	v_sub_f32_e32 v114, v116, v113
	s_mov_b32 s56, 0x3fb8aa3b
	v_mul_f32_e32 v115, 0x3fb8aa3b, v114
	v_fma_f32 v116, v114, s56, -v115
	v_rndne_f32_e32 v117, v115
	v_fmamk_f32 v116, v114, 0x32a5705f, v116
	v_sub_f32_e32 v115, v115, v117
	v_add_f32_e32 v115, v115, v116
	v_exp_f32_e32 v115, v115
	v_cvt_i32_f32_e32 v116, v117
	s_mov_b32 s56, 0xc2ce8ed0
	v_cmp_ngt_f32_e64 s[56:57], s56, v114
	s_mov_b32 s64, 0x7f800000
	v_ldexp_f32 v115, v115, v116
	v_cndmask_b32_e64 v115, 0, v115, s[56:57]
	s_mov_b32 s56, 0x42b17218
	v_mov_b32_e32 v116, 0x7f800000
	v_cmp_nlt_f32_e64 s[56:57], s56, v114
	s_nop 1
	v_cndmask_b32_e64 v146, v116, v115, s[56:57]
	v_add_f32_e32 v116, 1.0, v146
	v_add_f32_e32 v114, -1.0, v116
	v_sub_f32_e32 v115, v114, v116
	v_add_f32_e32 v115, 1.0, v115
	v_sub_f32_e32 v114, v146, v114
	v_add_f32_e32 v117, v114, v115
	v_frexp_mant_f32_e32 v118, v116
	s_mov_b32 s56, 0x3f2aaaab
	v_cvt_f64_f32_e32 v[114:115], v116
	v_frexp_exp_i32_f64_e32 v114, v[114:115]
	v_cmp_gt_f32_e64 s[56:57], s56, v118
	s_nop 1
	v_subbrev_co_u32_e64 v130, s[56:57], 0, v114, s[56:57]
	v_sub_u32_e32 v114, 0, v130
	v_ldexp_f32 v115, v116, v114
	v_add_f32_e32 v116, -1.0, v115
	v_add_f32_e32 v118, 1.0, v115
	v_ldexp_f32 v114, v117, v114
	v_add_f32_e32 v117, 1.0, v116
	v_add_f32_e32 v119, -1.0, v118
	v_sub_f32_e32 v117, v115, v117
	v_sub_f32_e32 v115, v115, v119
	v_add_f32_e32 v117, v114, v117
	v_add_f32_e32 v114, v114, v115
	;; [unrolled: 1-line block ×3, first 2 shown]
	v_rcp_f32_e32 v133, v131
	v_sub_f32_e32 v115, v118, v131
	v_add_f32_e32 v132, v114, v115
	v_add_f32_e32 v115, v116, v117
	v_mul_f32_e32 v135, v115, v133
	v_sub_f32_e32 v114, v116, v115
	v_mul_f32_e32 v116, v131, v135
	v_fma_f32 v118, v135, v131, -v116
	v_fmac_f32_e32 v118, v135, v132
	v_add_f32_e32 v134, v117, v114
	v_add_f32_e32 v114, v116, v118
	v_sub_f32_e32 v117, v115, v114
	v_pk_add_f32 v[128:129], v[114:115], v[116:117] neg_lo:[0,1] neg_hi:[0,1]
	v_mov_b32_e32 v119, v114
	v_pk_add_f32 v[114:115], v[128:129], v[118:119] neg_lo:[0,1] neg_hi:[0,1]
	s_mov_b32 s56, 0x3f317218
	v_add_f32_e32 v115, v134, v115
	v_add_f32_e32 v114, v114, v115
	;; [unrolled: 1-line block ×3, first 2 shown]
	v_mul_f32_e32 v134, v133, v115
	v_mul_f32_e32 v116, v131, v134
	v_fma_f32 v118, v134, v131, -v116
	v_fmac_f32_e32 v118, v134, v132
	v_sub_f32_e32 v117, v117, v115
	v_add_f32_e32 v131, v114, v117
	v_add_f32_e32 v114, v116, v118
	v_sub_f32_e32 v117, v115, v114
	v_pk_add_f32 v[128:129], v[114:115], v[116:117] neg_lo:[0,1] neg_hi:[0,1]
	v_mov_b32_e32 v119, v114
	v_pk_add_f32 v[114:115], v[128:129], v[118:119] neg_lo:[0,1] neg_hi:[0,1]
	v_cvt_f32_i32_e32 v116, v130
	v_add_f32_e32 v115, v131, v115
	v_add_f32_e32 v114, v114, v115
	;; [unrolled: 1-line block ×4, first 2 shown]
	v_sub_f32_e32 v115, v117, v135
	v_mul_f32_e32 v114, v133, v114
	v_sub_f32_e32 v115, v134, v115
	v_add_f32_e32 v114, v115, v114
	v_add_f32_e32 v118, v117, v114
	v_mul_f32_e32 v128, v118, v118
	v_mov_b32_e32 v115, 0x3ecc95a3
	v_sub_f32_e32 v117, v118, v117
	v_fmac_f32_e32 v115, 0x3e9b6dac, v128
	v_sub_f32_e32 v114, v114, v117
	v_fmaak_f32 v115, v128, v115, 0x3f2aaada
	v_ldexp_f32 v129, v114, 1
	v_mul_f32_e32 v117, v118, v128
	v_mov_b32_e32 v114, 0x3f317218
	v_pk_mul_f32 v[114:115], v[116:117], v[114:115]
	v_ldexp_f32 v119, v118, 1
	v_fma_f32 v117, v116, s56, -v114
	v_fmamk_f32 v118, v116, 0xb102e308, v117
	v_pk_add_f32 v[116:117], v[114:115], v[118:119]
	v_mov_b32_e32 v128, v114
	v_sub_f32_e32 v119, v117, v119
	v_sub_f32_e32 v119, v115, v119
	v_add_f32_e32 v129, v129, v119
	v_pk_add_f32 v[114:115], v[116:117], v[114:115] neg_lo:[0,1] neg_hi:[0,1]
	v_pk_add_f32 v[130:131], v[116:117], v[128:129]
	v_mov_b32_e32 v119, v116
	v_mov_b32_e32 v115, v131
	v_pk_add_f32 v[132:133], v[118:119], v[114:115] neg_lo:[0,1] neg_hi:[0,1]
	v_pk_add_f32 v[114:115], v[118:119], v[114:115]
	v_mov_b32_e32 v128, v129
	v_mov_b32_e32 v118, v115
	v_pk_add_f32 v[134:135], v[118:119], v[116:117] neg_lo:[0,1] neg_hi:[0,1]
	v_mov_b32_e32 v114, v131
	v_mov_b32_e32 v119, v134
	v_pk_add_f32 v[144:145], v[130:131], v[118:119] neg_lo:[0,1] neg_hi:[0,1]
	v_mov_b32_e32 v130, v117
	v_mov_b32_e32 v131, v134
	;; [unrolled: 1-line block ×3, first 2 shown]
	v_pk_add_f32 v[114:115], v[114:115], v[130:131] neg_lo:[0,1] neg_hi:[0,1]
	v_mov_b32_e32 v129, v116
	v_pk_add_f32 v[114:115], v[128:129], v[114:115] neg_lo:[0,1] neg_hi:[0,1]
	v_mov_b32_e32 v144, v132
	v_pk_add_f32 v[116:117], v[144:145], v[114:115]
	v_cmp_eq_f32_e64 s[56:57], s64, v146
	v_mov_b32_e32 v128, v117
	v_pk_add_f32 v[128:129], v[116:117], v[128:129]
	s_mov_b32 s64, 0x33800000
	v_pk_add_f32 v[118:119], v[118:119], v[128:129]
	v_mov_b32_e32 v115, v128
	v_mov_b32_e32 v117, v118
	v_pk_add_f32 v[130:131], v[116:117], v[132:133] neg_lo:[0,1] neg_hi:[0,1]
	v_cmp_lt_f32_e64 s[64:65], |v146|, s64
	v_sub_f32_e32 v116, v116, v130
	v_pk_add_f32 v[114:115], v[114:115], v[130:131] neg_lo:[0,1] neg_hi:[0,1]
	v_sub_f32_e32 v116, v132, v116
	v_add_f32_e32 v114, v114, v116
	v_add_f32_e32 v114, v114, v115
	;; [unrolled: 1-line block ×3, first 2 shown]
	s_or_b64 s[56:57], s[56:57], s[64:65]
	v_cndmask_b32_e64 v114, v114, v146, s[56:57]
	v_add_f32_e32 v115, v113, v114
.LBB121_348:
	s_or_b64 exec, exec, s[58:59]
	v_mov_b32_e32 v114, v115
.LBB121_349:
	s_or_b64 exec, exec, s[62:63]
	s_nop 0
	v_mov_b32_dpp v115, v114 row_bcast:31 row_mask:0xf bank_mask:0xf
	v_cmp_lt_u32_e64 s[56:57], 31, v3
	s_and_saveexec_b64 s[62:63], s[56:57]
	s_cbranch_execz .LBB121_353
; %bb.350:
	v_max_f32_e32 v113, v114, v114
	v_max_f32_e32 v117, v115, v115
	v_min_f32_e32 v116, v117, v113
	v_cmp_u_f32_e64 s[56:57], v115, v115
	v_max_f32_e32 v113, v117, v113
	v_cmp_u_f32_e64 s[58:59], v114, v114
	v_cndmask_b32_e64 v116, v116, v115, s[56:57]
	v_cndmask_b32_e64 v113, v113, v115, s[56:57]
	;; [unrolled: 1-line block ×4, first 2 shown]
	s_movk_i32 s58, 0x1f8
	v_cmp_neq_f32_e64 s[56:57], v116, v113
	v_cmp_class_f32_e64 s[58:59], v116, s58
	s_or_b64 s[56:57], s[56:57], s[58:59]
	s_and_saveexec_b64 s[58:59], s[56:57]
	s_cbranch_execz .LBB121_352
; %bb.351:
	v_sub_f32_e32 v114, v116, v113
	s_mov_b32 s56, 0x3fb8aa3b
	v_mul_f32_e32 v115, 0x3fb8aa3b, v114
	v_fma_f32 v116, v114, s56, -v115
	v_rndne_f32_e32 v117, v115
	v_fmamk_f32 v116, v114, 0x32a5705f, v116
	v_sub_f32_e32 v115, v115, v117
	v_add_f32_e32 v115, v115, v116
	v_exp_f32_e32 v115, v115
	v_cvt_i32_f32_e32 v116, v117
	s_mov_b32 s56, 0xc2ce8ed0
	v_cmp_ngt_f32_e64 s[56:57], s56, v114
	s_mov_b32 s64, 0x7f800000
	v_ldexp_f32 v115, v115, v116
	v_cndmask_b32_e64 v115, 0, v115, s[56:57]
	s_mov_b32 s56, 0x42b17218
	v_mov_b32_e32 v116, 0x7f800000
	v_cmp_nlt_f32_e64 s[56:57], s56, v114
	s_nop 1
	v_cndmask_b32_e64 v146, v116, v115, s[56:57]
	v_add_f32_e32 v116, 1.0, v146
	v_add_f32_e32 v114, -1.0, v116
	v_sub_f32_e32 v115, v114, v116
	v_add_f32_e32 v115, 1.0, v115
	v_sub_f32_e32 v114, v146, v114
	v_add_f32_e32 v117, v114, v115
	v_frexp_mant_f32_e32 v118, v116
	s_mov_b32 s56, 0x3f2aaaab
	v_cvt_f64_f32_e32 v[114:115], v116
	v_frexp_exp_i32_f64_e32 v114, v[114:115]
	v_cmp_gt_f32_e64 s[56:57], s56, v118
	s_nop 1
	v_subbrev_co_u32_e64 v130, s[56:57], 0, v114, s[56:57]
	v_sub_u32_e32 v114, 0, v130
	v_ldexp_f32 v115, v116, v114
	v_add_f32_e32 v116, -1.0, v115
	v_add_f32_e32 v118, 1.0, v115
	v_ldexp_f32 v114, v117, v114
	v_add_f32_e32 v117, 1.0, v116
	v_add_f32_e32 v119, -1.0, v118
	v_sub_f32_e32 v117, v115, v117
	v_sub_f32_e32 v115, v115, v119
	v_add_f32_e32 v117, v114, v117
	v_add_f32_e32 v114, v114, v115
	;; [unrolled: 1-line block ×3, first 2 shown]
	v_rcp_f32_e32 v133, v131
	v_sub_f32_e32 v115, v118, v131
	v_add_f32_e32 v132, v114, v115
	v_add_f32_e32 v115, v116, v117
	v_mul_f32_e32 v135, v115, v133
	v_sub_f32_e32 v114, v116, v115
	v_mul_f32_e32 v116, v131, v135
	v_fma_f32 v118, v135, v131, -v116
	v_fmac_f32_e32 v118, v135, v132
	v_add_f32_e32 v134, v117, v114
	v_add_f32_e32 v114, v116, v118
	v_sub_f32_e32 v117, v115, v114
	v_pk_add_f32 v[128:129], v[114:115], v[116:117] neg_lo:[0,1] neg_hi:[0,1]
	v_mov_b32_e32 v119, v114
	v_pk_add_f32 v[114:115], v[128:129], v[118:119] neg_lo:[0,1] neg_hi:[0,1]
	s_mov_b32 s56, 0x3f317218
	v_add_f32_e32 v115, v134, v115
	v_add_f32_e32 v114, v114, v115
	;; [unrolled: 1-line block ×3, first 2 shown]
	v_mul_f32_e32 v134, v133, v115
	v_mul_f32_e32 v116, v131, v134
	v_fma_f32 v118, v134, v131, -v116
	v_fmac_f32_e32 v118, v134, v132
	v_sub_f32_e32 v117, v117, v115
	v_add_f32_e32 v131, v114, v117
	v_add_f32_e32 v114, v116, v118
	v_sub_f32_e32 v117, v115, v114
	v_pk_add_f32 v[128:129], v[114:115], v[116:117] neg_lo:[0,1] neg_hi:[0,1]
	v_mov_b32_e32 v119, v114
	v_pk_add_f32 v[114:115], v[128:129], v[118:119] neg_lo:[0,1] neg_hi:[0,1]
	v_cvt_f32_i32_e32 v116, v130
	v_add_f32_e32 v115, v131, v115
	v_add_f32_e32 v114, v114, v115
	;; [unrolled: 1-line block ×4, first 2 shown]
	v_sub_f32_e32 v115, v117, v135
	v_mul_f32_e32 v114, v133, v114
	v_sub_f32_e32 v115, v134, v115
	v_add_f32_e32 v114, v115, v114
	v_add_f32_e32 v118, v117, v114
	v_mul_f32_e32 v128, v118, v118
	v_mov_b32_e32 v115, 0x3ecc95a3
	v_sub_f32_e32 v117, v118, v117
	v_fmac_f32_e32 v115, 0x3e9b6dac, v128
	v_sub_f32_e32 v114, v114, v117
	v_fmaak_f32 v115, v128, v115, 0x3f2aaada
	v_ldexp_f32 v129, v114, 1
	v_mul_f32_e32 v117, v118, v128
	v_mov_b32_e32 v114, 0x3f317218
	v_pk_mul_f32 v[114:115], v[116:117], v[114:115]
	v_ldexp_f32 v119, v118, 1
	v_fma_f32 v117, v116, s56, -v114
	v_fmamk_f32 v118, v116, 0xb102e308, v117
	v_pk_add_f32 v[116:117], v[114:115], v[118:119]
	v_mov_b32_e32 v128, v114
	v_sub_f32_e32 v119, v117, v119
	v_sub_f32_e32 v119, v115, v119
	v_add_f32_e32 v129, v129, v119
	v_pk_add_f32 v[114:115], v[116:117], v[114:115] neg_lo:[0,1] neg_hi:[0,1]
	v_pk_add_f32 v[130:131], v[116:117], v[128:129]
	v_mov_b32_e32 v119, v116
	v_mov_b32_e32 v115, v131
	v_pk_add_f32 v[132:133], v[118:119], v[114:115] neg_lo:[0,1] neg_hi:[0,1]
	v_pk_add_f32 v[114:115], v[118:119], v[114:115]
	v_mov_b32_e32 v128, v129
	v_mov_b32_e32 v118, v115
	v_pk_add_f32 v[134:135], v[118:119], v[116:117] neg_lo:[0,1] neg_hi:[0,1]
	v_mov_b32_e32 v114, v131
	v_mov_b32_e32 v119, v134
	v_pk_add_f32 v[144:145], v[130:131], v[118:119] neg_lo:[0,1] neg_hi:[0,1]
	v_mov_b32_e32 v130, v117
	v_mov_b32_e32 v131, v134
	;; [unrolled: 1-line block ×3, first 2 shown]
	v_pk_add_f32 v[114:115], v[114:115], v[130:131] neg_lo:[0,1] neg_hi:[0,1]
	v_mov_b32_e32 v129, v116
	v_pk_add_f32 v[114:115], v[128:129], v[114:115] neg_lo:[0,1] neg_hi:[0,1]
	v_mov_b32_e32 v144, v132
	v_pk_add_f32 v[116:117], v[144:145], v[114:115]
	v_cmp_eq_f32_e64 s[56:57], s64, v146
	v_mov_b32_e32 v128, v117
	v_pk_add_f32 v[128:129], v[116:117], v[128:129]
	s_mov_b32 s64, 0x33800000
	v_pk_add_f32 v[118:119], v[118:119], v[128:129]
	v_mov_b32_e32 v115, v128
	v_mov_b32_e32 v117, v118
	v_pk_add_f32 v[130:131], v[116:117], v[132:133] neg_lo:[0,1] neg_hi:[0,1]
	v_cmp_lt_f32_e64 s[64:65], |v146|, s64
	v_sub_f32_e32 v116, v116, v130
	v_pk_add_f32 v[114:115], v[114:115], v[130:131] neg_lo:[0,1] neg_hi:[0,1]
	v_sub_f32_e32 v116, v132, v116
	v_add_f32_e32 v114, v114, v116
	v_add_f32_e32 v114, v114, v115
	;; [unrolled: 1-line block ×3, first 2 shown]
	s_or_b64 s[56:57], s[56:57], s[64:65]
	v_cndmask_b32_e64 v114, v114, v146, s[56:57]
	v_add_f32_e32 v115, v113, v114
.LBB121_352:
	s_or_b64 exec, exec, s[58:59]
	v_mov_b32_e32 v114, v115
.LBB121_353:
	s_or_b64 exec, exec, s[62:63]
	v_add_u32_e32 v113, -1, v3
	v_and_b32_e32 v115, 64, v3
	v_cmp_lt_i32_e64 s[56:57], v113, v115
	s_movk_i32 s58, 0x1f8
	s_nop 0
	v_cndmask_b32_e64 v3, v113, v3, s[56:57]
	v_lshlrev_b32_e32 v3, 2, v3
	ds_bpermute_b32 v3, v3, v114
	s_waitcnt lgkmcnt(0)
	v_max_f32_e32 v113, v3, v3
	v_min_f32_e32 v114, v113, v112
	v_max_f32_e32 v113, v113, v112
	v_cmp_u_f32_e64 s[56:57], v3, v3
	s_nop 1
	v_cndmask_b32_e64 v112, v114, v3, s[56:57]
	v_cndmask_b32_e64 v113, v113, v3, s[56:57]
	;; [unrolled: 1-line block ×4, first 2 shown]
	v_cmp_neq_f32_e64 s[54:55], v112, v2
	v_cmp_class_f32_e64 s[56:57], v112, s58
	s_or_b64 s[54:55], s[54:55], s[56:57]
	s_and_saveexec_b64 s[56:57], s[54:55]
	s_cbranch_execz .LBB121_355
; %bb.354:
	v_sub_f32_e32 v3, v112, v2
	s_mov_b32 s54, 0x3fb8aa3b
	v_mul_f32_e32 v112, 0x3fb8aa3b, v3
	v_fma_f32 v113, v3, s54, -v112
	v_rndne_f32_e32 v114, v112
	v_fmamk_f32 v113, v3, 0x32a5705f, v113
	v_sub_f32_e32 v112, v112, v114
	v_add_f32_e32 v112, v112, v113
	v_exp_f32_e32 v112, v112
	v_cvt_i32_f32_e32 v113, v114
	s_mov_b32 s54, 0xc2ce8ed0
	v_cmp_ngt_f32_e64 s[54:55], s54, v3
	s_mov_b32 s59, 0x7f800000
	v_ldexp_f32 v112, v112, v113
	v_cndmask_b32_e64 v112, 0, v112, s[54:55]
	s_mov_b32 s54, 0x42b17218
	v_mov_b32_e32 v113, 0x7f800000
	v_cmp_nlt_f32_e64 s[54:55], s54, v3
	s_nop 1
	v_cndmask_b32_e64 v144, v113, v112, s[54:55]
	v_add_f32_e32 v3, 1.0, v144
	v_add_f32_e32 v112, -1.0, v3
	v_sub_f32_e32 v113, v112, v3
	v_add_f32_e32 v113, 1.0, v113
	v_sub_f32_e32 v112, v144, v112
	v_add_f32_e32 v114, v112, v113
	v_frexp_mant_f32_e32 v115, v3
	s_mov_b32 s54, 0x3f2aaaab
	v_cvt_f64_f32_e32 v[112:113], v3
	v_frexp_exp_i32_f64_e32 v112, v[112:113]
	v_cmp_gt_f32_e64 s[54:55], s54, v115
	s_nop 1
	v_subbrev_co_u32_e64 v128, s[54:55], 0, v112, s[54:55]
	v_sub_u32_e32 v112, 0, v128
	v_ldexp_f32 v3, v3, v112
	v_ldexp_f32 v112, v114, v112
	v_add_f32_e32 v114, -1.0, v3
	v_add_f32_e32 v113, 1.0, v114
	v_sub_f32_e32 v113, v3, v113
	v_add_f32_e32 v115, v112, v113
	v_add_f32_e32 v113, 1.0, v3
	v_add_f32_e32 v116, -1.0, v113
	v_sub_f32_e32 v3, v3, v116
	v_add_f32_e32 v3, v112, v3
	v_add_f32_e32 v129, v113, v3
	v_rcp_f32_e32 v130, v129
	v_sub_f32_e32 v112, v113, v129
	v_add_f32_e32 v113, v114, v115
	v_add_f32_e32 v3, v3, v112
	v_mul_f32_e32 v132, v113, v130
	v_sub_f32_e32 v112, v114, v113
	v_mul_f32_e32 v114, v129, v132
	v_fma_f32 v116, v132, v129, -v114
	v_fmac_f32_e32 v116, v132, v3
	v_add_f32_e32 v131, v115, v112
	v_add_f32_e32 v112, v114, v116
	v_sub_f32_e32 v115, v113, v112
	v_pk_add_f32 v[118:119], v[112:113], v[114:115] neg_lo:[0,1] neg_hi:[0,1]
	v_mov_b32_e32 v117, v112
	v_pk_add_f32 v[112:113], v[118:119], v[116:117] neg_lo:[0,1] neg_hi:[0,1]
	s_mov_b32 s54, 0x3f317218
	v_add_f32_e32 v113, v131, v113
	v_add_f32_e32 v112, v112, v113
	;; [unrolled: 1-line block ×3, first 2 shown]
	v_mul_f32_e32 v131, v130, v113
	v_mul_f32_e32 v114, v129, v131
	v_fma_f32 v116, v131, v129, -v114
	v_fmac_f32_e32 v116, v131, v3
	v_sub_f32_e32 v3, v115, v113
	v_add_f32_e32 v3, v112, v3
	v_add_f32_e32 v112, v114, v116
	v_sub_f32_e32 v115, v113, v112
	v_pk_add_f32 v[118:119], v[112:113], v[114:115] neg_lo:[0,1] neg_hi:[0,1]
	v_mov_b32_e32 v117, v112
	v_pk_add_f32 v[112:113], v[118:119], v[116:117] neg_lo:[0,1] neg_hi:[0,1]
	v_cvt_f32_i32_e32 v114, v128
	v_add_f32_e32 v3, v3, v113
	v_add_f32_e32 v3, v112, v3
	;; [unrolled: 1-line block ×4, first 2 shown]
	v_sub_f32_e32 v113, v112, v132
	v_mul_f32_e32 v3, v130, v3
	v_sub_f32_e32 v113, v131, v113
	v_add_f32_e32 v3, v113, v3
	v_add_f32_e32 v115, v112, v3
	v_mul_f32_e32 v116, v115, v115
	v_mov_b32_e32 v113, 0x3ecc95a3
	v_fmac_f32_e32 v113, 0x3e9b6dac, v116
	v_sub_f32_e32 v112, v115, v112
	v_fmaak_f32 v113, v116, v113, 0x3f2aaada
	v_sub_f32_e32 v3, v3, v112
	v_ldexp_f32 v117, v115, 1
	v_mul_f32_e32 v115, v115, v116
	v_mov_b32_e32 v112, 0x3f317218
	v_pk_mul_f32 v[112:113], v[114:115], v[112:113]
	v_ldexp_f32 v3, v3, 1
	v_fma_f32 v115, v114, s54, -v112
	v_fmamk_f32 v116, v114, 0xb102e308, v115
	v_pk_add_f32 v[114:115], v[112:113], v[116:117]
	v_mov_b32_e32 v118, v112
	v_sub_f32_e32 v117, v115, v117
	v_sub_f32_e32 v117, v113, v117
	v_add_f32_e32 v119, v3, v117
	v_pk_add_f32 v[112:113], v[114:115], v[112:113] neg_lo:[0,1] neg_hi:[0,1]
	v_pk_add_f32 v[128:129], v[114:115], v[118:119]
	v_mov_b32_e32 v117, v114
	v_mov_b32_e32 v113, v129
	v_pk_add_f32 v[130:131], v[116:117], v[112:113] neg_lo:[0,1] neg_hi:[0,1]
	v_pk_add_f32 v[112:113], v[116:117], v[112:113]
	v_mov_b32_e32 v118, v119
	v_mov_b32_e32 v116, v113
	v_pk_add_f32 v[132:133], v[116:117], v[114:115] neg_lo:[0,1] neg_hi:[0,1]
	v_mov_b32_e32 v112, v129
	v_mov_b32_e32 v3, v132
	v_pk_add_f32 v[134:135], v[128:129], v[2:3] neg_lo:[0,1] neg_hi:[0,1]
	v_mov_b32_e32 v128, v115
	v_mov_b32_e32 v129, v132
	;; [unrolled: 1-line block ×3, first 2 shown]
	v_pk_add_f32 v[112:113], v[112:113], v[128:129] neg_lo:[0,1] neg_hi:[0,1]
	v_mov_b32_e32 v119, v114
	v_pk_add_f32 v[112:113], v[118:119], v[112:113] neg_lo:[0,1] neg_hi:[0,1]
	v_mov_b32_e32 v134, v130
	v_pk_add_f32 v[114:115], v[134:135], v[112:113]
	v_cmp_eq_f32_e64 s[54:55], s59, v144
	v_mov_b32_e32 v118, v115
	v_pk_add_f32 v[118:119], v[114:115], v[118:119]
	s_mov_b32 s59, 0x33800000
	v_pk_add_f32 v[116:117], v[116:117], v[118:119]
	v_mov_b32_e32 v113, v118
	v_mov_b32_e32 v115, v116
	v_pk_add_f32 v[128:129], v[114:115], v[130:131] neg_lo:[0,1] neg_hi:[0,1]
	v_cmp_lt_f32_e64 s[62:63], |v144|, s59
	v_sub_f32_e32 v3, v114, v128
	v_pk_add_f32 v[112:113], v[112:113], v[128:129] neg_lo:[0,1] neg_hi:[0,1]
	v_sub_f32_e32 v3, v130, v3
	v_add_f32_e32 v3, v112, v3
	v_add_f32_e32 v3, v3, v113
	v_add_f32_e32 v3, v116, v3
	s_or_b64 s[54:55], s[54:55], s[62:63]
	v_cndmask_b32_e64 v3, v3, v144, s[54:55]
	v_add_f32_e32 v3, v2, v3
.LBB121_355:
	s_or_b64 exec, exec, s[56:57]
	v_cndmask_b32_e64 v3, v3, v53, s[4:5]
	; wave barrier
	ds_write_b32 v101, v3
	; wave barrier
	ds_read_b32 v2, v101 offset:4
	v_max_f32_e32 v113, v3, v3
	v_cmp_u_f32_e64 s[4:5], v3, v3
	s_waitcnt lgkmcnt(0)
	v_max_f32_e32 v114, v2, v2
	v_min_f32_e32 v112, v113, v114
	v_max_f32_e32 v113, v113, v114
	v_cndmask_b32_e64 v112, v112, v3, s[4:5]
	v_cmp_u_f32_e64 s[54:55], v2, v2
	v_cndmask_b32_e64 v113, v113, v3, s[4:5]
	s_nop 0
	v_cndmask_b32_e64 v112, v112, v2, s[54:55]
	v_cndmask_b32_e64 v2, v113, v2, s[54:55]
	v_cmp_neq_f32_e64 s[4:5], v112, v2
	v_cmp_class_f32_e64 s[54:55], v112, s58
	s_or_b64 s[4:5], s[4:5], s[54:55]
	s_and_saveexec_b64 s[54:55], s[4:5]
	s_cbranch_execz .LBB121_357
; %bb.356:
	v_sub_f32_e32 v3, v112, v2
	s_mov_b32 s4, 0x3fb8aa3b
	v_mul_f32_e32 v112, 0x3fb8aa3b, v3
	v_fma_f32 v113, v3, s4, -v112
	v_rndne_f32_e32 v114, v112
	v_fmamk_f32 v113, v3, 0x32a5705f, v113
	v_sub_f32_e32 v112, v112, v114
	v_add_f32_e32 v112, v112, v113
	v_exp_f32_e32 v112, v112
	v_cvt_i32_f32_e32 v113, v114
	s_mov_b32 s4, 0xc2ce8ed0
	v_cmp_ngt_f32_e64 s[4:5], s4, v3
	s_mov_b32 s56, 0x7f800000
	v_ldexp_f32 v112, v112, v113
	v_cndmask_b32_e64 v112, 0, v112, s[4:5]
	s_mov_b32 s4, 0x42b17218
	v_mov_b32_e32 v113, 0x7f800000
	v_cmp_nlt_f32_e64 s[4:5], s4, v3
	s_nop 1
	v_cndmask_b32_e64 v144, v113, v112, s[4:5]
	v_add_f32_e32 v3, 1.0, v144
	v_add_f32_e32 v112, -1.0, v3
	v_sub_f32_e32 v113, v112, v3
	v_add_f32_e32 v113, 1.0, v113
	v_sub_f32_e32 v112, v144, v112
	v_add_f32_e32 v114, v112, v113
	v_frexp_mant_f32_e32 v115, v3
	s_mov_b32 s4, 0x3f2aaaab
	v_cvt_f64_f32_e32 v[112:113], v3
	v_frexp_exp_i32_f64_e32 v112, v[112:113]
	v_cmp_gt_f32_e64 s[4:5], s4, v115
	s_nop 1
	v_subbrev_co_u32_e64 v128, s[4:5], 0, v112, s[4:5]
	v_sub_u32_e32 v112, 0, v128
	v_ldexp_f32 v3, v3, v112
	v_ldexp_f32 v112, v114, v112
	v_add_f32_e32 v114, -1.0, v3
	v_add_f32_e32 v113, 1.0, v114
	v_sub_f32_e32 v113, v3, v113
	v_add_f32_e32 v115, v112, v113
	v_add_f32_e32 v113, 1.0, v3
	v_add_f32_e32 v116, -1.0, v113
	v_sub_f32_e32 v3, v3, v116
	v_add_f32_e32 v3, v112, v3
	v_add_f32_e32 v129, v113, v3
	v_rcp_f32_e32 v130, v129
	v_sub_f32_e32 v112, v113, v129
	v_add_f32_e32 v113, v114, v115
	v_add_f32_e32 v3, v3, v112
	v_mul_f32_e32 v132, v113, v130
	v_sub_f32_e32 v112, v114, v113
	v_mul_f32_e32 v114, v129, v132
	v_fma_f32 v116, v132, v129, -v114
	v_fmac_f32_e32 v116, v132, v3
	v_add_f32_e32 v131, v115, v112
	v_add_f32_e32 v112, v114, v116
	v_sub_f32_e32 v115, v113, v112
	v_pk_add_f32 v[118:119], v[112:113], v[114:115] neg_lo:[0,1] neg_hi:[0,1]
	v_mov_b32_e32 v117, v112
	v_pk_add_f32 v[112:113], v[118:119], v[116:117] neg_lo:[0,1] neg_hi:[0,1]
	s_mov_b32 s4, 0x3f317218
	v_add_f32_e32 v113, v131, v113
	v_add_f32_e32 v112, v112, v113
	v_add_f32_e32 v113, v115, v112
	v_mul_f32_e32 v131, v130, v113
	v_mul_f32_e32 v114, v129, v131
	v_fma_f32 v116, v131, v129, -v114
	v_fmac_f32_e32 v116, v131, v3
	v_sub_f32_e32 v3, v115, v113
	v_add_f32_e32 v3, v112, v3
	v_add_f32_e32 v112, v114, v116
	v_sub_f32_e32 v115, v113, v112
	v_pk_add_f32 v[118:119], v[112:113], v[114:115] neg_lo:[0,1] neg_hi:[0,1]
	v_mov_b32_e32 v117, v112
	v_pk_add_f32 v[112:113], v[118:119], v[116:117] neg_lo:[0,1] neg_hi:[0,1]
	v_cvt_f32_i32_e32 v114, v128
	v_add_f32_e32 v3, v3, v113
	v_add_f32_e32 v3, v112, v3
	;; [unrolled: 1-line block ×4, first 2 shown]
	v_sub_f32_e32 v113, v112, v132
	v_mul_f32_e32 v3, v130, v3
	v_sub_f32_e32 v113, v131, v113
	v_add_f32_e32 v3, v113, v3
	v_add_f32_e32 v115, v112, v3
	v_mul_f32_e32 v116, v115, v115
	v_mov_b32_e32 v113, 0x3ecc95a3
	v_fmac_f32_e32 v113, 0x3e9b6dac, v116
	v_sub_f32_e32 v112, v115, v112
	v_fmaak_f32 v113, v116, v113, 0x3f2aaada
	v_sub_f32_e32 v3, v3, v112
	v_ldexp_f32 v117, v115, 1
	v_mul_f32_e32 v115, v115, v116
	v_mov_b32_e32 v112, 0x3f317218
	v_pk_mul_f32 v[112:113], v[114:115], v[112:113]
	v_ldexp_f32 v3, v3, 1
	v_fma_f32 v115, v114, s4, -v112
	v_fmamk_f32 v116, v114, 0xb102e308, v115
	v_pk_add_f32 v[114:115], v[112:113], v[116:117]
	v_mov_b32_e32 v118, v112
	v_sub_f32_e32 v117, v115, v117
	v_sub_f32_e32 v117, v113, v117
	v_add_f32_e32 v119, v3, v117
	v_pk_add_f32 v[112:113], v[114:115], v[112:113] neg_lo:[0,1] neg_hi:[0,1]
	v_pk_add_f32 v[128:129], v[114:115], v[118:119]
	v_mov_b32_e32 v117, v114
	v_mov_b32_e32 v113, v129
	v_pk_add_f32 v[130:131], v[116:117], v[112:113] neg_lo:[0,1] neg_hi:[0,1]
	v_pk_add_f32 v[112:113], v[116:117], v[112:113]
	v_mov_b32_e32 v118, v119
	v_mov_b32_e32 v116, v113
	v_pk_add_f32 v[132:133], v[116:117], v[114:115] neg_lo:[0,1] neg_hi:[0,1]
	v_mov_b32_e32 v112, v129
	v_mov_b32_e32 v3, v132
	v_pk_add_f32 v[134:135], v[128:129], v[2:3] neg_lo:[0,1] neg_hi:[0,1]
	v_mov_b32_e32 v128, v115
	v_mov_b32_e32 v129, v132
	;; [unrolled: 1-line block ×3, first 2 shown]
	v_pk_add_f32 v[112:113], v[112:113], v[128:129] neg_lo:[0,1] neg_hi:[0,1]
	v_mov_b32_e32 v119, v114
	v_pk_add_f32 v[112:113], v[118:119], v[112:113] neg_lo:[0,1] neg_hi:[0,1]
	v_mov_b32_e32 v134, v130
	v_pk_add_f32 v[114:115], v[134:135], v[112:113]
	v_cmp_eq_f32_e64 s[4:5], s56, v144
	v_mov_b32_e32 v118, v115
	v_pk_add_f32 v[118:119], v[114:115], v[118:119]
	s_mov_b32 s56, 0x33800000
	v_pk_add_f32 v[116:117], v[116:117], v[118:119]
	v_mov_b32_e32 v113, v118
	v_mov_b32_e32 v115, v116
	v_pk_add_f32 v[128:129], v[114:115], v[130:131] neg_lo:[0,1] neg_hi:[0,1]
	v_cmp_lt_f32_e64 s[56:57], |v144|, s56
	v_sub_f32_e32 v3, v114, v128
	v_pk_add_f32 v[112:113], v[112:113], v[128:129] neg_lo:[0,1] neg_hi:[0,1]
	v_sub_f32_e32 v3, v130, v3
	v_add_f32_e32 v3, v112, v3
	v_add_f32_e32 v3, v3, v113
	;; [unrolled: 1-line block ×3, first 2 shown]
	s_or_b64 s[4:5], s[4:5], s[56:57]
	v_cndmask_b32_e64 v3, v3, v144, s[4:5]
	v_add_f32_e32 v3, v2, v3
.LBB121_357:
	s_or_b64 exec, exec, s[54:55]
	ds_read_b32 v2, v101 offset:8
	v_max_f32_e32 v113, v3, v3
	v_cmp_u_f32_e64 s[4:5], v3, v3
	s_movk_i32 s56, 0x1f8
	ds_write_b32 v101, v3 offset:4
	s_waitcnt lgkmcnt(0)
	v_max_f32_e32 v114, v2, v2
	v_min_f32_e32 v112, v113, v114
	v_max_f32_e32 v113, v113, v114
	v_cndmask_b32_e64 v112, v112, v3, s[4:5]
	v_cmp_u_f32_e64 s[54:55], v2, v2
	v_cndmask_b32_e64 v113, v113, v3, s[4:5]
	s_nop 0
	v_cndmask_b32_e64 v112, v112, v2, s[54:55]
	v_cndmask_b32_e64 v2, v113, v2, s[54:55]
	v_cmp_neq_f32_e64 s[4:5], v112, v2
	v_cmp_class_f32_e64 s[54:55], v112, s56
	s_or_b64 s[4:5], s[4:5], s[54:55]
	s_and_saveexec_b64 s[54:55], s[4:5]
	s_cbranch_execz .LBB121_359
; %bb.358:
	v_sub_f32_e32 v3, v112, v2
	s_mov_b32 s4, 0x3fb8aa3b
	v_mul_f32_e32 v112, 0x3fb8aa3b, v3
	v_fma_f32 v113, v3, s4, -v112
	v_rndne_f32_e32 v114, v112
	v_fmamk_f32 v113, v3, 0x32a5705f, v113
	v_sub_f32_e32 v112, v112, v114
	v_add_f32_e32 v112, v112, v113
	v_exp_f32_e32 v112, v112
	v_cvt_i32_f32_e32 v113, v114
	s_mov_b32 s4, 0xc2ce8ed0
	v_cmp_ngt_f32_e64 s[4:5], s4, v3
	s_mov_b32 s57, 0x7f800000
	v_ldexp_f32 v112, v112, v113
	v_cndmask_b32_e64 v112, 0, v112, s[4:5]
	s_mov_b32 s4, 0x42b17218
	v_mov_b32_e32 v113, 0x7f800000
	v_cmp_nlt_f32_e64 s[4:5], s4, v3
	s_nop 1
	v_cndmask_b32_e64 v144, v113, v112, s[4:5]
	v_add_f32_e32 v3, 1.0, v144
	v_add_f32_e32 v112, -1.0, v3
	v_sub_f32_e32 v113, v112, v3
	v_add_f32_e32 v113, 1.0, v113
	v_sub_f32_e32 v112, v144, v112
	v_add_f32_e32 v114, v112, v113
	v_frexp_mant_f32_e32 v115, v3
	s_mov_b32 s4, 0x3f2aaaab
	v_cvt_f64_f32_e32 v[112:113], v3
	v_frexp_exp_i32_f64_e32 v112, v[112:113]
	v_cmp_gt_f32_e64 s[4:5], s4, v115
	s_nop 1
	v_subbrev_co_u32_e64 v128, s[4:5], 0, v112, s[4:5]
	v_sub_u32_e32 v112, 0, v128
	v_ldexp_f32 v3, v3, v112
	v_ldexp_f32 v112, v114, v112
	v_add_f32_e32 v114, -1.0, v3
	v_add_f32_e32 v113, 1.0, v114
	v_sub_f32_e32 v113, v3, v113
	v_add_f32_e32 v115, v112, v113
	v_add_f32_e32 v113, 1.0, v3
	v_add_f32_e32 v116, -1.0, v113
	v_sub_f32_e32 v3, v3, v116
	v_add_f32_e32 v3, v112, v3
	v_add_f32_e32 v129, v113, v3
	v_rcp_f32_e32 v130, v129
	v_sub_f32_e32 v112, v113, v129
	v_add_f32_e32 v113, v114, v115
	v_add_f32_e32 v3, v3, v112
	v_mul_f32_e32 v132, v113, v130
	v_sub_f32_e32 v112, v114, v113
	v_mul_f32_e32 v114, v129, v132
	v_fma_f32 v116, v132, v129, -v114
	v_fmac_f32_e32 v116, v132, v3
	v_add_f32_e32 v131, v115, v112
	v_add_f32_e32 v112, v114, v116
	v_sub_f32_e32 v115, v113, v112
	v_pk_add_f32 v[118:119], v[112:113], v[114:115] neg_lo:[0,1] neg_hi:[0,1]
	v_mov_b32_e32 v117, v112
	v_pk_add_f32 v[112:113], v[118:119], v[116:117] neg_lo:[0,1] neg_hi:[0,1]
	s_mov_b32 s4, 0x3f317218
	v_add_f32_e32 v113, v131, v113
	v_add_f32_e32 v112, v112, v113
	;; [unrolled: 1-line block ×3, first 2 shown]
	v_mul_f32_e32 v131, v130, v113
	v_mul_f32_e32 v114, v129, v131
	v_fma_f32 v116, v131, v129, -v114
	v_fmac_f32_e32 v116, v131, v3
	v_sub_f32_e32 v3, v115, v113
	v_add_f32_e32 v3, v112, v3
	v_add_f32_e32 v112, v114, v116
	v_sub_f32_e32 v115, v113, v112
	v_pk_add_f32 v[118:119], v[112:113], v[114:115] neg_lo:[0,1] neg_hi:[0,1]
	v_mov_b32_e32 v117, v112
	v_pk_add_f32 v[112:113], v[118:119], v[116:117] neg_lo:[0,1] neg_hi:[0,1]
	v_cvt_f32_i32_e32 v114, v128
	v_add_f32_e32 v3, v3, v113
	v_add_f32_e32 v3, v112, v3
	;; [unrolled: 1-line block ×4, first 2 shown]
	v_sub_f32_e32 v113, v112, v132
	v_mul_f32_e32 v3, v130, v3
	v_sub_f32_e32 v113, v131, v113
	v_add_f32_e32 v3, v113, v3
	v_add_f32_e32 v115, v112, v3
	v_mul_f32_e32 v116, v115, v115
	v_mov_b32_e32 v113, 0x3ecc95a3
	v_fmac_f32_e32 v113, 0x3e9b6dac, v116
	v_sub_f32_e32 v112, v115, v112
	v_fmaak_f32 v113, v116, v113, 0x3f2aaada
	v_sub_f32_e32 v3, v3, v112
	v_ldexp_f32 v117, v115, 1
	v_mul_f32_e32 v115, v115, v116
	v_mov_b32_e32 v112, 0x3f317218
	v_pk_mul_f32 v[112:113], v[114:115], v[112:113]
	v_ldexp_f32 v3, v3, 1
	v_fma_f32 v115, v114, s4, -v112
	v_fmamk_f32 v116, v114, 0xb102e308, v115
	v_pk_add_f32 v[114:115], v[112:113], v[116:117]
	v_mov_b32_e32 v118, v112
	v_sub_f32_e32 v117, v115, v117
	v_sub_f32_e32 v117, v113, v117
	v_add_f32_e32 v119, v3, v117
	v_pk_add_f32 v[112:113], v[114:115], v[112:113] neg_lo:[0,1] neg_hi:[0,1]
	v_pk_add_f32 v[128:129], v[114:115], v[118:119]
	v_mov_b32_e32 v117, v114
	v_mov_b32_e32 v113, v129
	v_pk_add_f32 v[130:131], v[116:117], v[112:113] neg_lo:[0,1] neg_hi:[0,1]
	v_pk_add_f32 v[112:113], v[116:117], v[112:113]
	v_mov_b32_e32 v118, v119
	v_mov_b32_e32 v116, v113
	v_pk_add_f32 v[132:133], v[116:117], v[114:115] neg_lo:[0,1] neg_hi:[0,1]
	v_mov_b32_e32 v112, v129
	v_mov_b32_e32 v3, v132
	v_pk_add_f32 v[134:135], v[128:129], v[2:3] neg_lo:[0,1] neg_hi:[0,1]
	v_mov_b32_e32 v128, v115
	v_mov_b32_e32 v129, v132
	;; [unrolled: 1-line block ×3, first 2 shown]
	v_pk_add_f32 v[112:113], v[112:113], v[128:129] neg_lo:[0,1] neg_hi:[0,1]
	v_mov_b32_e32 v119, v114
	v_pk_add_f32 v[112:113], v[118:119], v[112:113] neg_lo:[0,1] neg_hi:[0,1]
	v_mov_b32_e32 v134, v130
	v_pk_add_f32 v[114:115], v[134:135], v[112:113]
	v_cmp_eq_f32_e64 s[4:5], s57, v144
	v_mov_b32_e32 v118, v115
	v_pk_add_f32 v[118:119], v[114:115], v[118:119]
	s_mov_b32 s57, 0x33800000
	v_pk_add_f32 v[116:117], v[116:117], v[118:119]
	v_mov_b32_e32 v113, v118
	v_mov_b32_e32 v115, v116
	v_pk_add_f32 v[128:129], v[114:115], v[130:131] neg_lo:[0,1] neg_hi:[0,1]
	v_cmp_lt_f32_e64 s[58:59], |v144|, s57
	v_sub_f32_e32 v3, v114, v128
	v_pk_add_f32 v[112:113], v[112:113], v[128:129] neg_lo:[0,1] neg_hi:[0,1]
	v_sub_f32_e32 v3, v130, v3
	v_add_f32_e32 v3, v112, v3
	v_add_f32_e32 v3, v3, v113
	;; [unrolled: 1-line block ×3, first 2 shown]
	s_or_b64 s[4:5], s[4:5], s[58:59]
	v_cndmask_b32_e64 v3, v3, v144, s[4:5]
	v_add_f32_e32 v3, v2, v3
.LBB121_359:
	s_or_b64 exec, exec, s[54:55]
	ds_read_b32 v2, v101 offset:12
	v_max_f32_e32 v113, v3, v3
	v_cmp_u_f32_e64 s[4:5], v3, v3
	ds_write_b32 v101, v3 offset:8
	s_waitcnt lgkmcnt(0)
	v_max_f32_e32 v114, v2, v2
	v_min_f32_e32 v112, v113, v114
	v_max_f32_e32 v113, v113, v114
	v_cndmask_b32_e64 v112, v112, v3, s[4:5]
	v_cmp_u_f32_e64 s[54:55], v2, v2
	v_cndmask_b32_e64 v113, v113, v3, s[4:5]
	s_nop 0
	v_cndmask_b32_e64 v112, v112, v2, s[54:55]
	v_cndmask_b32_e64 v2, v113, v2, s[54:55]
	v_cmp_neq_f32_e64 s[4:5], v112, v2
	v_cmp_class_f32_e64 s[54:55], v112, s56
	s_or_b64 s[4:5], s[4:5], s[54:55]
	s_and_saveexec_b64 s[54:55], s[4:5]
	s_cbranch_execz .LBB121_361
; %bb.360:
	v_sub_f32_e32 v3, v112, v2
	s_mov_b32 s4, 0x3fb8aa3b
	v_mul_f32_e32 v112, 0x3fb8aa3b, v3
	v_fma_f32 v113, v3, s4, -v112
	v_rndne_f32_e32 v114, v112
	v_fmamk_f32 v113, v3, 0x32a5705f, v113
	v_sub_f32_e32 v112, v112, v114
	v_add_f32_e32 v112, v112, v113
	v_exp_f32_e32 v112, v112
	v_cvt_i32_f32_e32 v113, v114
	s_mov_b32 s4, 0xc2ce8ed0
	v_cmp_ngt_f32_e64 s[4:5], s4, v3
	s_mov_b32 s56, 0x7f800000
	v_ldexp_f32 v112, v112, v113
	v_cndmask_b32_e64 v112, 0, v112, s[4:5]
	s_mov_b32 s4, 0x42b17218
	v_mov_b32_e32 v113, 0x7f800000
	v_cmp_nlt_f32_e64 s[4:5], s4, v3
	s_nop 1
	v_cndmask_b32_e64 v144, v113, v112, s[4:5]
	v_add_f32_e32 v3, 1.0, v144
	v_add_f32_e32 v112, -1.0, v3
	v_sub_f32_e32 v113, v112, v3
	v_add_f32_e32 v113, 1.0, v113
	v_sub_f32_e32 v112, v144, v112
	v_add_f32_e32 v114, v112, v113
	v_frexp_mant_f32_e32 v115, v3
	s_mov_b32 s4, 0x3f2aaaab
	v_cvt_f64_f32_e32 v[112:113], v3
	v_frexp_exp_i32_f64_e32 v112, v[112:113]
	v_cmp_gt_f32_e64 s[4:5], s4, v115
	s_nop 1
	v_subbrev_co_u32_e64 v128, s[4:5], 0, v112, s[4:5]
	v_sub_u32_e32 v112, 0, v128
	v_ldexp_f32 v3, v3, v112
	v_ldexp_f32 v112, v114, v112
	v_add_f32_e32 v114, -1.0, v3
	v_add_f32_e32 v113, 1.0, v114
	v_sub_f32_e32 v113, v3, v113
	v_add_f32_e32 v115, v112, v113
	v_add_f32_e32 v113, 1.0, v3
	v_add_f32_e32 v116, -1.0, v113
	v_sub_f32_e32 v3, v3, v116
	v_add_f32_e32 v3, v112, v3
	v_add_f32_e32 v129, v113, v3
	v_rcp_f32_e32 v130, v129
	v_sub_f32_e32 v112, v113, v129
	v_add_f32_e32 v113, v114, v115
	v_add_f32_e32 v3, v3, v112
	v_mul_f32_e32 v132, v113, v130
	v_sub_f32_e32 v112, v114, v113
	v_mul_f32_e32 v114, v129, v132
	v_fma_f32 v116, v132, v129, -v114
	v_fmac_f32_e32 v116, v132, v3
	v_add_f32_e32 v131, v115, v112
	v_add_f32_e32 v112, v114, v116
	v_sub_f32_e32 v115, v113, v112
	v_pk_add_f32 v[118:119], v[112:113], v[114:115] neg_lo:[0,1] neg_hi:[0,1]
	v_mov_b32_e32 v117, v112
	v_pk_add_f32 v[112:113], v[118:119], v[116:117] neg_lo:[0,1] neg_hi:[0,1]
	s_mov_b32 s4, 0x3f317218
	v_add_f32_e32 v113, v131, v113
	v_add_f32_e32 v112, v112, v113
	;; [unrolled: 1-line block ×3, first 2 shown]
	v_mul_f32_e32 v131, v130, v113
	v_mul_f32_e32 v114, v129, v131
	v_fma_f32 v116, v131, v129, -v114
	v_fmac_f32_e32 v116, v131, v3
	v_sub_f32_e32 v3, v115, v113
	v_add_f32_e32 v3, v112, v3
	v_add_f32_e32 v112, v114, v116
	v_sub_f32_e32 v115, v113, v112
	v_pk_add_f32 v[118:119], v[112:113], v[114:115] neg_lo:[0,1] neg_hi:[0,1]
	v_mov_b32_e32 v117, v112
	v_pk_add_f32 v[112:113], v[118:119], v[116:117] neg_lo:[0,1] neg_hi:[0,1]
	v_cvt_f32_i32_e32 v114, v128
	v_add_f32_e32 v3, v3, v113
	v_add_f32_e32 v3, v112, v3
	;; [unrolled: 1-line block ×4, first 2 shown]
	v_sub_f32_e32 v113, v112, v132
	v_mul_f32_e32 v3, v130, v3
	v_sub_f32_e32 v113, v131, v113
	v_add_f32_e32 v3, v113, v3
	v_add_f32_e32 v115, v112, v3
	v_mul_f32_e32 v116, v115, v115
	v_mov_b32_e32 v113, 0x3ecc95a3
	v_fmac_f32_e32 v113, 0x3e9b6dac, v116
	v_sub_f32_e32 v112, v115, v112
	v_fmaak_f32 v113, v116, v113, 0x3f2aaada
	v_sub_f32_e32 v3, v3, v112
	v_ldexp_f32 v117, v115, 1
	v_mul_f32_e32 v115, v115, v116
	v_mov_b32_e32 v112, 0x3f317218
	v_pk_mul_f32 v[112:113], v[114:115], v[112:113]
	v_ldexp_f32 v3, v3, 1
	v_fma_f32 v115, v114, s4, -v112
	v_fmamk_f32 v116, v114, 0xb102e308, v115
	v_pk_add_f32 v[114:115], v[112:113], v[116:117]
	v_mov_b32_e32 v118, v112
	v_sub_f32_e32 v117, v115, v117
	v_sub_f32_e32 v117, v113, v117
	v_add_f32_e32 v119, v3, v117
	v_pk_add_f32 v[112:113], v[114:115], v[112:113] neg_lo:[0,1] neg_hi:[0,1]
	v_pk_add_f32 v[128:129], v[114:115], v[118:119]
	v_mov_b32_e32 v117, v114
	v_mov_b32_e32 v113, v129
	v_pk_add_f32 v[130:131], v[116:117], v[112:113] neg_lo:[0,1] neg_hi:[0,1]
	v_pk_add_f32 v[112:113], v[116:117], v[112:113]
	v_mov_b32_e32 v118, v119
	v_mov_b32_e32 v116, v113
	v_pk_add_f32 v[132:133], v[116:117], v[114:115] neg_lo:[0,1] neg_hi:[0,1]
	v_mov_b32_e32 v112, v129
	v_mov_b32_e32 v3, v132
	v_pk_add_f32 v[134:135], v[128:129], v[2:3] neg_lo:[0,1] neg_hi:[0,1]
	v_mov_b32_e32 v128, v115
	v_mov_b32_e32 v129, v132
	;; [unrolled: 1-line block ×3, first 2 shown]
	v_pk_add_f32 v[112:113], v[112:113], v[128:129] neg_lo:[0,1] neg_hi:[0,1]
	v_mov_b32_e32 v119, v114
	v_pk_add_f32 v[112:113], v[118:119], v[112:113] neg_lo:[0,1] neg_hi:[0,1]
	v_mov_b32_e32 v134, v130
	v_pk_add_f32 v[114:115], v[134:135], v[112:113]
	v_cmp_eq_f32_e64 s[4:5], s56, v144
	v_mov_b32_e32 v118, v115
	v_pk_add_f32 v[118:119], v[114:115], v[118:119]
	s_mov_b32 s56, 0x33800000
	v_pk_add_f32 v[116:117], v[116:117], v[118:119]
	v_mov_b32_e32 v113, v118
	v_mov_b32_e32 v115, v116
	v_pk_add_f32 v[128:129], v[114:115], v[130:131] neg_lo:[0,1] neg_hi:[0,1]
	v_cmp_lt_f32_e64 s[56:57], |v144|, s56
	v_sub_f32_e32 v3, v114, v128
	v_pk_add_f32 v[112:113], v[112:113], v[128:129] neg_lo:[0,1] neg_hi:[0,1]
	v_sub_f32_e32 v3, v130, v3
	v_add_f32_e32 v3, v112, v3
	v_add_f32_e32 v3, v3, v113
	;; [unrolled: 1-line block ×3, first 2 shown]
	s_or_b64 s[4:5], s[4:5], s[56:57]
	v_cndmask_b32_e64 v3, v3, v144, s[4:5]
	v_add_f32_e32 v3, v2, v3
.LBB121_361:
	s_or_b64 exec, exec, s[54:55]
	ds_write_b32 v101, v3 offset:12
.LBB121_362:
	s_or_b64 exec, exec, s[60:61]
	s_waitcnt lgkmcnt(0)
	s_barrier
	s_and_saveexec_b64 s[4:5], s[2:3]
	s_cbranch_execz .LBB121_364
; %bb.363:
	v_add_u32_e32 v2, -1, v100
	v_lshrrev_b32_e32 v3, 5, v2
	v_add_lshl_u32 v2, v3, v2, 2
	ds_read_b32 v53, v2
.LBB121_364:
	s_or_b64 exec, exec, s[4:5]
	s_and_saveexec_b64 s[4:5], s[2:3]
	s_cbranch_execz .LBB121_368
; %bb.365:
	s_waitcnt lgkmcnt(0)
	v_max_f32_e32 v2, v53, v53
	v_min_f32_e32 v3, v2, v51
	v_cmp_u_f32_e64 s[2:3], v53, v53
	v_max_f32_e32 v2, v2, v51
	s_nop 0
	v_cndmask_b32_e64 v3, v3, v53, s[2:3]
	v_cndmask_b32_e64 v2, v2, v53, s[2:3]
	;; [unrolled: 1-line block ×4, first 2 shown]
	s_movk_i32 s52, 0x1f8
	v_cmp_neq_f32_e64 s[2:3], v3, v2
	v_cmp_class_f32_e64 s[52:53], v3, s52
	s_or_b64 s[2:3], s[2:3], s[52:53]
	s_and_saveexec_b64 s[52:53], s[2:3]
	s_cbranch_execz .LBB121_367
; %bb.366:
	v_sub_f32_e32 v3, v3, v2
	s_mov_b32 s2, 0x3fb8aa3b
	v_mul_f32_e32 v16, 0x3fb8aa3b, v3
	v_fma_f32 v50, v3, s2, -v16
	v_rndne_f32_e32 v51, v16
	v_fmamk_f32 v50, v3, 0x32a5705f, v50
	v_sub_f32_e32 v16, v16, v51
	v_add_f32_e32 v16, v16, v50
	v_exp_f32_e32 v16, v16
	v_cvt_i32_f32_e32 v50, v51
	s_mov_b32 s2, 0xc2ce8ed0
	v_cmp_ngt_f32_e64 s[2:3], s2, v3
	s_mov_b32 s54, 0x7f800000
	v_ldexp_f32 v16, v16, v50
	v_cndmask_b32_e64 v16, 0, v16, s[2:3]
	s_mov_b32 s2, 0x42b17218
	v_mov_b32_e32 v50, 0x7f800000
	v_cmp_nlt_f32_e64 s[2:3], s2, v3
	s_nop 1
	v_cndmask_b32_e64 v101, v50, v16, s[2:3]
	v_add_f32_e32 v3, 1.0, v101
	v_add_f32_e32 v16, -1.0, v3
	v_sub_f32_e32 v50, v16, v3
	v_add_f32_e32 v50, 1.0, v50
	v_sub_f32_e32 v16, v101, v16
	v_add_f32_e32 v16, v16, v50
	v_frexp_mant_f32_e32 v52, v3
	s_mov_b32 s2, 0x3f2aaaab
	v_cvt_f64_f32_e32 v[50:51], v3
	v_frexp_exp_i32_f64_e32 v50, v[50:51]
	v_cmp_gt_f32_e64 s[2:3], s2, v52
	s_nop 1
	v_subbrev_co_u32_e64 v116, s[2:3], 0, v50, s[2:3]
	v_sub_u32_e32 v50, 0, v116
	v_ldexp_f32 v3, v3, v50
	v_ldexp_f32 v16, v16, v50
	v_add_f32_e32 v50, -1.0, v3
	v_add_f32_e32 v51, 1.0, v50
	v_sub_f32_e32 v51, v3, v51
	v_add_f32_e32 v52, v16, v51
	v_add_f32_e32 v51, 1.0, v3
	v_add_f32_e32 v53, -1.0, v51
	v_sub_f32_e32 v3, v3, v53
	v_add_f32_e32 v3, v16, v3
	v_add_f32_e32 v16, v51, v3
	v_rcp_f32_e32 v117, v16
	v_sub_f32_e32 v51, v51, v16
	v_add_f32_e32 v3, v3, v51
	v_add_f32_e32 v51, v50, v52
	v_sub_f32_e32 v50, v50, v51
	v_mul_f32_e32 v119, v51, v117
	v_add_f32_e32 v118, v52, v50
	v_mul_f32_e32 v52, v16, v119
	v_fma_f32 v112, v119, v16, -v52
	v_fmac_f32_e32 v112, v119, v3
	v_add_f32_e32 v50, v52, v112
	v_sub_f32_e32 v53, v51, v50
	v_pk_add_f32 v[114:115], v[50:51], v[52:53] neg_lo:[0,1] neg_hi:[0,1]
	v_mov_b32_e32 v113, v50
	v_pk_add_f32 v[50:51], v[114:115], v[112:113] neg_lo:[0,1] neg_hi:[0,1]
	s_mov_b32 s2, 0x3f317218
	v_add_f32_e32 v51, v118, v51
	v_add_f32_e32 v50, v50, v51
	;; [unrolled: 1-line block ×3, first 2 shown]
	v_mul_f32_e32 v118, v117, v51
	v_mul_f32_e32 v52, v16, v118
	v_fma_f32 v112, v118, v16, -v52
	v_fmac_f32_e32 v112, v118, v3
	v_sub_f32_e32 v3, v53, v51
	v_add_f32_e32 v3, v50, v3
	v_add_f32_e32 v50, v52, v112
	v_sub_f32_e32 v53, v51, v50
	v_pk_add_f32 v[114:115], v[50:51], v[52:53] neg_lo:[0,1] neg_hi:[0,1]
	v_mov_b32_e32 v113, v50
	v_pk_add_f32 v[50:51], v[114:115], v[112:113] neg_lo:[0,1] neg_hi:[0,1]
	v_add_f32_e32 v16, v119, v118
	v_add_f32_e32 v3, v3, v51
	;; [unrolled: 1-line block ×4, first 2 shown]
	v_sub_f32_e32 v50, v16, v119
	v_mul_f32_e32 v3, v117, v3
	v_sub_f32_e32 v50, v118, v50
	v_add_f32_e32 v3, v50, v3
	v_add_f32_e32 v50, v16, v3
	v_cvt_f32_i32_e32 v52, v116
	v_mul_f32_e32 v53, v50, v50
	v_mov_b32_e32 v51, 0x3ecc95a3
	v_fmac_f32_e32 v51, 0x3e9b6dac, v53
	v_fmaak_f32 v51, v53, v51, 0x3f2aaada
	v_sub_f32_e32 v16, v50, v16
	v_ldexp_f32 v113, v50, 1
	v_mul_f32_e32 v53, v50, v53
	v_mov_b32_e32 v50, 0x3f317218
	v_pk_mul_f32 v[50:51], v[52:53], v[50:51]
	v_sub_f32_e32 v3, v3, v16
	v_fma_f32 v16, v52, s2, -v50
	v_fmamk_f32 v112, v52, 0xb102e308, v16
	v_pk_add_f32 v[52:53], v[50:51], v[112:113]
	v_ldexp_f32 v3, v3, 1
	v_sub_f32_e32 v16, v53, v113
	v_sub_f32_e32 v16, v51, v16
	v_add_f32_e32 v115, v3, v16
	v_mov_b32_e32 v114, v50
	v_pk_add_f32 v[50:51], v[52:53], v[50:51] neg_lo:[0,1] neg_hi:[0,1]
	v_pk_add_f32 v[116:117], v[52:53], v[114:115]
	v_mov_b32_e32 v113, v52
	v_mov_b32_e32 v51, v117
	v_pk_add_f32 v[118:119], v[112:113], v[50:51] neg_lo:[0,1] neg_hi:[0,1]
	v_pk_add_f32 v[50:51], v[112:113], v[50:51]
	v_cmp_eq_f32_e64 s[2:3], s54, v101
	v_mov_b32_e32 v16, v51
	v_pk_add_f32 v[112:113], v[16:17], v[52:53] neg_lo:[0,1] neg_hi:[0,1]
	v_mov_b32_e32 v50, v117
	v_mov_b32_e32 v3, v112
	v_pk_add_f32 v[128:129], v[116:117], v[2:3] neg_lo:[0,1] neg_hi:[0,1]
	v_mov_b32_e32 v116, v53
	v_mov_b32_e32 v117, v112
	;; [unrolled: 1-line block ×3, first 2 shown]
	v_pk_add_f32 v[50:51], v[50:51], v[116:117] neg_lo:[0,1] neg_hi:[0,1]
	v_mov_b32_e32 v112, v115
	v_mov_b32_e32 v113, v52
	v_pk_add_f32 v[50:51], v[112:113], v[50:51] neg_lo:[0,1] neg_hi:[0,1]
	v_mov_b32_e32 v128, v118
	v_pk_add_f32 v[52:53], v[128:129], v[50:51]
	s_mov_b32 s54, 0x33800000
	v_mov_b32_e32 v112, v53
	v_pk_add_f32 v[112:113], v[52:53], v[112:113]
	v_cmp_lt_f32_e64 s[54:55], |v101|, s54
	v_pk_add_f32 v[114:115], v[16:17], v[112:113]
	v_mov_b32_e32 v51, v112
	v_mov_b32_e32 v53, v114
	v_pk_add_f32 v[116:117], v[52:53], v[118:119] neg_lo:[0,1] neg_hi:[0,1]
	s_or_b64 s[2:3], s[2:3], s[54:55]
	v_sub_f32_e32 v3, v52, v116
	v_pk_add_f32 v[50:51], v[50:51], v[116:117] neg_lo:[0,1] neg_hi:[0,1]
	v_sub_f32_e32 v3, v118, v3
	v_add_f32_e32 v3, v50, v3
	v_add_f32_e32 v3, v3, v51
	;; [unrolled: 1-line block ×3, first 2 shown]
	v_cndmask_b32_e64 v3, v3, v101, s[2:3]
	v_add_f32_e32 v53, v2, v3
.LBB121_367:
	s_or_b64 exec, exec, s[52:53]
	v_max_f32_e32 v2, v53, v53
	v_min_f32_e32 v50, v2, v99
	v_max_f32_e32 v52, v2, v99
	v_mov_b32_e32 v16, v53
	;;#ASMSTART
	;;#ASMEND
.LBB121_368:
	s_or_b64 exec, exec, s[4:5]
	v_cmp_u_f32_e64 s[2:3], v16, v16
	s_movk_i32 s4, 0x1f8
	s_nop 0
	v_cndmask_b32_e64 v2, v50, v16, s[2:3]
	v_cndmask_b32_e32 v3, v2, v17, vcc
	v_cndmask_b32_e64 v2, v52, v16, s[2:3]
	v_cndmask_b32_e32 v2, v2, v17, vcc
	v_cmp_neq_f32_e32 vcc, v3, v2
	v_cmp_class_f32_e64 s[2:3], v3, s4
	s_or_b64 vcc, vcc, s[2:3]
	v_mov_b32_e32 v17, v16
	s_and_saveexec_b64 s[2:3], vcc
	s_cbranch_execz .LBB121_370
; %bb.369:
	v_sub_f32_e32 v3, v3, v2
	s_mov_b32 s5, 0x3fb8aa3b
	v_mul_f32_e32 v17, 0x3fb8aa3b, v3
	v_fma_f32 v50, v3, s5, -v17
	v_rndne_f32_e32 v51, v17
	v_fmamk_f32 v50, v3, 0x32a5705f, v50
	v_sub_f32_e32 v17, v17, v51
	v_add_f32_e32 v17, v17, v50
	v_exp_f32_e32 v17, v17
	v_cvt_i32_f32_e32 v50, v51
	s_mov_b32 s5, 0xc2ce8ed0
	v_cmp_ngt_f32_e32 vcc, s5, v3
	s_mov_b32 s5, 0x42b17218
	v_ldexp_f32 v17, v17, v50
	v_cndmask_b32_e32 v17, 0, v17, vcc
	v_mov_b32_e32 v50, 0x7f800000
	v_cmp_nlt_f32_e32 vcc, s5, v3
	s_mov_b32 s5, 0x3f2aaaab
	s_mov_b32 s52, 0x7f800000
	v_cndmask_b32_e32 v17, v50, v17, vcc
	v_add_f32_e32 v3, 1.0, v17
	v_add_f32_e32 v50, -1.0, v3
	v_sub_f32_e32 v51, v50, v3
	v_add_f32_e32 v51, 1.0, v51
	v_sub_f32_e32 v50, v17, v50
	v_add_f32_e32 v52, v50, v51
	s_waitcnt lgkmcnt(0)
	v_frexp_mant_f32_e32 v53, v3
	v_cvt_f64_f32_e32 v[50:51], v3
	v_frexp_exp_i32_f64_e32 v50, v[50:51]
	v_cmp_gt_f32_e32 vcc, s5, v53
	s_mov_b32 s5, 0x3f317218
	s_nop 0
	v_subbrev_co_u32_e32 v99, vcc, 0, v50, vcc
	v_sub_u32_e32 v50, 0, v99
	v_ldexp_f32 v3, v3, v50
	v_ldexp_f32 v50, v52, v50
	v_add_f32_e32 v52, -1.0, v3
	v_add_f32_e32 v51, 1.0, v52
	v_sub_f32_e32 v51, v3, v51
	v_add_f32_e32 v53, v50, v51
	v_add_f32_e32 v51, 1.0, v3
	v_add_f32_e32 v101, -1.0, v51
	v_sub_f32_e32 v3, v3, v101
	v_add_f32_e32 v3, v50, v3
	v_add_f32_e32 v101, v51, v3
	v_rcp_f32_e32 v116, v101
	v_sub_f32_e32 v50, v51, v101
	v_add_f32_e32 v51, v52, v53
	v_add_f32_e32 v3, v3, v50
	v_mul_f32_e32 v118, v51, v116
	v_sub_f32_e32 v50, v52, v51
	v_mul_f32_e32 v52, v101, v118
	v_fma_f32 v112, v118, v101, -v52
	v_fmac_f32_e32 v112, v118, v3
	v_add_f32_e32 v117, v53, v50
	v_add_f32_e32 v50, v52, v112
	v_sub_f32_e32 v53, v51, v50
	v_pk_add_f32 v[114:115], v[50:51], v[52:53] neg_lo:[0,1] neg_hi:[0,1]
	v_mov_b32_e32 v113, v50
	v_pk_add_f32 v[50:51], v[114:115], v[112:113] neg_lo:[0,1] neg_hi:[0,1]
	v_cmp_eq_f32_e32 vcc, s52, v17
	v_add_f32_e32 v51, v117, v51
	v_add_f32_e32 v50, v50, v51
	;; [unrolled: 1-line block ×3, first 2 shown]
	v_mul_f32_e32 v117, v116, v51
	v_mul_f32_e32 v52, v101, v117
	v_fma_f32 v112, v117, v101, -v52
	v_fmac_f32_e32 v112, v117, v3
	v_sub_f32_e32 v3, v53, v51
	v_add_f32_e32 v3, v50, v3
	v_add_f32_e32 v50, v52, v112
	v_sub_f32_e32 v53, v51, v50
	v_pk_add_f32 v[114:115], v[50:51], v[52:53] neg_lo:[0,1] neg_hi:[0,1]
	v_mov_b32_e32 v113, v50
	v_pk_add_f32 v[50:51], v[114:115], v[112:113] neg_lo:[0,1] neg_hi:[0,1]
	v_cvt_f32_i32_e32 v52, v99
	v_add_f32_e32 v3, v3, v51
	v_add_f32_e32 v3, v50, v3
	;; [unrolled: 1-line block ×4, first 2 shown]
	v_sub_f32_e32 v51, v50, v118
	v_mul_f32_e32 v3, v116, v3
	v_sub_f32_e32 v51, v117, v51
	v_add_f32_e32 v3, v51, v3
	v_add_f32_e32 v53, v50, v3
	v_mul_f32_e32 v101, v53, v53
	v_mov_b32_e32 v51, 0x3ecc95a3
	v_fmac_f32_e32 v51, 0x3e9b6dac, v101
	v_sub_f32_e32 v50, v53, v50
	v_fmaak_f32 v51, v101, v51, 0x3f2aaada
	v_sub_f32_e32 v3, v3, v50
	v_ldexp_f32 v113, v53, 1
	v_mul_f32_e32 v53, v53, v101
	v_mov_b32_e32 v50, 0x3f317218
	v_pk_mul_f32 v[50:51], v[52:53], v[50:51]
	v_ldexp_f32 v3, v3, 1
	v_fma_f32 v53, v52, s5, -v50
	v_fmamk_f32 v112, v52, 0xb102e308, v53
	v_pk_add_f32 v[52:53], v[50:51], v[112:113]
	v_mov_b32_e32 v114, v50
	v_sub_f32_e32 v99, v53, v113
	v_sub_f32_e32 v99, v51, v99
	v_add_f32_e32 v115, v3, v99
	v_pk_add_f32 v[50:51], v[52:53], v[50:51] neg_lo:[0,1] neg_hi:[0,1]
	v_pk_add_f32 v[116:117], v[52:53], v[114:115]
	v_mov_b32_e32 v113, v52
	v_mov_b32_e32 v51, v117
	v_pk_add_f32 v[118:119], v[112:113], v[50:51] neg_lo:[0,1] neg_hi:[0,1]
	v_pk_add_f32 v[50:51], v[112:113], v[50:51]
	v_mov_b32_e32 v114, v115
	v_mov_b32_e32 v112, v51
	v_pk_add_f32 v[128:129], v[112:113], v[52:53] neg_lo:[0,1] neg_hi:[0,1]
	v_mov_b32_e32 v50, v117
	v_mov_b32_e32 v3, v128
	v_pk_add_f32 v[130:131], v[116:117], v[2:3] neg_lo:[0,1] neg_hi:[0,1]
	v_mov_b32_e32 v116, v53
	v_mov_b32_e32 v117, v128
	;; [unrolled: 1-line block ×3, first 2 shown]
	v_pk_add_f32 v[50:51], v[50:51], v[116:117] neg_lo:[0,1] neg_hi:[0,1]
	v_mov_b32_e32 v115, v52
	v_pk_add_f32 v[50:51], v[114:115], v[50:51] neg_lo:[0,1] neg_hi:[0,1]
	v_mov_b32_e32 v130, v118
	v_pk_add_f32 v[52:53], v[130:131], v[50:51]
	s_mov_b32 s5, 0x33800000
	v_mov_b32_e32 v114, v53
	v_pk_add_f32 v[114:115], v[52:53], v[114:115]
	v_cmp_lt_f32_e64 s[52:53], |v17|, s5
	v_pk_add_f32 v[112:113], v[112:113], v[114:115]
	v_mov_b32_e32 v51, v114
	v_mov_b32_e32 v53, v112
	v_pk_add_f32 v[116:117], v[52:53], v[118:119] neg_lo:[0,1] neg_hi:[0,1]
	s_or_b64 vcc, vcc, s[52:53]
	v_sub_f32_e32 v3, v52, v116
	v_pk_add_f32 v[50:51], v[50:51], v[116:117] neg_lo:[0,1] neg_hi:[0,1]
	v_sub_f32_e32 v3, v118, v3
	v_add_f32_e32 v3, v50, v3
	v_add_f32_e32 v3, v3, v51
	;; [unrolled: 1-line block ×3, first 2 shown]
	v_cndmask_b32_e32 v3, v3, v17, vcc
	v_add_f32_e32 v17, v2, v3
.LBB121_370:
	s_or_b64 exec, exec, s[2:3]
	v_max_f32_e32 v2, v17, v17
	v_min_f32_e32 v3, v2, v6
	v_cmp_u_f32_e32 vcc, v17, v17
	v_max_f32_e32 v2, v2, v6
	v_mov_b32_e32 v50, v17
	v_cndmask_b32_e32 v3, v3, v17, vcc
	v_cndmask_b32_e32 v2, v2, v17, vcc
	v_cndmask_b32_e64 v3, v3, v18, s[6:7]
	v_cndmask_b32_e64 v2, v2, v18, s[6:7]
	v_cmp_neq_f32_e32 vcc, v3, v2
	v_cmp_class_f32_e64 s[2:3], v3, s4
	s_or_b64 s[4:5], vcc, s[2:3]
	s_and_saveexec_b64 s[2:3], s[4:5]
	s_cbranch_execz .LBB121_372
; %bb.371:
	v_sub_f32_e32 v3, v3, v2
	s_mov_b32 s4, 0x3fb8aa3b
	v_mul_f32_e32 v6, 0x3fb8aa3b, v3
	v_fma_f32 v18, v3, s4, -v6
	v_rndne_f32_e32 v50, v6
	v_fmamk_f32 v18, v3, 0x32a5705f, v18
	v_sub_f32_e32 v6, v6, v50
	v_add_f32_e32 v6, v6, v18
	v_exp_f32_e32 v6, v6
	v_cvt_i32_f32_e32 v18, v50
	s_mov_b32 s4, 0xc2ce8ed0
	v_cmp_ngt_f32_e32 vcc, s4, v3
	s_mov_b32 s4, 0x42b17218
	v_ldexp_f32 v6, v6, v18
	v_cndmask_b32_e32 v6, 0, v6, vcc
	v_mov_b32_e32 v18, 0x7f800000
	v_cmp_nlt_f32_e32 vcc, s4, v3
	s_mov_b32 s4, 0x3f2aaaab
	s_mov_b32 s5, 0x7f800000
	v_cndmask_b32_e32 v99, v18, v6, vcc
	v_add_f32_e32 v3, 1.0, v99
	v_add_f32_e32 v6, -1.0, v3
	v_sub_f32_e32 v18, v6, v3
	v_add_f32_e32 v18, 1.0, v18
	v_sub_f32_e32 v6, v99, v6
	v_add_f32_e32 v6, v6, v18
	v_frexp_mant_f32_e32 v18, v3
	v_cvt_f64_f32_e32 v[50:51], v3
	v_frexp_exp_i32_f64_e32 v50, v[50:51]
	v_cmp_gt_f32_e32 vcc, s4, v18
	s_mov_b32 s4, 0x3f317218
	s_nop 0
	v_subbrev_co_u32_e32 v18, vcc, 0, v50, vcc
	v_sub_u32_e32 v50, 0, v18
	v_ldexp_f32 v3, v3, v50
	v_ldexp_f32 v6, v6, v50
	v_add_f32_e32 v50, -1.0, v3
	v_add_f32_e32 v51, 1.0, v50
	v_sub_f32_e32 v51, v3, v51
	v_add_f32_e32 v52, v6, v51
	v_add_f32_e32 v51, 1.0, v3
	s_waitcnt lgkmcnt(0)
	v_add_f32_e32 v53, -1.0, v51
	v_sub_f32_e32 v3, v3, v53
	v_add_f32_e32 v3, v6, v3
	v_add_f32_e32 v6, v51, v3
	v_rcp_f32_e32 v101, v6
	v_sub_f32_e32 v51, v51, v6
	v_add_f32_e32 v3, v3, v51
	v_add_f32_e32 v51, v50, v52
	v_sub_f32_e32 v50, v50, v51
	v_mul_f32_e32 v117, v51, v101
	v_add_f32_e32 v116, v52, v50
	v_mul_f32_e32 v52, v6, v117
	v_fma_f32 v112, v117, v6, -v52
	v_fmac_f32_e32 v112, v117, v3
	v_add_f32_e32 v50, v52, v112
	v_sub_f32_e32 v53, v51, v50
	v_pk_add_f32 v[114:115], v[50:51], v[52:53] neg_lo:[0,1] neg_hi:[0,1]
	v_mov_b32_e32 v113, v50
	v_pk_add_f32 v[50:51], v[114:115], v[112:113] neg_lo:[0,1] neg_hi:[0,1]
	v_cmp_eq_f32_e32 vcc, s5, v99
	v_add_f32_e32 v51, v116, v51
	v_add_f32_e32 v50, v50, v51
	v_add_f32_e32 v51, v53, v50
	v_mul_f32_e32 v116, v101, v51
	v_mul_f32_e32 v52, v6, v116
	v_fma_f32 v112, v116, v6, -v52
	v_fmac_f32_e32 v112, v116, v3
	v_sub_f32_e32 v3, v53, v51
	v_add_f32_e32 v3, v50, v3
	v_add_f32_e32 v50, v52, v112
	v_sub_f32_e32 v53, v51, v50
	v_pk_add_f32 v[114:115], v[50:51], v[52:53] neg_lo:[0,1] neg_hi:[0,1]
	v_mov_b32_e32 v113, v50
	v_pk_add_f32 v[50:51], v[114:115], v[112:113] neg_lo:[0,1] neg_hi:[0,1]
	v_add_f32_e32 v6, v117, v116
	v_add_f32_e32 v3, v3, v51
	;; [unrolled: 1-line block ×4, first 2 shown]
	v_sub_f32_e32 v50, v6, v117
	v_mul_f32_e32 v3, v101, v3
	v_sub_f32_e32 v50, v116, v50
	v_add_f32_e32 v3, v50, v3
	v_add_f32_e32 v50, v6, v3
	v_cvt_f32_i32_e32 v52, v18
	v_mul_f32_e32 v53, v50, v50
	v_mov_b32_e32 v51, 0x3ecc95a3
	v_fmac_f32_e32 v51, 0x3e9b6dac, v53
	v_fmaak_f32 v51, v53, v51, 0x3f2aaada
	v_sub_f32_e32 v6, v50, v6
	v_ldexp_f32 v113, v50, 1
	v_mul_f32_e32 v53, v50, v53
	v_mov_b32_e32 v50, 0x3f317218
	v_pk_mul_f32 v[50:51], v[52:53], v[50:51]
	v_sub_f32_e32 v3, v3, v6
	v_fma_f32 v6, v52, s4, -v50
	v_fmamk_f32 v112, v52, 0xb102e308, v6
	v_pk_add_f32 v[52:53], v[50:51], v[112:113]
	v_ldexp_f32 v3, v3, 1
	v_sub_f32_e32 v6, v53, v113
	v_sub_f32_e32 v6, v51, v6
	v_add_f32_e32 v115, v3, v6
	v_mov_b32_e32 v114, v50
	v_pk_add_f32 v[50:51], v[52:53], v[50:51] neg_lo:[0,1] neg_hi:[0,1]
	v_pk_add_f32 v[116:117], v[52:53], v[114:115]
	v_mov_b32_e32 v113, v52
	v_mov_b32_e32 v51, v117
	v_pk_add_f32 v[118:119], v[112:113], v[50:51] neg_lo:[0,1] neg_hi:[0,1]
	v_pk_add_f32 v[50:51], v[112:113], v[50:51]
	s_mov_b32 s4, 0x33800000
	v_mov_b32_e32 v6, v51
	v_pk_add_f32 v[112:113], v[6:7], v[52:53] neg_lo:[0,1] neg_hi:[0,1]
	v_mov_b32_e32 v50, v117
	v_mov_b32_e32 v3, v112
	v_pk_add_f32 v[128:129], v[116:117], v[2:3] neg_lo:[0,1] neg_hi:[0,1]
	v_mov_b32_e32 v116, v53
	v_mov_b32_e32 v117, v112
	;; [unrolled: 1-line block ×3, first 2 shown]
	v_pk_add_f32 v[50:51], v[50:51], v[116:117] neg_lo:[0,1] neg_hi:[0,1]
	v_mov_b32_e32 v112, v115
	v_mov_b32_e32 v113, v52
	v_pk_add_f32 v[50:51], v[112:113], v[50:51] neg_lo:[0,1] neg_hi:[0,1]
	v_mov_b32_e32 v128, v118
	v_pk_add_f32 v[52:53], v[128:129], v[50:51]
	v_cmp_lt_f32_e64 s[4:5], |v99|, s4
	v_mov_b32_e32 v18, v53
	v_pk_add_f32 v[112:113], v[52:53], v[18:19]
	s_or_b64 vcc, vcc, s[4:5]
	v_pk_add_f32 v[114:115], v[6:7], v[112:113]
	v_mov_b32_e32 v51, v112
	v_mov_b32_e32 v53, v114
	v_pk_add_f32 v[116:117], v[52:53], v[118:119] neg_lo:[0,1] neg_hi:[0,1]
	s_nop 0
	v_sub_f32_e32 v3, v52, v116
	v_pk_add_f32 v[50:51], v[50:51], v[116:117] neg_lo:[0,1] neg_hi:[0,1]
	v_sub_f32_e32 v3, v118, v3
	v_add_f32_e32 v3, v50, v3
	v_add_f32_e32 v3, v3, v51
	;; [unrolled: 1-line block ×3, first 2 shown]
	v_cndmask_b32_e32 v3, v3, v99, vcc
	v_add_f32_e32 v50, v2, v3
.LBB121_372:
	s_or_b64 exec, exec, s[2:3]
	v_max_f32_e32 v2, v50, v50
	v_min_f32_e32 v3, v2, v7
	v_cmp_u_f32_e32 vcc, v50, v50
	v_max_f32_e32 v2, v2, v7
	s_movk_i32 s4, 0x1f8
	v_cndmask_b32_e32 v3, v3, v50, vcc
	v_cndmask_b32_e32 v2, v2, v50, vcc
	v_cndmask_b32_e64 v3, v3, v19, s[8:9]
	v_cndmask_b32_e64 v2, v2, v19, s[8:9]
	v_cmp_neq_f32_e32 vcc, v3, v2
	v_cmp_class_f32_e64 s[2:3], v3, s4
	s_or_b64 s[6:7], vcc, s[2:3]
	v_mov_b32_e32 v51, v50
	s_and_saveexec_b64 s[2:3], s[6:7]
	s_cbranch_execz .LBB121_374
; %bb.373:
	v_sub_f32_e32 v3, v3, v2
	s_mov_b32 s5, 0x3fb8aa3b
	v_mul_f32_e32 v6, 0x3fb8aa3b, v3
	v_fma_f32 v7, v3, s5, -v6
	v_rndne_f32_e32 v18, v6
	v_fmamk_f32 v7, v3, 0x32a5705f, v7
	v_sub_f32_e32 v6, v6, v18
	v_add_f32_e32 v6, v6, v7
	v_exp_f32_e32 v6, v6
	v_cvt_i32_f32_e32 v7, v18
	s_mov_b32 s5, 0xc2ce8ed0
	v_cmp_ngt_f32_e32 vcc, s5, v3
	s_mov_b32 s5, 0x42b17218
	v_ldexp_f32 v6, v6, v7
	v_cndmask_b32_e32 v6, 0, v6, vcc
	v_mov_b32_e32 v7, 0x7f800000
	v_cmp_nlt_f32_e32 vcc, s5, v3
	s_mov_b32 s5, 0x3f2aaaab
	s_mov_b32 s6, 0x7f800000
	v_cndmask_b32_e32 v51, v7, v6, vcc
	v_add_f32_e32 v3, 1.0, v51
	v_add_f32_e32 v6, -1.0, v3
	v_sub_f32_e32 v7, v6, v3
	v_add_f32_e32 v7, 1.0, v7
	v_sub_f32_e32 v6, v51, v6
	v_add_f32_e32 v18, v6, v7
	v_frexp_mant_f32_e32 v19, v3
	v_cvt_f64_f32_e32 v[6:7], v3
	v_frexp_exp_i32_f64_e32 v6, v[6:7]
	v_cmp_gt_f32_e32 vcc, s5, v19
	s_mov_b32 s5, 0x3f317218
	s_nop 0
	v_subbrev_co_u32_e32 v99, vcc, 0, v6, vcc
	v_sub_u32_e32 v6, 0, v99
	v_ldexp_f32 v3, v3, v6
	v_ldexp_f32 v6, v18, v6
	v_add_f32_e32 v18, -1.0, v3
	v_add_f32_e32 v7, 1.0, v18
	v_sub_f32_e32 v7, v3, v7
	v_add_f32_e32 v19, v6, v7
	v_add_f32_e32 v7, 1.0, v3
	v_add_f32_e32 v52, -1.0, v7
	v_sub_f32_e32 v3, v3, v52
	v_add_f32_e32 v3, v6, v3
	v_add_f32_e32 v101, v7, v3
	v_rcp_f32_e32 v114, v101
	v_sub_f32_e32 v6, v7, v101
	v_add_f32_e32 v7, v18, v19
	v_add_f32_e32 v3, v3, v6
	v_mul_f32_e32 v116, v7, v114
	v_sub_f32_e32 v6, v18, v7
	v_mul_f32_e32 v18, v101, v116
	v_fma_f32 v52, v116, v101, -v18
	v_fmac_f32_e32 v52, v116, v3
	v_add_f32_e32 v115, v19, v6
	v_add_f32_e32 v6, v18, v52
	v_sub_f32_e32 v19, v7, v6
	v_pk_add_f32 v[112:113], v[6:7], v[18:19] neg_lo:[0,1] neg_hi:[0,1]
	s_waitcnt lgkmcnt(0)
	v_mov_b32_e32 v53, v6
	v_pk_add_f32 v[6:7], v[112:113], v[52:53] neg_lo:[0,1] neg_hi:[0,1]
	v_cmp_eq_f32_e32 vcc, s6, v51
	v_add_f32_e32 v7, v115, v7
	v_add_f32_e32 v6, v6, v7
	;; [unrolled: 1-line block ×3, first 2 shown]
	v_mul_f32_e32 v115, v114, v7
	v_mul_f32_e32 v18, v101, v115
	v_fma_f32 v52, v115, v101, -v18
	v_fmac_f32_e32 v52, v115, v3
	v_sub_f32_e32 v3, v19, v7
	v_add_f32_e32 v3, v6, v3
	v_add_f32_e32 v6, v18, v52
	v_sub_f32_e32 v19, v7, v6
	v_pk_add_f32 v[112:113], v[6:7], v[18:19] neg_lo:[0,1] neg_hi:[0,1]
	v_mov_b32_e32 v53, v6
	v_pk_add_f32 v[6:7], v[112:113], v[52:53] neg_lo:[0,1] neg_hi:[0,1]
	v_cvt_f32_i32_e32 v18, v99
	v_add_f32_e32 v3, v3, v7
	v_add_f32_e32 v3, v6, v3
	v_add_f32_e32 v6, v116, v115
	v_add_f32_e32 v3, v19, v3
	v_sub_f32_e32 v7, v6, v116
	v_mul_f32_e32 v3, v114, v3
	v_sub_f32_e32 v7, v115, v7
	v_add_f32_e32 v3, v7, v3
	v_add_f32_e32 v19, v6, v3
	v_mul_f32_e32 v52, v19, v19
	v_mov_b32_e32 v7, 0x3ecc95a3
	v_fmac_f32_e32 v7, 0x3e9b6dac, v52
	v_sub_f32_e32 v6, v19, v6
	v_fmaak_f32 v7, v52, v7, 0x3f2aaada
	v_sub_f32_e32 v3, v3, v6
	v_ldexp_f32 v53, v19, 1
	v_mul_f32_e32 v19, v19, v52
	v_mov_b32_e32 v6, 0x3f317218
	v_pk_mul_f32 v[6:7], v[18:19], v[6:7]
	v_ldexp_f32 v3, v3, 1
	v_fma_f32 v19, v18, s5, -v6
	v_fmamk_f32 v52, v18, 0xb102e308, v19
	v_pk_add_f32 v[18:19], v[6:7], v[52:53]
	v_mov_b32_e32 v112, v6
	v_sub_f32_e32 v53, v19, v53
	v_sub_f32_e32 v53, v7, v53
	v_add_f32_e32 v113, v3, v53
	v_pk_add_f32 v[6:7], v[18:19], v[6:7] neg_lo:[0,1] neg_hi:[0,1]
	v_pk_add_f32 v[114:115], v[18:19], v[112:113]
	v_mov_b32_e32 v53, v18
	v_mov_b32_e32 v7, v115
	v_pk_add_f32 v[116:117], v[52:53], v[6:7] neg_lo:[0,1] neg_hi:[0,1]
	v_pk_add_f32 v[6:7], v[52:53], v[6:7]
	v_mov_b32_e32 v112, v113
	v_mov_b32_e32 v52, v7
	v_pk_add_f32 v[118:119], v[52:53], v[18:19] neg_lo:[0,1] neg_hi:[0,1]
	v_mov_b32_e32 v6, v115
	v_mov_b32_e32 v3, v118
	v_pk_add_f32 v[128:129], v[114:115], v[2:3] neg_lo:[0,1] neg_hi:[0,1]
	v_mov_b32_e32 v114, v19
	v_mov_b32_e32 v115, v118
	;; [unrolled: 1-line block ×3, first 2 shown]
	v_pk_add_f32 v[6:7], v[6:7], v[114:115] neg_lo:[0,1] neg_hi:[0,1]
	v_mov_b32_e32 v113, v18
	v_pk_add_f32 v[6:7], v[112:113], v[6:7] neg_lo:[0,1] neg_hi:[0,1]
	v_mov_b32_e32 v128, v116
	v_pk_add_f32 v[18:19], v[128:129], v[6:7]
	s_mov_b32 s5, 0x33800000
	v_mov_b32_e32 v112, v19
	v_pk_add_f32 v[112:113], v[18:19], v[112:113]
	v_cmp_lt_f32_e64 s[6:7], |v51|, s5
	v_pk_add_f32 v[52:53], v[52:53], v[112:113]
	v_mov_b32_e32 v7, v112
	v_mov_b32_e32 v19, v52
	v_pk_add_f32 v[114:115], v[18:19], v[116:117] neg_lo:[0,1] neg_hi:[0,1]
	s_or_b64 vcc, vcc, s[6:7]
	v_sub_f32_e32 v3, v18, v114
	v_pk_add_f32 v[6:7], v[6:7], v[114:115] neg_lo:[0,1] neg_hi:[0,1]
	v_sub_f32_e32 v3, v116, v3
	v_add_f32_e32 v3, v6, v3
	v_add_f32_e32 v3, v3, v7
	;; [unrolled: 1-line block ×3, first 2 shown]
	v_cndmask_b32_e32 v3, v3, v51, vcc
	v_add_f32_e32 v51, v2, v3
.LBB121_374:
	s_or_b64 exec, exec, s[2:3]
	v_max_f32_e32 v2, v51, v51
	v_min_f32_e32 v3, v2, v48
	v_cmp_u_f32_e32 vcc, v51, v51
	v_max_f32_e32 v2, v2, v48
	v_mov_b32_e32 v52, v51
	v_cndmask_b32_e32 v3, v3, v51, vcc
	v_cndmask_b32_e32 v2, v2, v51, vcc
	v_cndmask_b32_e64 v3, v3, v36, s[10:11]
	v_cndmask_b32_e64 v2, v2, v36, s[10:11]
	v_cmp_neq_f32_e32 vcc, v3, v2
	v_cmp_class_f32_e64 s[2:3], v3, s4
	s_or_b64 s[4:5], vcc, s[2:3]
	s_and_saveexec_b64 s[2:3], s[4:5]
	s_cbranch_execz .LBB121_376
; %bb.375:
	v_sub_f32_e32 v3, v3, v2
	s_mov_b32 s4, 0x3fb8aa3b
	v_mul_f32_e32 v6, 0x3fb8aa3b, v3
	v_fma_f32 v7, v3, s4, -v6
	v_rndne_f32_e32 v18, v6
	v_fmamk_f32 v7, v3, 0x32a5705f, v7
	v_sub_f32_e32 v6, v6, v18
	v_add_f32_e32 v6, v6, v7
	v_exp_f32_e32 v6, v6
	v_cvt_i32_f32_e32 v7, v18
	s_mov_b32 s4, 0xc2ce8ed0
	v_cmp_ngt_f32_e32 vcc, s4, v3
	s_mov_b32 s4, 0x42b17218
	v_ldexp_f32 v6, v6, v7
	v_cndmask_b32_e32 v6, 0, v6, vcc
	v_mov_b32_e32 v7, 0x7f800000
	v_cmp_nlt_f32_e32 vcc, s4, v3
	s_mov_b32 s4, 0x3f2aaaab
	s_mov_b32 s5, 0x7f800000
	v_cndmask_b32_e32 v99, v7, v6, vcc
	v_add_f32_e32 v3, 1.0, v99
	v_add_f32_e32 v6, -1.0, v3
	v_sub_f32_e32 v7, v6, v3
	v_add_f32_e32 v7, 1.0, v7
	v_sub_f32_e32 v6, v99, v6
	v_add_f32_e32 v18, v6, v7
	v_frexp_mant_f32_e32 v19, v3
	v_cvt_f64_f32_e32 v[6:7], v3
	v_frexp_exp_i32_f64_e32 v6, v[6:7]
	v_cmp_gt_f32_e32 vcc, s4, v19
	s_mov_b32 s4, 0x3f317218
	s_nop 0
	v_subbrev_co_u32_e32 v36, vcc, 0, v6, vcc
	v_sub_u32_e32 v6, 0, v36
	v_ldexp_f32 v3, v3, v6
	v_ldexp_f32 v6, v18, v6
	v_add_f32_e32 v18, -1.0, v3
	v_add_f32_e32 v7, 1.0, v18
	v_sub_f32_e32 v7, v3, v7
	v_add_f32_e32 v19, v6, v7
	v_add_f32_e32 v7, 1.0, v3
	v_add_f32_e32 v48, -1.0, v7
	v_sub_f32_e32 v3, v3, v48
	v_add_f32_e32 v3, v6, v3
	v_add_f32_e32 v48, v7, v3
	v_rcp_f32_e32 v101, v48
	v_sub_f32_e32 v6, v7, v48
	v_add_f32_e32 v7, v18, v19
	v_add_f32_e32 v3, v3, v6
	v_mul_f32_e32 v115, v7, v101
	v_sub_f32_e32 v6, v18, v7
	v_mul_f32_e32 v18, v48, v115
	v_fma_f32 v52, v115, v48, -v18
	v_fmac_f32_e32 v52, v115, v3
	v_add_f32_e32 v114, v19, v6
	v_add_f32_e32 v6, v18, v52
	v_sub_f32_e32 v19, v7, v6
	v_pk_add_f32 v[112:113], v[6:7], v[18:19] neg_lo:[0,1] neg_hi:[0,1]
	s_waitcnt lgkmcnt(0)
	v_mov_b32_e32 v53, v6
	v_pk_add_f32 v[6:7], v[112:113], v[52:53] neg_lo:[0,1] neg_hi:[0,1]
	v_cmp_eq_f32_e32 vcc, s5, v99
	v_add_f32_e32 v7, v114, v7
	v_add_f32_e32 v6, v6, v7
	;; [unrolled: 1-line block ×3, first 2 shown]
	v_mul_f32_e32 v114, v101, v7
	v_mul_f32_e32 v18, v48, v114
	v_fma_f32 v52, v114, v48, -v18
	v_fmac_f32_e32 v52, v114, v3
	v_sub_f32_e32 v3, v19, v7
	v_add_f32_e32 v3, v6, v3
	v_add_f32_e32 v6, v18, v52
	v_sub_f32_e32 v19, v7, v6
	v_pk_add_f32 v[112:113], v[6:7], v[18:19] neg_lo:[0,1] neg_hi:[0,1]
	v_mov_b32_e32 v53, v6
	v_pk_add_f32 v[6:7], v[112:113], v[52:53] neg_lo:[0,1] neg_hi:[0,1]
	v_cvt_f32_i32_e32 v18, v36
	v_add_f32_e32 v3, v3, v7
	v_add_f32_e32 v3, v6, v3
	;; [unrolled: 1-line block ×4, first 2 shown]
	v_sub_f32_e32 v7, v6, v115
	v_mul_f32_e32 v3, v101, v3
	v_sub_f32_e32 v7, v114, v7
	v_add_f32_e32 v3, v7, v3
	v_add_f32_e32 v19, v6, v3
	v_mul_f32_e32 v48, v19, v19
	v_mov_b32_e32 v7, 0x3ecc95a3
	v_fmac_f32_e32 v7, 0x3e9b6dac, v48
	v_sub_f32_e32 v6, v19, v6
	v_fmaak_f32 v7, v48, v7, 0x3f2aaada
	v_sub_f32_e32 v3, v3, v6
	v_ldexp_f32 v53, v19, 1
	v_mul_f32_e32 v19, v19, v48
	v_mov_b32_e32 v6, 0x3f317218
	v_pk_mul_f32 v[6:7], v[18:19], v[6:7]
	v_ldexp_f32 v3, v3, 1
	v_fma_f32 v19, v18, s4, -v6
	v_fmamk_f32 v52, v18, 0xb102e308, v19
	v_pk_add_f32 v[18:19], v[6:7], v[52:53]
	v_mov_b32_e32 v112, v6
	v_sub_f32_e32 v36, v19, v53
	v_sub_f32_e32 v36, v7, v36
	v_add_f32_e32 v113, v3, v36
	v_pk_add_f32 v[6:7], v[18:19], v[6:7] neg_lo:[0,1] neg_hi:[0,1]
	v_pk_add_f32 v[114:115], v[18:19], v[112:113]
	v_mov_b32_e32 v53, v18
	v_mov_b32_e32 v7, v115
	v_pk_add_f32 v[116:117], v[52:53], v[6:7] neg_lo:[0,1] neg_hi:[0,1]
	v_pk_add_f32 v[6:7], v[52:53], v[6:7]
	s_mov_b32 s4, 0x33800000
	v_mov_b32_e32 v36, v7
	v_pk_add_f32 v[52:53], v[36:37], v[18:19] neg_lo:[0,1] neg_hi:[0,1]
	v_mov_b32_e32 v6, v115
	v_mov_b32_e32 v3, v52
	v_pk_add_f32 v[118:119], v[114:115], v[2:3] neg_lo:[0,1] neg_hi:[0,1]
	v_mov_b32_e32 v114, v19
	v_mov_b32_e32 v115, v52
	;; [unrolled: 1-line block ×3, first 2 shown]
	v_pk_add_f32 v[6:7], v[6:7], v[114:115] neg_lo:[0,1] neg_hi:[0,1]
	v_mov_b32_e32 v52, v113
	v_mov_b32_e32 v53, v18
	v_pk_add_f32 v[6:7], v[52:53], v[6:7] neg_lo:[0,1] neg_hi:[0,1]
	v_mov_b32_e32 v118, v116
	v_pk_add_f32 v[18:19], v[118:119], v[6:7]
	v_cmp_lt_f32_e64 s[4:5], |v99|, s4
	v_mov_b32_e32 v48, v19
	v_pk_add_f32 v[52:53], v[18:19], v[48:49]
	s_or_b64 vcc, vcc, s[4:5]
	v_pk_add_f32 v[112:113], v[36:37], v[52:53]
	v_mov_b32_e32 v7, v52
	v_mov_b32_e32 v19, v112
	v_pk_add_f32 v[114:115], v[18:19], v[116:117] neg_lo:[0,1] neg_hi:[0,1]
	s_nop 0
	v_sub_f32_e32 v3, v18, v114
	v_pk_add_f32 v[6:7], v[6:7], v[114:115] neg_lo:[0,1] neg_hi:[0,1]
	v_sub_f32_e32 v3, v116, v3
	v_add_f32_e32 v3, v6, v3
	v_add_f32_e32 v3, v3, v7
	;; [unrolled: 1-line block ×3, first 2 shown]
	v_cndmask_b32_e32 v3, v3, v99, vcc
	v_add_f32_e32 v52, v2, v3
.LBB121_376:
	s_or_b64 exec, exec, s[2:3]
	v_max_f32_e32 v2, v52, v52
	v_min_f32_e32 v3, v2, v49
	v_cmp_u_f32_e32 vcc, v52, v52
	v_max_f32_e32 v2, v2, v49
	s_movk_i32 s4, 0x1f8
	v_cndmask_b32_e32 v3, v3, v52, vcc
	v_cndmask_b32_e32 v2, v2, v52, vcc
	v_cndmask_b32_e64 v3, v3, v37, s[12:13]
	v_cndmask_b32_e64 v2, v2, v37, s[12:13]
	v_cmp_neq_f32_e32 vcc, v3, v2
	v_cmp_class_f32_e64 s[2:3], v3, s4
	s_or_b64 s[6:7], vcc, s[2:3]
	s_waitcnt lgkmcnt(0)
	v_mov_b32_e32 v53, v52
	s_and_saveexec_b64 s[2:3], s[6:7]
	s_cbranch_execz .LBB121_378
; %bb.377:
	v_sub_f32_e32 v3, v3, v2
	s_mov_b32 s5, 0x3fb8aa3b
	v_mul_f32_e32 v6, 0x3fb8aa3b, v3
	v_fma_f32 v7, v3, s5, -v6
	v_rndne_f32_e32 v18, v6
	v_fmamk_f32 v7, v3, 0x32a5705f, v7
	v_sub_f32_e32 v6, v6, v18
	v_add_f32_e32 v6, v6, v7
	v_exp_f32_e32 v6, v6
	v_cvt_i32_f32_e32 v7, v18
	s_mov_b32 s5, 0xc2ce8ed0
	v_cmp_ngt_f32_e32 vcc, s5, v3
	s_mov_b32 s5, 0x42b17218
	v_ldexp_f32 v6, v6, v7
	v_cndmask_b32_e32 v6, 0, v6, vcc
	v_mov_b32_e32 v7, 0x7f800000
	v_cmp_nlt_f32_e32 vcc, s5, v3
	s_mov_b32 s5, 0x3f2aaaab
	s_mov_b32 s6, 0x7f800000
	v_cndmask_b32_e32 v53, v7, v6, vcc
	v_add_f32_e32 v3, 1.0, v53
	v_add_f32_e32 v6, -1.0, v3
	v_sub_f32_e32 v7, v6, v3
	v_add_f32_e32 v7, 1.0, v7
	v_sub_f32_e32 v6, v53, v6
	v_add_f32_e32 v18, v6, v7
	v_frexp_mant_f32_e32 v19, v3
	v_cvt_f64_f32_e32 v[6:7], v3
	v_frexp_exp_i32_f64_e32 v6, v[6:7]
	v_cmp_gt_f32_e32 vcc, s5, v19
	s_mov_b32 s5, 0x3f317218
	s_nop 0
	v_subbrev_co_u32_e32 v99, vcc, 0, v6, vcc
	v_sub_u32_e32 v6, 0, v99
	v_ldexp_f32 v3, v3, v6
	v_ldexp_f32 v6, v18, v6
	v_add_f32_e32 v18, -1.0, v3
	v_add_f32_e32 v7, 1.0, v18
	v_sub_f32_e32 v7, v3, v7
	v_add_f32_e32 v19, v6, v7
	v_add_f32_e32 v7, 1.0, v3
	v_add_f32_e32 v36, -1.0, v7
	v_sub_f32_e32 v3, v3, v36
	v_add_f32_e32 v3, v6, v3
	v_add_f32_e32 v101, v7, v3
	v_rcp_f32_e32 v112, v101
	v_sub_f32_e32 v6, v7, v101
	v_add_f32_e32 v7, v18, v19
	v_add_f32_e32 v3, v3, v6
	v_mul_f32_e32 v114, v7, v112
	v_sub_f32_e32 v6, v18, v7
	v_mul_f32_e32 v18, v101, v114
	v_fma_f32 v36, v114, v101, -v18
	v_fmac_f32_e32 v36, v114, v3
	v_add_f32_e32 v113, v19, v6
	v_add_f32_e32 v6, v18, v36
	v_sub_f32_e32 v19, v7, v6
	v_pk_add_f32 v[48:49], v[6:7], v[18:19] neg_lo:[0,1] neg_hi:[0,1]
	v_mov_b32_e32 v37, v6
	v_pk_add_f32 v[6:7], v[48:49], v[36:37] neg_lo:[0,1] neg_hi:[0,1]
	v_cmp_eq_f32_e32 vcc, s6, v53
	v_add_f32_e32 v7, v113, v7
	v_add_f32_e32 v6, v6, v7
	;; [unrolled: 1-line block ×3, first 2 shown]
	v_mul_f32_e32 v113, v112, v7
	v_mul_f32_e32 v18, v101, v113
	v_fma_f32 v36, v113, v101, -v18
	v_fmac_f32_e32 v36, v113, v3
	v_sub_f32_e32 v3, v19, v7
	v_add_f32_e32 v3, v6, v3
	v_add_f32_e32 v6, v18, v36
	v_sub_f32_e32 v19, v7, v6
	v_pk_add_f32 v[48:49], v[6:7], v[18:19] neg_lo:[0,1] neg_hi:[0,1]
	v_mov_b32_e32 v37, v6
	v_pk_add_f32 v[6:7], v[48:49], v[36:37] neg_lo:[0,1] neg_hi:[0,1]
	v_cvt_f32_i32_e32 v18, v99
	v_add_f32_e32 v3, v3, v7
	v_add_f32_e32 v3, v6, v3
	;; [unrolled: 1-line block ×4, first 2 shown]
	v_sub_f32_e32 v7, v6, v114
	v_mul_f32_e32 v3, v112, v3
	v_sub_f32_e32 v7, v113, v7
	v_add_f32_e32 v3, v7, v3
	v_add_f32_e32 v19, v6, v3
	v_mul_f32_e32 v36, v19, v19
	v_mov_b32_e32 v7, 0x3ecc95a3
	v_fmac_f32_e32 v7, 0x3e9b6dac, v36
	v_sub_f32_e32 v6, v19, v6
	v_fmaak_f32 v7, v36, v7, 0x3f2aaada
	v_sub_f32_e32 v3, v3, v6
	v_ldexp_f32 v37, v19, 1
	v_mul_f32_e32 v19, v19, v36
	v_mov_b32_e32 v6, 0x3f317218
	v_pk_mul_f32 v[6:7], v[18:19], v[6:7]
	v_ldexp_f32 v3, v3, 1
	v_fma_f32 v19, v18, s5, -v6
	v_fmamk_f32 v36, v18, 0xb102e308, v19
	v_pk_add_f32 v[18:19], v[6:7], v[36:37]
	v_mov_b32_e32 v48, v6
	v_sub_f32_e32 v37, v19, v37
	v_sub_f32_e32 v37, v7, v37
	v_add_f32_e32 v49, v3, v37
	v_pk_add_f32 v[6:7], v[18:19], v[6:7] neg_lo:[0,1] neg_hi:[0,1]
	v_pk_add_f32 v[112:113], v[18:19], v[48:49]
	v_mov_b32_e32 v37, v18
	v_mov_b32_e32 v7, v113
	v_pk_add_f32 v[114:115], v[36:37], v[6:7] neg_lo:[0,1] neg_hi:[0,1]
	v_pk_add_f32 v[6:7], v[36:37], v[6:7]
	v_mov_b32_e32 v48, v49
	v_mov_b32_e32 v36, v7
	v_pk_add_f32 v[116:117], v[36:37], v[18:19] neg_lo:[0,1] neg_hi:[0,1]
	v_mov_b32_e32 v6, v113
	v_mov_b32_e32 v3, v116
	v_pk_add_f32 v[118:119], v[112:113], v[2:3] neg_lo:[0,1] neg_hi:[0,1]
	v_mov_b32_e32 v112, v19
	v_mov_b32_e32 v113, v116
	;; [unrolled: 1-line block ×3, first 2 shown]
	v_pk_add_f32 v[6:7], v[6:7], v[112:113] neg_lo:[0,1] neg_hi:[0,1]
	v_mov_b32_e32 v49, v18
	v_pk_add_f32 v[6:7], v[48:49], v[6:7] neg_lo:[0,1] neg_hi:[0,1]
	v_mov_b32_e32 v118, v114
	v_pk_add_f32 v[18:19], v[118:119], v[6:7]
	s_mov_b32 s5, 0x33800000
	v_mov_b32_e32 v48, v19
	v_pk_add_f32 v[48:49], v[18:19], v[48:49]
	v_cmp_lt_f32_e64 s[6:7], |v53|, s5
	v_pk_add_f32 v[36:37], v[36:37], v[48:49]
	v_mov_b32_e32 v7, v48
	v_mov_b32_e32 v19, v36
	v_pk_add_f32 v[112:113], v[18:19], v[114:115] neg_lo:[0,1] neg_hi:[0,1]
	s_or_b64 vcc, vcc, s[6:7]
	v_sub_f32_e32 v3, v18, v112
	v_pk_add_f32 v[6:7], v[6:7], v[112:113] neg_lo:[0,1] neg_hi:[0,1]
	v_sub_f32_e32 v3, v114, v3
	v_add_f32_e32 v3, v6, v3
	v_add_f32_e32 v3, v3, v7
	;; [unrolled: 1-line block ×3, first 2 shown]
	v_cndmask_b32_e32 v3, v3, v53, vcc
	v_add_f32_e32 v53, v2, v3
.LBB121_378:
	s_or_b64 exec, exec, s[2:3]
	v_max_f32_e32 v2, v53, v53
	v_min_f32_e32 v3, v2, v54
	v_cmp_u_f32_e32 vcc, v53, v53
	v_max_f32_e32 v2, v2, v54
	v_mov_b32_e32 v54, v53
	v_cndmask_b32_e32 v3, v3, v53, vcc
	v_cndmask_b32_e32 v2, v2, v53, vcc
	v_cndmask_b32_e64 v3, v3, v38, s[14:15]
	v_cndmask_b32_e64 v2, v2, v38, s[14:15]
	v_cmp_neq_f32_e32 vcc, v3, v2
	v_cmp_class_f32_e64 s[2:3], v3, s4
	s_or_b64 s[4:5], vcc, s[2:3]
	s_and_saveexec_b64 s[2:3], s[4:5]
	s_cbranch_execz .LBB121_380
; %bb.379:
	v_sub_f32_e32 v3, v3, v2
	s_mov_b32 s4, 0x3fb8aa3b
	v_mul_f32_e32 v6, 0x3fb8aa3b, v3
	v_fma_f32 v7, v3, s4, -v6
	v_rndne_f32_e32 v18, v6
	v_fmamk_f32 v7, v3, 0x32a5705f, v7
	v_sub_f32_e32 v6, v6, v18
	v_add_f32_e32 v6, v6, v7
	v_exp_f32_e32 v6, v6
	v_cvt_i32_f32_e32 v7, v18
	s_mov_b32 s4, 0xc2ce8ed0
	v_cmp_ngt_f32_e32 vcc, s4, v3
	s_mov_b32 s4, 0x42b17218
	v_ldexp_f32 v6, v6, v7
	v_cndmask_b32_e32 v6, 0, v6, vcc
	v_mov_b32_e32 v7, 0x7f800000
	v_cmp_nlt_f32_e32 vcc, s4, v3
	s_mov_b32 s4, 0x3f2aaaab
	s_mov_b32 s5, 0x7f800000
	v_cndmask_b32_e32 v54, v7, v6, vcc
	v_add_f32_e32 v3, 1.0, v54
	v_add_f32_e32 v6, -1.0, v3
	v_sub_f32_e32 v7, v6, v3
	v_add_f32_e32 v7, 1.0, v7
	v_sub_f32_e32 v6, v54, v6
	v_add_f32_e32 v18, v6, v7
	v_frexp_mant_f32_e32 v19, v3
	v_cvt_f64_f32_e32 v[6:7], v3
	v_frexp_exp_i32_f64_e32 v6, v[6:7]
	v_cmp_gt_f32_e32 vcc, s4, v19
	s_mov_b32 s4, 0x3f317218
	s_nop 0
	v_subbrev_co_u32_e32 v38, vcc, 0, v6, vcc
	v_sub_u32_e32 v6, 0, v38
	v_ldexp_f32 v3, v3, v6
	v_ldexp_f32 v6, v18, v6
	v_add_f32_e32 v18, -1.0, v3
	v_add_f32_e32 v7, 1.0, v18
	v_sub_f32_e32 v7, v3, v7
	v_add_f32_e32 v19, v6, v7
	v_add_f32_e32 v7, 1.0, v3
	v_add_f32_e32 v36, -1.0, v7
	v_sub_f32_e32 v3, v3, v36
	v_add_f32_e32 v3, v6, v3
	v_add_f32_e32 v99, v7, v3
	v_rcp_f32_e32 v101, v99
	v_sub_f32_e32 v6, v7, v99
	v_add_f32_e32 v7, v18, v19
	v_add_f32_e32 v3, v3, v6
	v_mul_f32_e32 v113, v7, v101
	v_sub_f32_e32 v6, v18, v7
	v_mul_f32_e32 v18, v99, v113
	v_fma_f32 v36, v113, v99, -v18
	v_fmac_f32_e32 v36, v113, v3
	v_add_f32_e32 v112, v19, v6
	v_add_f32_e32 v6, v18, v36
	v_sub_f32_e32 v19, v7, v6
	v_pk_add_f32 v[48:49], v[6:7], v[18:19] neg_lo:[0,1] neg_hi:[0,1]
	v_mov_b32_e32 v37, v6
	v_pk_add_f32 v[6:7], v[48:49], v[36:37] neg_lo:[0,1] neg_hi:[0,1]
	v_cmp_eq_f32_e32 vcc, s5, v54
	v_add_f32_e32 v7, v112, v7
	v_add_f32_e32 v6, v6, v7
	;; [unrolled: 1-line block ×3, first 2 shown]
	v_mul_f32_e32 v112, v101, v7
	v_mul_f32_e32 v18, v99, v112
	v_fma_f32 v36, v112, v99, -v18
	v_fmac_f32_e32 v36, v112, v3
	v_sub_f32_e32 v3, v19, v7
	v_add_f32_e32 v3, v6, v3
	v_add_f32_e32 v6, v18, v36
	v_sub_f32_e32 v19, v7, v6
	v_pk_add_f32 v[48:49], v[6:7], v[18:19] neg_lo:[0,1] neg_hi:[0,1]
	v_mov_b32_e32 v37, v6
	v_pk_add_f32 v[6:7], v[48:49], v[36:37] neg_lo:[0,1] neg_hi:[0,1]
	v_cvt_f32_i32_e32 v18, v38
	v_add_f32_e32 v3, v3, v7
	v_add_f32_e32 v3, v6, v3
	;; [unrolled: 1-line block ×4, first 2 shown]
	v_sub_f32_e32 v7, v6, v113
	v_mul_f32_e32 v3, v101, v3
	v_sub_f32_e32 v7, v112, v7
	v_add_f32_e32 v3, v7, v3
	v_add_f32_e32 v19, v6, v3
	v_mul_f32_e32 v36, v19, v19
	v_mov_b32_e32 v7, 0x3ecc95a3
	v_fmac_f32_e32 v7, 0x3e9b6dac, v36
	v_sub_f32_e32 v6, v19, v6
	v_fmaak_f32 v7, v36, v7, 0x3f2aaada
	v_sub_f32_e32 v3, v3, v6
	v_ldexp_f32 v37, v19, 1
	v_mul_f32_e32 v19, v19, v36
	v_mov_b32_e32 v6, 0x3f317218
	v_pk_mul_f32 v[6:7], v[18:19], v[6:7]
	v_ldexp_f32 v3, v3, 1
	v_fma_f32 v19, v18, s4, -v6
	v_fmamk_f32 v36, v18, 0xb102e308, v19
	v_pk_add_f32 v[18:19], v[6:7], v[36:37]
	v_mov_b32_e32 v48, v6
	v_sub_f32_e32 v37, v19, v37
	v_sub_f32_e32 v37, v7, v37
	v_add_f32_e32 v49, v3, v37
	v_pk_add_f32 v[6:7], v[18:19], v[6:7] neg_lo:[0,1] neg_hi:[0,1]
	v_pk_add_f32 v[112:113], v[18:19], v[48:49]
	v_mov_b32_e32 v37, v18
	v_mov_b32_e32 v7, v113
	v_pk_add_f32 v[114:115], v[36:37], v[6:7] neg_lo:[0,1] neg_hi:[0,1]
	v_pk_add_f32 v[6:7], v[36:37], v[6:7]
	v_mov_b32_e32 v48, v49
	v_mov_b32_e32 v36, v7
	v_pk_add_f32 v[116:117], v[36:37], v[18:19] neg_lo:[0,1] neg_hi:[0,1]
	v_mov_b32_e32 v6, v113
	v_mov_b32_e32 v3, v116
	v_pk_add_f32 v[118:119], v[112:113], v[2:3] neg_lo:[0,1] neg_hi:[0,1]
	v_mov_b32_e32 v112, v19
	v_mov_b32_e32 v113, v116
	;; [unrolled: 1-line block ×3, first 2 shown]
	v_pk_add_f32 v[6:7], v[6:7], v[112:113] neg_lo:[0,1] neg_hi:[0,1]
	v_mov_b32_e32 v49, v18
	v_pk_add_f32 v[6:7], v[48:49], v[6:7] neg_lo:[0,1] neg_hi:[0,1]
	v_mov_b32_e32 v118, v114
	v_pk_add_f32 v[18:19], v[118:119], v[6:7]
	s_mov_b32 s4, 0x33800000
	v_mov_b32_e32 v38, v19
	v_pk_add_f32 v[48:49], v[18:19], v[38:39]
	v_cmp_lt_f32_e64 s[4:5], |v54|, s4
	v_pk_add_f32 v[36:37], v[36:37], v[48:49]
	v_mov_b32_e32 v7, v48
	v_mov_b32_e32 v19, v36
	v_pk_add_f32 v[112:113], v[18:19], v[114:115] neg_lo:[0,1] neg_hi:[0,1]
	s_or_b64 vcc, vcc, s[4:5]
	v_sub_f32_e32 v3, v18, v112
	v_pk_add_f32 v[6:7], v[6:7], v[112:113] neg_lo:[0,1] neg_hi:[0,1]
	v_sub_f32_e32 v3, v114, v3
	v_add_f32_e32 v3, v6, v3
	v_add_f32_e32 v3, v3, v7
	;; [unrolled: 1-line block ×3, first 2 shown]
	v_cndmask_b32_e32 v3, v3, v54, vcc
	v_add_f32_e32 v54, v2, v3
.LBB121_380:
	s_or_b64 exec, exec, s[2:3]
	v_max_f32_e32 v2, v54, v54
	v_min_f32_e32 v3, v2, v55
	v_cmp_u_f32_e32 vcc, v54, v54
	v_max_f32_e32 v2, v2, v55
	s_movk_i32 s4, 0x1f8
	v_cndmask_b32_e32 v3, v3, v54, vcc
	v_cndmask_b32_e32 v2, v2, v54, vcc
	v_cndmask_b32_e64 v3, v3, v39, s[16:17]
	v_cndmask_b32_e64 v2, v2, v39, s[16:17]
	v_cmp_neq_f32_e32 vcc, v3, v2
	v_cmp_class_f32_e64 s[2:3], v3, s4
	s_or_b64 s[6:7], vcc, s[2:3]
	v_mov_b32_e32 v55, v54
	s_and_saveexec_b64 s[2:3], s[6:7]
	s_cbranch_execz .LBB121_382
; %bb.381:
	v_sub_f32_e32 v3, v3, v2
	s_mov_b32 s5, 0x3fb8aa3b
	v_mul_f32_e32 v6, 0x3fb8aa3b, v3
	v_fma_f32 v7, v3, s5, -v6
	v_rndne_f32_e32 v18, v6
	v_fmamk_f32 v7, v3, 0x32a5705f, v7
	v_sub_f32_e32 v6, v6, v18
	v_add_f32_e32 v6, v6, v7
	v_exp_f32_e32 v6, v6
	v_cvt_i32_f32_e32 v7, v18
	s_mov_b32 s5, 0xc2ce8ed0
	v_cmp_ngt_f32_e32 vcc, s5, v3
	s_mov_b32 s5, 0x42b17218
	v_ldexp_f32 v6, v6, v7
	v_cndmask_b32_e32 v6, 0, v6, vcc
	v_mov_b32_e32 v7, 0x7f800000
	v_cmp_nlt_f32_e32 vcc, s5, v3
	s_mov_b32 s5, 0x3f2aaaab
	s_mov_b32 s6, 0x7f800000
	v_cndmask_b32_e32 v55, v7, v6, vcc
	v_add_f32_e32 v3, 1.0, v55
	v_add_f32_e32 v6, -1.0, v3
	v_sub_f32_e32 v7, v6, v3
	v_add_f32_e32 v7, 1.0, v7
	v_sub_f32_e32 v6, v55, v6
	v_add_f32_e32 v18, v6, v7
	v_frexp_mant_f32_e32 v19, v3
	v_cvt_f64_f32_e32 v[6:7], v3
	v_frexp_exp_i32_f64_e32 v6, v[6:7]
	v_cmp_gt_f32_e32 vcc, s5, v19
	s_mov_b32 s5, 0x3f317218
	s_nop 0
	v_subbrev_co_u32_e32 v48, vcc, 0, v6, vcc
	v_sub_u32_e32 v6, 0, v48
	v_ldexp_f32 v3, v3, v6
	v_ldexp_f32 v6, v18, v6
	v_add_f32_e32 v18, -1.0, v3
	v_add_f32_e32 v7, 1.0, v18
	v_sub_f32_e32 v7, v3, v7
	v_add_f32_e32 v19, v6, v7
	v_add_f32_e32 v7, 1.0, v3
	v_add_f32_e32 v36, -1.0, v7
	v_sub_f32_e32 v3, v3, v36
	v_add_f32_e32 v3, v6, v3
	v_add_f32_e32 v49, v7, v3
	v_rcp_f32_e32 v99, v49
	v_sub_f32_e32 v6, v7, v49
	v_add_f32_e32 v7, v18, v19
	v_add_f32_e32 v3, v3, v6
	v_mul_f32_e32 v112, v7, v99
	v_sub_f32_e32 v6, v18, v7
	v_mul_f32_e32 v18, v49, v112
	v_fma_f32 v36, v112, v49, -v18
	v_fmac_f32_e32 v36, v112, v3
	v_add_f32_e32 v101, v19, v6
	v_add_f32_e32 v6, v18, v36
	v_sub_f32_e32 v19, v7, v6
	v_pk_add_f32 v[38:39], v[6:7], v[18:19] neg_lo:[0,1] neg_hi:[0,1]
	v_mov_b32_e32 v37, v6
	v_pk_add_f32 v[6:7], v[38:39], v[36:37] neg_lo:[0,1] neg_hi:[0,1]
	v_cmp_eq_f32_e32 vcc, s6, v55
	v_add_f32_e32 v7, v101, v7
	v_add_f32_e32 v6, v6, v7
	;; [unrolled: 1-line block ×3, first 2 shown]
	v_mul_f32_e32 v101, v99, v7
	v_mul_f32_e32 v18, v49, v101
	v_fma_f32 v36, v101, v49, -v18
	v_fmac_f32_e32 v36, v101, v3
	v_sub_f32_e32 v3, v19, v7
	v_add_f32_e32 v3, v6, v3
	v_add_f32_e32 v6, v18, v36
	v_sub_f32_e32 v19, v7, v6
	v_pk_add_f32 v[38:39], v[6:7], v[18:19] neg_lo:[0,1] neg_hi:[0,1]
	v_mov_b32_e32 v37, v6
	v_pk_add_f32 v[6:7], v[38:39], v[36:37] neg_lo:[0,1] neg_hi:[0,1]
	v_cvt_f32_i32_e32 v18, v48
	v_add_f32_e32 v3, v3, v7
	v_add_f32_e32 v3, v6, v3
	;; [unrolled: 1-line block ×4, first 2 shown]
	v_sub_f32_e32 v7, v6, v112
	v_mul_f32_e32 v3, v99, v3
	v_sub_f32_e32 v7, v101, v7
	v_add_f32_e32 v3, v7, v3
	v_add_f32_e32 v19, v6, v3
	v_mul_f32_e32 v36, v19, v19
	v_mov_b32_e32 v7, 0x3ecc95a3
	v_fmac_f32_e32 v7, 0x3e9b6dac, v36
	v_sub_f32_e32 v6, v19, v6
	v_fmaak_f32 v7, v36, v7, 0x3f2aaada
	v_sub_f32_e32 v3, v3, v6
	v_ldexp_f32 v37, v19, 1
	v_mul_f32_e32 v19, v19, v36
	v_mov_b32_e32 v6, 0x3f317218
	v_pk_mul_f32 v[6:7], v[18:19], v[6:7]
	v_ldexp_f32 v3, v3, 1
	v_fma_f32 v19, v18, s5, -v6
	v_fmamk_f32 v36, v18, 0xb102e308, v19
	v_pk_add_f32 v[18:19], v[6:7], v[36:37]
	v_mov_b32_e32 v38, v6
	v_sub_f32_e32 v37, v19, v37
	v_sub_f32_e32 v37, v7, v37
	v_add_f32_e32 v39, v3, v37
	v_pk_add_f32 v[6:7], v[18:19], v[6:7] neg_lo:[0,1] neg_hi:[0,1]
	v_pk_add_f32 v[48:49], v[18:19], v[38:39]
	v_mov_b32_e32 v37, v18
	v_mov_b32_e32 v7, v49
	v_pk_add_f32 v[112:113], v[36:37], v[6:7] neg_lo:[0,1] neg_hi:[0,1]
	v_pk_add_f32 v[6:7], v[36:37], v[6:7]
	v_mov_b32_e32 v38, v39
	v_mov_b32_e32 v36, v7
	v_pk_add_f32 v[114:115], v[36:37], v[18:19] neg_lo:[0,1] neg_hi:[0,1]
	v_mov_b32_e32 v6, v49
	v_mov_b32_e32 v3, v114
	v_pk_add_f32 v[116:117], v[48:49], v[2:3] neg_lo:[0,1] neg_hi:[0,1]
	v_mov_b32_e32 v48, v19
	v_mov_b32_e32 v49, v114
	;; [unrolled: 1-line block ×3, first 2 shown]
	v_pk_add_f32 v[6:7], v[6:7], v[48:49] neg_lo:[0,1] neg_hi:[0,1]
	v_mov_b32_e32 v39, v18
	v_pk_add_f32 v[6:7], v[38:39], v[6:7] neg_lo:[0,1] neg_hi:[0,1]
	v_mov_b32_e32 v116, v112
	v_pk_add_f32 v[18:19], v[116:117], v[6:7]
	s_mov_b32 s5, 0x33800000
	v_mov_b32_e32 v38, v19
	v_pk_add_f32 v[38:39], v[18:19], v[38:39]
	v_cmp_lt_f32_e64 s[6:7], |v55|, s5
	v_pk_add_f32 v[36:37], v[36:37], v[38:39]
	v_mov_b32_e32 v7, v38
	v_mov_b32_e32 v19, v36
	v_pk_add_f32 v[48:49], v[18:19], v[112:113] neg_lo:[0,1] neg_hi:[0,1]
	s_or_b64 vcc, vcc, s[6:7]
	v_sub_f32_e32 v3, v18, v48
	v_pk_add_f32 v[6:7], v[6:7], v[48:49] neg_lo:[0,1] neg_hi:[0,1]
	v_sub_f32_e32 v3, v112, v3
	v_add_f32_e32 v3, v6, v3
	v_add_f32_e32 v3, v3, v7
	;; [unrolled: 1-line block ×3, first 2 shown]
	v_cndmask_b32_e32 v3, v3, v55, vcc
	v_add_f32_e32 v55, v2, v3
.LBB121_382:
	s_or_b64 exec, exec, s[2:3]
	v_max_f32_e32 v2, v55, v55
	v_min_f32_e32 v3, v2, v64
	v_cmp_u_f32_e32 vcc, v55, v55
	v_max_f32_e32 v2, v2, v64
	v_mov_b32_e32 v64, v55
	v_cndmask_b32_e32 v3, v3, v55, vcc
	v_cndmask_b32_e32 v2, v2, v55, vcc
	v_cndmask_b32_e64 v3, v3, v32, s[18:19]
	v_cndmask_b32_e64 v2, v2, v32, s[18:19]
	v_cmp_neq_f32_e32 vcc, v3, v2
	v_cmp_class_f32_e64 s[2:3], v3, s4
	s_or_b64 s[4:5], vcc, s[2:3]
	s_and_saveexec_b64 s[2:3], s[4:5]
	s_cbranch_execz .LBB121_384
; %bb.383:
	v_sub_f32_e32 v3, v3, v2
	s_mov_b32 s4, 0x3fb8aa3b
	v_mul_f32_e32 v6, 0x3fb8aa3b, v3
	v_fma_f32 v7, v3, s4, -v6
	v_rndne_f32_e32 v18, v6
	v_fmamk_f32 v7, v3, 0x32a5705f, v7
	v_sub_f32_e32 v6, v6, v18
	v_add_f32_e32 v6, v6, v7
	v_exp_f32_e32 v6, v6
	v_cvt_i32_f32_e32 v7, v18
	s_mov_b32 s4, 0xc2ce8ed0
	v_cmp_ngt_f32_e32 vcc, s4, v3
	s_mov_b32 s4, 0x42b17218
	v_ldexp_f32 v6, v6, v7
	v_cndmask_b32_e32 v6, 0, v6, vcc
	v_mov_b32_e32 v7, 0x7f800000
	v_cmp_nlt_f32_e32 vcc, s4, v3
	s_mov_b32 s4, 0x3f2aaaab
	s_mov_b32 s5, 0x7f800000
	v_cndmask_b32_e32 v64, v7, v6, vcc
	v_add_f32_e32 v3, 1.0, v64
	v_add_f32_e32 v6, -1.0, v3
	v_sub_f32_e32 v7, v6, v3
	v_add_f32_e32 v7, 1.0, v7
	v_sub_f32_e32 v6, v64, v6
	v_add_f32_e32 v18, v6, v7
	v_frexp_mant_f32_e32 v19, v3
	v_cvt_f64_f32_e32 v[6:7], v3
	v_frexp_exp_i32_f64_e32 v6, v[6:7]
	v_cmp_gt_f32_e32 vcc, s4, v19
	s_mov_b32 s4, 0x3f317218
	s_nop 0
	v_subbrev_co_u32_e32 v32, vcc, 0, v6, vcc
	v_sub_u32_e32 v6, 0, v32
	v_ldexp_f32 v3, v3, v6
	v_ldexp_f32 v6, v18, v6
	v_add_f32_e32 v18, -1.0, v3
	v_add_f32_e32 v7, 1.0, v18
	v_sub_f32_e32 v7, v3, v7
	v_add_f32_e32 v19, v6, v7
	v_add_f32_e32 v7, 1.0, v3
	v_add_f32_e32 v36, -1.0, v7
	v_sub_f32_e32 v3, v3, v36
	v_add_f32_e32 v3, v6, v3
	v_add_f32_e32 v48, v7, v3
	v_rcp_f32_e32 v49, v48
	v_sub_f32_e32 v6, v7, v48
	v_add_f32_e32 v7, v18, v19
	v_add_f32_e32 v3, v3, v6
	v_mul_f32_e32 v101, v7, v49
	v_sub_f32_e32 v6, v18, v7
	v_mul_f32_e32 v18, v48, v101
	v_fma_f32 v36, v101, v48, -v18
	v_fmac_f32_e32 v36, v101, v3
	v_add_f32_e32 v99, v19, v6
	v_add_f32_e32 v6, v18, v36
	v_sub_f32_e32 v19, v7, v6
	v_pk_add_f32 v[38:39], v[6:7], v[18:19] neg_lo:[0,1] neg_hi:[0,1]
	v_mov_b32_e32 v37, v6
	v_pk_add_f32 v[6:7], v[38:39], v[36:37] neg_lo:[0,1] neg_hi:[0,1]
	v_cmp_eq_f32_e32 vcc, s5, v64
	v_add_f32_e32 v7, v99, v7
	v_add_f32_e32 v6, v6, v7
	;; [unrolled: 1-line block ×3, first 2 shown]
	v_mul_f32_e32 v99, v49, v7
	v_mul_f32_e32 v18, v48, v99
	v_fma_f32 v36, v99, v48, -v18
	v_fmac_f32_e32 v36, v99, v3
	v_sub_f32_e32 v3, v19, v7
	v_add_f32_e32 v3, v6, v3
	v_add_f32_e32 v6, v18, v36
	v_sub_f32_e32 v19, v7, v6
	v_pk_add_f32 v[38:39], v[6:7], v[18:19] neg_lo:[0,1] neg_hi:[0,1]
	v_mov_b32_e32 v37, v6
	v_pk_add_f32 v[6:7], v[38:39], v[36:37] neg_lo:[0,1] neg_hi:[0,1]
	v_cvt_f32_i32_e32 v18, v32
	v_add_f32_e32 v3, v3, v7
	v_add_f32_e32 v3, v6, v3
	;; [unrolled: 1-line block ×4, first 2 shown]
	v_sub_f32_e32 v7, v6, v101
	v_mul_f32_e32 v3, v49, v3
	v_sub_f32_e32 v7, v99, v7
	v_add_f32_e32 v3, v7, v3
	v_add_f32_e32 v19, v6, v3
	v_mul_f32_e32 v36, v19, v19
	v_mov_b32_e32 v7, 0x3ecc95a3
	v_fmac_f32_e32 v7, 0x3e9b6dac, v36
	v_sub_f32_e32 v6, v19, v6
	v_fmaak_f32 v7, v36, v7, 0x3f2aaada
	v_sub_f32_e32 v3, v3, v6
	v_ldexp_f32 v37, v19, 1
	v_mul_f32_e32 v19, v19, v36
	v_mov_b32_e32 v6, 0x3f317218
	v_pk_mul_f32 v[6:7], v[18:19], v[6:7]
	v_ldexp_f32 v3, v3, 1
	v_fma_f32 v19, v18, s4, -v6
	v_fmamk_f32 v36, v18, 0xb102e308, v19
	v_pk_add_f32 v[18:19], v[6:7], v[36:37]
	v_mov_b32_e32 v38, v6
	v_sub_f32_e32 v32, v19, v37
	v_sub_f32_e32 v32, v7, v32
	v_add_f32_e32 v39, v3, v32
	v_pk_add_f32 v[6:7], v[18:19], v[6:7] neg_lo:[0,1] neg_hi:[0,1]
	v_pk_add_f32 v[48:49], v[18:19], v[38:39]
	v_mov_b32_e32 v37, v18
	v_mov_b32_e32 v7, v49
	v_pk_add_f32 v[112:113], v[36:37], v[6:7] neg_lo:[0,1] neg_hi:[0,1]
	v_pk_add_f32 v[6:7], v[36:37], v[6:7]
	s_mov_b32 s4, 0x33800000
	v_mov_b32_e32 v32, v7
	v_pk_add_f32 v[36:37], v[32:33], v[18:19] neg_lo:[0,1] neg_hi:[0,1]
	v_mov_b32_e32 v6, v49
	v_mov_b32_e32 v3, v36
	v_pk_add_f32 v[114:115], v[48:49], v[2:3] neg_lo:[0,1] neg_hi:[0,1]
	v_mov_b32_e32 v48, v19
	v_mov_b32_e32 v49, v36
	;; [unrolled: 1-line block ×3, first 2 shown]
	v_pk_add_f32 v[6:7], v[6:7], v[48:49] neg_lo:[0,1] neg_hi:[0,1]
	v_mov_b32_e32 v36, v39
	v_mov_b32_e32 v37, v18
	v_pk_add_f32 v[6:7], v[36:37], v[6:7] neg_lo:[0,1] neg_hi:[0,1]
	v_mov_b32_e32 v114, v112
	v_pk_add_f32 v[18:19], v[114:115], v[6:7]
	v_cmp_lt_f32_e64 s[4:5], |v64|, s4
	v_mov_b32_e32 v36, v19
	v_pk_add_f32 v[36:37], v[18:19], v[36:37]
	s_or_b64 vcc, vcc, s[4:5]
	v_pk_add_f32 v[38:39], v[32:33], v[36:37]
	v_mov_b32_e32 v7, v36
	v_mov_b32_e32 v19, v38
	v_pk_add_f32 v[48:49], v[18:19], v[112:113] neg_lo:[0,1] neg_hi:[0,1]
	s_nop 0
	v_sub_f32_e32 v3, v18, v48
	v_pk_add_f32 v[6:7], v[6:7], v[48:49] neg_lo:[0,1] neg_hi:[0,1]
	v_sub_f32_e32 v3, v112, v3
	v_add_f32_e32 v3, v6, v3
	v_add_f32_e32 v3, v3, v7
	;; [unrolled: 1-line block ×3, first 2 shown]
	v_cndmask_b32_e32 v3, v3, v64, vcc
	v_add_f32_e32 v64, v2, v3
.LBB121_384:
	s_or_b64 exec, exec, s[2:3]
	v_max_f32_e32 v2, v64, v64
	v_min_f32_e32 v3, v2, v65
	v_cmp_u_f32_e32 vcc, v64, v64
	v_max_f32_e32 v2, v2, v65
	s_movk_i32 s4, 0x1f8
	v_cndmask_b32_e32 v3, v3, v64, vcc
	v_cndmask_b32_e32 v2, v2, v64, vcc
	v_cndmask_b32_e64 v3, v3, v33, s[20:21]
	v_cndmask_b32_e64 v2, v2, v33, s[20:21]
	v_cmp_neq_f32_e32 vcc, v3, v2
	v_cmp_class_f32_e64 s[2:3], v3, s4
	s_or_b64 s[6:7], vcc, s[2:3]
	v_mov_b32_e32 v65, v64
	s_and_saveexec_b64 s[2:3], s[6:7]
	s_cbranch_execz .LBB121_386
; %bb.385:
	v_sub_f32_e32 v3, v3, v2
	s_mov_b32 s5, 0x3fb8aa3b
	v_mul_f32_e32 v6, 0x3fb8aa3b, v3
	v_fma_f32 v7, v3, s5, -v6
	v_rndne_f32_e32 v18, v6
	v_fmamk_f32 v7, v3, 0x32a5705f, v7
	v_sub_f32_e32 v6, v6, v18
	v_add_f32_e32 v6, v6, v7
	v_exp_f32_e32 v6, v6
	v_cvt_i32_f32_e32 v7, v18
	s_mov_b32 s5, 0xc2ce8ed0
	v_cmp_ngt_f32_e32 vcc, s5, v3
	s_mov_b32 s5, 0x42b17218
	v_ldexp_f32 v6, v6, v7
	v_cndmask_b32_e32 v6, 0, v6, vcc
	v_mov_b32_e32 v7, 0x7f800000
	v_cmp_nlt_f32_e32 vcc, s5, v3
	s_mov_b32 s5, 0x3f2aaaab
	s_mov_b32 s6, 0x7f800000
	v_cndmask_b32_e32 v65, v7, v6, vcc
	v_add_f32_e32 v3, 1.0, v65
	v_add_f32_e32 v6, -1.0, v3
	v_sub_f32_e32 v7, v6, v3
	v_add_f32_e32 v7, 1.0, v7
	v_sub_f32_e32 v6, v65, v6
	v_add_f32_e32 v18, v6, v7
	v_frexp_mant_f32_e32 v19, v3
	v_cvt_f64_f32_e32 v[6:7], v3
	v_frexp_exp_i32_f64_e32 v6, v[6:7]
	v_cmp_gt_f32_e32 vcc, s5, v19
	s_mov_b32 s5, 0x3f317218
	s_nop 0
	v_subbrev_co_u32_e32 v38, vcc, 0, v6, vcc
	v_sub_u32_e32 v6, 0, v38
	v_ldexp_f32 v3, v3, v6
	v_ldexp_f32 v6, v18, v6
	v_add_f32_e32 v18, -1.0, v3
	v_add_f32_e32 v7, 1.0, v18
	v_sub_f32_e32 v7, v3, v7
	v_add_f32_e32 v19, v6, v7
	v_add_f32_e32 v7, 1.0, v3
	v_add_f32_e32 v32, -1.0, v7
	v_sub_f32_e32 v3, v3, v32
	v_add_f32_e32 v3, v6, v3
	v_add_f32_e32 v39, v7, v3
	v_rcp_f32_e32 v48, v39
	v_sub_f32_e32 v6, v7, v39
	v_add_f32_e32 v7, v18, v19
	v_add_f32_e32 v3, v3, v6
	v_mul_f32_e32 v99, v7, v48
	v_sub_f32_e32 v6, v18, v7
	v_mul_f32_e32 v18, v39, v99
	v_fma_f32 v32, v99, v39, -v18
	v_fmac_f32_e32 v32, v99, v3
	v_add_f32_e32 v49, v19, v6
	v_add_f32_e32 v6, v18, v32
	v_sub_f32_e32 v19, v7, v6
	v_pk_add_f32 v[36:37], v[6:7], v[18:19] neg_lo:[0,1] neg_hi:[0,1]
	v_mov_b32_e32 v33, v6
	v_pk_add_f32 v[6:7], v[36:37], v[32:33] neg_lo:[0,1] neg_hi:[0,1]
	v_cmp_eq_f32_e32 vcc, s6, v65
	v_add_f32_e32 v7, v49, v7
	v_add_f32_e32 v6, v6, v7
	;; [unrolled: 1-line block ×3, first 2 shown]
	v_mul_f32_e32 v49, v48, v7
	v_mul_f32_e32 v18, v39, v49
	v_fma_f32 v32, v49, v39, -v18
	v_fmac_f32_e32 v32, v49, v3
	v_sub_f32_e32 v3, v19, v7
	v_add_f32_e32 v3, v6, v3
	v_add_f32_e32 v6, v18, v32
	v_sub_f32_e32 v19, v7, v6
	v_pk_add_f32 v[36:37], v[6:7], v[18:19] neg_lo:[0,1] neg_hi:[0,1]
	v_mov_b32_e32 v33, v6
	v_pk_add_f32 v[6:7], v[36:37], v[32:33] neg_lo:[0,1] neg_hi:[0,1]
	v_cvt_f32_i32_e32 v18, v38
	v_add_f32_e32 v3, v3, v7
	v_add_f32_e32 v3, v6, v3
	;; [unrolled: 1-line block ×4, first 2 shown]
	v_sub_f32_e32 v7, v6, v99
	v_mul_f32_e32 v3, v48, v3
	v_sub_f32_e32 v7, v49, v7
	v_add_f32_e32 v3, v7, v3
	v_add_f32_e32 v19, v6, v3
	v_mul_f32_e32 v32, v19, v19
	v_mov_b32_e32 v7, 0x3ecc95a3
	v_fmac_f32_e32 v7, 0x3e9b6dac, v32
	v_sub_f32_e32 v6, v19, v6
	v_fmaak_f32 v7, v32, v7, 0x3f2aaada
	v_sub_f32_e32 v3, v3, v6
	v_ldexp_f32 v33, v19, 1
	v_mul_f32_e32 v19, v19, v32
	v_mov_b32_e32 v6, 0x3f317218
	v_pk_mul_f32 v[6:7], v[18:19], v[6:7]
	v_ldexp_f32 v3, v3, 1
	v_fma_f32 v19, v18, s5, -v6
	v_fmamk_f32 v32, v18, 0xb102e308, v19
	v_pk_add_f32 v[18:19], v[6:7], v[32:33]
	v_mov_b32_e32 v36, v6
	v_sub_f32_e32 v33, v19, v33
	v_sub_f32_e32 v33, v7, v33
	v_add_f32_e32 v37, v3, v33
	v_pk_add_f32 v[6:7], v[18:19], v[6:7] neg_lo:[0,1] neg_hi:[0,1]
	v_pk_add_f32 v[38:39], v[18:19], v[36:37]
	v_mov_b32_e32 v33, v18
	v_mov_b32_e32 v7, v39
	v_pk_add_f32 v[48:49], v[32:33], v[6:7] neg_lo:[0,1] neg_hi:[0,1]
	v_pk_add_f32 v[6:7], v[32:33], v[6:7]
	v_mov_b32_e32 v36, v37
	v_mov_b32_e32 v32, v7
	v_pk_add_f32 v[112:113], v[32:33], v[18:19] neg_lo:[0,1] neg_hi:[0,1]
	v_mov_b32_e32 v6, v39
	v_mov_b32_e32 v3, v112
	v_pk_add_f32 v[114:115], v[38:39], v[2:3] neg_lo:[0,1] neg_hi:[0,1]
	v_mov_b32_e32 v38, v19
	v_mov_b32_e32 v39, v112
	;; [unrolled: 1-line block ×3, first 2 shown]
	v_pk_add_f32 v[6:7], v[6:7], v[38:39] neg_lo:[0,1] neg_hi:[0,1]
	v_mov_b32_e32 v37, v18
	v_pk_add_f32 v[6:7], v[36:37], v[6:7] neg_lo:[0,1] neg_hi:[0,1]
	v_mov_b32_e32 v114, v48
	v_pk_add_f32 v[18:19], v[114:115], v[6:7]
	s_mov_b32 s5, 0x33800000
	v_mov_b32_e32 v36, v19
	v_pk_add_f32 v[36:37], v[18:19], v[36:37]
	v_cmp_lt_f32_e64 s[6:7], |v65|, s5
	v_pk_add_f32 v[32:33], v[32:33], v[36:37]
	v_mov_b32_e32 v7, v36
	v_mov_b32_e32 v19, v32
	v_pk_add_f32 v[38:39], v[18:19], v[48:49] neg_lo:[0,1] neg_hi:[0,1]
	s_or_b64 vcc, vcc, s[6:7]
	v_sub_f32_e32 v3, v18, v38
	v_pk_add_f32 v[6:7], v[6:7], v[38:39] neg_lo:[0,1] neg_hi:[0,1]
	v_sub_f32_e32 v3, v48, v3
	v_add_f32_e32 v3, v6, v3
	v_add_f32_e32 v3, v3, v7
	;; [unrolled: 1-line block ×3, first 2 shown]
	v_cndmask_b32_e32 v3, v3, v65, vcc
	v_add_f32_e32 v65, v2, v3
.LBB121_386:
	s_or_b64 exec, exec, s[2:3]
	v_max_f32_e32 v2, v65, v65
	v_min_f32_e32 v3, v2, v66
	v_cmp_u_f32_e32 vcc, v65, v65
	v_max_f32_e32 v2, v2, v66
	v_mov_b32_e32 v66, v65
	v_cndmask_b32_e32 v3, v3, v65, vcc
	v_cndmask_b32_e32 v2, v2, v65, vcc
	v_cndmask_b32_e64 v3, v3, v34, s[22:23]
	v_cndmask_b32_e64 v2, v2, v34, s[22:23]
	v_cmp_neq_f32_e32 vcc, v3, v2
	v_cmp_class_f32_e64 s[2:3], v3, s4
	s_or_b64 s[4:5], vcc, s[2:3]
	s_and_saveexec_b64 s[2:3], s[4:5]
	s_cbranch_execz .LBB121_388
; %bb.387:
	v_sub_f32_e32 v3, v3, v2
	s_mov_b32 s4, 0x3fb8aa3b
	v_mul_f32_e32 v6, 0x3fb8aa3b, v3
	v_fma_f32 v7, v3, s4, -v6
	v_rndne_f32_e32 v18, v6
	v_fmamk_f32 v7, v3, 0x32a5705f, v7
	v_sub_f32_e32 v6, v6, v18
	v_add_f32_e32 v6, v6, v7
	v_exp_f32_e32 v6, v6
	v_cvt_i32_f32_e32 v7, v18
	s_mov_b32 s4, 0xc2ce8ed0
	v_cmp_ngt_f32_e32 vcc, s4, v3
	s_mov_b32 s4, 0x42b17218
	v_ldexp_f32 v6, v6, v7
	v_cndmask_b32_e32 v6, 0, v6, vcc
	v_mov_b32_e32 v7, 0x7f800000
	v_cmp_nlt_f32_e32 vcc, s4, v3
	s_mov_b32 s4, 0x3f2aaaab
	s_mov_b32 s5, 0x7f800000
	v_cndmask_b32_e32 v66, v7, v6, vcc
	v_add_f32_e32 v3, 1.0, v66
	v_add_f32_e32 v6, -1.0, v3
	v_sub_f32_e32 v7, v6, v3
	v_add_f32_e32 v7, 1.0, v7
	v_sub_f32_e32 v6, v66, v6
	v_add_f32_e32 v18, v6, v7
	v_frexp_mant_f32_e32 v19, v3
	v_cvt_f64_f32_e32 v[6:7], v3
	v_frexp_exp_i32_f64_e32 v6, v[6:7]
	v_cmp_gt_f32_e32 vcc, s4, v19
	s_mov_b32 s4, 0x3f317218
	s_nop 0
	v_subbrev_co_u32_e32 v34, vcc, 0, v6, vcc
	v_sub_u32_e32 v6, 0, v34
	v_ldexp_f32 v3, v3, v6
	v_ldexp_f32 v6, v18, v6
	v_add_f32_e32 v18, -1.0, v3
	v_add_f32_e32 v7, 1.0, v18
	v_sub_f32_e32 v7, v3, v7
	v_add_f32_e32 v19, v6, v7
	v_add_f32_e32 v7, 1.0, v3
	v_add_f32_e32 v32, -1.0, v7
	v_sub_f32_e32 v3, v3, v32
	v_add_f32_e32 v3, v6, v3
	v_add_f32_e32 v38, v7, v3
	v_rcp_f32_e32 v39, v38
	v_sub_f32_e32 v6, v7, v38
	v_add_f32_e32 v7, v18, v19
	v_add_f32_e32 v3, v3, v6
	v_mul_f32_e32 v49, v7, v39
	v_sub_f32_e32 v6, v18, v7
	v_mul_f32_e32 v18, v38, v49
	v_fma_f32 v32, v49, v38, -v18
	v_fmac_f32_e32 v32, v49, v3
	v_add_f32_e32 v48, v19, v6
	v_add_f32_e32 v6, v18, v32
	v_sub_f32_e32 v19, v7, v6
	v_pk_add_f32 v[36:37], v[6:7], v[18:19] neg_lo:[0,1] neg_hi:[0,1]
	v_mov_b32_e32 v33, v6
	v_pk_add_f32 v[6:7], v[36:37], v[32:33] neg_lo:[0,1] neg_hi:[0,1]
	v_cmp_eq_f32_e32 vcc, s5, v66
	v_add_f32_e32 v7, v48, v7
	v_add_f32_e32 v6, v6, v7
	;; [unrolled: 1-line block ×3, first 2 shown]
	v_mul_f32_e32 v48, v39, v7
	v_mul_f32_e32 v18, v38, v48
	v_fma_f32 v32, v48, v38, -v18
	v_fmac_f32_e32 v32, v48, v3
	v_sub_f32_e32 v3, v19, v7
	v_add_f32_e32 v3, v6, v3
	v_add_f32_e32 v6, v18, v32
	v_sub_f32_e32 v19, v7, v6
	v_pk_add_f32 v[36:37], v[6:7], v[18:19] neg_lo:[0,1] neg_hi:[0,1]
	v_mov_b32_e32 v33, v6
	v_pk_add_f32 v[6:7], v[36:37], v[32:33] neg_lo:[0,1] neg_hi:[0,1]
	v_cvt_f32_i32_e32 v18, v34
	v_add_f32_e32 v3, v3, v7
	v_add_f32_e32 v3, v6, v3
	;; [unrolled: 1-line block ×4, first 2 shown]
	v_sub_f32_e32 v7, v6, v49
	v_mul_f32_e32 v3, v39, v3
	v_sub_f32_e32 v7, v48, v7
	v_add_f32_e32 v3, v7, v3
	v_add_f32_e32 v19, v6, v3
	v_mul_f32_e32 v32, v19, v19
	v_mov_b32_e32 v7, 0x3ecc95a3
	v_fmac_f32_e32 v7, 0x3e9b6dac, v32
	v_sub_f32_e32 v6, v19, v6
	v_fmaak_f32 v7, v32, v7, 0x3f2aaada
	v_sub_f32_e32 v3, v3, v6
	v_ldexp_f32 v33, v19, 1
	v_mul_f32_e32 v19, v19, v32
	v_mov_b32_e32 v6, 0x3f317218
	v_pk_mul_f32 v[6:7], v[18:19], v[6:7]
	v_ldexp_f32 v3, v3, 1
	v_fma_f32 v19, v18, s4, -v6
	v_fmamk_f32 v32, v18, 0xb102e308, v19
	v_pk_add_f32 v[18:19], v[6:7], v[32:33]
	v_mov_b32_e32 v36, v6
	v_sub_f32_e32 v33, v19, v33
	v_sub_f32_e32 v33, v7, v33
	v_add_f32_e32 v37, v3, v33
	v_pk_add_f32 v[6:7], v[18:19], v[6:7] neg_lo:[0,1] neg_hi:[0,1]
	v_pk_add_f32 v[38:39], v[18:19], v[36:37]
	v_mov_b32_e32 v33, v18
	v_mov_b32_e32 v7, v39
	v_pk_add_f32 v[48:49], v[32:33], v[6:7] neg_lo:[0,1] neg_hi:[0,1]
	v_pk_add_f32 v[6:7], v[32:33], v[6:7]
	v_mov_b32_e32 v36, v37
	v_mov_b32_e32 v32, v7
	v_pk_add_f32 v[112:113], v[32:33], v[18:19] neg_lo:[0,1] neg_hi:[0,1]
	v_mov_b32_e32 v6, v39
	v_mov_b32_e32 v3, v112
	v_pk_add_f32 v[114:115], v[38:39], v[2:3] neg_lo:[0,1] neg_hi:[0,1]
	v_mov_b32_e32 v38, v19
	v_mov_b32_e32 v39, v112
	;; [unrolled: 1-line block ×3, first 2 shown]
	v_pk_add_f32 v[6:7], v[6:7], v[38:39] neg_lo:[0,1] neg_hi:[0,1]
	v_mov_b32_e32 v37, v18
	v_pk_add_f32 v[6:7], v[36:37], v[6:7] neg_lo:[0,1] neg_hi:[0,1]
	v_mov_b32_e32 v114, v48
	v_pk_add_f32 v[18:19], v[114:115], v[6:7]
	s_mov_b32 s4, 0x33800000
	v_mov_b32_e32 v34, v19
	v_pk_add_f32 v[36:37], v[18:19], v[34:35]
	v_cmp_lt_f32_e64 s[4:5], |v66|, s4
	v_pk_add_f32 v[32:33], v[32:33], v[36:37]
	v_mov_b32_e32 v7, v36
	v_mov_b32_e32 v19, v32
	v_pk_add_f32 v[38:39], v[18:19], v[48:49] neg_lo:[0,1] neg_hi:[0,1]
	s_or_b64 vcc, vcc, s[4:5]
	v_sub_f32_e32 v3, v18, v38
	v_pk_add_f32 v[6:7], v[6:7], v[38:39] neg_lo:[0,1] neg_hi:[0,1]
	v_sub_f32_e32 v3, v48, v3
	v_add_f32_e32 v3, v6, v3
	v_add_f32_e32 v3, v3, v7
	;; [unrolled: 1-line block ×3, first 2 shown]
	v_cndmask_b32_e32 v3, v3, v66, vcc
	v_add_f32_e32 v66, v2, v3
.LBB121_388:
	s_or_b64 exec, exec, s[2:3]
	v_max_f32_e32 v2, v66, v66
	v_min_f32_e32 v3, v2, v67
	v_cmp_u_f32_e32 vcc, v66, v66
	v_max_f32_e32 v2, v2, v67
	s_movk_i32 s4, 0x1f8
	v_cndmask_b32_e32 v3, v3, v66, vcc
	v_cndmask_b32_e32 v2, v2, v66, vcc
	v_cndmask_b32_e64 v3, v3, v35, s[24:25]
	v_cndmask_b32_e64 v2, v2, v35, s[24:25]
	v_cmp_neq_f32_e32 vcc, v3, v2
	v_cmp_class_f32_e64 s[2:3], v3, s4
	s_or_b64 s[6:7], vcc, s[2:3]
	v_mov_b32_e32 v67, v66
	s_and_saveexec_b64 s[2:3], s[6:7]
	s_cbranch_execz .LBB121_390
; %bb.389:
	v_sub_f32_e32 v3, v3, v2
	s_mov_b32 s5, 0x3fb8aa3b
	v_mul_f32_e32 v6, 0x3fb8aa3b, v3
	v_fma_f32 v7, v3, s5, -v6
	v_rndne_f32_e32 v18, v6
	v_fmamk_f32 v7, v3, 0x32a5705f, v7
	v_sub_f32_e32 v6, v6, v18
	v_add_f32_e32 v6, v6, v7
	v_exp_f32_e32 v6, v6
	v_cvt_i32_f32_e32 v7, v18
	s_mov_b32 s5, 0xc2ce8ed0
	v_cmp_ngt_f32_e32 vcc, s5, v3
	s_mov_b32 s5, 0x42b17218
	v_ldexp_f32 v6, v6, v7
	v_cndmask_b32_e32 v6, 0, v6, vcc
	v_mov_b32_e32 v7, 0x7f800000
	v_cmp_nlt_f32_e32 vcc, s5, v3
	s_mov_b32 s5, 0x3f2aaaab
	s_mov_b32 s6, 0x7f800000
	v_cndmask_b32_e32 v67, v7, v6, vcc
	v_add_f32_e32 v3, 1.0, v67
	v_add_f32_e32 v6, -1.0, v3
	v_sub_f32_e32 v7, v6, v3
	v_add_f32_e32 v7, 1.0, v7
	v_sub_f32_e32 v6, v67, v6
	v_add_f32_e32 v18, v6, v7
	v_frexp_mant_f32_e32 v19, v3
	v_cvt_f64_f32_e32 v[6:7], v3
	v_frexp_exp_i32_f64_e32 v6, v[6:7]
	v_cmp_gt_f32_e32 vcc, s5, v19
	s_mov_b32 s5, 0x3f317218
	s_nop 0
	v_subbrev_co_u32_e32 v36, vcc, 0, v6, vcc
	v_sub_u32_e32 v6, 0, v36
	v_ldexp_f32 v3, v3, v6
	v_ldexp_f32 v6, v18, v6
	v_add_f32_e32 v18, -1.0, v3
	v_add_f32_e32 v7, 1.0, v18
	v_sub_f32_e32 v7, v3, v7
	v_add_f32_e32 v19, v6, v7
	v_add_f32_e32 v7, 1.0, v3
	v_add_f32_e32 v32, -1.0, v7
	v_sub_f32_e32 v3, v3, v32
	v_add_f32_e32 v3, v6, v3
	v_add_f32_e32 v37, v7, v3
	v_rcp_f32_e32 v38, v37
	v_sub_f32_e32 v6, v7, v37
	v_add_f32_e32 v7, v18, v19
	v_add_f32_e32 v3, v3, v6
	v_mul_f32_e32 v48, v7, v38
	v_sub_f32_e32 v6, v18, v7
	v_mul_f32_e32 v18, v37, v48
	v_fma_f32 v32, v48, v37, -v18
	v_fmac_f32_e32 v32, v48, v3
	v_add_f32_e32 v39, v19, v6
	v_add_f32_e32 v6, v18, v32
	v_sub_f32_e32 v19, v7, v6
	v_pk_add_f32 v[34:35], v[6:7], v[18:19] neg_lo:[0,1] neg_hi:[0,1]
	v_mov_b32_e32 v33, v6
	v_pk_add_f32 v[6:7], v[34:35], v[32:33] neg_lo:[0,1] neg_hi:[0,1]
	v_cmp_eq_f32_e32 vcc, s6, v67
	v_add_f32_e32 v7, v39, v7
	v_add_f32_e32 v6, v6, v7
	;; [unrolled: 1-line block ×3, first 2 shown]
	v_mul_f32_e32 v39, v38, v7
	v_mul_f32_e32 v18, v37, v39
	v_fma_f32 v32, v39, v37, -v18
	v_fmac_f32_e32 v32, v39, v3
	v_sub_f32_e32 v3, v19, v7
	v_add_f32_e32 v3, v6, v3
	v_add_f32_e32 v6, v18, v32
	v_sub_f32_e32 v19, v7, v6
	v_pk_add_f32 v[34:35], v[6:7], v[18:19] neg_lo:[0,1] neg_hi:[0,1]
	v_mov_b32_e32 v33, v6
	v_pk_add_f32 v[6:7], v[34:35], v[32:33] neg_lo:[0,1] neg_hi:[0,1]
	v_cvt_f32_i32_e32 v18, v36
	v_add_f32_e32 v3, v3, v7
	v_add_f32_e32 v3, v6, v3
	;; [unrolled: 1-line block ×4, first 2 shown]
	v_sub_f32_e32 v7, v6, v48
	v_mul_f32_e32 v3, v38, v3
	v_sub_f32_e32 v7, v39, v7
	v_add_f32_e32 v3, v7, v3
	v_add_f32_e32 v19, v6, v3
	v_mul_f32_e32 v32, v19, v19
	v_mov_b32_e32 v7, 0x3ecc95a3
	v_fmac_f32_e32 v7, 0x3e9b6dac, v32
	v_sub_f32_e32 v6, v19, v6
	v_fmaak_f32 v7, v32, v7, 0x3f2aaada
	v_sub_f32_e32 v3, v3, v6
	v_ldexp_f32 v33, v19, 1
	v_mul_f32_e32 v19, v19, v32
	v_mov_b32_e32 v6, 0x3f317218
	v_pk_mul_f32 v[6:7], v[18:19], v[6:7]
	v_ldexp_f32 v3, v3, 1
	v_fma_f32 v19, v18, s5, -v6
	v_fmamk_f32 v32, v18, 0xb102e308, v19
	v_pk_add_f32 v[18:19], v[6:7], v[32:33]
	v_mov_b32_e32 v34, v6
	v_sub_f32_e32 v33, v19, v33
	v_sub_f32_e32 v33, v7, v33
	v_add_f32_e32 v35, v3, v33
	v_pk_add_f32 v[6:7], v[18:19], v[6:7] neg_lo:[0,1] neg_hi:[0,1]
	v_pk_add_f32 v[36:37], v[18:19], v[34:35]
	v_mov_b32_e32 v33, v18
	v_mov_b32_e32 v7, v37
	v_pk_add_f32 v[38:39], v[32:33], v[6:7] neg_lo:[0,1] neg_hi:[0,1]
	v_pk_add_f32 v[6:7], v[32:33], v[6:7]
	v_mov_b32_e32 v34, v35
	v_mov_b32_e32 v32, v7
	v_pk_add_f32 v[48:49], v[32:33], v[18:19] neg_lo:[0,1] neg_hi:[0,1]
	v_mov_b32_e32 v6, v37
	v_mov_b32_e32 v3, v48
	v_pk_add_f32 v[112:113], v[36:37], v[2:3] neg_lo:[0,1] neg_hi:[0,1]
	v_mov_b32_e32 v36, v19
	v_mov_b32_e32 v37, v48
	;; [unrolled: 1-line block ×3, first 2 shown]
	v_pk_add_f32 v[6:7], v[6:7], v[36:37] neg_lo:[0,1] neg_hi:[0,1]
	v_mov_b32_e32 v35, v18
	v_pk_add_f32 v[6:7], v[34:35], v[6:7] neg_lo:[0,1] neg_hi:[0,1]
	v_mov_b32_e32 v112, v38
	v_pk_add_f32 v[18:19], v[112:113], v[6:7]
	s_mov_b32 s5, 0x33800000
	v_mov_b32_e32 v34, v19
	v_pk_add_f32 v[34:35], v[18:19], v[34:35]
	v_cmp_lt_f32_e64 s[6:7], |v67|, s5
	v_pk_add_f32 v[32:33], v[32:33], v[34:35]
	v_mov_b32_e32 v7, v34
	v_mov_b32_e32 v19, v32
	v_pk_add_f32 v[36:37], v[18:19], v[38:39] neg_lo:[0,1] neg_hi:[0,1]
	s_or_b64 vcc, vcc, s[6:7]
	v_sub_f32_e32 v3, v18, v36
	v_pk_add_f32 v[6:7], v[6:7], v[36:37] neg_lo:[0,1] neg_hi:[0,1]
	v_sub_f32_e32 v3, v38, v3
	v_add_f32_e32 v3, v6, v3
	v_add_f32_e32 v3, v3, v7
	;; [unrolled: 1-line block ×3, first 2 shown]
	v_cndmask_b32_e32 v3, v3, v67, vcc
	v_add_f32_e32 v67, v2, v3
.LBB121_390:
	s_or_b64 exec, exec, s[2:3]
	v_max_f32_e32 v2, v67, v67
	v_min_f32_e32 v3, v2, v68
	v_cmp_u_f32_e32 vcc, v67, v67
	v_max_f32_e32 v2, v2, v68
	v_mov_b32_e32 v68, v67
	v_cndmask_b32_e32 v3, v3, v67, vcc
	v_cndmask_b32_e32 v2, v2, v67, vcc
	v_cndmask_b32_e64 v3, v3, v28, s[26:27]
	v_cndmask_b32_e64 v2, v2, v28, s[26:27]
	v_cmp_neq_f32_e32 vcc, v3, v2
	v_cmp_class_f32_e64 s[2:3], v3, s4
	s_or_b64 s[4:5], vcc, s[2:3]
	s_and_saveexec_b64 s[2:3], s[4:5]
	s_cbranch_execz .LBB121_392
; %bb.391:
	v_sub_f32_e32 v3, v3, v2
	s_mov_b32 s4, 0x3fb8aa3b
	v_mul_f32_e32 v6, 0x3fb8aa3b, v3
	v_fma_f32 v7, v3, s4, -v6
	v_rndne_f32_e32 v18, v6
	v_fmamk_f32 v7, v3, 0x32a5705f, v7
	v_sub_f32_e32 v6, v6, v18
	v_add_f32_e32 v6, v6, v7
	v_exp_f32_e32 v6, v6
	v_cvt_i32_f32_e32 v7, v18
	s_mov_b32 s4, 0xc2ce8ed0
	v_cmp_ngt_f32_e32 vcc, s4, v3
	s_mov_b32 s4, 0x42b17218
	v_ldexp_f32 v6, v6, v7
	v_cndmask_b32_e32 v6, 0, v6, vcc
	v_mov_b32_e32 v7, 0x7f800000
	v_cmp_nlt_f32_e32 vcc, s4, v3
	s_mov_b32 s4, 0x3f2aaaab
	s_mov_b32 s5, 0x7f800000
	v_cndmask_b32_e32 v68, v7, v6, vcc
	v_add_f32_e32 v3, 1.0, v68
	v_add_f32_e32 v6, -1.0, v3
	v_sub_f32_e32 v7, v6, v3
	v_add_f32_e32 v7, 1.0, v7
	v_sub_f32_e32 v6, v68, v6
	v_add_f32_e32 v18, v6, v7
	v_frexp_mant_f32_e32 v19, v3
	v_cvt_f64_f32_e32 v[6:7], v3
	v_frexp_exp_i32_f64_e32 v6, v[6:7]
	v_cmp_gt_f32_e32 vcc, s4, v19
	s_mov_b32 s4, 0x3f317218
	s_nop 0
	v_subbrev_co_u32_e32 v28, vcc, 0, v6, vcc
	v_sub_u32_e32 v6, 0, v28
	v_ldexp_f32 v3, v3, v6
	v_ldexp_f32 v6, v18, v6
	v_add_f32_e32 v18, -1.0, v3
	v_add_f32_e32 v7, 1.0, v18
	v_sub_f32_e32 v7, v3, v7
	v_add_f32_e32 v19, v6, v7
	v_add_f32_e32 v7, 1.0, v3
	v_add_f32_e32 v32, -1.0, v7
	v_sub_f32_e32 v3, v3, v32
	v_add_f32_e32 v3, v6, v3
	v_add_f32_e32 v36, v7, v3
	v_rcp_f32_e32 v37, v36
	v_sub_f32_e32 v6, v7, v36
	v_add_f32_e32 v7, v18, v19
	v_add_f32_e32 v3, v3, v6
	v_mul_f32_e32 v39, v7, v37
	v_sub_f32_e32 v6, v18, v7
	v_mul_f32_e32 v18, v36, v39
	v_fma_f32 v32, v39, v36, -v18
	v_fmac_f32_e32 v32, v39, v3
	v_add_f32_e32 v38, v19, v6
	v_add_f32_e32 v6, v18, v32
	v_sub_f32_e32 v19, v7, v6
	v_pk_add_f32 v[34:35], v[6:7], v[18:19] neg_lo:[0,1] neg_hi:[0,1]
	v_mov_b32_e32 v33, v6
	v_pk_add_f32 v[6:7], v[34:35], v[32:33] neg_lo:[0,1] neg_hi:[0,1]
	v_cmp_eq_f32_e32 vcc, s5, v68
	v_add_f32_e32 v7, v38, v7
	v_add_f32_e32 v6, v6, v7
	;; [unrolled: 1-line block ×3, first 2 shown]
	v_mul_f32_e32 v38, v37, v7
	v_mul_f32_e32 v18, v36, v38
	v_fma_f32 v32, v38, v36, -v18
	v_fmac_f32_e32 v32, v38, v3
	v_sub_f32_e32 v3, v19, v7
	v_add_f32_e32 v3, v6, v3
	v_add_f32_e32 v6, v18, v32
	v_sub_f32_e32 v19, v7, v6
	v_pk_add_f32 v[34:35], v[6:7], v[18:19] neg_lo:[0,1] neg_hi:[0,1]
	v_mov_b32_e32 v33, v6
	v_pk_add_f32 v[6:7], v[34:35], v[32:33] neg_lo:[0,1] neg_hi:[0,1]
	v_cvt_f32_i32_e32 v18, v28
	v_add_f32_e32 v3, v3, v7
	v_add_f32_e32 v3, v6, v3
	;; [unrolled: 1-line block ×4, first 2 shown]
	v_sub_f32_e32 v7, v6, v39
	v_mul_f32_e32 v3, v37, v3
	v_sub_f32_e32 v7, v38, v7
	v_add_f32_e32 v3, v7, v3
	v_add_f32_e32 v19, v6, v3
	v_mul_f32_e32 v32, v19, v19
	v_mov_b32_e32 v7, 0x3ecc95a3
	v_fmac_f32_e32 v7, 0x3e9b6dac, v32
	v_sub_f32_e32 v6, v19, v6
	v_fmaak_f32 v7, v32, v7, 0x3f2aaada
	v_sub_f32_e32 v3, v3, v6
	v_ldexp_f32 v33, v19, 1
	v_mul_f32_e32 v19, v19, v32
	v_mov_b32_e32 v6, 0x3f317218
	v_pk_mul_f32 v[6:7], v[18:19], v[6:7]
	v_ldexp_f32 v3, v3, 1
	v_fma_f32 v19, v18, s4, -v6
	v_fmamk_f32 v32, v18, 0xb102e308, v19
	v_pk_add_f32 v[18:19], v[6:7], v[32:33]
	v_mov_b32_e32 v34, v6
	v_sub_f32_e32 v28, v19, v33
	v_sub_f32_e32 v28, v7, v28
	v_add_f32_e32 v35, v3, v28
	v_pk_add_f32 v[6:7], v[18:19], v[6:7] neg_lo:[0,1] neg_hi:[0,1]
	v_pk_add_f32 v[36:37], v[18:19], v[34:35]
	v_mov_b32_e32 v33, v18
	v_mov_b32_e32 v7, v37
	v_pk_add_f32 v[38:39], v[32:33], v[6:7] neg_lo:[0,1] neg_hi:[0,1]
	v_pk_add_f32 v[6:7], v[32:33], v[6:7]
	s_mov_b32 s4, 0x33800000
	v_mov_b32_e32 v28, v7
	v_pk_add_f32 v[32:33], v[28:29], v[18:19] neg_lo:[0,1] neg_hi:[0,1]
	v_mov_b32_e32 v6, v37
	v_mov_b32_e32 v3, v32
	v_pk_add_f32 v[48:49], v[36:37], v[2:3] neg_lo:[0,1] neg_hi:[0,1]
	v_mov_b32_e32 v36, v19
	v_mov_b32_e32 v37, v32
	;; [unrolled: 1-line block ×3, first 2 shown]
	v_pk_add_f32 v[6:7], v[6:7], v[36:37] neg_lo:[0,1] neg_hi:[0,1]
	v_mov_b32_e32 v32, v35
	v_mov_b32_e32 v33, v18
	v_pk_add_f32 v[6:7], v[32:33], v[6:7] neg_lo:[0,1] neg_hi:[0,1]
	v_mov_b32_e32 v48, v38
	v_pk_add_f32 v[18:19], v[48:49], v[6:7]
	v_cmp_lt_f32_e64 s[4:5], |v68|, s4
	v_mov_b32_e32 v32, v19
	v_pk_add_f32 v[32:33], v[18:19], v[32:33]
	s_or_b64 vcc, vcc, s[4:5]
	v_pk_add_f32 v[34:35], v[28:29], v[32:33]
	v_mov_b32_e32 v7, v32
	v_mov_b32_e32 v19, v34
	v_pk_add_f32 v[36:37], v[18:19], v[38:39] neg_lo:[0,1] neg_hi:[0,1]
	s_nop 0
	v_sub_f32_e32 v3, v18, v36
	v_pk_add_f32 v[6:7], v[6:7], v[36:37] neg_lo:[0,1] neg_hi:[0,1]
	v_sub_f32_e32 v3, v38, v3
	v_add_f32_e32 v3, v6, v3
	v_add_f32_e32 v3, v3, v7
	;; [unrolled: 1-line block ×3, first 2 shown]
	v_cndmask_b32_e32 v3, v3, v68, vcc
	v_add_f32_e32 v68, v2, v3
.LBB121_392:
	s_or_b64 exec, exec, s[2:3]
	v_max_f32_e32 v2, v68, v68
	v_min_f32_e32 v3, v2, v69
	v_cmp_u_f32_e32 vcc, v68, v68
	v_max_f32_e32 v2, v2, v69
	s_movk_i32 s4, 0x1f8
	v_cndmask_b32_e32 v3, v3, v68, vcc
	v_cndmask_b32_e32 v2, v2, v68, vcc
	v_cndmask_b32_e64 v3, v3, v29, s[28:29]
	v_cndmask_b32_e64 v2, v2, v29, s[28:29]
	v_cmp_neq_f32_e32 vcc, v3, v2
	v_cmp_class_f32_e64 s[2:3], v3, s4
	s_or_b64 s[6:7], vcc, s[2:3]
	v_mov_b32_e32 v69, v68
	s_and_saveexec_b64 s[2:3], s[6:7]
	s_cbranch_execz .LBB121_394
; %bb.393:
	v_sub_f32_e32 v3, v3, v2
	s_mov_b32 s5, 0x3fb8aa3b
	v_mul_f32_e32 v6, 0x3fb8aa3b, v3
	v_fma_f32 v7, v3, s5, -v6
	v_rndne_f32_e32 v18, v6
	v_fmamk_f32 v7, v3, 0x32a5705f, v7
	v_sub_f32_e32 v6, v6, v18
	v_add_f32_e32 v6, v6, v7
	v_exp_f32_e32 v6, v6
	v_cvt_i32_f32_e32 v7, v18
	s_mov_b32 s5, 0xc2ce8ed0
	v_cmp_ngt_f32_e32 vcc, s5, v3
	s_mov_b32 s5, 0x42b17218
	v_ldexp_f32 v6, v6, v7
	v_cndmask_b32_e32 v6, 0, v6, vcc
	v_mov_b32_e32 v7, 0x7f800000
	v_cmp_nlt_f32_e32 vcc, s5, v3
	s_mov_b32 s5, 0x3f2aaaab
	s_mov_b32 s6, 0x7f800000
	v_cndmask_b32_e32 v69, v7, v6, vcc
	v_add_f32_e32 v3, 1.0, v69
	v_add_f32_e32 v6, -1.0, v3
	v_sub_f32_e32 v7, v6, v3
	v_add_f32_e32 v7, 1.0, v7
	v_sub_f32_e32 v6, v69, v6
	v_add_f32_e32 v18, v6, v7
	v_frexp_mant_f32_e32 v19, v3
	v_cvt_f64_f32_e32 v[6:7], v3
	v_frexp_exp_i32_f64_e32 v6, v[6:7]
	v_cmp_gt_f32_e32 vcc, s5, v19
	s_mov_b32 s5, 0x3f317218
	s_nop 0
	v_subbrev_co_u32_e32 v34, vcc, 0, v6, vcc
	v_sub_u32_e32 v6, 0, v34
	v_ldexp_f32 v3, v3, v6
	v_ldexp_f32 v6, v18, v6
	v_add_f32_e32 v18, -1.0, v3
	v_add_f32_e32 v7, 1.0, v18
	v_sub_f32_e32 v7, v3, v7
	v_add_f32_e32 v19, v6, v7
	v_add_f32_e32 v7, 1.0, v3
	v_add_f32_e32 v28, -1.0, v7
	v_sub_f32_e32 v3, v3, v28
	v_add_f32_e32 v3, v6, v3
	v_add_f32_e32 v35, v7, v3
	v_rcp_f32_e32 v36, v35
	v_sub_f32_e32 v6, v7, v35
	v_add_f32_e32 v7, v18, v19
	v_add_f32_e32 v3, v3, v6
	v_mul_f32_e32 v38, v7, v36
	v_sub_f32_e32 v6, v18, v7
	v_mul_f32_e32 v18, v35, v38
	v_fma_f32 v28, v38, v35, -v18
	v_fmac_f32_e32 v28, v38, v3
	v_add_f32_e32 v37, v19, v6
	v_add_f32_e32 v6, v18, v28
	v_sub_f32_e32 v19, v7, v6
	v_pk_add_f32 v[32:33], v[6:7], v[18:19] neg_lo:[0,1] neg_hi:[0,1]
	v_mov_b32_e32 v29, v6
	v_pk_add_f32 v[6:7], v[32:33], v[28:29] neg_lo:[0,1] neg_hi:[0,1]
	v_cmp_eq_f32_e32 vcc, s6, v69
	v_add_f32_e32 v7, v37, v7
	v_add_f32_e32 v6, v6, v7
	;; [unrolled: 1-line block ×3, first 2 shown]
	v_mul_f32_e32 v37, v36, v7
	v_mul_f32_e32 v18, v35, v37
	v_fma_f32 v28, v37, v35, -v18
	v_fmac_f32_e32 v28, v37, v3
	v_sub_f32_e32 v3, v19, v7
	v_add_f32_e32 v3, v6, v3
	v_add_f32_e32 v6, v18, v28
	v_sub_f32_e32 v19, v7, v6
	v_pk_add_f32 v[32:33], v[6:7], v[18:19] neg_lo:[0,1] neg_hi:[0,1]
	v_mov_b32_e32 v29, v6
	v_pk_add_f32 v[6:7], v[32:33], v[28:29] neg_lo:[0,1] neg_hi:[0,1]
	v_cvt_f32_i32_e32 v18, v34
	v_add_f32_e32 v3, v3, v7
	v_add_f32_e32 v3, v6, v3
	;; [unrolled: 1-line block ×4, first 2 shown]
	v_sub_f32_e32 v7, v6, v38
	v_mul_f32_e32 v3, v36, v3
	v_sub_f32_e32 v7, v37, v7
	v_add_f32_e32 v3, v7, v3
	v_add_f32_e32 v19, v6, v3
	v_mul_f32_e32 v28, v19, v19
	v_mov_b32_e32 v7, 0x3ecc95a3
	v_fmac_f32_e32 v7, 0x3e9b6dac, v28
	v_sub_f32_e32 v6, v19, v6
	v_fmaak_f32 v7, v28, v7, 0x3f2aaada
	v_sub_f32_e32 v3, v3, v6
	v_ldexp_f32 v29, v19, 1
	v_mul_f32_e32 v19, v19, v28
	v_mov_b32_e32 v6, 0x3f317218
	v_pk_mul_f32 v[6:7], v[18:19], v[6:7]
	v_ldexp_f32 v3, v3, 1
	v_fma_f32 v19, v18, s5, -v6
	v_fmamk_f32 v28, v18, 0xb102e308, v19
	v_pk_add_f32 v[18:19], v[6:7], v[28:29]
	v_mov_b32_e32 v32, v6
	v_sub_f32_e32 v29, v19, v29
	v_sub_f32_e32 v29, v7, v29
	v_add_f32_e32 v33, v3, v29
	v_pk_add_f32 v[6:7], v[18:19], v[6:7] neg_lo:[0,1] neg_hi:[0,1]
	v_pk_add_f32 v[34:35], v[18:19], v[32:33]
	v_mov_b32_e32 v29, v18
	v_mov_b32_e32 v7, v35
	v_pk_add_f32 v[36:37], v[28:29], v[6:7] neg_lo:[0,1] neg_hi:[0,1]
	v_pk_add_f32 v[6:7], v[28:29], v[6:7]
	v_mov_b32_e32 v32, v33
	v_mov_b32_e32 v28, v7
	v_pk_add_f32 v[38:39], v[28:29], v[18:19] neg_lo:[0,1] neg_hi:[0,1]
	v_mov_b32_e32 v6, v35
	v_mov_b32_e32 v3, v38
	v_pk_add_f32 v[48:49], v[34:35], v[2:3] neg_lo:[0,1] neg_hi:[0,1]
	v_mov_b32_e32 v34, v19
	v_mov_b32_e32 v35, v38
	;; [unrolled: 1-line block ×3, first 2 shown]
	v_pk_add_f32 v[6:7], v[6:7], v[34:35] neg_lo:[0,1] neg_hi:[0,1]
	v_mov_b32_e32 v33, v18
	v_pk_add_f32 v[6:7], v[32:33], v[6:7] neg_lo:[0,1] neg_hi:[0,1]
	v_mov_b32_e32 v48, v36
	v_pk_add_f32 v[18:19], v[48:49], v[6:7]
	s_mov_b32 s5, 0x33800000
	v_mov_b32_e32 v32, v19
	v_pk_add_f32 v[32:33], v[18:19], v[32:33]
	v_cmp_lt_f32_e64 s[6:7], |v69|, s5
	v_pk_add_f32 v[28:29], v[28:29], v[32:33]
	v_mov_b32_e32 v7, v32
	v_mov_b32_e32 v19, v28
	v_pk_add_f32 v[34:35], v[18:19], v[36:37] neg_lo:[0,1] neg_hi:[0,1]
	s_or_b64 vcc, vcc, s[6:7]
	v_sub_f32_e32 v3, v18, v34
	v_pk_add_f32 v[6:7], v[6:7], v[34:35] neg_lo:[0,1] neg_hi:[0,1]
	v_sub_f32_e32 v3, v36, v3
	v_add_f32_e32 v3, v6, v3
	v_add_f32_e32 v3, v3, v7
	;; [unrolled: 1-line block ×3, first 2 shown]
	v_cndmask_b32_e32 v3, v3, v69, vcc
	v_add_f32_e32 v69, v2, v3
.LBB121_394:
	s_or_b64 exec, exec, s[2:3]
	v_max_f32_e32 v2, v69, v69
	v_min_f32_e32 v3, v2, v70
	v_cmp_u_f32_e32 vcc, v69, v69
	v_max_f32_e32 v2, v2, v70
	v_mov_b32_e32 v70, v69
	v_cndmask_b32_e32 v3, v3, v69, vcc
	v_cndmask_b32_e32 v2, v2, v69, vcc
	v_cndmask_b32_e64 v3, v3, v30, s[30:31]
	v_cndmask_b32_e64 v2, v2, v30, s[30:31]
	v_cmp_neq_f32_e32 vcc, v3, v2
	v_cmp_class_f32_e64 s[2:3], v3, s4
	s_or_b64 s[4:5], vcc, s[2:3]
	s_and_saveexec_b64 s[2:3], s[4:5]
	s_cbranch_execz .LBB121_396
; %bb.395:
	v_sub_f32_e32 v3, v3, v2
	s_mov_b32 s4, 0x3fb8aa3b
	v_mul_f32_e32 v6, 0x3fb8aa3b, v3
	v_fma_f32 v7, v3, s4, -v6
	v_rndne_f32_e32 v18, v6
	v_fmamk_f32 v7, v3, 0x32a5705f, v7
	v_sub_f32_e32 v6, v6, v18
	v_add_f32_e32 v6, v6, v7
	v_exp_f32_e32 v6, v6
	v_cvt_i32_f32_e32 v7, v18
	s_mov_b32 s4, 0xc2ce8ed0
	v_cmp_ngt_f32_e32 vcc, s4, v3
	s_mov_b32 s4, 0x42b17218
	v_ldexp_f32 v6, v6, v7
	v_cndmask_b32_e32 v6, 0, v6, vcc
	v_mov_b32_e32 v7, 0x7f800000
	v_cmp_nlt_f32_e32 vcc, s4, v3
	s_mov_b32 s4, 0x3f2aaaab
	s_mov_b32 s5, 0x7f800000
	v_cndmask_b32_e32 v70, v7, v6, vcc
	v_add_f32_e32 v3, 1.0, v70
	v_add_f32_e32 v6, -1.0, v3
	v_sub_f32_e32 v7, v6, v3
	v_add_f32_e32 v7, 1.0, v7
	v_sub_f32_e32 v6, v70, v6
	v_add_f32_e32 v18, v6, v7
	v_frexp_mant_f32_e32 v19, v3
	v_cvt_f64_f32_e32 v[6:7], v3
	v_frexp_exp_i32_f64_e32 v6, v[6:7]
	v_cmp_gt_f32_e32 vcc, s4, v19
	s_mov_b32 s4, 0x3f317218
	s_nop 0
	v_subbrev_co_u32_e32 v30, vcc, 0, v6, vcc
	v_sub_u32_e32 v6, 0, v30
	v_ldexp_f32 v3, v3, v6
	v_ldexp_f32 v6, v18, v6
	v_add_f32_e32 v18, -1.0, v3
	v_add_f32_e32 v7, 1.0, v18
	v_sub_f32_e32 v7, v3, v7
	v_add_f32_e32 v19, v6, v7
	v_add_f32_e32 v7, 1.0, v3
	v_add_f32_e32 v28, -1.0, v7
	v_sub_f32_e32 v3, v3, v28
	v_add_f32_e32 v3, v6, v3
	v_add_f32_e32 v34, v7, v3
	v_rcp_f32_e32 v35, v34
	v_sub_f32_e32 v6, v7, v34
	v_add_f32_e32 v7, v18, v19
	v_add_f32_e32 v3, v3, v6
	v_mul_f32_e32 v37, v7, v35
	v_sub_f32_e32 v6, v18, v7
	v_mul_f32_e32 v18, v34, v37
	v_fma_f32 v28, v37, v34, -v18
	v_fmac_f32_e32 v28, v37, v3
	v_add_f32_e32 v36, v19, v6
	v_add_f32_e32 v6, v18, v28
	v_sub_f32_e32 v19, v7, v6
	v_pk_add_f32 v[32:33], v[6:7], v[18:19] neg_lo:[0,1] neg_hi:[0,1]
	v_mov_b32_e32 v29, v6
	v_pk_add_f32 v[6:7], v[32:33], v[28:29] neg_lo:[0,1] neg_hi:[0,1]
	v_cmp_eq_f32_e32 vcc, s5, v70
	v_add_f32_e32 v7, v36, v7
	v_add_f32_e32 v6, v6, v7
	;; [unrolled: 1-line block ×3, first 2 shown]
	v_mul_f32_e32 v36, v35, v7
	v_mul_f32_e32 v18, v34, v36
	v_fma_f32 v28, v36, v34, -v18
	v_fmac_f32_e32 v28, v36, v3
	v_sub_f32_e32 v3, v19, v7
	v_add_f32_e32 v3, v6, v3
	v_add_f32_e32 v6, v18, v28
	v_sub_f32_e32 v19, v7, v6
	v_pk_add_f32 v[32:33], v[6:7], v[18:19] neg_lo:[0,1] neg_hi:[0,1]
	v_mov_b32_e32 v29, v6
	v_pk_add_f32 v[6:7], v[32:33], v[28:29] neg_lo:[0,1] neg_hi:[0,1]
	v_cvt_f32_i32_e32 v18, v30
	v_add_f32_e32 v3, v3, v7
	v_add_f32_e32 v3, v6, v3
	;; [unrolled: 1-line block ×4, first 2 shown]
	v_sub_f32_e32 v7, v6, v37
	v_mul_f32_e32 v3, v35, v3
	v_sub_f32_e32 v7, v36, v7
	v_add_f32_e32 v3, v7, v3
	v_add_f32_e32 v19, v6, v3
	v_mul_f32_e32 v28, v19, v19
	v_mov_b32_e32 v7, 0x3ecc95a3
	v_fmac_f32_e32 v7, 0x3e9b6dac, v28
	v_sub_f32_e32 v6, v19, v6
	v_fmaak_f32 v7, v28, v7, 0x3f2aaada
	v_sub_f32_e32 v3, v3, v6
	v_ldexp_f32 v29, v19, 1
	v_mul_f32_e32 v19, v19, v28
	v_mov_b32_e32 v6, 0x3f317218
	v_pk_mul_f32 v[6:7], v[18:19], v[6:7]
	v_ldexp_f32 v3, v3, 1
	v_fma_f32 v19, v18, s4, -v6
	v_fmamk_f32 v28, v18, 0xb102e308, v19
	v_pk_add_f32 v[18:19], v[6:7], v[28:29]
	v_mov_b32_e32 v32, v6
	v_sub_f32_e32 v29, v19, v29
	v_sub_f32_e32 v29, v7, v29
	v_add_f32_e32 v33, v3, v29
	v_pk_add_f32 v[6:7], v[18:19], v[6:7] neg_lo:[0,1] neg_hi:[0,1]
	v_pk_add_f32 v[34:35], v[18:19], v[32:33]
	v_mov_b32_e32 v29, v18
	v_mov_b32_e32 v7, v35
	v_pk_add_f32 v[36:37], v[28:29], v[6:7] neg_lo:[0,1] neg_hi:[0,1]
	v_pk_add_f32 v[6:7], v[28:29], v[6:7]
	v_mov_b32_e32 v32, v33
	v_mov_b32_e32 v28, v7
	v_pk_add_f32 v[38:39], v[28:29], v[18:19] neg_lo:[0,1] neg_hi:[0,1]
	v_mov_b32_e32 v6, v35
	v_mov_b32_e32 v3, v38
	v_pk_add_f32 v[48:49], v[34:35], v[2:3] neg_lo:[0,1] neg_hi:[0,1]
	v_mov_b32_e32 v34, v19
	v_mov_b32_e32 v35, v38
	;; [unrolled: 1-line block ×3, first 2 shown]
	v_pk_add_f32 v[6:7], v[6:7], v[34:35] neg_lo:[0,1] neg_hi:[0,1]
	v_mov_b32_e32 v33, v18
	v_pk_add_f32 v[6:7], v[32:33], v[6:7] neg_lo:[0,1] neg_hi:[0,1]
	v_mov_b32_e32 v48, v36
	v_pk_add_f32 v[18:19], v[48:49], v[6:7]
	s_mov_b32 s4, 0x33800000
	v_mov_b32_e32 v30, v19
	v_pk_add_f32 v[32:33], v[18:19], v[30:31]
	v_cmp_lt_f32_e64 s[4:5], |v70|, s4
	v_pk_add_f32 v[28:29], v[28:29], v[32:33]
	v_mov_b32_e32 v7, v32
	v_mov_b32_e32 v19, v28
	v_pk_add_f32 v[34:35], v[18:19], v[36:37] neg_lo:[0,1] neg_hi:[0,1]
	s_or_b64 vcc, vcc, s[4:5]
	v_sub_f32_e32 v3, v18, v34
	v_pk_add_f32 v[6:7], v[6:7], v[34:35] neg_lo:[0,1] neg_hi:[0,1]
	v_sub_f32_e32 v3, v36, v3
	v_add_f32_e32 v3, v6, v3
	v_add_f32_e32 v3, v3, v7
	;; [unrolled: 1-line block ×3, first 2 shown]
	v_cndmask_b32_e32 v3, v3, v70, vcc
	v_add_f32_e32 v70, v2, v3
.LBB121_396:
	s_or_b64 exec, exec, s[2:3]
	v_max_f32_e32 v2, v70, v70
	v_min_f32_e32 v3, v2, v71
	v_cmp_u_f32_e32 vcc, v70, v70
	v_max_f32_e32 v2, v2, v71
	s_movk_i32 s4, 0x1f8
	v_cndmask_b32_e32 v3, v3, v70, vcc
	v_cndmask_b32_e32 v2, v2, v70, vcc
	v_cndmask_b32_e64 v3, v3, v31, s[34:35]
	v_cndmask_b32_e64 v2, v2, v31, s[34:35]
	v_cmp_neq_f32_e32 vcc, v3, v2
	v_cmp_class_f32_e64 s[2:3], v3, s4
	s_or_b64 s[6:7], vcc, s[2:3]
	v_mov_b32_e32 v71, v70
	s_and_saveexec_b64 s[2:3], s[6:7]
	s_cbranch_execz .LBB121_398
; %bb.397:
	v_sub_f32_e32 v3, v3, v2
	s_mov_b32 s5, 0x3fb8aa3b
	v_mul_f32_e32 v6, 0x3fb8aa3b, v3
	v_fma_f32 v7, v3, s5, -v6
	v_rndne_f32_e32 v18, v6
	v_fmamk_f32 v7, v3, 0x32a5705f, v7
	v_sub_f32_e32 v6, v6, v18
	v_add_f32_e32 v6, v6, v7
	v_exp_f32_e32 v6, v6
	v_cvt_i32_f32_e32 v7, v18
	s_mov_b32 s5, 0xc2ce8ed0
	v_cmp_ngt_f32_e32 vcc, s5, v3
	s_mov_b32 s5, 0x42b17218
	v_ldexp_f32 v6, v6, v7
	v_cndmask_b32_e32 v6, 0, v6, vcc
	v_mov_b32_e32 v7, 0x7f800000
	v_cmp_nlt_f32_e32 vcc, s5, v3
	s_mov_b32 s5, 0x3f2aaaab
	s_mov_b32 s6, 0x7f800000
	v_cndmask_b32_e32 v48, v7, v6, vcc
	v_add_f32_e32 v3, 1.0, v48
	v_add_f32_e32 v6, -1.0, v3
	v_sub_f32_e32 v7, v6, v3
	v_add_f32_e32 v7, 1.0, v7
	v_sub_f32_e32 v6, v48, v6
	v_add_f32_e32 v18, v6, v7
	v_frexp_mant_f32_e32 v19, v3
	v_cvt_f64_f32_e32 v[6:7], v3
	v_frexp_exp_i32_f64_e32 v6, v[6:7]
	v_cmp_gt_f32_e32 vcc, s5, v19
	s_mov_b32 s5, 0x3f317218
	s_nop 0
	v_subbrev_co_u32_e32 v32, vcc, 0, v6, vcc
	v_sub_u32_e32 v6, 0, v32
	v_ldexp_f32 v3, v3, v6
	v_ldexp_f32 v6, v18, v6
	v_add_f32_e32 v18, -1.0, v3
	v_add_f32_e32 v7, 1.0, v18
	v_sub_f32_e32 v7, v3, v7
	v_add_f32_e32 v19, v6, v7
	v_add_f32_e32 v7, 1.0, v3
	v_add_f32_e32 v28, -1.0, v7
	v_sub_f32_e32 v3, v3, v28
	v_add_f32_e32 v3, v6, v3
	v_add_f32_e32 v33, v7, v3
	v_rcp_f32_e32 v34, v33
	v_sub_f32_e32 v6, v7, v33
	v_add_f32_e32 v7, v18, v19
	v_add_f32_e32 v3, v3, v6
	v_mul_f32_e32 v36, v7, v34
	v_sub_f32_e32 v6, v18, v7
	v_mul_f32_e32 v18, v33, v36
	v_fma_f32 v28, v36, v33, -v18
	v_fmac_f32_e32 v28, v36, v3
	v_add_f32_e32 v35, v19, v6
	v_add_f32_e32 v6, v18, v28
	v_sub_f32_e32 v19, v7, v6
	v_pk_add_f32 v[30:31], v[6:7], v[18:19] neg_lo:[0,1] neg_hi:[0,1]
	v_mov_b32_e32 v29, v6
	v_pk_add_f32 v[6:7], v[30:31], v[28:29] neg_lo:[0,1] neg_hi:[0,1]
	v_cmp_eq_f32_e32 vcc, s6, v48
	v_add_f32_e32 v7, v35, v7
	v_add_f32_e32 v6, v6, v7
	;; [unrolled: 1-line block ×3, first 2 shown]
	v_mul_f32_e32 v35, v34, v7
	v_mul_f32_e32 v18, v33, v35
	v_fma_f32 v28, v35, v33, -v18
	v_fmac_f32_e32 v28, v35, v3
	v_sub_f32_e32 v3, v19, v7
	v_add_f32_e32 v3, v6, v3
	v_add_f32_e32 v6, v18, v28
	v_sub_f32_e32 v19, v7, v6
	v_pk_add_f32 v[30:31], v[6:7], v[18:19] neg_lo:[0,1] neg_hi:[0,1]
	v_mov_b32_e32 v29, v6
	v_pk_add_f32 v[6:7], v[30:31], v[28:29] neg_lo:[0,1] neg_hi:[0,1]
	v_cvt_f32_i32_e32 v18, v32
	v_add_f32_e32 v3, v3, v7
	v_add_f32_e32 v3, v6, v3
	v_add_f32_e32 v6, v36, v35
	v_add_f32_e32 v3, v19, v3
	v_sub_f32_e32 v7, v6, v36
	v_mul_f32_e32 v3, v34, v3
	v_sub_f32_e32 v7, v35, v7
	v_add_f32_e32 v3, v7, v3
	v_add_f32_e32 v19, v6, v3
	v_mul_f32_e32 v28, v19, v19
	v_mov_b32_e32 v7, 0x3ecc95a3
	v_fmac_f32_e32 v7, 0x3e9b6dac, v28
	v_sub_f32_e32 v6, v19, v6
	v_fmaak_f32 v7, v28, v7, 0x3f2aaada
	v_sub_f32_e32 v3, v3, v6
	v_ldexp_f32 v29, v19, 1
	v_mul_f32_e32 v19, v19, v28
	v_mov_b32_e32 v6, 0x3f317218
	v_pk_mul_f32 v[6:7], v[18:19], v[6:7]
	v_ldexp_f32 v3, v3, 1
	v_fma_f32 v19, v18, s5, -v6
	v_fmamk_f32 v28, v18, 0xb102e308, v19
	v_pk_add_f32 v[18:19], v[6:7], v[28:29]
	v_mov_b32_e32 v30, v6
	v_sub_f32_e32 v29, v19, v29
	v_sub_f32_e32 v29, v7, v29
	v_add_f32_e32 v31, v3, v29
	v_pk_add_f32 v[6:7], v[18:19], v[6:7] neg_lo:[0,1] neg_hi:[0,1]
	v_pk_add_f32 v[32:33], v[18:19], v[30:31]
	v_mov_b32_e32 v29, v18
	v_mov_b32_e32 v7, v33
	v_pk_add_f32 v[34:35], v[28:29], v[6:7] neg_lo:[0,1] neg_hi:[0,1]
	v_pk_add_f32 v[6:7], v[28:29], v[6:7]
	v_mov_b32_e32 v30, v31
	v_mov_b32_e32 v28, v7
	v_pk_add_f32 v[36:37], v[28:29], v[18:19] neg_lo:[0,1] neg_hi:[0,1]
	v_mov_b32_e32 v6, v33
	v_mov_b32_e32 v3, v36
	v_pk_add_f32 v[38:39], v[32:33], v[2:3] neg_lo:[0,1] neg_hi:[0,1]
	v_mov_b32_e32 v32, v19
	v_mov_b32_e32 v33, v36
	;; [unrolled: 1-line block ×3, first 2 shown]
	v_pk_add_f32 v[6:7], v[6:7], v[32:33] neg_lo:[0,1] neg_hi:[0,1]
	v_mov_b32_e32 v31, v18
	v_pk_add_f32 v[6:7], v[30:31], v[6:7] neg_lo:[0,1] neg_hi:[0,1]
	v_mov_b32_e32 v38, v34
	v_pk_add_f32 v[18:19], v[38:39], v[6:7]
	s_mov_b32 s5, 0x33800000
	v_mov_b32_e32 v30, v19
	v_pk_add_f32 v[30:31], v[18:19], v[30:31]
	v_cmp_lt_f32_e64 s[6:7], |v48|, s5
	v_pk_add_f32 v[28:29], v[28:29], v[30:31]
	v_mov_b32_e32 v7, v30
	v_mov_b32_e32 v19, v28
	v_pk_add_f32 v[32:33], v[18:19], v[34:35] neg_lo:[0,1] neg_hi:[0,1]
	s_or_b64 vcc, vcc, s[6:7]
	v_sub_f32_e32 v3, v18, v32
	v_pk_add_f32 v[6:7], v[6:7], v[32:33] neg_lo:[0,1] neg_hi:[0,1]
	v_sub_f32_e32 v3, v34, v3
	v_add_f32_e32 v3, v6, v3
	v_add_f32_e32 v3, v3, v7
	v_add_f32_e32 v3, v28, v3
	v_cndmask_b32_e32 v3, v3, v48, vcc
	v_add_f32_e32 v71, v2, v3
.LBB121_398:
	s_or_b64 exec, exec, s[2:3]
	v_max_f32_e32 v2, v71, v71
	v_min_f32_e32 v3, v2, v80
	v_cmp_u_f32_e32 vcc, v71, v71
	v_max_f32_e32 v2, v2, v80
	v_mov_b32_e32 v80, v71
	v_cndmask_b32_e32 v3, v3, v71, vcc
	v_cndmask_b32_e32 v2, v2, v71, vcc
	v_cndmask_b32_e64 v3, v3, v24, s[36:37]
	v_cndmask_b32_e64 v2, v2, v24, s[36:37]
	v_cmp_neq_f32_e32 vcc, v3, v2
	v_cmp_class_f32_e64 s[2:3], v3, s4
	s_or_b64 s[4:5], vcc, s[2:3]
	s_and_saveexec_b64 s[2:3], s[4:5]
	s_cbranch_execz .LBB121_400
; %bb.399:
	v_sub_f32_e32 v3, v3, v2
	s_mov_b32 s4, 0x3fb8aa3b
	v_mul_f32_e32 v6, 0x3fb8aa3b, v3
	v_fma_f32 v7, v3, s4, -v6
	v_rndne_f32_e32 v18, v6
	v_fmamk_f32 v7, v3, 0x32a5705f, v7
	v_sub_f32_e32 v6, v6, v18
	v_add_f32_e32 v6, v6, v7
	v_exp_f32_e32 v6, v6
	v_cvt_i32_f32_e32 v7, v18
	s_mov_b32 s4, 0xc2ce8ed0
	v_cmp_ngt_f32_e32 vcc, s4, v3
	s_mov_b32 s4, 0x42b17218
	v_ldexp_f32 v6, v6, v7
	v_cndmask_b32_e32 v6, 0, v6, vcc
	v_mov_b32_e32 v7, 0x7f800000
	v_cmp_nlt_f32_e32 vcc, s4, v3
	s_mov_b32 s4, 0x3f2aaaab
	s_mov_b32 s5, 0x7f800000
	v_cndmask_b32_e32 v38, v7, v6, vcc
	v_add_f32_e32 v3, 1.0, v38
	v_add_f32_e32 v6, -1.0, v3
	v_sub_f32_e32 v7, v6, v3
	v_add_f32_e32 v7, 1.0, v7
	v_sub_f32_e32 v6, v38, v6
	v_add_f32_e32 v18, v6, v7
	v_frexp_mant_f32_e32 v19, v3
	v_cvt_f64_f32_e32 v[6:7], v3
	v_frexp_exp_i32_f64_e32 v6, v[6:7]
	v_cmp_gt_f32_e32 vcc, s4, v19
	s_mov_b32 s4, 0x3f317218
	s_nop 0
	v_subbrev_co_u32_e32 v24, vcc, 0, v6, vcc
	v_sub_u32_e32 v6, 0, v24
	v_ldexp_f32 v3, v3, v6
	v_ldexp_f32 v6, v18, v6
	v_add_f32_e32 v18, -1.0, v3
	v_add_f32_e32 v7, 1.0, v18
	v_sub_f32_e32 v7, v3, v7
	v_add_f32_e32 v19, v6, v7
	v_add_f32_e32 v7, 1.0, v3
	v_add_f32_e32 v28, -1.0, v7
	v_sub_f32_e32 v3, v3, v28
	v_add_f32_e32 v3, v6, v3
	v_add_f32_e32 v32, v7, v3
	v_rcp_f32_e32 v33, v32
	v_sub_f32_e32 v6, v7, v32
	v_add_f32_e32 v7, v18, v19
	v_add_f32_e32 v3, v3, v6
	v_mul_f32_e32 v35, v7, v33
	v_sub_f32_e32 v6, v18, v7
	v_mul_f32_e32 v18, v32, v35
	v_fma_f32 v28, v35, v32, -v18
	v_fmac_f32_e32 v28, v35, v3
	v_add_f32_e32 v34, v19, v6
	v_add_f32_e32 v6, v18, v28
	v_sub_f32_e32 v19, v7, v6
	v_pk_add_f32 v[30:31], v[6:7], v[18:19] neg_lo:[0,1] neg_hi:[0,1]
	v_mov_b32_e32 v29, v6
	v_pk_add_f32 v[6:7], v[30:31], v[28:29] neg_lo:[0,1] neg_hi:[0,1]
	v_cmp_eq_f32_e32 vcc, s5, v38
	v_add_f32_e32 v7, v34, v7
	v_add_f32_e32 v6, v6, v7
	;; [unrolled: 1-line block ×3, first 2 shown]
	v_mul_f32_e32 v34, v33, v7
	v_mul_f32_e32 v18, v32, v34
	v_fma_f32 v28, v34, v32, -v18
	v_fmac_f32_e32 v28, v34, v3
	v_sub_f32_e32 v3, v19, v7
	v_add_f32_e32 v3, v6, v3
	v_add_f32_e32 v6, v18, v28
	v_sub_f32_e32 v19, v7, v6
	v_pk_add_f32 v[30:31], v[6:7], v[18:19] neg_lo:[0,1] neg_hi:[0,1]
	v_mov_b32_e32 v29, v6
	v_pk_add_f32 v[6:7], v[30:31], v[28:29] neg_lo:[0,1] neg_hi:[0,1]
	v_cvt_f32_i32_e32 v18, v24
	v_add_f32_e32 v3, v3, v7
	v_add_f32_e32 v3, v6, v3
	;; [unrolled: 1-line block ×4, first 2 shown]
	v_sub_f32_e32 v7, v6, v35
	v_mul_f32_e32 v3, v33, v3
	v_sub_f32_e32 v7, v34, v7
	v_add_f32_e32 v3, v7, v3
	v_add_f32_e32 v19, v6, v3
	v_mul_f32_e32 v28, v19, v19
	v_mov_b32_e32 v7, 0x3ecc95a3
	v_fmac_f32_e32 v7, 0x3e9b6dac, v28
	v_sub_f32_e32 v6, v19, v6
	v_fmaak_f32 v7, v28, v7, 0x3f2aaada
	v_sub_f32_e32 v3, v3, v6
	v_ldexp_f32 v29, v19, 1
	v_mul_f32_e32 v19, v19, v28
	v_mov_b32_e32 v6, 0x3f317218
	v_pk_mul_f32 v[6:7], v[18:19], v[6:7]
	v_ldexp_f32 v3, v3, 1
	v_fma_f32 v19, v18, s4, -v6
	v_fmamk_f32 v28, v18, 0xb102e308, v19
	v_pk_add_f32 v[18:19], v[6:7], v[28:29]
	v_mov_b32_e32 v30, v6
	v_sub_f32_e32 v24, v19, v29
	v_sub_f32_e32 v24, v7, v24
	v_add_f32_e32 v31, v3, v24
	v_pk_add_f32 v[6:7], v[18:19], v[6:7] neg_lo:[0,1] neg_hi:[0,1]
	v_pk_add_f32 v[32:33], v[18:19], v[30:31]
	v_mov_b32_e32 v29, v18
	v_mov_b32_e32 v7, v33
	v_pk_add_f32 v[34:35], v[28:29], v[6:7] neg_lo:[0,1] neg_hi:[0,1]
	v_pk_add_f32 v[6:7], v[28:29], v[6:7]
	s_mov_b32 s4, 0x33800000
	v_mov_b32_e32 v24, v7
	v_pk_add_f32 v[28:29], v[24:25], v[18:19] neg_lo:[0,1] neg_hi:[0,1]
	v_mov_b32_e32 v6, v33
	v_mov_b32_e32 v3, v28
	v_pk_add_f32 v[36:37], v[32:33], v[2:3] neg_lo:[0,1] neg_hi:[0,1]
	v_mov_b32_e32 v32, v19
	v_mov_b32_e32 v33, v28
	;; [unrolled: 1-line block ×3, first 2 shown]
	v_pk_add_f32 v[6:7], v[6:7], v[32:33] neg_lo:[0,1] neg_hi:[0,1]
	v_mov_b32_e32 v28, v31
	v_mov_b32_e32 v29, v18
	v_pk_add_f32 v[6:7], v[28:29], v[6:7] neg_lo:[0,1] neg_hi:[0,1]
	v_mov_b32_e32 v36, v34
	v_pk_add_f32 v[18:19], v[36:37], v[6:7]
	v_cmp_lt_f32_e64 s[4:5], |v38|, s4
	v_mov_b32_e32 v28, v19
	v_pk_add_f32 v[28:29], v[18:19], v[28:29]
	s_or_b64 vcc, vcc, s[4:5]
	v_pk_add_f32 v[30:31], v[24:25], v[28:29]
	v_mov_b32_e32 v7, v28
	v_mov_b32_e32 v19, v30
	v_pk_add_f32 v[32:33], v[18:19], v[34:35] neg_lo:[0,1] neg_hi:[0,1]
	s_nop 0
	v_sub_f32_e32 v3, v18, v32
	v_pk_add_f32 v[6:7], v[6:7], v[32:33] neg_lo:[0,1] neg_hi:[0,1]
	v_sub_f32_e32 v3, v34, v3
	v_add_f32_e32 v3, v6, v3
	v_add_f32_e32 v3, v3, v7
	;; [unrolled: 1-line block ×3, first 2 shown]
	v_cndmask_b32_e32 v3, v3, v38, vcc
	v_add_f32_e32 v80, v2, v3
.LBB121_400:
	s_or_b64 exec, exec, s[2:3]
	v_max_f32_e32 v2, v80, v80
	v_min_f32_e32 v3, v2, v81
	v_cmp_u_f32_e32 vcc, v80, v80
	v_max_f32_e32 v2, v2, v81
	s_movk_i32 s4, 0x1f8
	v_cndmask_b32_e32 v3, v3, v80, vcc
	v_cndmask_b32_e32 v2, v2, v80, vcc
	v_cndmask_b32_e64 v3, v3, v25, s[38:39]
	v_cndmask_b32_e64 v2, v2, v25, s[38:39]
	v_cmp_neq_f32_e32 vcc, v3, v2
	v_cmp_class_f32_e64 s[2:3], v3, s4
	s_or_b64 s[6:7], vcc, s[2:3]
	v_mov_b32_e32 v81, v80
	s_and_saveexec_b64 s[2:3], s[6:7]
	s_cbranch_execz .LBB121_402
; %bb.401:
	v_sub_f32_e32 v3, v3, v2
	s_mov_b32 s5, 0x3fb8aa3b
	v_mul_f32_e32 v6, 0x3fb8aa3b, v3
	v_fma_f32 v7, v3, s5, -v6
	v_rndne_f32_e32 v18, v6
	v_fmamk_f32 v7, v3, 0x32a5705f, v7
	v_sub_f32_e32 v6, v6, v18
	v_add_f32_e32 v6, v6, v7
	v_exp_f32_e32 v6, v6
	v_cvt_i32_f32_e32 v7, v18
	s_mov_b32 s5, 0xc2ce8ed0
	v_cmp_ngt_f32_e32 vcc, s5, v3
	s_mov_b32 s5, 0x42b17218
	v_ldexp_f32 v6, v6, v7
	v_cndmask_b32_e32 v6, 0, v6, vcc
	v_mov_b32_e32 v7, 0x7f800000
	v_cmp_nlt_f32_e32 vcc, s5, v3
	s_mov_b32 s5, 0x3f2aaaab
	s_mov_b32 s6, 0x7f800000
	v_cndmask_b32_e32 v38, v7, v6, vcc
	v_add_f32_e32 v3, 1.0, v38
	v_add_f32_e32 v6, -1.0, v3
	v_sub_f32_e32 v7, v6, v3
	v_add_f32_e32 v7, 1.0, v7
	v_sub_f32_e32 v6, v38, v6
	v_add_f32_e32 v18, v6, v7
	v_frexp_mant_f32_e32 v19, v3
	v_cvt_f64_f32_e32 v[6:7], v3
	v_frexp_exp_i32_f64_e32 v6, v[6:7]
	v_cmp_gt_f32_e32 vcc, s5, v19
	s_mov_b32 s5, 0x3f317218
	s_nop 0
	v_subbrev_co_u32_e32 v30, vcc, 0, v6, vcc
	v_sub_u32_e32 v6, 0, v30
	v_ldexp_f32 v3, v3, v6
	v_ldexp_f32 v6, v18, v6
	v_add_f32_e32 v18, -1.0, v3
	v_add_f32_e32 v7, 1.0, v18
	v_sub_f32_e32 v7, v3, v7
	v_add_f32_e32 v19, v6, v7
	v_add_f32_e32 v7, 1.0, v3
	v_add_f32_e32 v24, -1.0, v7
	v_sub_f32_e32 v3, v3, v24
	v_add_f32_e32 v3, v6, v3
	v_add_f32_e32 v31, v7, v3
	v_rcp_f32_e32 v32, v31
	v_sub_f32_e32 v6, v7, v31
	v_add_f32_e32 v7, v18, v19
	v_add_f32_e32 v3, v3, v6
	v_mul_f32_e32 v34, v7, v32
	v_sub_f32_e32 v6, v18, v7
	v_mul_f32_e32 v18, v31, v34
	v_fma_f32 v24, v34, v31, -v18
	v_fmac_f32_e32 v24, v34, v3
	v_add_f32_e32 v33, v19, v6
	v_add_f32_e32 v6, v18, v24
	v_sub_f32_e32 v19, v7, v6
	v_pk_add_f32 v[28:29], v[6:7], v[18:19] neg_lo:[0,1] neg_hi:[0,1]
	v_mov_b32_e32 v25, v6
	v_pk_add_f32 v[6:7], v[28:29], v[24:25] neg_lo:[0,1] neg_hi:[0,1]
	v_cmp_eq_f32_e32 vcc, s6, v38
	v_add_f32_e32 v7, v33, v7
	v_add_f32_e32 v6, v6, v7
	v_add_f32_e32 v7, v19, v6
	v_mul_f32_e32 v33, v32, v7
	v_mul_f32_e32 v18, v31, v33
	v_fma_f32 v24, v33, v31, -v18
	v_fmac_f32_e32 v24, v33, v3
	v_sub_f32_e32 v3, v19, v7
	v_add_f32_e32 v3, v6, v3
	v_add_f32_e32 v6, v18, v24
	v_sub_f32_e32 v19, v7, v6
	v_pk_add_f32 v[28:29], v[6:7], v[18:19] neg_lo:[0,1] neg_hi:[0,1]
	v_mov_b32_e32 v25, v6
	v_pk_add_f32 v[6:7], v[28:29], v[24:25] neg_lo:[0,1] neg_hi:[0,1]
	v_cvt_f32_i32_e32 v18, v30
	v_add_f32_e32 v3, v3, v7
	v_add_f32_e32 v3, v6, v3
	;; [unrolled: 1-line block ×4, first 2 shown]
	v_sub_f32_e32 v7, v6, v34
	v_mul_f32_e32 v3, v32, v3
	v_sub_f32_e32 v7, v33, v7
	v_add_f32_e32 v3, v7, v3
	v_add_f32_e32 v19, v6, v3
	v_mul_f32_e32 v24, v19, v19
	v_mov_b32_e32 v7, 0x3ecc95a3
	v_fmac_f32_e32 v7, 0x3e9b6dac, v24
	v_sub_f32_e32 v6, v19, v6
	v_fmaak_f32 v7, v24, v7, 0x3f2aaada
	v_sub_f32_e32 v3, v3, v6
	v_ldexp_f32 v25, v19, 1
	v_mul_f32_e32 v19, v19, v24
	v_mov_b32_e32 v6, 0x3f317218
	v_pk_mul_f32 v[6:7], v[18:19], v[6:7]
	v_ldexp_f32 v3, v3, 1
	v_fma_f32 v19, v18, s5, -v6
	v_fmamk_f32 v24, v18, 0xb102e308, v19
	v_pk_add_f32 v[18:19], v[6:7], v[24:25]
	v_mov_b32_e32 v28, v6
	v_sub_f32_e32 v25, v19, v25
	v_sub_f32_e32 v25, v7, v25
	v_add_f32_e32 v29, v3, v25
	v_pk_add_f32 v[6:7], v[18:19], v[6:7] neg_lo:[0,1] neg_hi:[0,1]
	v_pk_add_f32 v[30:31], v[18:19], v[28:29]
	v_mov_b32_e32 v25, v18
	v_mov_b32_e32 v7, v31
	v_pk_add_f32 v[32:33], v[24:25], v[6:7] neg_lo:[0,1] neg_hi:[0,1]
	v_pk_add_f32 v[6:7], v[24:25], v[6:7]
	v_mov_b32_e32 v28, v29
	v_mov_b32_e32 v24, v7
	v_pk_add_f32 v[34:35], v[24:25], v[18:19] neg_lo:[0,1] neg_hi:[0,1]
	v_mov_b32_e32 v6, v31
	v_mov_b32_e32 v3, v34
	v_pk_add_f32 v[36:37], v[30:31], v[2:3] neg_lo:[0,1] neg_hi:[0,1]
	v_mov_b32_e32 v30, v19
	v_mov_b32_e32 v31, v34
	;; [unrolled: 1-line block ×3, first 2 shown]
	v_pk_add_f32 v[6:7], v[6:7], v[30:31] neg_lo:[0,1] neg_hi:[0,1]
	v_mov_b32_e32 v29, v18
	v_pk_add_f32 v[6:7], v[28:29], v[6:7] neg_lo:[0,1] neg_hi:[0,1]
	v_mov_b32_e32 v36, v32
	v_pk_add_f32 v[18:19], v[36:37], v[6:7]
	s_mov_b32 s5, 0x33800000
	v_mov_b32_e32 v28, v19
	v_pk_add_f32 v[28:29], v[18:19], v[28:29]
	v_cmp_lt_f32_e64 s[6:7], |v38|, s5
	v_pk_add_f32 v[24:25], v[24:25], v[28:29]
	v_mov_b32_e32 v7, v28
	v_mov_b32_e32 v19, v24
	v_pk_add_f32 v[30:31], v[18:19], v[32:33] neg_lo:[0,1] neg_hi:[0,1]
	s_or_b64 vcc, vcc, s[6:7]
	v_sub_f32_e32 v3, v18, v30
	v_pk_add_f32 v[6:7], v[6:7], v[30:31] neg_lo:[0,1] neg_hi:[0,1]
	v_sub_f32_e32 v3, v32, v3
	v_add_f32_e32 v3, v6, v3
	v_add_f32_e32 v3, v3, v7
	;; [unrolled: 1-line block ×3, first 2 shown]
	v_cndmask_b32_e32 v3, v3, v38, vcc
	v_add_f32_e32 v81, v2, v3
.LBB121_402:
	s_or_b64 exec, exec, s[2:3]
	v_max_f32_e32 v2, v81, v81
	v_min_f32_e32 v3, v2, v82
	v_cmp_u_f32_e32 vcc, v81, v81
	v_max_f32_e32 v2, v2, v82
	v_mov_b32_e32 v82, v81
	v_cndmask_b32_e32 v3, v3, v81, vcc
	v_cndmask_b32_e32 v2, v2, v81, vcc
	v_cndmask_b32_e64 v3, v3, v26, s[40:41]
	v_cndmask_b32_e64 v2, v2, v26, s[40:41]
	v_cmp_neq_f32_e32 vcc, v3, v2
	v_cmp_class_f32_e64 s[2:3], v3, s4
	s_or_b64 s[4:5], vcc, s[2:3]
	s_and_saveexec_b64 s[2:3], s[4:5]
	s_cbranch_execz .LBB121_404
; %bb.403:
	v_sub_f32_e32 v3, v3, v2
	s_mov_b32 s4, 0x3fb8aa3b
	v_mul_f32_e32 v6, 0x3fb8aa3b, v3
	v_fma_f32 v7, v3, s4, -v6
	v_rndne_f32_e32 v18, v6
	v_fmamk_f32 v7, v3, 0x32a5705f, v7
	v_sub_f32_e32 v6, v6, v18
	v_add_f32_e32 v6, v6, v7
	v_exp_f32_e32 v6, v6
	v_cvt_i32_f32_e32 v7, v18
	s_mov_b32 s4, 0xc2ce8ed0
	v_cmp_ngt_f32_e32 vcc, s4, v3
	s_mov_b32 s4, 0x42b17218
	v_ldexp_f32 v6, v6, v7
	v_cndmask_b32_e32 v6, 0, v6, vcc
	v_mov_b32_e32 v7, 0x7f800000
	v_cmp_nlt_f32_e32 vcc, s4, v3
	s_mov_b32 s4, 0x3f2aaaab
	s_mov_b32 s5, 0x7f800000
	v_cndmask_b32_e32 v38, v7, v6, vcc
	v_add_f32_e32 v3, 1.0, v38
	v_add_f32_e32 v6, -1.0, v3
	v_sub_f32_e32 v7, v6, v3
	v_add_f32_e32 v7, 1.0, v7
	v_sub_f32_e32 v6, v38, v6
	v_add_f32_e32 v18, v6, v7
	v_frexp_mant_f32_e32 v19, v3
	v_cvt_f64_f32_e32 v[6:7], v3
	v_frexp_exp_i32_f64_e32 v6, v[6:7]
	v_cmp_gt_f32_e32 vcc, s4, v19
	s_mov_b32 s4, 0x3f317218
	s_nop 0
	v_subbrev_co_u32_e32 v26, vcc, 0, v6, vcc
	v_sub_u32_e32 v6, 0, v26
	v_ldexp_f32 v3, v3, v6
	v_ldexp_f32 v6, v18, v6
	v_add_f32_e32 v18, -1.0, v3
	v_add_f32_e32 v7, 1.0, v18
	v_sub_f32_e32 v7, v3, v7
	v_add_f32_e32 v19, v6, v7
	v_add_f32_e32 v7, 1.0, v3
	v_add_f32_e32 v24, -1.0, v7
	v_sub_f32_e32 v3, v3, v24
	v_add_f32_e32 v3, v6, v3
	v_add_f32_e32 v30, v7, v3
	v_rcp_f32_e32 v31, v30
	v_sub_f32_e32 v6, v7, v30
	v_add_f32_e32 v7, v18, v19
	v_add_f32_e32 v3, v3, v6
	v_mul_f32_e32 v33, v7, v31
	v_sub_f32_e32 v6, v18, v7
	v_mul_f32_e32 v18, v30, v33
	v_fma_f32 v24, v33, v30, -v18
	v_fmac_f32_e32 v24, v33, v3
	v_add_f32_e32 v32, v19, v6
	v_add_f32_e32 v6, v18, v24
	v_sub_f32_e32 v19, v7, v6
	v_pk_add_f32 v[28:29], v[6:7], v[18:19] neg_lo:[0,1] neg_hi:[0,1]
	v_mov_b32_e32 v25, v6
	v_pk_add_f32 v[6:7], v[28:29], v[24:25] neg_lo:[0,1] neg_hi:[0,1]
	v_cmp_eq_f32_e32 vcc, s5, v38
	v_add_f32_e32 v7, v32, v7
	v_add_f32_e32 v6, v6, v7
	;; [unrolled: 1-line block ×3, first 2 shown]
	v_mul_f32_e32 v32, v31, v7
	v_mul_f32_e32 v18, v30, v32
	v_fma_f32 v24, v32, v30, -v18
	v_fmac_f32_e32 v24, v32, v3
	v_sub_f32_e32 v3, v19, v7
	v_add_f32_e32 v3, v6, v3
	v_add_f32_e32 v6, v18, v24
	v_sub_f32_e32 v19, v7, v6
	v_pk_add_f32 v[28:29], v[6:7], v[18:19] neg_lo:[0,1] neg_hi:[0,1]
	v_mov_b32_e32 v25, v6
	v_pk_add_f32 v[6:7], v[28:29], v[24:25] neg_lo:[0,1] neg_hi:[0,1]
	v_cvt_f32_i32_e32 v18, v26
	v_add_f32_e32 v3, v3, v7
	v_add_f32_e32 v3, v6, v3
	;; [unrolled: 1-line block ×4, first 2 shown]
	v_sub_f32_e32 v7, v6, v33
	v_mul_f32_e32 v3, v31, v3
	v_sub_f32_e32 v7, v32, v7
	v_add_f32_e32 v3, v7, v3
	v_add_f32_e32 v19, v6, v3
	v_mul_f32_e32 v24, v19, v19
	v_mov_b32_e32 v7, 0x3ecc95a3
	v_fmac_f32_e32 v7, 0x3e9b6dac, v24
	v_sub_f32_e32 v6, v19, v6
	v_fmaak_f32 v7, v24, v7, 0x3f2aaada
	v_sub_f32_e32 v3, v3, v6
	v_ldexp_f32 v25, v19, 1
	v_mul_f32_e32 v19, v19, v24
	v_mov_b32_e32 v6, 0x3f317218
	v_pk_mul_f32 v[6:7], v[18:19], v[6:7]
	v_ldexp_f32 v3, v3, 1
	v_fma_f32 v19, v18, s4, -v6
	v_fmamk_f32 v24, v18, 0xb102e308, v19
	v_pk_add_f32 v[18:19], v[6:7], v[24:25]
	v_mov_b32_e32 v28, v6
	v_sub_f32_e32 v25, v19, v25
	v_sub_f32_e32 v25, v7, v25
	v_add_f32_e32 v29, v3, v25
	v_pk_add_f32 v[6:7], v[18:19], v[6:7] neg_lo:[0,1] neg_hi:[0,1]
	v_pk_add_f32 v[30:31], v[18:19], v[28:29]
	v_mov_b32_e32 v25, v18
	v_mov_b32_e32 v7, v31
	v_pk_add_f32 v[32:33], v[24:25], v[6:7] neg_lo:[0,1] neg_hi:[0,1]
	v_pk_add_f32 v[6:7], v[24:25], v[6:7]
	v_mov_b32_e32 v28, v29
	v_mov_b32_e32 v24, v7
	v_pk_add_f32 v[34:35], v[24:25], v[18:19] neg_lo:[0,1] neg_hi:[0,1]
	v_mov_b32_e32 v6, v31
	v_mov_b32_e32 v3, v34
	v_pk_add_f32 v[36:37], v[30:31], v[2:3] neg_lo:[0,1] neg_hi:[0,1]
	v_mov_b32_e32 v30, v19
	v_mov_b32_e32 v31, v34
	;; [unrolled: 1-line block ×3, first 2 shown]
	v_pk_add_f32 v[6:7], v[6:7], v[30:31] neg_lo:[0,1] neg_hi:[0,1]
	v_mov_b32_e32 v29, v18
	v_pk_add_f32 v[6:7], v[28:29], v[6:7] neg_lo:[0,1] neg_hi:[0,1]
	v_mov_b32_e32 v36, v32
	v_pk_add_f32 v[18:19], v[36:37], v[6:7]
	s_mov_b32 s4, 0x33800000
	v_mov_b32_e32 v26, v19
	v_pk_add_f32 v[28:29], v[18:19], v[26:27]
	v_cmp_lt_f32_e64 s[4:5], |v38|, s4
	v_pk_add_f32 v[24:25], v[24:25], v[28:29]
	v_mov_b32_e32 v7, v28
	v_mov_b32_e32 v19, v24
	v_pk_add_f32 v[30:31], v[18:19], v[32:33] neg_lo:[0,1] neg_hi:[0,1]
	s_or_b64 vcc, vcc, s[4:5]
	v_sub_f32_e32 v3, v18, v30
	v_pk_add_f32 v[6:7], v[6:7], v[30:31] neg_lo:[0,1] neg_hi:[0,1]
	v_sub_f32_e32 v3, v32, v3
	v_add_f32_e32 v3, v6, v3
	v_add_f32_e32 v3, v3, v7
	;; [unrolled: 1-line block ×3, first 2 shown]
	v_cndmask_b32_e32 v3, v3, v38, vcc
	v_add_f32_e32 v82, v2, v3
.LBB121_404:
	s_or_b64 exec, exec, s[2:3]
	v_max_f32_e32 v2, v82, v82
	v_min_f32_e32 v3, v2, v83
	v_cmp_u_f32_e32 vcc, v82, v82
	v_max_f32_e32 v2, v2, v83
	s_movk_i32 s4, 0x1f8
	v_cndmask_b32_e32 v3, v3, v82, vcc
	v_cndmask_b32_e32 v2, v2, v82, vcc
	v_cndmask_b32_e64 v3, v3, v27, s[42:43]
	v_cndmask_b32_e64 v2, v2, v27, s[42:43]
	v_cmp_neq_f32_e32 vcc, v3, v2
	v_cmp_class_f32_e64 s[2:3], v3, s4
	s_or_b64 s[6:7], vcc, s[2:3]
	v_mov_b32_e32 v83, v82
	s_and_saveexec_b64 s[2:3], s[6:7]
	s_cbranch_execz .LBB121_406
; %bb.405:
	v_sub_f32_e32 v3, v3, v2
	s_mov_b32 s5, 0x3fb8aa3b
	v_mul_f32_e32 v6, 0x3fb8aa3b, v3
	v_fma_f32 v7, v3, s5, -v6
	v_rndne_f32_e32 v18, v6
	v_fmamk_f32 v7, v3, 0x32a5705f, v7
	v_sub_f32_e32 v6, v6, v18
	v_add_f32_e32 v6, v6, v7
	v_exp_f32_e32 v6, v6
	v_cvt_i32_f32_e32 v7, v18
	s_mov_b32 s5, 0xc2ce8ed0
	v_cmp_ngt_f32_e32 vcc, s5, v3
	s_mov_b32 s5, 0x42b17218
	v_ldexp_f32 v6, v6, v7
	v_cndmask_b32_e32 v6, 0, v6, vcc
	v_mov_b32_e32 v7, 0x7f800000
	v_cmp_nlt_f32_e32 vcc, s5, v3
	s_mov_b32 s5, 0x3f2aaaab
	s_mov_b32 s6, 0x7f800000
	v_cndmask_b32_e32 v36, v7, v6, vcc
	v_add_f32_e32 v3, 1.0, v36
	v_add_f32_e32 v6, -1.0, v3
	v_sub_f32_e32 v7, v6, v3
	v_add_f32_e32 v7, 1.0, v7
	v_sub_f32_e32 v6, v36, v6
	v_add_f32_e32 v18, v6, v7
	v_frexp_mant_f32_e32 v19, v3
	v_cvt_f64_f32_e32 v[6:7], v3
	v_frexp_exp_i32_f64_e32 v6, v[6:7]
	v_cmp_gt_f32_e32 vcc, s5, v19
	s_mov_b32 s5, 0x3f317218
	s_nop 0
	v_subbrev_co_u32_e32 v28, vcc, 0, v6, vcc
	v_sub_u32_e32 v6, 0, v28
	v_ldexp_f32 v3, v3, v6
	v_ldexp_f32 v6, v18, v6
	v_add_f32_e32 v18, -1.0, v3
	v_add_f32_e32 v7, 1.0, v18
	v_sub_f32_e32 v7, v3, v7
	v_add_f32_e32 v19, v6, v7
	v_add_f32_e32 v7, 1.0, v3
	v_add_f32_e32 v24, -1.0, v7
	v_sub_f32_e32 v3, v3, v24
	v_add_f32_e32 v3, v6, v3
	v_add_f32_e32 v29, v7, v3
	v_rcp_f32_e32 v30, v29
	v_sub_f32_e32 v6, v7, v29
	v_add_f32_e32 v7, v18, v19
	v_add_f32_e32 v3, v3, v6
	v_mul_f32_e32 v32, v7, v30
	v_sub_f32_e32 v6, v18, v7
	v_mul_f32_e32 v18, v29, v32
	v_fma_f32 v24, v32, v29, -v18
	v_fmac_f32_e32 v24, v32, v3
	v_add_f32_e32 v31, v19, v6
	v_add_f32_e32 v6, v18, v24
	v_sub_f32_e32 v19, v7, v6
	v_pk_add_f32 v[26:27], v[6:7], v[18:19] neg_lo:[0,1] neg_hi:[0,1]
	v_mov_b32_e32 v25, v6
	v_pk_add_f32 v[6:7], v[26:27], v[24:25] neg_lo:[0,1] neg_hi:[0,1]
	v_cmp_eq_f32_e32 vcc, s6, v36
	v_add_f32_e32 v7, v31, v7
	v_add_f32_e32 v6, v6, v7
	;; [unrolled: 1-line block ×3, first 2 shown]
	v_mul_f32_e32 v31, v30, v7
	v_mul_f32_e32 v18, v29, v31
	v_fma_f32 v24, v31, v29, -v18
	v_fmac_f32_e32 v24, v31, v3
	v_sub_f32_e32 v3, v19, v7
	v_add_f32_e32 v3, v6, v3
	v_add_f32_e32 v6, v18, v24
	v_sub_f32_e32 v19, v7, v6
	v_pk_add_f32 v[26:27], v[6:7], v[18:19] neg_lo:[0,1] neg_hi:[0,1]
	v_mov_b32_e32 v25, v6
	v_pk_add_f32 v[6:7], v[26:27], v[24:25] neg_lo:[0,1] neg_hi:[0,1]
	v_cvt_f32_i32_e32 v18, v28
	v_add_f32_e32 v3, v3, v7
	v_add_f32_e32 v3, v6, v3
	;; [unrolled: 1-line block ×4, first 2 shown]
	v_sub_f32_e32 v7, v6, v32
	v_mul_f32_e32 v3, v30, v3
	v_sub_f32_e32 v7, v31, v7
	v_add_f32_e32 v3, v7, v3
	v_add_f32_e32 v19, v6, v3
	v_mul_f32_e32 v24, v19, v19
	v_mov_b32_e32 v7, 0x3ecc95a3
	v_fmac_f32_e32 v7, 0x3e9b6dac, v24
	v_sub_f32_e32 v6, v19, v6
	v_fmaak_f32 v7, v24, v7, 0x3f2aaada
	v_sub_f32_e32 v3, v3, v6
	v_ldexp_f32 v25, v19, 1
	v_mul_f32_e32 v19, v19, v24
	v_mov_b32_e32 v6, 0x3f317218
	v_pk_mul_f32 v[6:7], v[18:19], v[6:7]
	v_ldexp_f32 v3, v3, 1
	v_fma_f32 v19, v18, s5, -v6
	v_fmamk_f32 v24, v18, 0xb102e308, v19
	v_pk_add_f32 v[18:19], v[6:7], v[24:25]
	v_mov_b32_e32 v26, v6
	v_sub_f32_e32 v25, v19, v25
	v_sub_f32_e32 v25, v7, v25
	v_add_f32_e32 v27, v3, v25
	v_pk_add_f32 v[6:7], v[18:19], v[6:7] neg_lo:[0,1] neg_hi:[0,1]
	v_pk_add_f32 v[28:29], v[18:19], v[26:27]
	v_mov_b32_e32 v25, v18
	v_mov_b32_e32 v7, v29
	v_pk_add_f32 v[30:31], v[24:25], v[6:7] neg_lo:[0,1] neg_hi:[0,1]
	v_pk_add_f32 v[6:7], v[24:25], v[6:7]
	v_mov_b32_e32 v26, v27
	v_mov_b32_e32 v24, v7
	v_pk_add_f32 v[32:33], v[24:25], v[18:19] neg_lo:[0,1] neg_hi:[0,1]
	v_mov_b32_e32 v6, v29
	v_mov_b32_e32 v3, v32
	v_pk_add_f32 v[34:35], v[28:29], v[2:3] neg_lo:[0,1] neg_hi:[0,1]
	v_mov_b32_e32 v28, v19
	v_mov_b32_e32 v29, v32
	;; [unrolled: 1-line block ×3, first 2 shown]
	v_pk_add_f32 v[6:7], v[6:7], v[28:29] neg_lo:[0,1] neg_hi:[0,1]
	v_mov_b32_e32 v27, v18
	v_pk_add_f32 v[6:7], v[26:27], v[6:7] neg_lo:[0,1] neg_hi:[0,1]
	v_mov_b32_e32 v34, v30
	v_pk_add_f32 v[18:19], v[34:35], v[6:7]
	s_mov_b32 s5, 0x33800000
	v_mov_b32_e32 v26, v19
	v_pk_add_f32 v[26:27], v[18:19], v[26:27]
	v_cmp_lt_f32_e64 s[6:7], |v36|, s5
	v_pk_add_f32 v[24:25], v[24:25], v[26:27]
	v_mov_b32_e32 v7, v26
	v_mov_b32_e32 v19, v24
	v_pk_add_f32 v[28:29], v[18:19], v[30:31] neg_lo:[0,1] neg_hi:[0,1]
	s_or_b64 vcc, vcc, s[6:7]
	v_sub_f32_e32 v3, v18, v28
	v_pk_add_f32 v[6:7], v[6:7], v[28:29] neg_lo:[0,1] neg_hi:[0,1]
	v_sub_f32_e32 v3, v30, v3
	v_add_f32_e32 v3, v6, v3
	v_add_f32_e32 v3, v3, v7
	v_add_f32_e32 v3, v24, v3
	v_cndmask_b32_e32 v3, v3, v36, vcc
	v_add_f32_e32 v83, v2, v3
.LBB121_406:
	s_or_b64 exec, exec, s[2:3]
	v_max_f32_e32 v2, v83, v83
	v_min_f32_e32 v3, v2, v84
	v_cmp_u_f32_e32 vcc, v83, v83
	v_max_f32_e32 v2, v2, v84
	v_mov_b32_e32 v84, v83
	v_cndmask_b32_e32 v3, v3, v83, vcc
	v_cndmask_b32_e32 v2, v2, v83, vcc
	v_cndmask_b32_e64 v3, v3, v20, s[44:45]
	v_cndmask_b32_e64 v2, v2, v20, s[44:45]
	v_cmp_neq_f32_e32 vcc, v3, v2
	v_cmp_class_f32_e64 s[2:3], v3, s4
	s_or_b64 s[4:5], vcc, s[2:3]
	s_and_saveexec_b64 s[2:3], s[4:5]
	s_cbranch_execz .LBB121_408
; %bb.407:
	v_sub_f32_e32 v3, v3, v2
	s_mov_b32 s4, 0x3fb8aa3b
	v_mul_f32_e32 v6, 0x3fb8aa3b, v3
	v_fma_f32 v7, v3, s4, -v6
	v_rndne_f32_e32 v18, v6
	v_fmamk_f32 v7, v3, 0x32a5705f, v7
	v_sub_f32_e32 v6, v6, v18
	v_add_f32_e32 v6, v6, v7
	v_exp_f32_e32 v6, v6
	v_cvt_i32_f32_e32 v7, v18
	s_mov_b32 s4, 0xc2ce8ed0
	v_cmp_ngt_f32_e32 vcc, s4, v3
	s_mov_b32 s4, 0x42b17218
	v_ldexp_f32 v6, v6, v7
	v_cndmask_b32_e32 v6, 0, v6, vcc
	v_mov_b32_e32 v7, 0x7f800000
	v_cmp_nlt_f32_e32 vcc, s4, v3
	s_mov_b32 s4, 0x3f2aaaab
	s_mov_b32 s5, 0x7f800000
	v_cndmask_b32_e32 v34, v7, v6, vcc
	v_add_f32_e32 v3, 1.0, v34
	v_add_f32_e32 v6, -1.0, v3
	v_sub_f32_e32 v7, v6, v3
	v_add_f32_e32 v7, 1.0, v7
	v_sub_f32_e32 v6, v34, v6
	v_add_f32_e32 v18, v6, v7
	v_frexp_mant_f32_e32 v19, v3
	v_cvt_f64_f32_e32 v[6:7], v3
	v_frexp_exp_i32_f64_e32 v6, v[6:7]
	v_cmp_gt_f32_e32 vcc, s4, v19
	s_mov_b32 s4, 0x3f317218
	s_nop 0
	v_subbrev_co_u32_e32 v20, vcc, 0, v6, vcc
	v_sub_u32_e32 v6, 0, v20
	v_ldexp_f32 v3, v3, v6
	v_ldexp_f32 v6, v18, v6
	v_add_f32_e32 v18, -1.0, v3
	v_add_f32_e32 v7, 1.0, v18
	v_sub_f32_e32 v7, v3, v7
	v_add_f32_e32 v19, v6, v7
	v_add_f32_e32 v7, 1.0, v3
	v_add_f32_e32 v24, -1.0, v7
	v_sub_f32_e32 v3, v3, v24
	v_add_f32_e32 v3, v6, v3
	v_add_f32_e32 v28, v7, v3
	v_rcp_f32_e32 v29, v28
	v_sub_f32_e32 v6, v7, v28
	v_add_f32_e32 v7, v18, v19
	v_add_f32_e32 v3, v3, v6
	v_mul_f32_e32 v31, v7, v29
	v_sub_f32_e32 v6, v18, v7
	v_mul_f32_e32 v18, v28, v31
	v_fma_f32 v24, v31, v28, -v18
	v_fmac_f32_e32 v24, v31, v3
	v_add_f32_e32 v30, v19, v6
	v_add_f32_e32 v6, v18, v24
	v_sub_f32_e32 v19, v7, v6
	v_pk_add_f32 v[26:27], v[6:7], v[18:19] neg_lo:[0,1] neg_hi:[0,1]
	v_mov_b32_e32 v25, v6
	v_pk_add_f32 v[6:7], v[26:27], v[24:25] neg_lo:[0,1] neg_hi:[0,1]
	v_cmp_eq_f32_e32 vcc, s5, v34
	v_add_f32_e32 v7, v30, v7
	v_add_f32_e32 v6, v6, v7
	;; [unrolled: 1-line block ×3, first 2 shown]
	v_mul_f32_e32 v30, v29, v7
	v_mul_f32_e32 v18, v28, v30
	v_fma_f32 v24, v30, v28, -v18
	v_fmac_f32_e32 v24, v30, v3
	v_sub_f32_e32 v3, v19, v7
	v_add_f32_e32 v3, v6, v3
	v_add_f32_e32 v6, v18, v24
	v_sub_f32_e32 v19, v7, v6
	v_pk_add_f32 v[26:27], v[6:7], v[18:19] neg_lo:[0,1] neg_hi:[0,1]
	v_mov_b32_e32 v25, v6
	v_pk_add_f32 v[6:7], v[26:27], v[24:25] neg_lo:[0,1] neg_hi:[0,1]
	v_cvt_f32_i32_e32 v18, v20
	v_add_f32_e32 v3, v3, v7
	v_add_f32_e32 v3, v6, v3
	;; [unrolled: 1-line block ×4, first 2 shown]
	v_sub_f32_e32 v7, v6, v31
	v_mul_f32_e32 v3, v29, v3
	v_sub_f32_e32 v7, v30, v7
	v_add_f32_e32 v3, v7, v3
	v_add_f32_e32 v19, v6, v3
	v_mul_f32_e32 v24, v19, v19
	v_mov_b32_e32 v7, 0x3ecc95a3
	v_fmac_f32_e32 v7, 0x3e9b6dac, v24
	v_sub_f32_e32 v6, v19, v6
	v_fmaak_f32 v7, v24, v7, 0x3f2aaada
	v_sub_f32_e32 v3, v3, v6
	v_ldexp_f32 v25, v19, 1
	v_mul_f32_e32 v19, v19, v24
	v_mov_b32_e32 v6, 0x3f317218
	v_pk_mul_f32 v[6:7], v[18:19], v[6:7]
	v_ldexp_f32 v3, v3, 1
	v_fma_f32 v19, v18, s4, -v6
	v_fmamk_f32 v24, v18, 0xb102e308, v19
	v_pk_add_f32 v[18:19], v[6:7], v[24:25]
	v_mov_b32_e32 v26, v6
	v_sub_f32_e32 v20, v19, v25
	v_sub_f32_e32 v20, v7, v20
	v_add_f32_e32 v27, v3, v20
	v_pk_add_f32 v[6:7], v[18:19], v[6:7] neg_lo:[0,1] neg_hi:[0,1]
	v_pk_add_f32 v[28:29], v[18:19], v[26:27]
	v_mov_b32_e32 v25, v18
	v_mov_b32_e32 v7, v29
	v_pk_add_f32 v[30:31], v[24:25], v[6:7] neg_lo:[0,1] neg_hi:[0,1]
	v_pk_add_f32 v[6:7], v[24:25], v[6:7]
	s_mov_b32 s4, 0x33800000
	v_mov_b32_e32 v20, v7
	v_pk_add_f32 v[24:25], v[20:21], v[18:19] neg_lo:[0,1] neg_hi:[0,1]
	v_mov_b32_e32 v6, v29
	v_mov_b32_e32 v3, v24
	v_pk_add_f32 v[32:33], v[28:29], v[2:3] neg_lo:[0,1] neg_hi:[0,1]
	v_mov_b32_e32 v28, v19
	v_mov_b32_e32 v29, v24
	;; [unrolled: 1-line block ×3, first 2 shown]
	v_pk_add_f32 v[6:7], v[6:7], v[28:29] neg_lo:[0,1] neg_hi:[0,1]
	v_mov_b32_e32 v24, v27
	v_mov_b32_e32 v25, v18
	v_pk_add_f32 v[6:7], v[24:25], v[6:7] neg_lo:[0,1] neg_hi:[0,1]
	v_mov_b32_e32 v32, v30
	v_pk_add_f32 v[18:19], v[32:33], v[6:7]
	v_cmp_lt_f32_e64 s[4:5], |v34|, s4
	v_mov_b32_e32 v24, v19
	v_pk_add_f32 v[24:25], v[18:19], v[24:25]
	s_or_b64 vcc, vcc, s[4:5]
	v_pk_add_f32 v[26:27], v[20:21], v[24:25]
	v_mov_b32_e32 v7, v24
	v_mov_b32_e32 v19, v26
	v_pk_add_f32 v[28:29], v[18:19], v[30:31] neg_lo:[0,1] neg_hi:[0,1]
	s_nop 0
	v_sub_f32_e32 v3, v18, v28
	v_pk_add_f32 v[6:7], v[6:7], v[28:29] neg_lo:[0,1] neg_hi:[0,1]
	v_sub_f32_e32 v3, v30, v3
	v_add_f32_e32 v3, v6, v3
	v_add_f32_e32 v3, v3, v7
	;; [unrolled: 1-line block ×3, first 2 shown]
	v_cndmask_b32_e32 v3, v3, v34, vcc
	v_add_f32_e32 v84, v2, v3
.LBB121_408:
	s_or_b64 exec, exec, s[2:3]
	v_max_f32_e32 v2, v84, v84
	v_min_f32_e32 v3, v2, v85
	v_cmp_u_f32_e32 vcc, v84, v84
	v_max_f32_e32 v2, v2, v85
	s_movk_i32 s4, 0x1f8
	v_cndmask_b32_e32 v3, v3, v84, vcc
	v_cndmask_b32_e32 v2, v2, v84, vcc
	v_cndmask_b32_e64 v3, v3, v21, s[46:47]
	v_cndmask_b32_e64 v2, v2, v21, s[46:47]
	v_cmp_neq_f32_e32 vcc, v3, v2
	v_cmp_class_f32_e64 s[2:3], v3, s4
	s_or_b64 s[6:7], vcc, s[2:3]
	v_mov_b32_e32 v85, v84
	s_and_saveexec_b64 s[2:3], s[6:7]
	s_cbranch_execz .LBB121_410
; %bb.409:
	v_sub_f32_e32 v3, v3, v2
	s_mov_b32 s5, 0x3fb8aa3b
	v_mul_f32_e32 v6, 0x3fb8aa3b, v3
	v_fma_f32 v7, v3, s5, -v6
	v_rndne_f32_e32 v18, v6
	v_fmamk_f32 v7, v3, 0x32a5705f, v7
	v_sub_f32_e32 v6, v6, v18
	v_add_f32_e32 v6, v6, v7
	v_exp_f32_e32 v6, v6
	v_cvt_i32_f32_e32 v7, v18
	s_mov_b32 s5, 0xc2ce8ed0
	v_cmp_ngt_f32_e32 vcc, s5, v3
	s_mov_b32 s5, 0x42b17218
	v_ldexp_f32 v6, v6, v7
	v_cndmask_b32_e32 v6, 0, v6, vcc
	v_mov_b32_e32 v7, 0x7f800000
	v_cmp_nlt_f32_e32 vcc, s5, v3
	s_mov_b32 s5, 0x3f2aaaab
	s_mov_b32 s6, 0x7f800000
	v_cndmask_b32_e32 v34, v7, v6, vcc
	v_add_f32_e32 v3, 1.0, v34
	v_add_f32_e32 v6, -1.0, v3
	v_sub_f32_e32 v7, v6, v3
	v_add_f32_e32 v7, 1.0, v7
	v_sub_f32_e32 v6, v34, v6
	v_add_f32_e32 v18, v6, v7
	v_frexp_mant_f32_e32 v19, v3
	v_cvt_f64_f32_e32 v[6:7], v3
	v_frexp_exp_i32_f64_e32 v6, v[6:7]
	v_cmp_gt_f32_e32 vcc, s5, v19
	s_mov_b32 s5, 0x3f317218
	s_nop 0
	v_subbrev_co_u32_e32 v26, vcc, 0, v6, vcc
	v_sub_u32_e32 v6, 0, v26
	v_ldexp_f32 v3, v3, v6
	v_ldexp_f32 v6, v18, v6
	v_add_f32_e32 v18, -1.0, v3
	v_add_f32_e32 v7, 1.0, v18
	v_sub_f32_e32 v7, v3, v7
	v_add_f32_e32 v19, v6, v7
	v_add_f32_e32 v7, 1.0, v3
	v_add_f32_e32 v20, -1.0, v7
	v_sub_f32_e32 v3, v3, v20
	v_add_f32_e32 v3, v6, v3
	v_add_f32_e32 v27, v7, v3
	v_rcp_f32_e32 v28, v27
	v_sub_f32_e32 v6, v7, v27
	v_add_f32_e32 v7, v18, v19
	v_add_f32_e32 v3, v3, v6
	v_mul_f32_e32 v30, v7, v28
	v_sub_f32_e32 v6, v18, v7
	v_mul_f32_e32 v18, v27, v30
	v_fma_f32 v20, v30, v27, -v18
	v_fmac_f32_e32 v20, v30, v3
	v_add_f32_e32 v29, v19, v6
	v_add_f32_e32 v6, v18, v20
	v_sub_f32_e32 v19, v7, v6
	v_pk_add_f32 v[24:25], v[6:7], v[18:19] neg_lo:[0,1] neg_hi:[0,1]
	v_mov_b32_e32 v21, v6
	v_pk_add_f32 v[6:7], v[24:25], v[20:21] neg_lo:[0,1] neg_hi:[0,1]
	v_cmp_eq_f32_e32 vcc, s6, v34
	v_add_f32_e32 v7, v29, v7
	v_add_f32_e32 v6, v6, v7
	;; [unrolled: 1-line block ×3, first 2 shown]
	v_mul_f32_e32 v29, v28, v7
	v_mul_f32_e32 v18, v27, v29
	v_fma_f32 v20, v29, v27, -v18
	v_fmac_f32_e32 v20, v29, v3
	v_sub_f32_e32 v3, v19, v7
	v_add_f32_e32 v3, v6, v3
	v_add_f32_e32 v6, v18, v20
	v_sub_f32_e32 v19, v7, v6
	v_pk_add_f32 v[24:25], v[6:7], v[18:19] neg_lo:[0,1] neg_hi:[0,1]
	v_mov_b32_e32 v21, v6
	v_pk_add_f32 v[6:7], v[24:25], v[20:21] neg_lo:[0,1] neg_hi:[0,1]
	v_cvt_f32_i32_e32 v18, v26
	v_add_f32_e32 v3, v3, v7
	v_add_f32_e32 v3, v6, v3
	;; [unrolled: 1-line block ×4, first 2 shown]
	v_sub_f32_e32 v7, v6, v30
	v_mul_f32_e32 v3, v28, v3
	v_sub_f32_e32 v7, v29, v7
	v_add_f32_e32 v3, v7, v3
	v_add_f32_e32 v19, v6, v3
	v_mul_f32_e32 v20, v19, v19
	v_mov_b32_e32 v7, 0x3ecc95a3
	v_fmac_f32_e32 v7, 0x3e9b6dac, v20
	v_sub_f32_e32 v6, v19, v6
	v_fmaak_f32 v7, v20, v7, 0x3f2aaada
	v_sub_f32_e32 v3, v3, v6
	v_ldexp_f32 v21, v19, 1
	v_mul_f32_e32 v19, v19, v20
	v_mov_b32_e32 v6, 0x3f317218
	v_pk_mul_f32 v[6:7], v[18:19], v[6:7]
	v_ldexp_f32 v3, v3, 1
	v_fma_f32 v19, v18, s5, -v6
	v_fmamk_f32 v20, v18, 0xb102e308, v19
	v_pk_add_f32 v[18:19], v[6:7], v[20:21]
	v_mov_b32_e32 v24, v6
	v_sub_f32_e32 v21, v19, v21
	v_sub_f32_e32 v21, v7, v21
	v_add_f32_e32 v25, v3, v21
	v_pk_add_f32 v[6:7], v[18:19], v[6:7] neg_lo:[0,1] neg_hi:[0,1]
	v_pk_add_f32 v[26:27], v[18:19], v[24:25]
	v_mov_b32_e32 v21, v18
	v_mov_b32_e32 v7, v27
	v_pk_add_f32 v[28:29], v[20:21], v[6:7] neg_lo:[0,1] neg_hi:[0,1]
	v_pk_add_f32 v[6:7], v[20:21], v[6:7]
	v_mov_b32_e32 v24, v25
	v_mov_b32_e32 v20, v7
	v_pk_add_f32 v[30:31], v[20:21], v[18:19] neg_lo:[0,1] neg_hi:[0,1]
	v_mov_b32_e32 v6, v27
	v_mov_b32_e32 v3, v30
	v_pk_add_f32 v[32:33], v[26:27], v[2:3] neg_lo:[0,1] neg_hi:[0,1]
	v_mov_b32_e32 v26, v19
	v_mov_b32_e32 v27, v30
	v_mov_b32_e32 v29, v7
	v_pk_add_f32 v[6:7], v[6:7], v[26:27] neg_lo:[0,1] neg_hi:[0,1]
	v_mov_b32_e32 v25, v18
	v_pk_add_f32 v[6:7], v[24:25], v[6:7] neg_lo:[0,1] neg_hi:[0,1]
	v_mov_b32_e32 v32, v28
	v_pk_add_f32 v[18:19], v[32:33], v[6:7]
	s_mov_b32 s5, 0x33800000
	v_mov_b32_e32 v24, v19
	v_pk_add_f32 v[24:25], v[18:19], v[24:25]
	v_cmp_lt_f32_e64 s[6:7], |v34|, s5
	v_pk_add_f32 v[20:21], v[20:21], v[24:25]
	v_mov_b32_e32 v7, v24
	v_mov_b32_e32 v19, v20
	v_pk_add_f32 v[26:27], v[18:19], v[28:29] neg_lo:[0,1] neg_hi:[0,1]
	s_or_b64 vcc, vcc, s[6:7]
	v_sub_f32_e32 v3, v18, v26
	v_pk_add_f32 v[6:7], v[6:7], v[26:27] neg_lo:[0,1] neg_hi:[0,1]
	v_sub_f32_e32 v3, v28, v3
	v_add_f32_e32 v3, v6, v3
	v_add_f32_e32 v3, v3, v7
	v_add_f32_e32 v3, v20, v3
	v_cndmask_b32_e32 v3, v3, v34, vcc
	v_add_f32_e32 v85, v2, v3
.LBB121_410:
	s_or_b64 exec, exec, s[2:3]
	v_max_f32_e32 v2, v85, v85
	v_min_f32_e32 v3, v2, v86
	v_cmp_u_f32_e32 vcc, v85, v85
	v_max_f32_e32 v2, v2, v86
	v_mov_b32_e32 v86, v85
	v_cndmask_b32_e32 v3, v3, v85, vcc
	v_cndmask_b32_e32 v2, v2, v85, vcc
	v_cndmask_b32_e64 v3, v3, v22, s[48:49]
	v_cndmask_b32_e64 v2, v2, v22, s[48:49]
	v_cmp_neq_f32_e32 vcc, v3, v2
	v_cmp_class_f32_e64 s[2:3], v3, s4
	s_or_b64 s[4:5], vcc, s[2:3]
	s_and_saveexec_b64 s[2:3], s[4:5]
	s_cbranch_execz .LBB121_412
; %bb.411:
	v_sub_f32_e32 v3, v3, v2
	s_mov_b32 s4, 0x3fb8aa3b
	v_mul_f32_e32 v6, 0x3fb8aa3b, v3
	v_fma_f32 v7, v3, s4, -v6
	v_rndne_f32_e32 v18, v6
	v_fmamk_f32 v7, v3, 0x32a5705f, v7
	v_sub_f32_e32 v6, v6, v18
	v_add_f32_e32 v6, v6, v7
	v_exp_f32_e32 v6, v6
	v_cvt_i32_f32_e32 v7, v18
	s_mov_b32 s4, 0xc2ce8ed0
	v_cmp_ngt_f32_e32 vcc, s4, v3
	s_mov_b32 s4, 0x42b17218
	v_ldexp_f32 v6, v6, v7
	v_cndmask_b32_e32 v6, 0, v6, vcc
	v_mov_b32_e32 v7, 0x7f800000
	v_cmp_nlt_f32_e32 vcc, s4, v3
	s_mov_b32 s4, 0x3f2aaaab
	s_mov_b32 s5, 0x7f800000
	v_cndmask_b32_e32 v34, v7, v6, vcc
	v_add_f32_e32 v3, 1.0, v34
	v_add_f32_e32 v6, -1.0, v3
	v_sub_f32_e32 v7, v6, v3
	v_add_f32_e32 v7, 1.0, v7
	v_sub_f32_e32 v6, v34, v6
	v_add_f32_e32 v18, v6, v7
	v_frexp_mant_f32_e32 v19, v3
	v_cvt_f64_f32_e32 v[6:7], v3
	v_frexp_exp_i32_f64_e32 v6, v[6:7]
	v_cmp_gt_f32_e32 vcc, s4, v19
	s_mov_b32 s4, 0x3f317218
	s_nop 0
	v_subbrev_co_u32_e32 v22, vcc, 0, v6, vcc
	v_sub_u32_e32 v6, 0, v22
	v_ldexp_f32 v3, v3, v6
	v_ldexp_f32 v6, v18, v6
	v_add_f32_e32 v18, -1.0, v3
	v_add_f32_e32 v7, 1.0, v18
	v_sub_f32_e32 v7, v3, v7
	v_add_f32_e32 v19, v6, v7
	v_add_f32_e32 v7, 1.0, v3
	v_add_f32_e32 v20, -1.0, v7
	v_sub_f32_e32 v3, v3, v20
	v_add_f32_e32 v3, v6, v3
	v_add_f32_e32 v26, v7, v3
	v_rcp_f32_e32 v27, v26
	v_sub_f32_e32 v6, v7, v26
	v_add_f32_e32 v7, v18, v19
	v_add_f32_e32 v3, v3, v6
	v_mul_f32_e32 v29, v7, v27
	v_sub_f32_e32 v6, v18, v7
	v_mul_f32_e32 v18, v26, v29
	v_fma_f32 v20, v29, v26, -v18
	v_fmac_f32_e32 v20, v29, v3
	v_add_f32_e32 v28, v19, v6
	v_add_f32_e32 v6, v18, v20
	v_sub_f32_e32 v19, v7, v6
	v_pk_add_f32 v[24:25], v[6:7], v[18:19] neg_lo:[0,1] neg_hi:[0,1]
	v_mov_b32_e32 v21, v6
	v_pk_add_f32 v[6:7], v[24:25], v[20:21] neg_lo:[0,1] neg_hi:[0,1]
	v_cmp_eq_f32_e32 vcc, s5, v34
	v_add_f32_e32 v7, v28, v7
	v_add_f32_e32 v6, v6, v7
	;; [unrolled: 1-line block ×3, first 2 shown]
	v_mul_f32_e32 v28, v27, v7
	v_mul_f32_e32 v18, v26, v28
	v_fma_f32 v20, v28, v26, -v18
	v_fmac_f32_e32 v20, v28, v3
	v_sub_f32_e32 v3, v19, v7
	v_add_f32_e32 v3, v6, v3
	v_add_f32_e32 v6, v18, v20
	v_sub_f32_e32 v19, v7, v6
	v_pk_add_f32 v[24:25], v[6:7], v[18:19] neg_lo:[0,1] neg_hi:[0,1]
	v_mov_b32_e32 v21, v6
	v_pk_add_f32 v[6:7], v[24:25], v[20:21] neg_lo:[0,1] neg_hi:[0,1]
	v_cvt_f32_i32_e32 v18, v22
	v_add_f32_e32 v3, v3, v7
	v_add_f32_e32 v3, v6, v3
	v_add_f32_e32 v6, v29, v28
	v_add_f32_e32 v3, v19, v3
	v_sub_f32_e32 v7, v6, v29
	v_mul_f32_e32 v3, v27, v3
	v_sub_f32_e32 v7, v28, v7
	v_add_f32_e32 v3, v7, v3
	v_add_f32_e32 v19, v6, v3
	v_mul_f32_e32 v20, v19, v19
	v_mov_b32_e32 v7, 0x3ecc95a3
	v_fmac_f32_e32 v7, 0x3e9b6dac, v20
	v_sub_f32_e32 v6, v19, v6
	v_fmaak_f32 v7, v20, v7, 0x3f2aaada
	v_sub_f32_e32 v3, v3, v6
	v_ldexp_f32 v21, v19, 1
	v_mul_f32_e32 v19, v19, v20
	v_mov_b32_e32 v6, 0x3f317218
	v_pk_mul_f32 v[6:7], v[18:19], v[6:7]
	v_ldexp_f32 v3, v3, 1
	v_fma_f32 v19, v18, s4, -v6
	v_fmamk_f32 v20, v18, 0xb102e308, v19
	v_pk_add_f32 v[18:19], v[6:7], v[20:21]
	v_mov_b32_e32 v24, v6
	v_sub_f32_e32 v21, v19, v21
	v_sub_f32_e32 v21, v7, v21
	v_add_f32_e32 v25, v3, v21
	v_pk_add_f32 v[6:7], v[18:19], v[6:7] neg_lo:[0,1] neg_hi:[0,1]
	v_pk_add_f32 v[26:27], v[18:19], v[24:25]
	v_mov_b32_e32 v21, v18
	v_mov_b32_e32 v7, v27
	v_pk_add_f32 v[28:29], v[20:21], v[6:7] neg_lo:[0,1] neg_hi:[0,1]
	v_pk_add_f32 v[6:7], v[20:21], v[6:7]
	v_mov_b32_e32 v24, v25
	v_mov_b32_e32 v20, v7
	v_pk_add_f32 v[30:31], v[20:21], v[18:19] neg_lo:[0,1] neg_hi:[0,1]
	v_mov_b32_e32 v6, v27
	v_mov_b32_e32 v3, v30
	v_pk_add_f32 v[32:33], v[26:27], v[2:3] neg_lo:[0,1] neg_hi:[0,1]
	v_mov_b32_e32 v26, v19
	v_mov_b32_e32 v27, v30
	v_mov_b32_e32 v29, v7
	v_pk_add_f32 v[6:7], v[6:7], v[26:27] neg_lo:[0,1] neg_hi:[0,1]
	v_mov_b32_e32 v25, v18
	v_pk_add_f32 v[6:7], v[24:25], v[6:7] neg_lo:[0,1] neg_hi:[0,1]
	v_mov_b32_e32 v32, v28
	v_pk_add_f32 v[18:19], v[32:33], v[6:7]
	s_mov_b32 s4, 0x33800000
	v_mov_b32_e32 v22, v19
	v_pk_add_f32 v[24:25], v[18:19], v[22:23]
	v_cmp_lt_f32_e64 s[4:5], |v34|, s4
	v_pk_add_f32 v[20:21], v[20:21], v[24:25]
	v_mov_b32_e32 v7, v24
	v_mov_b32_e32 v19, v20
	v_pk_add_f32 v[26:27], v[18:19], v[28:29] neg_lo:[0,1] neg_hi:[0,1]
	s_or_b64 vcc, vcc, s[4:5]
	v_sub_f32_e32 v3, v18, v26
	v_pk_add_f32 v[6:7], v[6:7], v[26:27] neg_lo:[0,1] neg_hi:[0,1]
	v_sub_f32_e32 v3, v28, v3
	v_add_f32_e32 v3, v6, v3
	v_add_f32_e32 v3, v3, v7
	;; [unrolled: 1-line block ×3, first 2 shown]
	v_cndmask_b32_e32 v3, v3, v34, vcc
	v_add_f32_e32 v86, v2, v3
.LBB121_412:
	s_or_b64 exec, exec, s[2:3]
	v_max_f32_e32 v2, v86, v86
	v_min_f32_e32 v3, v2, v87
	v_cmp_u_f32_e32 vcc, v86, v86
	v_max_f32_e32 v2, v2, v87
	s_movk_i32 s2, 0x1f8
	v_cndmask_b32_e32 v3, v3, v86, vcc
	v_cndmask_b32_e32 v2, v2, v86, vcc
	v_cndmask_b32_e64 v3, v3, v23, s[50:51]
	v_cndmask_b32_e64 v2, v2, v23, s[50:51]
	v_cmp_neq_f32_e32 vcc, v3, v2
	v_cmp_class_f32_e64 s[2:3], v3, s2
	s_or_b64 s[4:5], vcc, s[2:3]
	v_mov_b32_e32 v87, v86
	s_and_saveexec_b64 s[2:3], s[4:5]
	s_cbranch_execz .LBB121_414
; %bb.413:
	v_sub_f32_e32 v3, v3, v2
	s_mov_b32 s4, 0x3fb8aa3b
	v_mul_f32_e32 v6, 0x3fb8aa3b, v3
	v_fma_f32 v7, v3, s4, -v6
	v_rndne_f32_e32 v18, v6
	v_fmamk_f32 v7, v3, 0x32a5705f, v7
	v_sub_f32_e32 v6, v6, v18
	v_add_f32_e32 v6, v6, v7
	v_exp_f32_e32 v6, v6
	v_cvt_i32_f32_e32 v7, v18
	s_mov_b32 s4, 0xc2ce8ed0
	v_cmp_ngt_f32_e32 vcc, s4, v3
	s_mov_b32 s4, 0x42b17218
	v_ldexp_f32 v6, v6, v7
	v_cndmask_b32_e32 v6, 0, v6, vcc
	v_mov_b32_e32 v7, 0x7f800000
	v_cmp_nlt_f32_e32 vcc, s4, v3
	s_mov_b32 s4, 0x3f2aaaab
	s_mov_b32 s5, 0x7f800000
	v_cndmask_b32_e32 v32, v7, v6, vcc
	v_add_f32_e32 v3, 1.0, v32
	v_add_f32_e32 v6, -1.0, v3
	v_sub_f32_e32 v7, v6, v3
	v_add_f32_e32 v7, 1.0, v7
	v_sub_f32_e32 v6, v32, v6
	v_add_f32_e32 v18, v6, v7
	v_frexp_mant_f32_e32 v19, v3
	v_cvt_f64_f32_e32 v[6:7], v3
	v_frexp_exp_i32_f64_e32 v6, v[6:7]
	v_cmp_gt_f32_e32 vcc, s4, v19
	s_mov_b32 s4, 0x3f317218
	s_nop 0
	v_subbrev_co_u32_e32 v24, vcc, 0, v6, vcc
	v_sub_u32_e32 v6, 0, v24
	v_ldexp_f32 v3, v3, v6
	v_ldexp_f32 v6, v18, v6
	v_add_f32_e32 v18, -1.0, v3
	v_add_f32_e32 v7, 1.0, v18
	v_sub_f32_e32 v7, v3, v7
	v_add_f32_e32 v19, v6, v7
	v_add_f32_e32 v7, 1.0, v3
	v_add_f32_e32 v20, -1.0, v7
	v_sub_f32_e32 v3, v3, v20
	v_add_f32_e32 v3, v6, v3
	v_add_f32_e32 v25, v7, v3
	v_rcp_f32_e32 v26, v25
	v_sub_f32_e32 v6, v7, v25
	v_add_f32_e32 v7, v18, v19
	v_add_f32_e32 v3, v3, v6
	v_mul_f32_e32 v28, v7, v26
	v_sub_f32_e32 v6, v18, v7
	v_mul_f32_e32 v18, v25, v28
	v_fma_f32 v20, v28, v25, -v18
	v_fmac_f32_e32 v20, v28, v3
	v_add_f32_e32 v27, v19, v6
	v_add_f32_e32 v6, v18, v20
	v_sub_f32_e32 v19, v7, v6
	v_pk_add_f32 v[22:23], v[6:7], v[18:19] neg_lo:[0,1] neg_hi:[0,1]
	v_mov_b32_e32 v21, v6
	v_pk_add_f32 v[6:7], v[22:23], v[20:21] neg_lo:[0,1] neg_hi:[0,1]
	v_cmp_eq_f32_e32 vcc, s5, v32
	v_add_f32_e32 v7, v27, v7
	v_add_f32_e32 v6, v6, v7
	;; [unrolled: 1-line block ×3, first 2 shown]
	v_mul_f32_e32 v27, v26, v7
	v_mul_f32_e32 v18, v25, v27
	v_fma_f32 v20, v27, v25, -v18
	v_fmac_f32_e32 v20, v27, v3
	v_sub_f32_e32 v3, v19, v7
	v_add_f32_e32 v3, v6, v3
	v_add_f32_e32 v6, v18, v20
	v_sub_f32_e32 v19, v7, v6
	v_pk_add_f32 v[22:23], v[6:7], v[18:19] neg_lo:[0,1] neg_hi:[0,1]
	v_mov_b32_e32 v21, v6
	v_pk_add_f32 v[6:7], v[22:23], v[20:21] neg_lo:[0,1] neg_hi:[0,1]
	v_cvt_f32_i32_e32 v18, v24
	v_add_f32_e32 v3, v3, v7
	v_add_f32_e32 v3, v6, v3
	;; [unrolled: 1-line block ×4, first 2 shown]
	v_sub_f32_e32 v7, v6, v28
	v_mul_f32_e32 v3, v26, v3
	v_sub_f32_e32 v7, v27, v7
	v_add_f32_e32 v3, v7, v3
	v_add_f32_e32 v19, v6, v3
	v_mul_f32_e32 v20, v19, v19
	v_mov_b32_e32 v7, 0x3ecc95a3
	v_fmac_f32_e32 v7, 0x3e9b6dac, v20
	v_sub_f32_e32 v6, v19, v6
	v_fmaak_f32 v7, v20, v7, 0x3f2aaada
	v_sub_f32_e32 v3, v3, v6
	v_ldexp_f32 v21, v19, 1
	v_mul_f32_e32 v19, v19, v20
	v_mov_b32_e32 v6, 0x3f317218
	v_pk_mul_f32 v[6:7], v[18:19], v[6:7]
	v_ldexp_f32 v3, v3, 1
	v_fma_f32 v19, v18, s4, -v6
	v_fmamk_f32 v20, v18, 0xb102e308, v19
	v_pk_add_f32 v[18:19], v[6:7], v[20:21]
	v_mov_b32_e32 v22, v6
	v_sub_f32_e32 v21, v19, v21
	v_sub_f32_e32 v21, v7, v21
	v_add_f32_e32 v23, v3, v21
	v_pk_add_f32 v[6:7], v[18:19], v[6:7] neg_lo:[0,1] neg_hi:[0,1]
	v_pk_add_f32 v[24:25], v[18:19], v[22:23]
	v_mov_b32_e32 v21, v18
	v_mov_b32_e32 v7, v25
	v_pk_add_f32 v[26:27], v[20:21], v[6:7] neg_lo:[0,1] neg_hi:[0,1]
	v_pk_add_f32 v[6:7], v[20:21], v[6:7]
	v_mov_b32_e32 v22, v23
	v_mov_b32_e32 v20, v7
	v_pk_add_f32 v[28:29], v[20:21], v[18:19] neg_lo:[0,1] neg_hi:[0,1]
	v_mov_b32_e32 v6, v25
	v_mov_b32_e32 v3, v28
	v_pk_add_f32 v[30:31], v[24:25], v[2:3] neg_lo:[0,1] neg_hi:[0,1]
	v_mov_b32_e32 v24, v19
	v_mov_b32_e32 v25, v28
	;; [unrolled: 1-line block ×3, first 2 shown]
	v_pk_add_f32 v[6:7], v[6:7], v[24:25] neg_lo:[0,1] neg_hi:[0,1]
	v_mov_b32_e32 v23, v18
	v_pk_add_f32 v[6:7], v[22:23], v[6:7] neg_lo:[0,1] neg_hi:[0,1]
	v_mov_b32_e32 v30, v26
	v_pk_add_f32 v[18:19], v[30:31], v[6:7]
	s_mov_b32 s4, 0x33800000
	v_mov_b32_e32 v22, v19
	v_pk_add_f32 v[22:23], v[18:19], v[22:23]
	v_cmp_lt_f32_e64 s[4:5], |v32|, s4
	v_pk_add_f32 v[20:21], v[20:21], v[22:23]
	v_mov_b32_e32 v7, v22
	v_mov_b32_e32 v19, v20
	v_pk_add_f32 v[24:25], v[18:19], v[26:27] neg_lo:[0,1] neg_hi:[0,1]
	s_or_b64 vcc, vcc, s[4:5]
	v_sub_f32_e32 v3, v18, v24
	v_pk_add_f32 v[6:7], v[6:7], v[24:25] neg_lo:[0,1] neg_hi:[0,1]
	v_sub_f32_e32 v3, v26, v3
	v_add_f32_e32 v3, v6, v3
	v_add_f32_e32 v3, v3, v7
	;; [unrolled: 1-line block ×3, first 2 shown]
	v_cndmask_b32_e32 v3, v3, v32, vcc
	v_add_f32_e32 v87, v2, v3
.LBB121_414:
	s_or_b64 exec, exec, s[2:3]
	s_movk_i32 s2, 0xff
	v_cmp_eq_u32_e32 vcc, s2, v100
	s_and_saveexec_b64 s[2:3], vcc
	s_cbranch_execz .LBB121_416
; %bb.415:
	v_mov_b32_e32 v3, 2
	v_mov_b32_e32 v2, v87
	flat_store_dwordx2 v[96:97], v[2:3] offset:512 sc1
.LBB121_416:
	s_or_b64 exec, exec, s[2:3]
	v_mov_b64_e32 v[48:49], v[16:17]
.LBB121_417:
	v_lshl_add_u64 v[2:3], v[12:13], 2, v[14:15]
	v_lshl_add_u64 v[32:33], v[102:103], 2, v[2:3]
	s_waitcnt lgkmcnt(0)
	s_barrier
	s_and_saveexec_b64 s[2:3], s[0:1]
	s_xor_b64 s[0:1], exec, s[2:3]
	s_cbranch_execz .LBB121_419
; %bb.418:
	ds_write_b128 v1, v[48:51]
	ds_write_b128 v1, v[52:55] offset:16
	ds_write_b128 v1, v[64:67] offset:32
	;; [unrolled: 1-line block ×5, first 2 shown]
	v_mov_b32_e32 v1, 0
	s_waitcnt lgkmcnt(0)
	s_barrier
	ds_read2st64_b32 v[2:3], v0 offset1:4
	ds_read2st64_b32 v[4:5], v0 offset0:8 offset1:12
	ds_read2st64_b32 v[6:7], v0 offset0:16 offset1:20
	;; [unrolled: 1-line block ×11, first 2 shown]
	v_lshl_add_u64 v[0:1], v[32:33], 0, v[0:1]
	s_movk_i32 s2, 0x1000
	s_waitcnt lgkmcnt(0)
	flat_store_dword v[0:1], v2
	flat_store_dword v[0:1], v3 offset:1024
	flat_store_dword v[0:1], v4 offset:2048
	;; [unrolled: 1-line block ×3, first 2 shown]
	v_add_co_u32_e32 v2, vcc, s2, v0
	s_movk_i32 s2, 0x2000
	s_nop 0
	v_addc_co_u32_e32 v3, vcc, 0, v1, vcc
	flat_store_dword v[2:3], v6
	flat_store_dword v[2:3], v7 offset:1024
	flat_store_dword v[2:3], v8 offset:2048
	;; [unrolled: 1-line block ×3, first 2 shown]
	v_add_co_u32_e32 v2, vcc, s2, v0
	s_movk_i32 s2, 0x3000
	s_nop 0
	v_addc_co_u32_e32 v3, vcc, 0, v1, vcc
	flat_store_dword v[2:3], v10
	flat_store_dword v[2:3], v11 offset:1024
	flat_store_dword v[2:3], v12 offset:2048
	;; [unrolled: 1-line block ×3, first 2 shown]
	v_add_co_u32_e32 v2, vcc, s2, v0
                                        ; implicit-def: $vgpr6_vgpr7_vgpr8_vgpr9
                                        ; implicit-def: $vgpr100
                                        ; implicit-def: $vgpr10_vgpr11
                                        ; implicit-def: $vgpr87
                                        ; implicit-def: $vgpr82_vgpr83
                                        ; implicit-def: $vgpr70_vgpr71
                                        ; implicit-def: $vgpr66_vgpr67
                                        ; implicit-def: $vgpr54_vgpr55
                                        ; implicit-def: $vgpr50_vgpr51
                                        ; implicit-def: $vgpr32_vgpr33
                                        ; implicit-def: $vgpr98
	s_nop 1
	v_addc_co_u32_e32 v3, vcc, 0, v1, vcc
	flat_store_dword v[2:3], v14
	flat_store_dword v[2:3], v15 offset:1024
	flat_store_dword v[2:3], v16 offset:2048
	;; [unrolled: 1-line block ×3, first 2 shown]
	v_add_co_u32_e32 v2, vcc, 0x4000, v0
	s_nop 1
	v_addc_co_u32_e32 v3, vcc, 0, v1, vcc
	v_add_co_u32_e32 v0, vcc, 0x5000, v0
	flat_store_dword v[2:3], v18
	flat_store_dword v[2:3], v19 offset:1024
	flat_store_dword v[2:3], v20 offset:2048
	;; [unrolled: 1-line block ×3, first 2 shown]
	v_addc_co_u32_e32 v1, vcc, 0, v1, vcc
	flat_store_dword v[0:1], v22
	flat_store_dword v[0:1], v23 offset:1024
	flat_store_dword v[0:1], v24 offset:2048
	;; [unrolled: 1-line block ×3, first 2 shown]
                                        ; implicit-def: $vgpr2_vgpr3_vgpr4_vgpr5
                                        ; implicit-def: $vgpr1
                                        ; implicit-def: $vgpr0
.LBB121_419:
	s_andn2_saveexec_b64 s[2:3], s[0:1]
	s_cbranch_execz .LBB121_558
; %bb.420:
	ds_write_b128 v1, v[48:51]
	ds_write_b128 v1, v[52:55] offset:16
	ds_write_b128 v1, v[64:67] offset:32
	;; [unrolled: 1-line block ×5, first 2 shown]
	s_waitcnt lgkmcnt(0)
	s_barrier
	ds_read2st64_b32 v[2:3], v0 offset1:4
	ds_read2st64_b32 v[6:7], v0 offset0:8 offset1:12
	ds_read2st64_b32 v[12:13], v0 offset0:16 offset1:20
	;; [unrolled: 1-line block ×11, first 2 shown]
	v_mov_b32_e32 v1, 0
	v_lshl_add_u64 v[32:33], v[32:33], 0, v[0:1]
	v_cmp_lt_u32_e32 vcc, v100, v10
	s_and_saveexec_b64 s[0:1], vcc
	s_cbranch_execz .LBB121_422
; %bb.421:
	s_waitcnt lgkmcnt(0)
	flat_store_dword v[32:33], v2
.LBB121_422:
	s_or_b64 exec, exec, s[0:1]
	v_add_u32_e32 v0, 0x100, v100
	v_cmp_lt_u32_e32 vcc, v0, v10
	s_and_saveexec_b64 s[0:1], vcc
	s_cbranch_execz .LBB121_424
; %bb.423:
	s_waitcnt lgkmcnt(0)
	flat_store_dword v[32:33], v3 offset:1024
.LBB121_424:
	s_or_b64 exec, exec, s[0:1]
	v_add_u32_e32 v0, 0x200, v100
	v_cmp_lt_u32_e32 vcc, v0, v10
	s_and_saveexec_b64 s[0:1], vcc
	s_cbranch_execz .LBB121_426
; %bb.425:
	s_waitcnt lgkmcnt(0)
	flat_store_dword v[32:33], v6 offset:2048
.LBB121_426:
	;; [unrolled: 9-line block ×3, first 2 shown]
	s_or_b64 exec, exec, s[0:1]
	v_or_b32_e32 v0, 0x400, v100
	v_cmp_lt_u32_e32 vcc, v0, v10
	s_and_saveexec_b64 s[0:1], vcc
	s_cbranch_execz .LBB121_430
; %bb.429:
	v_add_co_u32_e32 v34, vcc, 0x1000, v32
	s_nop 1
	v_addc_co_u32_e32 v35, vcc, 0, v33, vcc
	s_waitcnt lgkmcnt(0)
	flat_store_dword v[34:35], v12
.LBB121_430:
	s_or_b64 exec, exec, s[0:1]
	v_add_u32_e32 v0, 0x500, v100
	v_cmp_lt_u32_e32 vcc, v0, v10
	s_and_saveexec_b64 s[0:1], vcc
	s_cbranch_execz .LBB121_432
; %bb.431:
	v_add_co_u32_e32 v34, vcc, 0x1000, v32
	s_nop 1
	v_addc_co_u32_e32 v35, vcc, 0, v33, vcc
	s_waitcnt lgkmcnt(0)
	flat_store_dword v[34:35], v13 offset:1024
.LBB121_432:
	s_or_b64 exec, exec, s[0:1]
	v_add_u32_e32 v0, 0x600, v100
	v_cmp_lt_u32_e32 vcc, v0, v10
	s_and_saveexec_b64 s[0:1], vcc
	s_cbranch_execz .LBB121_434
; %bb.433:
	v_add_co_u32_e32 v34, vcc, 0x1000, v32
	s_nop 1
	v_addc_co_u32_e32 v35, vcc, 0, v33, vcc
	s_waitcnt lgkmcnt(0)
	flat_store_dword v[34:35], v22 offset:2048
.LBB121_434:
	s_or_b64 exec, exec, s[0:1]
	v_add_u32_e32 v0, 0x700, v100
	v_cmp_lt_u32_e32 vcc, v0, v10
	s_and_saveexec_b64 s[0:1], vcc
	s_cbranch_execz .LBB121_436
; %bb.435:
	v_add_co_u32_e32 v34, vcc, 0x1000, v32
	s_nop 1
	v_addc_co_u32_e32 v35, vcc, 0, v33, vcc
	s_waitcnt lgkmcnt(0)
	flat_store_dword v[34:35], v23 offset:3072
.LBB121_436:
	s_or_b64 exec, exec, s[0:1]
	v_or_b32_e32 v0, 0x800, v100
	v_cmp_lt_u32_e32 vcc, v0, v10
	s_and_saveexec_b64 s[0:1], vcc
	s_cbranch_execz .LBB121_438
; %bb.437:
	v_add_co_u32_e32 v34, vcc, 0x2000, v32
	s_nop 1
	v_addc_co_u32_e32 v35, vcc, 0, v33, vcc
	s_waitcnt lgkmcnt(0)
	flat_store_dword v[34:35], v20
.LBB121_438:
	s_or_b64 exec, exec, s[0:1]
	v_add_u32_e32 v0, 0x900, v100
	v_cmp_lt_u32_e32 vcc, v0, v10
	s_and_saveexec_b64 s[0:1], vcc
	s_cbranch_execz .LBB121_440
; %bb.439:
	v_add_co_u32_e32 v34, vcc, 0x2000, v32
	s_nop 1
	v_addc_co_u32_e32 v35, vcc, 0, v33, vcc
	s_waitcnt lgkmcnt(0)
	flat_store_dword v[34:35], v21 offset:1024
.LBB121_440:
	s_or_b64 exec, exec, s[0:1]
	v_add_u32_e32 v0, 0xa00, v100
	v_cmp_lt_u32_e32 vcc, v0, v10
	s_and_saveexec_b64 s[0:1], vcc
	s_cbranch_execz .LBB121_442
; %bb.441:
	v_add_co_u32_e32 v34, vcc, 0x2000, v32
	s_nop 1
	v_addc_co_u32_e32 v35, vcc, 0, v33, vcc
	s_waitcnt lgkmcnt(0)
	flat_store_dword v[34:35], v24 offset:2048
.LBB121_442:
	s_or_b64 exec, exec, s[0:1]
	v_add_u32_e32 v0, 0xb00, v100
	v_cmp_lt_u32_e32 vcc, v0, v10
	s_and_saveexec_b64 s[0:1], vcc
	s_cbranch_execz .LBB121_444
; %bb.443:
	v_add_co_u32_e32 v34, vcc, 0x2000, v32
	s_nop 1
	v_addc_co_u32_e32 v35, vcc, 0, v33, vcc
	s_waitcnt lgkmcnt(0)
	flat_store_dword v[34:35], v25 offset:3072
.LBB121_444:
	;; [unrolled: 48-line block ×5, first 2 shown]
	s_or_b64 exec, exec, s[0:1]
	v_cmp_lt_u64_e32 vcc, 1, v[8:9]
	s_and_saveexec_b64 s[4:5], vcc
	s_cbranch_execz .LBB121_557
; %bb.469:
	s_add_u32 s0, 0, 0xaaaa0000
	s_addc_u32 s1, 0, 42
	s_add_i32 s1, s1, 0xaaaaa80
	s_mul_hi_u32 s9, s0, 0xffffffe8
	s_sub_i32 s9, s9, s0
	s_mul_i32 s10, s1, 0xffffffe8
	s_mul_i32 s6, s0, 0xffffffe8
	s_add_i32 s9, s9, s10
	s_mul_hi_u32 s7, s1, s6
	s_mul_i32 s8, s1, s6
	s_mul_i32 s11, s0, s9
	s_mul_hi_u32 s6, s0, s6
	s_mul_hi_u32 s10, s0, s9
	s_add_u32 s6, s6, s11
	s_addc_u32 s10, 0, s10
	s_add_u32 s6, s6, s8
	s_mul_hi_u32 s11, s1, s9
	s_addc_u32 s6, s10, s7
	s_addc_u32 s7, s11, 0
	s_mul_i32 s8, s1, s9
	s_add_u32 s6, s6, s8
	v_mov_b32_e32 v8, s6
	s_addc_u32 s7, 0, s7
	v_add_co_u32_e32 v34, vcc, s0, v8
	s_cmp_lg_u64 vcc, 0
	v_mov_b32_e32 v101, v1
	v_lshl_add_u64 v[0:1], v[10:11], 0, -1
	s_addc_u32 s6, s1, s7
	v_mad_u64_u32 v[8:9], s[0:1], v0, s6, 0
	v_mul_hi_u32 v10, v0, v34
	v_mov_b32_e32 v11, 0
	v_lshl_add_u64 v[8:9], v[10:11], 0, v[8:9]
	v_mad_u64_u32 v[34:35], s[0:1], v1, v34, 0
	v_add_co_u32_e32 v8, vcc, v8, v34
	v_mad_u64_u32 v[32:33], s[0:1], v1, s6, 0
	s_nop 0
	v_addc_co_u32_e32 v10, vcc, v9, v35, vcc
	s_nop 1
	v_addc_co_u32_e32 v33, vcc, 0, v33, vcc
	v_lshl_add_u64 v[8:9], v[10:11], 0, v[32:33]
	v_mad_u64_u32 v[10:11], s[0:1], v8, 24, 0
	v_mov_b32_e32 v32, v11
	v_mad_u64_u32 v[32:33], s[0:1], v9, 24, v[32:33]
	v_sub_co_u32_e32 v34, vcc, v0, v10
	v_cmp_lt_u32_e64 s[0:1], 23, v34
	s_nop 0
	v_subb_co_u32_e32 v35, vcc, v1, v32, vcc
	v_subrev_co_u32_e32 v10, vcc, 24, v34
	v_lshl_add_u64 v[32:33], v[8:9], 0, 1
	s_nop 0
	v_subbrev_co_u32_e32 v11, vcc, 0, v35, vcc
	v_cmp_lt_u32_e32 vcc, 23, v10
	s_nop 1
	v_cndmask_b32_e64 v10, 0, -1, vcc
	v_cmp_eq_u32_e32 vcc, 0, v11
	s_nop 1
	v_cndmask_b32_e32 v36, -1, v10, vcc
	v_lshl_add_u64 v[10:11], v[8:9], 0, 2
	v_cmp_ne_u32_e32 vcc, 0, v36
	s_nop 1
	v_cndmask_b32_e32 v11, v33, v11, vcc
	v_cndmask_b32_e64 v33, 0, -1, s[0:1]
	v_cmp_eq_u32_e64 s[0:1], 0, v35
	v_cndmask_b32_e32 v10, v32, v10, vcc
	s_nop 0
	v_cndmask_b32_e64 v33, -1, v33, s[0:1]
	v_cmp_ne_u32_e64 s[0:1], 0, v33
	s_nop 1
	v_cndmask_b32_e64 v9, v9, v11, s[0:1]
	v_cndmask_b32_e64 v8, v8, v10, s[0:1]
	v_cmp_eq_u64_e32 vcc, v[8:9], v[100:101]
	s_and_b64 exec, exec, vcc
	s_cbranch_execz .LBB121_557
; %bb.470:
	v_mul_hi_u32_u24_e32 v8, 24, v100
	v_sub_co_u32_e32 v0, vcc, v0, v98
	s_mov_b64 s[0:1], 0
	s_nop 0
	v_subb_co_u32_e32 v1, vcc, v1, v8, vcc
	v_cmp_lt_i64_e32 vcc, 11, v[0:1]
	s_mov_b64 s[12:13], 0
	s_mov_b64 s[10:11], 0
	;; [unrolled: 1-line block ×3, first 2 shown]
	s_and_saveexec_b64 s[6:7], vcc
	s_xor_b64 s[6:7], exec, s[6:7]
	s_cbranch_execnz .LBB121_476
; %bb.471:
	s_andn2_saveexec_b64 s[6:7], s[6:7]
	s_cbranch_execnz .LBB121_521
.LBB121_472:
	s_or_b64 exec, exec, s[6:7]
	s_and_saveexec_b64 s[6:7], s[12:13]
	s_cbranch_execnz .LBB121_536
.LBB121_473:
	s_or_b64 exec, exec, s[6:7]
	s_and_saveexec_b64 s[6:7], s[10:11]
	s_cbranch_execnz .LBB121_537
.LBB121_474:
	s_or_b64 exec, exec, s[6:7]
	s_and_saveexec_b64 s[6:7], s[8:9]
	s_xor_b64 s[6:7], exec, s[6:7]
	s_cbranch_execnz .LBB121_538
.LBB121_475:
	s_or_b64 exec, exec, s[6:7]
	s_and_b64 exec, exec, s[0:1]
	s_cbranch_execnz .LBB121_539
	s_branch .LBB121_557
.LBB121_476:
	v_cmp_lt_i64_e32 vcc, 17, v[0:1]
	s_and_saveexec_b64 s[14:15], vcc
	s_xor_b64 s[14:15], exec, s[14:15]
	s_cbranch_execz .LBB121_498
; %bb.477:
	v_cmp_lt_i64_e32 vcc, 20, v[0:1]
                                        ; implicit-def: $vgpr15
	s_and_saveexec_b64 s[16:17], vcc
	s_xor_b64 s[16:17], exec, s[16:17]
	s_cbranch_execz .LBB121_487
; %bb.478:
	v_cmp_lt_i64_e32 vcc, 21, v[0:1]
	s_mov_b64 s[18:19], 0
                                        ; implicit-def: $vgpr15
	s_and_saveexec_b64 s[8:9], vcc
	s_xor_b64 s[8:9], exec, s[8:9]
	s_cbranch_execz .LBB121_484
; %bb.479:
	v_cmp_lt_i64_e32 vcc, 22, v[0:1]
	s_and_saveexec_b64 s[18:19], vcc
	s_xor_b64 s[18:19], exec, s[18:19]
	s_cbranch_execz .LBB121_481
; %bb.480:
	s_waitcnt lgkmcnt(0)
	flat_store_dword v[4:5], v31
                                        ; implicit-def: $vgpr30
.LBB121_481:
	s_or_saveexec_b64 s[18:19], s[18:19]
	s_mov_b64 s[20:21], 0
	s_xor_b64 exec, exec, s[18:19]
; %bb.482:
	s_mov_b64 s[20:21], exec
; %bb.483:
	s_or_b64 exec, exec, s[18:19]
	s_and_b64 s[18:19], s[20:21], exec
	s_waitcnt lgkmcnt(0)
	v_mov_b32_e32 v15, v30
                                        ; implicit-def: $vgpr17
.LBB121_484:
	s_andn2_saveexec_b64 s[8:9], s[8:9]
; %bb.485:
	s_mov_b64 s[10:11], exec
                                        ; implicit-def: $vgpr15
; %bb.486:
	s_or_b64 exec, exec, s[8:9]
	s_and_b64 s[8:9], s[18:19], exec
	s_and_b64 s[10:11], s[10:11], exec
                                        ; implicit-def: $vgpr26_vgpr27
.LBB121_487:
	s_andn2_saveexec_b64 s[16:17], s[16:17]
	s_cbranch_execz .LBB121_497
; %bb.488:
	v_cmp_lt_i64_e32 vcc, 18, v[0:1]
	s_mov_b64 s[18:19], 0
	s_and_saveexec_b64 s[12:13], vcc
	s_xor_b64 s[12:13], exec, s[12:13]
	s_cbranch_execz .LBB121_494
; %bb.489:
	v_cmp_lt_i64_e32 vcc, 19, v[0:1]
	s_and_saveexec_b64 s[20:21], vcc
	s_xor_b64 s[20:21], exec, s[20:21]
; %bb.490:
	s_mov_b64 s[18:19], exec
                                        ; implicit-def: $vgpr26_vgpr27
; %bb.491:
	s_andn2_saveexec_b64 s[20:21], s[20:21]
	s_cbranch_execz .LBB121_493
; %bb.492:
	s_waitcnt lgkmcnt(0)
	flat_store_dword v[4:5], v27
                                        ; implicit-def: $vgpr16
.LBB121_493:
	s_or_b64 exec, exec, s[20:21]
	s_and_b64 s[18:19], s[18:19], exec
                                        ; implicit-def: $vgpr26_vgpr27
.LBB121_494:
	s_andn2_saveexec_b64 s[12:13], s[12:13]
	s_cbranch_execz .LBB121_496
; %bb.495:
	s_waitcnt lgkmcnt(0)
	flat_store_dword v[4:5], v26
                                        ; implicit-def: $vgpr16
.LBB121_496:
	s_or_b64 exec, exec, s[12:13]
	s_and_b64 s[12:13], s[18:19], exec
                                        ; implicit-def: $vgpr15
.LBB121_497:
	s_or_b64 exec, exec, s[16:17]
	s_and_b64 s[8:9], s[8:9], exec
	s_and_b64 s[10:11], s[10:11], exec
	;; [unrolled: 1-line block ×3, first 2 shown]
                                        ; implicit-def: $vgpr18
                                        ; implicit-def: $vgpr28_vgpr29
.LBB121_498:
	s_andn2_saveexec_b64 s[14:15], s[14:15]
	s_cbranch_execz .LBB121_520
; %bb.499:
	v_cmp_lt_i64_e32 vcc, 14, v[0:1]
	s_mov_b64 s[16:17], s[8:9]
	s_and_saveexec_b64 s[18:19], vcc
	s_xor_b64 s[18:19], exec, s[18:19]
	s_cbranch_execz .LBB121_509
; %bb.500:
	v_cmp_lt_i64_e32 vcc, 15, v[0:1]
	s_and_saveexec_b64 s[16:17], vcc
	s_xor_b64 s[16:17], exec, s[16:17]
	s_cbranch_execz .LBB121_506
; %bb.501:
	v_cmp_lt_i64_e32 vcc, 16, v[0:1]
	s_and_saveexec_b64 s[20:21], vcc
	s_xor_b64 s[20:21], exec, s[20:21]
	s_cbranch_execz .LBB121_503
; %bb.502:
	s_waitcnt lgkmcnt(0)
	flat_store_dword v[4:5], v29
                                        ; implicit-def: $vgpr28_vgpr29
.LBB121_503:
	s_andn2_saveexec_b64 s[20:21], s[20:21]
	s_cbranch_execz .LBB121_505
; %bb.504:
	s_waitcnt lgkmcnt(0)
	flat_store_dword v[4:5], v28
.LBB121_505:
	s_or_b64 exec, exec, s[20:21]
                                        ; implicit-def: $vgpr15
.LBB121_506:
	s_or_saveexec_b64 s[16:17], s[16:17]
	s_mov_b64 s[20:21], s[8:9]
	s_xor_b64 exec, exec, s[16:17]
; %bb.507:
	s_or_b64 s[20:21], s[8:9], exec
; %bb.508:
	s_or_b64 exec, exec, s[16:17]
	s_andn2_b64 s[16:17], s[8:9], exec
	s_and_b64 s[20:21], s[20:21], exec
	s_or_b64 s[16:17], s[16:17], s[20:21]
                                        ; implicit-def: $vgpr18
.LBB121_509:
	s_or_saveexec_b64 s[18:19], s[18:19]
	s_mov_b64 s[20:21], s[10:11]
                                        ; implicit-def: $vgpr17
	s_xor_b64 exec, exec, s[18:19]
	s_cbranch_execz .LBB121_519
; %bb.510:
	v_cmp_lt_i64_e32 vcc, 12, v[0:1]
	s_mov_b64 s[22:23], s[10:11]
	s_mov_b64 s[24:25], s[16:17]
                                        ; implicit-def: $vgpr17
	s_and_saveexec_b64 s[20:21], vcc
	s_xor_b64 s[20:21], exec, s[20:21]
	s_cbranch_execz .LBB121_516
; %bb.511:
	v_cmp_lt_i64_e32 vcc, 13, v[0:1]
	s_mov_b64 s[22:23], s[16:17]
	s_and_saveexec_b64 s[24:25], vcc
	s_xor_b64 s[24:25], exec, s[24:25]
; %bb.512:
	s_or_b64 s[22:23], s[16:17], exec
                                        ; implicit-def: $vgpr19
; %bb.513:
	s_or_saveexec_b64 s[24:25], s[24:25]
	s_mov_b64 s[26:27], s[10:11]
	s_xor_b64 exec, exec, s[24:25]
; %bb.514:
	s_or_b64 s[26:27], s[10:11], exec
                                        ; implicit-def: $vgpr14
; %bb.515:
	s_or_b64 exec, exec, s[24:25]
	s_andn2_b64 s[24:25], s[16:17], exec
	s_and_b64 s[22:23], s[22:23], exec
	s_or_b64 s[24:25], s[24:25], s[22:23]
	s_andn2_b64 s[22:23], s[10:11], exec
	s_and_b64 s[26:27], s[26:27], exec
	s_or_b64 s[22:23], s[22:23], s[26:27]
	s_waitcnt lgkmcnt(0)
	v_mov_b32_e32 v15, v14
	v_mov_b32_e32 v17, v19
                                        ; implicit-def: $vgpr18
.LBB121_516:
	s_andn2_saveexec_b64 s[20:21], s[20:21]
	s_cbranch_execz .LBB121_518
; %bb.517:
	s_or_b64 s[22:23], s[22:23], exec
                                        ; implicit-def: $vgpr15
	s_waitcnt lgkmcnt(0)
	v_mov_b32_e32 v17, v18
.LBB121_518:
	s_or_b64 exec, exec, s[20:21]
	s_andn2_b64 s[16:17], s[16:17], exec
	s_and_b64 s[20:21], s[24:25], exec
	s_or_b64 s[16:17], s[16:17], s[20:21]
	s_andn2_b64 s[20:21], s[10:11], exec
	s_and_b64 s[22:23], s[22:23], exec
	s_or_b64 s[20:21], s[20:21], s[22:23]
.LBB121_519:
	s_or_b64 exec, exec, s[18:19]
	s_andn2_b64 s[8:9], s[8:9], exec
	s_and_b64 s[16:17], s[16:17], exec
	s_or_b64 s[8:9], s[8:9], s[16:17]
	s_andn2_b64 s[10:11], s[10:11], exec
	s_and_b64 s[16:17], s[20:21], exec
	s_or_b64 s[10:11], s[10:11], s[16:17]
.LBB121_520:
	s_or_b64 exec, exec, s[14:15]
	s_and_b64 s[8:9], s[8:9], exec
	s_and_b64 s[10:11], s[10:11], exec
	;; [unrolled: 1-line block ×3, first 2 shown]
                                        ; implicit-def: $vgpr22
                                        ; implicit-def: $vgpr20
                                        ; implicit-def: $vgpr24
	s_andn2_saveexec_b64 s[6:7], s[6:7]
	s_cbranch_execz .LBB121_472
.LBB121_521:
	v_cmp_lt_i64_e32 vcc, 5, v[0:1]
	s_mov_b64 s[16:17], -1
	s_mov_b64 s[14:15], s[12:13]
	s_mov_b64 s[18:19], s[10:11]
	;; [unrolled: 1-line block ×3, first 2 shown]
                                        ; implicit-def: $vgpr15
                                        ; implicit-def: $vgpr17
	s_and_saveexec_b64 s[0:1], vcc
	s_cbranch_execz .LBB121_535
; %bb.522:
	v_cmp_lt_i64_e32 vcc, 8, v[0:1]
	s_mov_b64 s[14:15], s[12:13]
                                        ; implicit-def: $vgpr16
	s_and_saveexec_b64 s[16:17], vcc
	s_xor_b64 s[16:17], exec, s[16:17]
	s_cbranch_execz .LBB121_530
; %bb.523:
	v_cmp_lt_i64_e32 vcc, 9, v[0:1]
	s_and_saveexec_b64 s[14:15], vcc
	s_xor_b64 s[14:15], exec, s[14:15]
	s_cbranch_execz .LBB121_527
; %bb.524:
	v_cmp_lt_i64_e32 vcc, 10, v[0:1]
	s_and_saveexec_b64 s[18:19], vcc
	s_xor_b64 s[18:19], exec, s[18:19]
	s_andn2_saveexec_b64 s[18:19], s[18:19]
	s_cbranch_execz .LBB121_526
; %bb.525:
	s_waitcnt lgkmcnt(0)
	v_mov_b32_e32 v25, v24
.LBB121_526:
	s_or_b64 exec, exec, s[18:19]
                                        ; implicit-def: $vgpr21
.LBB121_527:
	s_andn2_saveexec_b64 s[14:15], s[14:15]
	s_cbranch_execz .LBB121_529
; %bb.528:
	s_waitcnt lgkmcnt(0)
	v_mov_b32_e32 v25, v21
.LBB121_529:
	s_or_b64 exec, exec, s[14:15]
	s_or_b64 s[14:15], s[12:13], exec
	s_waitcnt lgkmcnt(0)
	v_mov_b32_e32 v16, v25
                                        ; implicit-def: $vgpr22
                                        ; implicit-def: $vgpr20
.LBB121_530:
	s_or_saveexec_b64 s[16:17], s[16:17]
	s_mov_b64 s[18:19], s[10:11]
	s_mov_b64 s[22:23], s[8:9]
                                        ; implicit-def: $vgpr15
	s_xor_b64 exec, exec, s[16:17]
	s_cbranch_execz .LBB121_534
; %bb.531:
	v_cmp_lt_i64_e32 vcc, 6, v[0:1]
	s_mov_b64 s[22:23], -1
	s_mov_b64 s[20:21], s[14:15]
	s_mov_b64 s[18:19], s[10:11]
	s_and_saveexec_b64 s[24:25], vcc
; %bb.532:
	v_cmp_lt_i64_e32 vcc, 7, v[0:1]
	s_andn2_b64 s[20:21], s[14:15], exec
	s_and_b64 s[26:27], vcc, exec
	s_xor_b64 s[22:23], exec, -1
	s_or_b64 s[18:19], s[10:11], exec
	s_or_b64 s[20:21], s[20:21], s[26:27]
; %bb.533:
	s_or_b64 exec, exec, s[24:25]
	s_andn2_b64 s[24:25], s[8:9], exec
	s_and_b64 s[22:23], s[22:23], exec
	s_or_b64 s[22:23], s[24:25], s[22:23]
	s_andn2_b64 s[24:25], s[10:11], exec
	s_and_b64 s[18:19], s[18:19], exec
	s_andn2_b64 s[14:15], s[14:15], exec
	s_and_b64 s[20:21], s[20:21], exec
	s_or_b64 s[18:19], s[24:25], s[18:19]
	s_or_b64 s[14:15], s[14:15], s[20:21]
	s_waitcnt lgkmcnt(0)
	v_mov_b32_e32 v15, v22
	v_mov_b32_e32 v17, v23
	;; [unrolled: 1-line block ×3, first 2 shown]
.LBB121_534:
	s_or_b64 exec, exec, s[16:17]
	s_andn2_b64 s[20:21], s[8:9], exec
	s_and_b64 s[22:23], s[22:23], exec
	s_or_b64 s[20:21], s[20:21], s[22:23]
	s_andn2_b64 s[22:23], s[10:11], exec
	s_and_b64 s[18:19], s[18:19], exec
	s_or_b64 s[18:19], s[22:23], s[18:19]
	s_andn2_b64 s[22:23], s[12:13], exec
	s_and_b64 s[14:15], s[14:15], exec
	s_xor_b64 s[16:17], exec, -1
	s_or_b64 s[14:15], s[22:23], s[14:15]
.LBB121_535:
	s_or_b64 exec, exec, s[0:1]
	s_and_b64 s[0:1], s[16:17], exec
	s_andn2_b64 s[8:9], s[8:9], exec
	s_and_b64 s[16:17], s[20:21], exec
	s_or_b64 s[8:9], s[8:9], s[16:17]
	s_andn2_b64 s[10:11], s[10:11], exec
	s_and_b64 s[16:17], s[18:19], exec
	s_andn2_b64 s[12:13], s[12:13], exec
	s_and_b64 s[14:15], s[14:15], exec
	s_or_b64 s[10:11], s[10:11], s[16:17]
	s_or_b64 s[12:13], s[12:13], s[14:15]
	s_or_b64 exec, exec, s[6:7]
	s_and_saveexec_b64 s[6:7], s[12:13]
	s_cbranch_execz .LBB121_473
.LBB121_536:
	s_andn2_b64 s[10:11], s[10:11], exec
	s_waitcnt lgkmcnt(0)
	flat_store_dword v[4:5], v16
                                        ; implicit-def: $vgpr15
                                        ; implicit-def: $vgpr17
	s_or_b64 exec, exec, s[6:7]
	s_and_saveexec_b64 s[6:7], s[10:11]
	s_cbranch_execz .LBB121_474
.LBB121_537:
	s_waitcnt lgkmcnt(0)
	flat_store_dword v[4:5], v17
                                        ; implicit-def: $vgpr15
	s_or_b64 exec, exec, s[6:7]
	s_and_saveexec_b64 s[6:7], s[8:9]
	s_xor_b64 s[6:7], exec, s[6:7]
	s_cbranch_execz .LBB121_475
.LBB121_538:
	s_waitcnt lgkmcnt(0)
	flat_store_dword v[4:5], v15
	s_or_b64 exec, exec, s[6:7]
	s_and_b64 exec, exec, s[0:1]
	s_cbranch_execz .LBB121_557
.LBB121_539:
	v_cmp_lt_i64_e32 vcc, 2, v[0:1]
	s_and_saveexec_b64 s[0:1], vcc
	s_xor_b64 s[0:1], exec, s[0:1]
	s_cbranch_execz .LBB121_549
; %bb.540:
	v_cmp_lt_i64_e32 vcc, 3, v[0:1]
	s_and_saveexec_b64 s[6:7], vcc
	s_xor_b64 s[6:7], exec, s[6:7]
	s_cbranch_execz .LBB121_546
; %bb.541:
	;; [unrolled: 5-line block ×3, first 2 shown]
	s_waitcnt lgkmcnt(0)
	flat_store_dword v[4:5], v13
                                        ; implicit-def: $vgpr4_vgpr5
                                        ; implicit-def: $vgpr12_vgpr13
.LBB121_543:
	s_andn2_saveexec_b64 s[8:9], s[8:9]
	s_cbranch_execz .LBB121_545
; %bb.544:
	s_waitcnt lgkmcnt(0)
	flat_store_dword v[4:5], v12
.LBB121_545:
	s_or_b64 exec, exec, s[8:9]
                                        ; implicit-def: $vgpr4_vgpr5
                                        ; implicit-def: $vgpr6_vgpr7
.LBB121_546:
	s_andn2_saveexec_b64 s[6:7], s[6:7]
	s_cbranch_execz .LBB121_548
; %bb.547:
	s_waitcnt lgkmcnt(0)
	flat_store_dword v[4:5], v7
.LBB121_548:
	s_or_b64 exec, exec, s[6:7]
                                        ; implicit-def: $vgpr0_vgpr1
                                        ; implicit-def: $vgpr4_vgpr5
                                        ; implicit-def: $vgpr6_vgpr7
                                        ; implicit-def: $vgpr2_vgpr3
.LBB121_549:
	s_andn2_saveexec_b64 s[0:1], s[0:1]
	s_cbranch_execz .LBB121_557
; %bb.550:
	v_cmp_lt_i64_e32 vcc, 1, v[0:1]
	s_and_saveexec_b64 s[0:1], vcc
	s_xor_b64 s[0:1], exec, s[0:1]
	s_cbranch_execz .LBB121_552
; %bb.551:
	s_waitcnt lgkmcnt(0)
	flat_store_dword v[4:5], v6
                                        ; implicit-def: $vgpr4_vgpr5
                                        ; implicit-def: $vgpr2_vgpr3
                                        ; implicit-def: $vgpr0_vgpr1
.LBB121_552:
	s_andn2_saveexec_b64 s[0:1], s[0:1]
	s_cbranch_execz .LBB121_557
; %bb.553:
	v_cmp_ne_u64_e32 vcc, 1, v[0:1]
	s_and_saveexec_b64 s[0:1], vcc
	s_xor_b64 s[0:1], exec, s[0:1]
	s_cbranch_execz .LBB121_555
; %bb.554:
	s_waitcnt lgkmcnt(0)
	flat_store_dword v[4:5], v2
                                        ; implicit-def: $vgpr4_vgpr5
                                        ; implicit-def: $vgpr2_vgpr3
.LBB121_555:
	s_andn2_saveexec_b64 s[0:1], s[0:1]
	s_cbranch_execz .LBB121_557
; %bb.556:
	s_waitcnt lgkmcnt(0)
	flat_store_dword v[4:5], v3
.LBB121_557:
	s_or_b64 exec, exec, s[4:5]
.LBB121_558:
	s_or_b64 exec, exec, s[2:3]
	v_readlane_b32 s30, v40, 0
	v_readlane_b32 s31, v40, 1
	s_or_saveexec_b64 s[0:1], -1
	scratch_load_dword v40, off, s32        ; 4-byte Folded Reload
	s_mov_b64 exec, s[0:1]
	s_waitcnt vmcnt(0) lgkmcnt(0)
	s_setpc_b64 s[30:31]
.Lfunc_end121:
	.size	_ZZZN7rocprim17ROCPRIM_400000_NS6detail9scan_implILNS1_25lookback_scan_determinismE0ELb0ELb0ENS0_14default_configEPKfPffZZZN2at6native31launch_logcumsumexp_cuda_kernelERKNS8_10TensorBaseESC_lENKUlvE_clEvENKUlvE0_clEvEUlffE_fEEDaPvRmT3_T4_T5_mT6_P12ihipStream_tbENKUlT_T0_E_clISt17integral_constantIbLb1EEST_EEDaSO_SP_ENKUlSO_E_clINS1_13target_configIS4_NS1_20scan_config_selectorIfEENS1_11comp_targetILNS1_3genE5ELNS1_11target_archE942ELNS1_3gpuE9ELNS1_3repE0EEELNS0_4arch9wavefront6targetE1EEEEEDaSO_, .Lfunc_end121-_ZZZN7rocprim17ROCPRIM_400000_NS6detail9scan_implILNS1_25lookback_scan_determinismE0ELb0ELb0ENS0_14default_configEPKfPffZZZN2at6native31launch_logcumsumexp_cuda_kernelERKNS8_10TensorBaseESC_lENKUlvE_clEvENKUlvE0_clEvEUlffE_fEEDaPvRmT3_T4_T5_mT6_P12ihipStream_tbENKUlT_T0_E_clISt17integral_constantIbLb1EEST_EEDaSO_SP_ENKUlSO_E_clINS1_13target_configIS4_NS1_20scan_config_selectorIfEENS1_11comp_targetILNS1_3genE5ELNS1_11target_archE942ELNS1_3gpuE9ELNS1_3repE0EEELNS0_4arch9wavefront6targetE1EEEEEDaSO_
                                        ; -- End function
	.section	.AMDGPU.csdata,"",@progbits
; Function info:
; codeLenInByte = 121380
; NumSgprs: 80
; NumVgprs: 196
; NumAgprs: 0
; TotalNumVgprs: 196
; ScratchSize: 8
; MemoryBound: 0
	.section	.text._ZN7rocprim17ROCPRIM_400000_NS6detail17trampoline_kernelINS0_14default_configENS1_20scan_config_selectorIfEEZZNS1_9scan_implILNS1_25lookback_scan_determinismE0ELb0ELb0ES3_PKfPffZZZN2at6native31launch_logcumsumexp_cuda_kernelERKNSB_10TensorBaseESF_lENKUlvE_clEvENKUlvE0_clEvEUlffE_fEEDaPvRmT3_T4_T5_mT6_P12ihipStream_tbENKUlT_T0_E_clISt17integral_constantIbLb1EESW_EEDaSR_SS_EUlSR_E_NS1_11comp_targetILNS1_3genE5ELNS1_11target_archE942ELNS1_3gpuE9ELNS1_3repE0EEENS1_30default_config_static_selectorELNS0_4arch9wavefront6targetE1EEEvT1_,"axG",@progbits,_ZN7rocprim17ROCPRIM_400000_NS6detail17trampoline_kernelINS0_14default_configENS1_20scan_config_selectorIfEEZZNS1_9scan_implILNS1_25lookback_scan_determinismE0ELb0ELb0ES3_PKfPffZZZN2at6native31launch_logcumsumexp_cuda_kernelERKNSB_10TensorBaseESF_lENKUlvE_clEvENKUlvE0_clEvEUlffE_fEEDaPvRmT3_T4_T5_mT6_P12ihipStream_tbENKUlT_T0_E_clISt17integral_constantIbLb1EESW_EEDaSR_SS_EUlSR_E_NS1_11comp_targetILNS1_3genE5ELNS1_11target_archE942ELNS1_3gpuE9ELNS1_3repE0EEENS1_30default_config_static_selectorELNS0_4arch9wavefront6targetE1EEEvT1_,comdat
	.globl	_ZN7rocprim17ROCPRIM_400000_NS6detail17trampoline_kernelINS0_14default_configENS1_20scan_config_selectorIfEEZZNS1_9scan_implILNS1_25lookback_scan_determinismE0ELb0ELb0ES3_PKfPffZZZN2at6native31launch_logcumsumexp_cuda_kernelERKNSB_10TensorBaseESF_lENKUlvE_clEvENKUlvE0_clEvEUlffE_fEEDaPvRmT3_T4_T5_mT6_P12ihipStream_tbENKUlT_T0_E_clISt17integral_constantIbLb1EESW_EEDaSR_SS_EUlSR_E_NS1_11comp_targetILNS1_3genE5ELNS1_11target_archE942ELNS1_3gpuE9ELNS1_3repE0EEENS1_30default_config_static_selectorELNS0_4arch9wavefront6targetE1EEEvT1_ ; -- Begin function _ZN7rocprim17ROCPRIM_400000_NS6detail17trampoline_kernelINS0_14default_configENS1_20scan_config_selectorIfEEZZNS1_9scan_implILNS1_25lookback_scan_determinismE0ELb0ELb0ES3_PKfPffZZZN2at6native31launch_logcumsumexp_cuda_kernelERKNSB_10TensorBaseESF_lENKUlvE_clEvENKUlvE0_clEvEUlffE_fEEDaPvRmT3_T4_T5_mT6_P12ihipStream_tbENKUlT_T0_E_clISt17integral_constantIbLb1EESW_EEDaSR_SS_EUlSR_E_NS1_11comp_targetILNS1_3genE5ELNS1_11target_archE942ELNS1_3gpuE9ELNS1_3repE0EEENS1_30default_config_static_selectorELNS0_4arch9wavefront6targetE1EEEvT1_
	.p2align	8
	.type	_ZN7rocprim17ROCPRIM_400000_NS6detail17trampoline_kernelINS0_14default_configENS1_20scan_config_selectorIfEEZZNS1_9scan_implILNS1_25lookback_scan_determinismE0ELb0ELb0ES3_PKfPffZZZN2at6native31launch_logcumsumexp_cuda_kernelERKNSB_10TensorBaseESF_lENKUlvE_clEvENKUlvE0_clEvEUlffE_fEEDaPvRmT3_T4_T5_mT6_P12ihipStream_tbENKUlT_T0_E_clISt17integral_constantIbLb1EESW_EEDaSR_SS_EUlSR_E_NS1_11comp_targetILNS1_3genE5ELNS1_11target_archE942ELNS1_3gpuE9ELNS1_3repE0EEENS1_30default_config_static_selectorELNS0_4arch9wavefront6targetE1EEEvT1_,@function
_ZN7rocprim17ROCPRIM_400000_NS6detail17trampoline_kernelINS0_14default_configENS1_20scan_config_selectorIfEEZZNS1_9scan_implILNS1_25lookback_scan_determinismE0ELb0ELb0ES3_PKfPffZZZN2at6native31launch_logcumsumexp_cuda_kernelERKNSB_10TensorBaseESF_lENKUlvE_clEvENKUlvE0_clEvEUlffE_fEEDaPvRmT3_T4_T5_mT6_P12ihipStream_tbENKUlT_T0_E_clISt17integral_constantIbLb1EESW_EEDaSR_SS_EUlSR_E_NS1_11comp_targetILNS1_3genE5ELNS1_11target_archE942ELNS1_3gpuE9ELNS1_3repE0EEENS1_30default_config_static_selectorELNS0_4arch9wavefront6targetE1EEEvT1_: ; @_ZN7rocprim17ROCPRIM_400000_NS6detail17trampoline_kernelINS0_14default_configENS1_20scan_config_selectorIfEEZZNS1_9scan_implILNS1_25lookback_scan_determinismE0ELb0ELb0ES3_PKfPffZZZN2at6native31launch_logcumsumexp_cuda_kernelERKNSB_10TensorBaseESF_lENKUlvE_clEvENKUlvE0_clEvEUlffE_fEEDaPvRmT3_T4_T5_mT6_P12ihipStream_tbENKUlT_T0_E_clISt17integral_constantIbLb1EESW_EEDaSR_SS_EUlSR_E_NS1_11comp_targetILNS1_3genE5ELNS1_11target_archE942ELNS1_3gpuE9ELNS1_3repE0EEENS1_30default_config_static_selectorELNS0_4arch9wavefront6targetE1EEEvT1_
; %bb.0:
	s_load_dwordx8 s[4:11], s[0:1], 0x0
	s_load_dwordx8 s[12:19], s[0:1], 0x20
	s_mov_b64 s[2:3], src_private_base
	v_mov_b32_e32 v31, v0
	v_mov_b32_e32 v0, 0
	s_waitcnt lgkmcnt(0)
	v_mov_b64_e32 v[2:3], s[4:5]
	v_mov_b64_e32 v[6:7], s[8:9]
	;; [unrolled: 1-line block ×4, first 2 shown]
	s_load_dwordx8 s[4:11], s[0:1], 0x40
	scratch_store_dwordx4 off, v[2:5], off
	scratch_store_dwordx4 off, v[6:9], off offset:16
	v_mov_b32_e32 v1, s3
	v_mov_b64_e32 v[2:3], s[12:13]
	v_mov_b64_e32 v[4:5], s[14:15]
	scratch_store_dwordx4 off, v[2:5], off offset:32
	s_movk_i32 s32, 0x70
	s_nop 0
	v_mov_b64_e32 v[2:3], s[16:17]
	v_mov_b64_e32 v[4:5], s[18:19]
	scratch_store_dwordx4 off, v[2:5], off offset:48
	s_waitcnt lgkmcnt(0)
	s_nop 0
	v_mov_b64_e32 v[2:3], s[4:5]
	v_mov_b64_e32 v[4:5], s[6:7]
	scratch_store_dwordx4 off, v[2:5], off offset:64
	s_nop 1
	v_mov_b64_e32 v[2:3], s[8:9]
	v_mov_b64_e32 v[4:5], s[10:11]
	s_add_u32 s8, s0, 0x60
	s_addc_u32 s9, s1, 0
	scratch_store_dwordx4 off, v[2:5], off offset:80
	s_getpc_b64 s[0:1]
	s_add_u32 s0, s0, _ZZZN7rocprim17ROCPRIM_400000_NS6detail9scan_implILNS1_25lookback_scan_determinismE0ELb0ELb0ENS0_14default_configEPKfPffZZZN2at6native31launch_logcumsumexp_cuda_kernelERKNS8_10TensorBaseESC_lENKUlvE_clEvENKUlvE0_clEvEUlffE_fEEDaPvRmT3_T4_T5_mT6_P12ihipStream_tbENKUlT_T0_E_clISt17integral_constantIbLb1EEST_EEDaSO_SP_ENKUlSO_E_clINS1_13target_configIS4_NS1_20scan_config_selectorIfEENS1_11comp_targetILNS1_3genE5ELNS1_11target_archE942ELNS1_3gpuE9ELNS1_3repE0EEELNS0_4arch9wavefront6targetE1EEEEEDaSO_@rel32@lo+4
	s_addc_u32 s1, s1, _ZZZN7rocprim17ROCPRIM_400000_NS6detail9scan_implILNS1_25lookback_scan_determinismE0ELb0ELb0ENS0_14default_configEPKfPffZZZN2at6native31launch_logcumsumexp_cuda_kernelERKNS8_10TensorBaseESC_lENKUlvE_clEvENKUlvE0_clEvEUlffE_fEEDaPvRmT3_T4_T5_mT6_P12ihipStream_tbENKUlT_T0_E_clISt17integral_constantIbLb1EEST_EEDaSO_SP_ENKUlSO_E_clINS1_13target_configIS4_NS1_20scan_config_selectorIfEENS1_11comp_targetILNS1_3genE5ELNS1_11target_archE942ELNS1_3gpuE9ELNS1_3repE0EEELNS0_4arch9wavefront6targetE1EEEEEDaSO_@rel32@hi+12
	s_swappc_b64 s[30:31], s[0:1]
	s_endpgm
	.section	.rodata,"a",@progbits
	.p2align	6, 0x0
	.amdhsa_kernel _ZN7rocprim17ROCPRIM_400000_NS6detail17trampoline_kernelINS0_14default_configENS1_20scan_config_selectorIfEEZZNS1_9scan_implILNS1_25lookback_scan_determinismE0ELb0ELb0ES3_PKfPffZZZN2at6native31launch_logcumsumexp_cuda_kernelERKNSB_10TensorBaseESF_lENKUlvE_clEvENKUlvE0_clEvEUlffE_fEEDaPvRmT3_T4_T5_mT6_P12ihipStream_tbENKUlT_T0_E_clISt17integral_constantIbLb1EESW_EEDaSR_SS_EUlSR_E_NS1_11comp_targetILNS1_3genE5ELNS1_11target_archE942ELNS1_3gpuE9ELNS1_3repE0EEENS1_30default_config_static_selectorELNS0_4arch9wavefront6targetE1EEEvT1_
		.amdhsa_group_segment_fixed_size 24576
		.amdhsa_private_segment_fixed_size 120
		.amdhsa_kernarg_size 352
		.amdhsa_user_sgpr_count 2
		.amdhsa_user_sgpr_dispatch_ptr 0
		.amdhsa_user_sgpr_queue_ptr 0
		.amdhsa_user_sgpr_kernarg_segment_ptr 1
		.amdhsa_user_sgpr_dispatch_id 0
		.amdhsa_user_sgpr_kernarg_preload_length 0
		.amdhsa_user_sgpr_kernarg_preload_offset 0
		.amdhsa_user_sgpr_private_segment_size 0
		.amdhsa_uses_dynamic_stack 0
		.amdhsa_enable_private_segment 1
		.amdhsa_system_sgpr_workgroup_id_x 1
		.amdhsa_system_sgpr_workgroup_id_y 0
		.amdhsa_system_sgpr_workgroup_id_z 0
		.amdhsa_system_sgpr_workgroup_info 0
		.amdhsa_system_vgpr_workitem_id 0
		.amdhsa_next_free_vgpr 196
		.amdhsa_next_free_sgpr 74
		.amdhsa_accum_offset 196
		.amdhsa_reserve_vcc 1
		.amdhsa_float_round_mode_32 0
		.amdhsa_float_round_mode_16_64 0
		.amdhsa_float_denorm_mode_32 3
		.amdhsa_float_denorm_mode_16_64 3
		.amdhsa_dx10_clamp 1
		.amdhsa_ieee_mode 1
		.amdhsa_fp16_overflow 0
		.amdhsa_tg_split 0
		.amdhsa_exception_fp_ieee_invalid_op 0
		.amdhsa_exception_fp_denorm_src 0
		.amdhsa_exception_fp_ieee_div_zero 0
		.amdhsa_exception_fp_ieee_overflow 0
		.amdhsa_exception_fp_ieee_underflow 0
		.amdhsa_exception_fp_ieee_inexact 0
		.amdhsa_exception_int_div_zero 0
	.end_amdhsa_kernel
	.section	.text._ZN7rocprim17ROCPRIM_400000_NS6detail17trampoline_kernelINS0_14default_configENS1_20scan_config_selectorIfEEZZNS1_9scan_implILNS1_25lookback_scan_determinismE0ELb0ELb0ES3_PKfPffZZZN2at6native31launch_logcumsumexp_cuda_kernelERKNSB_10TensorBaseESF_lENKUlvE_clEvENKUlvE0_clEvEUlffE_fEEDaPvRmT3_T4_T5_mT6_P12ihipStream_tbENKUlT_T0_E_clISt17integral_constantIbLb1EESW_EEDaSR_SS_EUlSR_E_NS1_11comp_targetILNS1_3genE5ELNS1_11target_archE942ELNS1_3gpuE9ELNS1_3repE0EEENS1_30default_config_static_selectorELNS0_4arch9wavefront6targetE1EEEvT1_,"axG",@progbits,_ZN7rocprim17ROCPRIM_400000_NS6detail17trampoline_kernelINS0_14default_configENS1_20scan_config_selectorIfEEZZNS1_9scan_implILNS1_25lookback_scan_determinismE0ELb0ELb0ES3_PKfPffZZZN2at6native31launch_logcumsumexp_cuda_kernelERKNSB_10TensorBaseESF_lENKUlvE_clEvENKUlvE0_clEvEUlffE_fEEDaPvRmT3_T4_T5_mT6_P12ihipStream_tbENKUlT_T0_E_clISt17integral_constantIbLb1EESW_EEDaSR_SS_EUlSR_E_NS1_11comp_targetILNS1_3genE5ELNS1_11target_archE942ELNS1_3gpuE9ELNS1_3repE0EEENS1_30default_config_static_selectorELNS0_4arch9wavefront6targetE1EEEvT1_,comdat
.Lfunc_end122:
	.size	_ZN7rocprim17ROCPRIM_400000_NS6detail17trampoline_kernelINS0_14default_configENS1_20scan_config_selectorIfEEZZNS1_9scan_implILNS1_25lookback_scan_determinismE0ELb0ELb0ES3_PKfPffZZZN2at6native31launch_logcumsumexp_cuda_kernelERKNSB_10TensorBaseESF_lENKUlvE_clEvENKUlvE0_clEvEUlffE_fEEDaPvRmT3_T4_T5_mT6_P12ihipStream_tbENKUlT_T0_E_clISt17integral_constantIbLb1EESW_EEDaSR_SS_EUlSR_E_NS1_11comp_targetILNS1_3genE5ELNS1_11target_archE942ELNS1_3gpuE9ELNS1_3repE0EEENS1_30default_config_static_selectorELNS0_4arch9wavefront6targetE1EEEvT1_, .Lfunc_end122-_ZN7rocprim17ROCPRIM_400000_NS6detail17trampoline_kernelINS0_14default_configENS1_20scan_config_selectorIfEEZZNS1_9scan_implILNS1_25lookback_scan_determinismE0ELb0ELb0ES3_PKfPffZZZN2at6native31launch_logcumsumexp_cuda_kernelERKNSB_10TensorBaseESF_lENKUlvE_clEvENKUlvE0_clEvEUlffE_fEEDaPvRmT3_T4_T5_mT6_P12ihipStream_tbENKUlT_T0_E_clISt17integral_constantIbLb1EESW_EEDaSR_SS_EUlSR_E_NS1_11comp_targetILNS1_3genE5ELNS1_11target_archE942ELNS1_3gpuE9ELNS1_3repE0EEENS1_30default_config_static_selectorELNS0_4arch9wavefront6targetE1EEEvT1_
                                        ; -- End function
	.section	.AMDGPU.csdata,"",@progbits
; Kernel info:
; codeLenInByte = 200
; NumSgprs: 80
; NumVgprs: 196
; NumAgprs: 0
; TotalNumVgprs: 196
; ScratchSize: 120
; MemoryBound: 0
; FloatMode: 240
; IeeeMode: 1
; LDSByteSize: 24576 bytes/workgroup (compile time only)
; SGPRBlocks: 9
; VGPRBlocks: 24
; NumSGPRsForWavesPerEU: 80
; NumVGPRsForWavesPerEU: 196
; AccumOffset: 196
; Occupancy: 2
; WaveLimiterHint : 1
; COMPUTE_PGM_RSRC2:SCRATCH_EN: 1
; COMPUTE_PGM_RSRC2:USER_SGPR: 2
; COMPUTE_PGM_RSRC2:TRAP_HANDLER: 0
; COMPUTE_PGM_RSRC2:TGID_X_EN: 1
; COMPUTE_PGM_RSRC2:TGID_Y_EN: 0
; COMPUTE_PGM_RSRC2:TGID_Z_EN: 0
; COMPUTE_PGM_RSRC2:TIDIG_COMP_CNT: 0
; COMPUTE_PGM_RSRC3_GFX90A:ACCUM_OFFSET: 48
; COMPUTE_PGM_RSRC3_GFX90A:TG_SPLIT: 0
	.section	.text._ZN7rocprim17ROCPRIM_400000_NS6detail17trampoline_kernelINS0_14default_configENS1_20scan_config_selectorIfEEZZNS1_9scan_implILNS1_25lookback_scan_determinismE0ELb0ELb0ES3_PKfPffZZZN2at6native31launch_logcumsumexp_cuda_kernelERKNSB_10TensorBaseESF_lENKUlvE_clEvENKUlvE0_clEvEUlffE_fEEDaPvRmT3_T4_T5_mT6_P12ihipStream_tbENKUlT_T0_E_clISt17integral_constantIbLb1EESW_EEDaSR_SS_EUlSR_E_NS1_11comp_targetILNS1_3genE4ELNS1_11target_archE910ELNS1_3gpuE8ELNS1_3repE0EEENS1_30default_config_static_selectorELNS0_4arch9wavefront6targetE1EEEvT1_,"axG",@progbits,_ZN7rocprim17ROCPRIM_400000_NS6detail17trampoline_kernelINS0_14default_configENS1_20scan_config_selectorIfEEZZNS1_9scan_implILNS1_25lookback_scan_determinismE0ELb0ELb0ES3_PKfPffZZZN2at6native31launch_logcumsumexp_cuda_kernelERKNSB_10TensorBaseESF_lENKUlvE_clEvENKUlvE0_clEvEUlffE_fEEDaPvRmT3_T4_T5_mT6_P12ihipStream_tbENKUlT_T0_E_clISt17integral_constantIbLb1EESW_EEDaSR_SS_EUlSR_E_NS1_11comp_targetILNS1_3genE4ELNS1_11target_archE910ELNS1_3gpuE8ELNS1_3repE0EEENS1_30default_config_static_selectorELNS0_4arch9wavefront6targetE1EEEvT1_,comdat
	.globl	_ZN7rocprim17ROCPRIM_400000_NS6detail17trampoline_kernelINS0_14default_configENS1_20scan_config_selectorIfEEZZNS1_9scan_implILNS1_25lookback_scan_determinismE0ELb0ELb0ES3_PKfPffZZZN2at6native31launch_logcumsumexp_cuda_kernelERKNSB_10TensorBaseESF_lENKUlvE_clEvENKUlvE0_clEvEUlffE_fEEDaPvRmT3_T4_T5_mT6_P12ihipStream_tbENKUlT_T0_E_clISt17integral_constantIbLb1EESW_EEDaSR_SS_EUlSR_E_NS1_11comp_targetILNS1_3genE4ELNS1_11target_archE910ELNS1_3gpuE8ELNS1_3repE0EEENS1_30default_config_static_selectorELNS0_4arch9wavefront6targetE1EEEvT1_ ; -- Begin function _ZN7rocprim17ROCPRIM_400000_NS6detail17trampoline_kernelINS0_14default_configENS1_20scan_config_selectorIfEEZZNS1_9scan_implILNS1_25lookback_scan_determinismE0ELb0ELb0ES3_PKfPffZZZN2at6native31launch_logcumsumexp_cuda_kernelERKNSB_10TensorBaseESF_lENKUlvE_clEvENKUlvE0_clEvEUlffE_fEEDaPvRmT3_T4_T5_mT6_P12ihipStream_tbENKUlT_T0_E_clISt17integral_constantIbLb1EESW_EEDaSR_SS_EUlSR_E_NS1_11comp_targetILNS1_3genE4ELNS1_11target_archE910ELNS1_3gpuE8ELNS1_3repE0EEENS1_30default_config_static_selectorELNS0_4arch9wavefront6targetE1EEEvT1_
	.p2align	8
	.type	_ZN7rocprim17ROCPRIM_400000_NS6detail17trampoline_kernelINS0_14default_configENS1_20scan_config_selectorIfEEZZNS1_9scan_implILNS1_25lookback_scan_determinismE0ELb0ELb0ES3_PKfPffZZZN2at6native31launch_logcumsumexp_cuda_kernelERKNSB_10TensorBaseESF_lENKUlvE_clEvENKUlvE0_clEvEUlffE_fEEDaPvRmT3_T4_T5_mT6_P12ihipStream_tbENKUlT_T0_E_clISt17integral_constantIbLb1EESW_EEDaSR_SS_EUlSR_E_NS1_11comp_targetILNS1_3genE4ELNS1_11target_archE910ELNS1_3gpuE8ELNS1_3repE0EEENS1_30default_config_static_selectorELNS0_4arch9wavefront6targetE1EEEvT1_,@function
_ZN7rocprim17ROCPRIM_400000_NS6detail17trampoline_kernelINS0_14default_configENS1_20scan_config_selectorIfEEZZNS1_9scan_implILNS1_25lookback_scan_determinismE0ELb0ELb0ES3_PKfPffZZZN2at6native31launch_logcumsumexp_cuda_kernelERKNSB_10TensorBaseESF_lENKUlvE_clEvENKUlvE0_clEvEUlffE_fEEDaPvRmT3_T4_T5_mT6_P12ihipStream_tbENKUlT_T0_E_clISt17integral_constantIbLb1EESW_EEDaSR_SS_EUlSR_E_NS1_11comp_targetILNS1_3genE4ELNS1_11target_archE910ELNS1_3gpuE8ELNS1_3repE0EEENS1_30default_config_static_selectorELNS0_4arch9wavefront6targetE1EEEvT1_: ; @_ZN7rocprim17ROCPRIM_400000_NS6detail17trampoline_kernelINS0_14default_configENS1_20scan_config_selectorIfEEZZNS1_9scan_implILNS1_25lookback_scan_determinismE0ELb0ELb0ES3_PKfPffZZZN2at6native31launch_logcumsumexp_cuda_kernelERKNSB_10TensorBaseESF_lENKUlvE_clEvENKUlvE0_clEvEUlffE_fEEDaPvRmT3_T4_T5_mT6_P12ihipStream_tbENKUlT_T0_E_clISt17integral_constantIbLb1EESW_EEDaSR_SS_EUlSR_E_NS1_11comp_targetILNS1_3genE4ELNS1_11target_archE910ELNS1_3gpuE8ELNS1_3repE0EEENS1_30default_config_static_selectorELNS0_4arch9wavefront6targetE1EEEvT1_
; %bb.0:
	.section	.rodata,"a",@progbits
	.p2align	6, 0x0
	.amdhsa_kernel _ZN7rocprim17ROCPRIM_400000_NS6detail17trampoline_kernelINS0_14default_configENS1_20scan_config_selectorIfEEZZNS1_9scan_implILNS1_25lookback_scan_determinismE0ELb0ELb0ES3_PKfPffZZZN2at6native31launch_logcumsumexp_cuda_kernelERKNSB_10TensorBaseESF_lENKUlvE_clEvENKUlvE0_clEvEUlffE_fEEDaPvRmT3_T4_T5_mT6_P12ihipStream_tbENKUlT_T0_E_clISt17integral_constantIbLb1EESW_EEDaSR_SS_EUlSR_E_NS1_11comp_targetILNS1_3genE4ELNS1_11target_archE910ELNS1_3gpuE8ELNS1_3repE0EEENS1_30default_config_static_selectorELNS0_4arch9wavefront6targetE1EEEvT1_
		.amdhsa_group_segment_fixed_size 0
		.amdhsa_private_segment_fixed_size 0
		.amdhsa_kernarg_size 96
		.amdhsa_user_sgpr_count 2
		.amdhsa_user_sgpr_dispatch_ptr 0
		.amdhsa_user_sgpr_queue_ptr 0
		.amdhsa_user_sgpr_kernarg_segment_ptr 1
		.amdhsa_user_sgpr_dispatch_id 0
		.amdhsa_user_sgpr_kernarg_preload_length 0
		.amdhsa_user_sgpr_kernarg_preload_offset 0
		.amdhsa_user_sgpr_private_segment_size 0
		.amdhsa_uses_dynamic_stack 0
		.amdhsa_enable_private_segment 0
		.amdhsa_system_sgpr_workgroup_id_x 1
		.amdhsa_system_sgpr_workgroup_id_y 0
		.amdhsa_system_sgpr_workgroup_id_z 0
		.amdhsa_system_sgpr_workgroup_info 0
		.amdhsa_system_vgpr_workitem_id 0
		.amdhsa_next_free_vgpr 1
		.amdhsa_next_free_sgpr 0
		.amdhsa_accum_offset 4
		.amdhsa_reserve_vcc 0
		.amdhsa_float_round_mode_32 0
		.amdhsa_float_round_mode_16_64 0
		.amdhsa_float_denorm_mode_32 3
		.amdhsa_float_denorm_mode_16_64 3
		.amdhsa_dx10_clamp 1
		.amdhsa_ieee_mode 1
		.amdhsa_fp16_overflow 0
		.amdhsa_tg_split 0
		.amdhsa_exception_fp_ieee_invalid_op 0
		.amdhsa_exception_fp_denorm_src 0
		.amdhsa_exception_fp_ieee_div_zero 0
		.amdhsa_exception_fp_ieee_overflow 0
		.amdhsa_exception_fp_ieee_underflow 0
		.amdhsa_exception_fp_ieee_inexact 0
		.amdhsa_exception_int_div_zero 0
	.end_amdhsa_kernel
	.section	.text._ZN7rocprim17ROCPRIM_400000_NS6detail17trampoline_kernelINS0_14default_configENS1_20scan_config_selectorIfEEZZNS1_9scan_implILNS1_25lookback_scan_determinismE0ELb0ELb0ES3_PKfPffZZZN2at6native31launch_logcumsumexp_cuda_kernelERKNSB_10TensorBaseESF_lENKUlvE_clEvENKUlvE0_clEvEUlffE_fEEDaPvRmT3_T4_T5_mT6_P12ihipStream_tbENKUlT_T0_E_clISt17integral_constantIbLb1EESW_EEDaSR_SS_EUlSR_E_NS1_11comp_targetILNS1_3genE4ELNS1_11target_archE910ELNS1_3gpuE8ELNS1_3repE0EEENS1_30default_config_static_selectorELNS0_4arch9wavefront6targetE1EEEvT1_,"axG",@progbits,_ZN7rocprim17ROCPRIM_400000_NS6detail17trampoline_kernelINS0_14default_configENS1_20scan_config_selectorIfEEZZNS1_9scan_implILNS1_25lookback_scan_determinismE0ELb0ELb0ES3_PKfPffZZZN2at6native31launch_logcumsumexp_cuda_kernelERKNSB_10TensorBaseESF_lENKUlvE_clEvENKUlvE0_clEvEUlffE_fEEDaPvRmT3_T4_T5_mT6_P12ihipStream_tbENKUlT_T0_E_clISt17integral_constantIbLb1EESW_EEDaSR_SS_EUlSR_E_NS1_11comp_targetILNS1_3genE4ELNS1_11target_archE910ELNS1_3gpuE8ELNS1_3repE0EEENS1_30default_config_static_selectorELNS0_4arch9wavefront6targetE1EEEvT1_,comdat
.Lfunc_end123:
	.size	_ZN7rocprim17ROCPRIM_400000_NS6detail17trampoline_kernelINS0_14default_configENS1_20scan_config_selectorIfEEZZNS1_9scan_implILNS1_25lookback_scan_determinismE0ELb0ELb0ES3_PKfPffZZZN2at6native31launch_logcumsumexp_cuda_kernelERKNSB_10TensorBaseESF_lENKUlvE_clEvENKUlvE0_clEvEUlffE_fEEDaPvRmT3_T4_T5_mT6_P12ihipStream_tbENKUlT_T0_E_clISt17integral_constantIbLb1EESW_EEDaSR_SS_EUlSR_E_NS1_11comp_targetILNS1_3genE4ELNS1_11target_archE910ELNS1_3gpuE8ELNS1_3repE0EEENS1_30default_config_static_selectorELNS0_4arch9wavefront6targetE1EEEvT1_, .Lfunc_end123-_ZN7rocprim17ROCPRIM_400000_NS6detail17trampoline_kernelINS0_14default_configENS1_20scan_config_selectorIfEEZZNS1_9scan_implILNS1_25lookback_scan_determinismE0ELb0ELb0ES3_PKfPffZZZN2at6native31launch_logcumsumexp_cuda_kernelERKNSB_10TensorBaseESF_lENKUlvE_clEvENKUlvE0_clEvEUlffE_fEEDaPvRmT3_T4_T5_mT6_P12ihipStream_tbENKUlT_T0_E_clISt17integral_constantIbLb1EESW_EEDaSR_SS_EUlSR_E_NS1_11comp_targetILNS1_3genE4ELNS1_11target_archE910ELNS1_3gpuE8ELNS1_3repE0EEENS1_30default_config_static_selectorELNS0_4arch9wavefront6targetE1EEEvT1_
                                        ; -- End function
	.section	.AMDGPU.csdata,"",@progbits
; Kernel info:
; codeLenInByte = 0
; NumSgprs: 6
; NumVgprs: 0
; NumAgprs: 0
; TotalNumVgprs: 0
; ScratchSize: 0
; MemoryBound: 0
; FloatMode: 240
; IeeeMode: 1
; LDSByteSize: 0 bytes/workgroup (compile time only)
; SGPRBlocks: 0
; VGPRBlocks: 0
; NumSGPRsForWavesPerEU: 6
; NumVGPRsForWavesPerEU: 1
; AccumOffset: 4
; Occupancy: 8
; WaveLimiterHint : 0
; COMPUTE_PGM_RSRC2:SCRATCH_EN: 0
; COMPUTE_PGM_RSRC2:USER_SGPR: 2
; COMPUTE_PGM_RSRC2:TRAP_HANDLER: 0
; COMPUTE_PGM_RSRC2:TGID_X_EN: 1
; COMPUTE_PGM_RSRC2:TGID_Y_EN: 0
; COMPUTE_PGM_RSRC2:TGID_Z_EN: 0
; COMPUTE_PGM_RSRC2:TIDIG_COMP_CNT: 0
; COMPUTE_PGM_RSRC3_GFX90A:ACCUM_OFFSET: 0
; COMPUTE_PGM_RSRC3_GFX90A:TG_SPLIT: 0
	.section	.text._ZN7rocprim17ROCPRIM_400000_NS6detail17trampoline_kernelINS0_14default_configENS1_20scan_config_selectorIfEEZZNS1_9scan_implILNS1_25lookback_scan_determinismE0ELb0ELb0ES3_PKfPffZZZN2at6native31launch_logcumsumexp_cuda_kernelERKNSB_10TensorBaseESF_lENKUlvE_clEvENKUlvE0_clEvEUlffE_fEEDaPvRmT3_T4_T5_mT6_P12ihipStream_tbENKUlT_T0_E_clISt17integral_constantIbLb1EESW_EEDaSR_SS_EUlSR_E_NS1_11comp_targetILNS1_3genE3ELNS1_11target_archE908ELNS1_3gpuE7ELNS1_3repE0EEENS1_30default_config_static_selectorELNS0_4arch9wavefront6targetE1EEEvT1_,"axG",@progbits,_ZN7rocprim17ROCPRIM_400000_NS6detail17trampoline_kernelINS0_14default_configENS1_20scan_config_selectorIfEEZZNS1_9scan_implILNS1_25lookback_scan_determinismE0ELb0ELb0ES3_PKfPffZZZN2at6native31launch_logcumsumexp_cuda_kernelERKNSB_10TensorBaseESF_lENKUlvE_clEvENKUlvE0_clEvEUlffE_fEEDaPvRmT3_T4_T5_mT6_P12ihipStream_tbENKUlT_T0_E_clISt17integral_constantIbLb1EESW_EEDaSR_SS_EUlSR_E_NS1_11comp_targetILNS1_3genE3ELNS1_11target_archE908ELNS1_3gpuE7ELNS1_3repE0EEENS1_30default_config_static_selectorELNS0_4arch9wavefront6targetE1EEEvT1_,comdat
	.globl	_ZN7rocprim17ROCPRIM_400000_NS6detail17trampoline_kernelINS0_14default_configENS1_20scan_config_selectorIfEEZZNS1_9scan_implILNS1_25lookback_scan_determinismE0ELb0ELb0ES3_PKfPffZZZN2at6native31launch_logcumsumexp_cuda_kernelERKNSB_10TensorBaseESF_lENKUlvE_clEvENKUlvE0_clEvEUlffE_fEEDaPvRmT3_T4_T5_mT6_P12ihipStream_tbENKUlT_T0_E_clISt17integral_constantIbLb1EESW_EEDaSR_SS_EUlSR_E_NS1_11comp_targetILNS1_3genE3ELNS1_11target_archE908ELNS1_3gpuE7ELNS1_3repE0EEENS1_30default_config_static_selectorELNS0_4arch9wavefront6targetE1EEEvT1_ ; -- Begin function _ZN7rocprim17ROCPRIM_400000_NS6detail17trampoline_kernelINS0_14default_configENS1_20scan_config_selectorIfEEZZNS1_9scan_implILNS1_25lookback_scan_determinismE0ELb0ELb0ES3_PKfPffZZZN2at6native31launch_logcumsumexp_cuda_kernelERKNSB_10TensorBaseESF_lENKUlvE_clEvENKUlvE0_clEvEUlffE_fEEDaPvRmT3_T4_T5_mT6_P12ihipStream_tbENKUlT_T0_E_clISt17integral_constantIbLb1EESW_EEDaSR_SS_EUlSR_E_NS1_11comp_targetILNS1_3genE3ELNS1_11target_archE908ELNS1_3gpuE7ELNS1_3repE0EEENS1_30default_config_static_selectorELNS0_4arch9wavefront6targetE1EEEvT1_
	.p2align	8
	.type	_ZN7rocprim17ROCPRIM_400000_NS6detail17trampoline_kernelINS0_14default_configENS1_20scan_config_selectorIfEEZZNS1_9scan_implILNS1_25lookback_scan_determinismE0ELb0ELb0ES3_PKfPffZZZN2at6native31launch_logcumsumexp_cuda_kernelERKNSB_10TensorBaseESF_lENKUlvE_clEvENKUlvE0_clEvEUlffE_fEEDaPvRmT3_T4_T5_mT6_P12ihipStream_tbENKUlT_T0_E_clISt17integral_constantIbLb1EESW_EEDaSR_SS_EUlSR_E_NS1_11comp_targetILNS1_3genE3ELNS1_11target_archE908ELNS1_3gpuE7ELNS1_3repE0EEENS1_30default_config_static_selectorELNS0_4arch9wavefront6targetE1EEEvT1_,@function
_ZN7rocprim17ROCPRIM_400000_NS6detail17trampoline_kernelINS0_14default_configENS1_20scan_config_selectorIfEEZZNS1_9scan_implILNS1_25lookback_scan_determinismE0ELb0ELb0ES3_PKfPffZZZN2at6native31launch_logcumsumexp_cuda_kernelERKNSB_10TensorBaseESF_lENKUlvE_clEvENKUlvE0_clEvEUlffE_fEEDaPvRmT3_T4_T5_mT6_P12ihipStream_tbENKUlT_T0_E_clISt17integral_constantIbLb1EESW_EEDaSR_SS_EUlSR_E_NS1_11comp_targetILNS1_3genE3ELNS1_11target_archE908ELNS1_3gpuE7ELNS1_3repE0EEENS1_30default_config_static_selectorELNS0_4arch9wavefront6targetE1EEEvT1_: ; @_ZN7rocprim17ROCPRIM_400000_NS6detail17trampoline_kernelINS0_14default_configENS1_20scan_config_selectorIfEEZZNS1_9scan_implILNS1_25lookback_scan_determinismE0ELb0ELb0ES3_PKfPffZZZN2at6native31launch_logcumsumexp_cuda_kernelERKNSB_10TensorBaseESF_lENKUlvE_clEvENKUlvE0_clEvEUlffE_fEEDaPvRmT3_T4_T5_mT6_P12ihipStream_tbENKUlT_T0_E_clISt17integral_constantIbLb1EESW_EEDaSR_SS_EUlSR_E_NS1_11comp_targetILNS1_3genE3ELNS1_11target_archE908ELNS1_3gpuE7ELNS1_3repE0EEENS1_30default_config_static_selectorELNS0_4arch9wavefront6targetE1EEEvT1_
; %bb.0:
	.section	.rodata,"a",@progbits
	.p2align	6, 0x0
	.amdhsa_kernel _ZN7rocprim17ROCPRIM_400000_NS6detail17trampoline_kernelINS0_14default_configENS1_20scan_config_selectorIfEEZZNS1_9scan_implILNS1_25lookback_scan_determinismE0ELb0ELb0ES3_PKfPffZZZN2at6native31launch_logcumsumexp_cuda_kernelERKNSB_10TensorBaseESF_lENKUlvE_clEvENKUlvE0_clEvEUlffE_fEEDaPvRmT3_T4_T5_mT6_P12ihipStream_tbENKUlT_T0_E_clISt17integral_constantIbLb1EESW_EEDaSR_SS_EUlSR_E_NS1_11comp_targetILNS1_3genE3ELNS1_11target_archE908ELNS1_3gpuE7ELNS1_3repE0EEENS1_30default_config_static_selectorELNS0_4arch9wavefront6targetE1EEEvT1_
		.amdhsa_group_segment_fixed_size 0
		.amdhsa_private_segment_fixed_size 0
		.amdhsa_kernarg_size 96
		.amdhsa_user_sgpr_count 2
		.amdhsa_user_sgpr_dispatch_ptr 0
		.amdhsa_user_sgpr_queue_ptr 0
		.amdhsa_user_sgpr_kernarg_segment_ptr 1
		.amdhsa_user_sgpr_dispatch_id 0
		.amdhsa_user_sgpr_kernarg_preload_length 0
		.amdhsa_user_sgpr_kernarg_preload_offset 0
		.amdhsa_user_sgpr_private_segment_size 0
		.amdhsa_uses_dynamic_stack 0
		.amdhsa_enable_private_segment 0
		.amdhsa_system_sgpr_workgroup_id_x 1
		.amdhsa_system_sgpr_workgroup_id_y 0
		.amdhsa_system_sgpr_workgroup_id_z 0
		.amdhsa_system_sgpr_workgroup_info 0
		.amdhsa_system_vgpr_workitem_id 0
		.amdhsa_next_free_vgpr 1
		.amdhsa_next_free_sgpr 0
		.amdhsa_accum_offset 4
		.amdhsa_reserve_vcc 0
		.amdhsa_float_round_mode_32 0
		.amdhsa_float_round_mode_16_64 0
		.amdhsa_float_denorm_mode_32 3
		.amdhsa_float_denorm_mode_16_64 3
		.amdhsa_dx10_clamp 1
		.amdhsa_ieee_mode 1
		.amdhsa_fp16_overflow 0
		.amdhsa_tg_split 0
		.amdhsa_exception_fp_ieee_invalid_op 0
		.amdhsa_exception_fp_denorm_src 0
		.amdhsa_exception_fp_ieee_div_zero 0
		.amdhsa_exception_fp_ieee_overflow 0
		.amdhsa_exception_fp_ieee_underflow 0
		.amdhsa_exception_fp_ieee_inexact 0
		.amdhsa_exception_int_div_zero 0
	.end_amdhsa_kernel
	.section	.text._ZN7rocprim17ROCPRIM_400000_NS6detail17trampoline_kernelINS0_14default_configENS1_20scan_config_selectorIfEEZZNS1_9scan_implILNS1_25lookback_scan_determinismE0ELb0ELb0ES3_PKfPffZZZN2at6native31launch_logcumsumexp_cuda_kernelERKNSB_10TensorBaseESF_lENKUlvE_clEvENKUlvE0_clEvEUlffE_fEEDaPvRmT3_T4_T5_mT6_P12ihipStream_tbENKUlT_T0_E_clISt17integral_constantIbLb1EESW_EEDaSR_SS_EUlSR_E_NS1_11comp_targetILNS1_3genE3ELNS1_11target_archE908ELNS1_3gpuE7ELNS1_3repE0EEENS1_30default_config_static_selectorELNS0_4arch9wavefront6targetE1EEEvT1_,"axG",@progbits,_ZN7rocprim17ROCPRIM_400000_NS6detail17trampoline_kernelINS0_14default_configENS1_20scan_config_selectorIfEEZZNS1_9scan_implILNS1_25lookback_scan_determinismE0ELb0ELb0ES3_PKfPffZZZN2at6native31launch_logcumsumexp_cuda_kernelERKNSB_10TensorBaseESF_lENKUlvE_clEvENKUlvE0_clEvEUlffE_fEEDaPvRmT3_T4_T5_mT6_P12ihipStream_tbENKUlT_T0_E_clISt17integral_constantIbLb1EESW_EEDaSR_SS_EUlSR_E_NS1_11comp_targetILNS1_3genE3ELNS1_11target_archE908ELNS1_3gpuE7ELNS1_3repE0EEENS1_30default_config_static_selectorELNS0_4arch9wavefront6targetE1EEEvT1_,comdat
.Lfunc_end124:
	.size	_ZN7rocprim17ROCPRIM_400000_NS6detail17trampoline_kernelINS0_14default_configENS1_20scan_config_selectorIfEEZZNS1_9scan_implILNS1_25lookback_scan_determinismE0ELb0ELb0ES3_PKfPffZZZN2at6native31launch_logcumsumexp_cuda_kernelERKNSB_10TensorBaseESF_lENKUlvE_clEvENKUlvE0_clEvEUlffE_fEEDaPvRmT3_T4_T5_mT6_P12ihipStream_tbENKUlT_T0_E_clISt17integral_constantIbLb1EESW_EEDaSR_SS_EUlSR_E_NS1_11comp_targetILNS1_3genE3ELNS1_11target_archE908ELNS1_3gpuE7ELNS1_3repE0EEENS1_30default_config_static_selectorELNS0_4arch9wavefront6targetE1EEEvT1_, .Lfunc_end124-_ZN7rocprim17ROCPRIM_400000_NS6detail17trampoline_kernelINS0_14default_configENS1_20scan_config_selectorIfEEZZNS1_9scan_implILNS1_25lookback_scan_determinismE0ELb0ELb0ES3_PKfPffZZZN2at6native31launch_logcumsumexp_cuda_kernelERKNSB_10TensorBaseESF_lENKUlvE_clEvENKUlvE0_clEvEUlffE_fEEDaPvRmT3_T4_T5_mT6_P12ihipStream_tbENKUlT_T0_E_clISt17integral_constantIbLb1EESW_EEDaSR_SS_EUlSR_E_NS1_11comp_targetILNS1_3genE3ELNS1_11target_archE908ELNS1_3gpuE7ELNS1_3repE0EEENS1_30default_config_static_selectorELNS0_4arch9wavefront6targetE1EEEvT1_
                                        ; -- End function
	.section	.AMDGPU.csdata,"",@progbits
; Kernel info:
; codeLenInByte = 0
; NumSgprs: 6
; NumVgprs: 0
; NumAgprs: 0
; TotalNumVgprs: 0
; ScratchSize: 0
; MemoryBound: 0
; FloatMode: 240
; IeeeMode: 1
; LDSByteSize: 0 bytes/workgroup (compile time only)
; SGPRBlocks: 0
; VGPRBlocks: 0
; NumSGPRsForWavesPerEU: 6
; NumVGPRsForWavesPerEU: 1
; AccumOffset: 4
; Occupancy: 8
; WaveLimiterHint : 0
; COMPUTE_PGM_RSRC2:SCRATCH_EN: 0
; COMPUTE_PGM_RSRC2:USER_SGPR: 2
; COMPUTE_PGM_RSRC2:TRAP_HANDLER: 0
; COMPUTE_PGM_RSRC2:TGID_X_EN: 1
; COMPUTE_PGM_RSRC2:TGID_Y_EN: 0
; COMPUTE_PGM_RSRC2:TGID_Z_EN: 0
; COMPUTE_PGM_RSRC2:TIDIG_COMP_CNT: 0
; COMPUTE_PGM_RSRC3_GFX90A:ACCUM_OFFSET: 0
; COMPUTE_PGM_RSRC3_GFX90A:TG_SPLIT: 0
	.section	.text._ZN7rocprim17ROCPRIM_400000_NS6detail17trampoline_kernelINS0_14default_configENS1_20scan_config_selectorIfEEZZNS1_9scan_implILNS1_25lookback_scan_determinismE0ELb0ELb0ES3_PKfPffZZZN2at6native31launch_logcumsumexp_cuda_kernelERKNSB_10TensorBaseESF_lENKUlvE_clEvENKUlvE0_clEvEUlffE_fEEDaPvRmT3_T4_T5_mT6_P12ihipStream_tbENKUlT_T0_E_clISt17integral_constantIbLb1EESW_EEDaSR_SS_EUlSR_E_NS1_11comp_targetILNS1_3genE2ELNS1_11target_archE906ELNS1_3gpuE6ELNS1_3repE0EEENS1_30default_config_static_selectorELNS0_4arch9wavefront6targetE1EEEvT1_,"axG",@progbits,_ZN7rocprim17ROCPRIM_400000_NS6detail17trampoline_kernelINS0_14default_configENS1_20scan_config_selectorIfEEZZNS1_9scan_implILNS1_25lookback_scan_determinismE0ELb0ELb0ES3_PKfPffZZZN2at6native31launch_logcumsumexp_cuda_kernelERKNSB_10TensorBaseESF_lENKUlvE_clEvENKUlvE0_clEvEUlffE_fEEDaPvRmT3_T4_T5_mT6_P12ihipStream_tbENKUlT_T0_E_clISt17integral_constantIbLb1EESW_EEDaSR_SS_EUlSR_E_NS1_11comp_targetILNS1_3genE2ELNS1_11target_archE906ELNS1_3gpuE6ELNS1_3repE0EEENS1_30default_config_static_selectorELNS0_4arch9wavefront6targetE1EEEvT1_,comdat
	.globl	_ZN7rocprim17ROCPRIM_400000_NS6detail17trampoline_kernelINS0_14default_configENS1_20scan_config_selectorIfEEZZNS1_9scan_implILNS1_25lookback_scan_determinismE0ELb0ELb0ES3_PKfPffZZZN2at6native31launch_logcumsumexp_cuda_kernelERKNSB_10TensorBaseESF_lENKUlvE_clEvENKUlvE0_clEvEUlffE_fEEDaPvRmT3_T4_T5_mT6_P12ihipStream_tbENKUlT_T0_E_clISt17integral_constantIbLb1EESW_EEDaSR_SS_EUlSR_E_NS1_11comp_targetILNS1_3genE2ELNS1_11target_archE906ELNS1_3gpuE6ELNS1_3repE0EEENS1_30default_config_static_selectorELNS0_4arch9wavefront6targetE1EEEvT1_ ; -- Begin function _ZN7rocprim17ROCPRIM_400000_NS6detail17trampoline_kernelINS0_14default_configENS1_20scan_config_selectorIfEEZZNS1_9scan_implILNS1_25lookback_scan_determinismE0ELb0ELb0ES3_PKfPffZZZN2at6native31launch_logcumsumexp_cuda_kernelERKNSB_10TensorBaseESF_lENKUlvE_clEvENKUlvE0_clEvEUlffE_fEEDaPvRmT3_T4_T5_mT6_P12ihipStream_tbENKUlT_T0_E_clISt17integral_constantIbLb1EESW_EEDaSR_SS_EUlSR_E_NS1_11comp_targetILNS1_3genE2ELNS1_11target_archE906ELNS1_3gpuE6ELNS1_3repE0EEENS1_30default_config_static_selectorELNS0_4arch9wavefront6targetE1EEEvT1_
	.p2align	8
	.type	_ZN7rocprim17ROCPRIM_400000_NS6detail17trampoline_kernelINS0_14default_configENS1_20scan_config_selectorIfEEZZNS1_9scan_implILNS1_25lookback_scan_determinismE0ELb0ELb0ES3_PKfPffZZZN2at6native31launch_logcumsumexp_cuda_kernelERKNSB_10TensorBaseESF_lENKUlvE_clEvENKUlvE0_clEvEUlffE_fEEDaPvRmT3_T4_T5_mT6_P12ihipStream_tbENKUlT_T0_E_clISt17integral_constantIbLb1EESW_EEDaSR_SS_EUlSR_E_NS1_11comp_targetILNS1_3genE2ELNS1_11target_archE906ELNS1_3gpuE6ELNS1_3repE0EEENS1_30default_config_static_selectorELNS0_4arch9wavefront6targetE1EEEvT1_,@function
_ZN7rocprim17ROCPRIM_400000_NS6detail17trampoline_kernelINS0_14default_configENS1_20scan_config_selectorIfEEZZNS1_9scan_implILNS1_25lookback_scan_determinismE0ELb0ELb0ES3_PKfPffZZZN2at6native31launch_logcumsumexp_cuda_kernelERKNSB_10TensorBaseESF_lENKUlvE_clEvENKUlvE0_clEvEUlffE_fEEDaPvRmT3_T4_T5_mT6_P12ihipStream_tbENKUlT_T0_E_clISt17integral_constantIbLb1EESW_EEDaSR_SS_EUlSR_E_NS1_11comp_targetILNS1_3genE2ELNS1_11target_archE906ELNS1_3gpuE6ELNS1_3repE0EEENS1_30default_config_static_selectorELNS0_4arch9wavefront6targetE1EEEvT1_: ; @_ZN7rocprim17ROCPRIM_400000_NS6detail17trampoline_kernelINS0_14default_configENS1_20scan_config_selectorIfEEZZNS1_9scan_implILNS1_25lookback_scan_determinismE0ELb0ELb0ES3_PKfPffZZZN2at6native31launch_logcumsumexp_cuda_kernelERKNSB_10TensorBaseESF_lENKUlvE_clEvENKUlvE0_clEvEUlffE_fEEDaPvRmT3_T4_T5_mT6_P12ihipStream_tbENKUlT_T0_E_clISt17integral_constantIbLb1EESW_EEDaSR_SS_EUlSR_E_NS1_11comp_targetILNS1_3genE2ELNS1_11target_archE906ELNS1_3gpuE6ELNS1_3repE0EEENS1_30default_config_static_selectorELNS0_4arch9wavefront6targetE1EEEvT1_
; %bb.0:
	.section	.rodata,"a",@progbits
	.p2align	6, 0x0
	.amdhsa_kernel _ZN7rocprim17ROCPRIM_400000_NS6detail17trampoline_kernelINS0_14default_configENS1_20scan_config_selectorIfEEZZNS1_9scan_implILNS1_25lookback_scan_determinismE0ELb0ELb0ES3_PKfPffZZZN2at6native31launch_logcumsumexp_cuda_kernelERKNSB_10TensorBaseESF_lENKUlvE_clEvENKUlvE0_clEvEUlffE_fEEDaPvRmT3_T4_T5_mT6_P12ihipStream_tbENKUlT_T0_E_clISt17integral_constantIbLb1EESW_EEDaSR_SS_EUlSR_E_NS1_11comp_targetILNS1_3genE2ELNS1_11target_archE906ELNS1_3gpuE6ELNS1_3repE0EEENS1_30default_config_static_selectorELNS0_4arch9wavefront6targetE1EEEvT1_
		.amdhsa_group_segment_fixed_size 0
		.amdhsa_private_segment_fixed_size 0
		.amdhsa_kernarg_size 96
		.amdhsa_user_sgpr_count 2
		.amdhsa_user_sgpr_dispatch_ptr 0
		.amdhsa_user_sgpr_queue_ptr 0
		.amdhsa_user_sgpr_kernarg_segment_ptr 1
		.amdhsa_user_sgpr_dispatch_id 0
		.amdhsa_user_sgpr_kernarg_preload_length 0
		.amdhsa_user_sgpr_kernarg_preload_offset 0
		.amdhsa_user_sgpr_private_segment_size 0
		.amdhsa_uses_dynamic_stack 0
		.amdhsa_enable_private_segment 0
		.amdhsa_system_sgpr_workgroup_id_x 1
		.amdhsa_system_sgpr_workgroup_id_y 0
		.amdhsa_system_sgpr_workgroup_id_z 0
		.amdhsa_system_sgpr_workgroup_info 0
		.amdhsa_system_vgpr_workitem_id 0
		.amdhsa_next_free_vgpr 1
		.amdhsa_next_free_sgpr 0
		.amdhsa_accum_offset 4
		.amdhsa_reserve_vcc 0
		.amdhsa_float_round_mode_32 0
		.amdhsa_float_round_mode_16_64 0
		.amdhsa_float_denorm_mode_32 3
		.amdhsa_float_denorm_mode_16_64 3
		.amdhsa_dx10_clamp 1
		.amdhsa_ieee_mode 1
		.amdhsa_fp16_overflow 0
		.amdhsa_tg_split 0
		.amdhsa_exception_fp_ieee_invalid_op 0
		.amdhsa_exception_fp_denorm_src 0
		.amdhsa_exception_fp_ieee_div_zero 0
		.amdhsa_exception_fp_ieee_overflow 0
		.amdhsa_exception_fp_ieee_underflow 0
		.amdhsa_exception_fp_ieee_inexact 0
		.amdhsa_exception_int_div_zero 0
	.end_amdhsa_kernel
	.section	.text._ZN7rocprim17ROCPRIM_400000_NS6detail17trampoline_kernelINS0_14default_configENS1_20scan_config_selectorIfEEZZNS1_9scan_implILNS1_25lookback_scan_determinismE0ELb0ELb0ES3_PKfPffZZZN2at6native31launch_logcumsumexp_cuda_kernelERKNSB_10TensorBaseESF_lENKUlvE_clEvENKUlvE0_clEvEUlffE_fEEDaPvRmT3_T4_T5_mT6_P12ihipStream_tbENKUlT_T0_E_clISt17integral_constantIbLb1EESW_EEDaSR_SS_EUlSR_E_NS1_11comp_targetILNS1_3genE2ELNS1_11target_archE906ELNS1_3gpuE6ELNS1_3repE0EEENS1_30default_config_static_selectorELNS0_4arch9wavefront6targetE1EEEvT1_,"axG",@progbits,_ZN7rocprim17ROCPRIM_400000_NS6detail17trampoline_kernelINS0_14default_configENS1_20scan_config_selectorIfEEZZNS1_9scan_implILNS1_25lookback_scan_determinismE0ELb0ELb0ES3_PKfPffZZZN2at6native31launch_logcumsumexp_cuda_kernelERKNSB_10TensorBaseESF_lENKUlvE_clEvENKUlvE0_clEvEUlffE_fEEDaPvRmT3_T4_T5_mT6_P12ihipStream_tbENKUlT_T0_E_clISt17integral_constantIbLb1EESW_EEDaSR_SS_EUlSR_E_NS1_11comp_targetILNS1_3genE2ELNS1_11target_archE906ELNS1_3gpuE6ELNS1_3repE0EEENS1_30default_config_static_selectorELNS0_4arch9wavefront6targetE1EEEvT1_,comdat
.Lfunc_end125:
	.size	_ZN7rocprim17ROCPRIM_400000_NS6detail17trampoline_kernelINS0_14default_configENS1_20scan_config_selectorIfEEZZNS1_9scan_implILNS1_25lookback_scan_determinismE0ELb0ELb0ES3_PKfPffZZZN2at6native31launch_logcumsumexp_cuda_kernelERKNSB_10TensorBaseESF_lENKUlvE_clEvENKUlvE0_clEvEUlffE_fEEDaPvRmT3_T4_T5_mT6_P12ihipStream_tbENKUlT_T0_E_clISt17integral_constantIbLb1EESW_EEDaSR_SS_EUlSR_E_NS1_11comp_targetILNS1_3genE2ELNS1_11target_archE906ELNS1_3gpuE6ELNS1_3repE0EEENS1_30default_config_static_selectorELNS0_4arch9wavefront6targetE1EEEvT1_, .Lfunc_end125-_ZN7rocprim17ROCPRIM_400000_NS6detail17trampoline_kernelINS0_14default_configENS1_20scan_config_selectorIfEEZZNS1_9scan_implILNS1_25lookback_scan_determinismE0ELb0ELb0ES3_PKfPffZZZN2at6native31launch_logcumsumexp_cuda_kernelERKNSB_10TensorBaseESF_lENKUlvE_clEvENKUlvE0_clEvEUlffE_fEEDaPvRmT3_T4_T5_mT6_P12ihipStream_tbENKUlT_T0_E_clISt17integral_constantIbLb1EESW_EEDaSR_SS_EUlSR_E_NS1_11comp_targetILNS1_3genE2ELNS1_11target_archE906ELNS1_3gpuE6ELNS1_3repE0EEENS1_30default_config_static_selectorELNS0_4arch9wavefront6targetE1EEEvT1_
                                        ; -- End function
	.section	.AMDGPU.csdata,"",@progbits
; Kernel info:
; codeLenInByte = 0
; NumSgprs: 6
; NumVgprs: 0
; NumAgprs: 0
; TotalNumVgprs: 0
; ScratchSize: 0
; MemoryBound: 0
; FloatMode: 240
; IeeeMode: 1
; LDSByteSize: 0 bytes/workgroup (compile time only)
; SGPRBlocks: 0
; VGPRBlocks: 0
; NumSGPRsForWavesPerEU: 6
; NumVGPRsForWavesPerEU: 1
; AccumOffset: 4
; Occupancy: 8
; WaveLimiterHint : 0
; COMPUTE_PGM_RSRC2:SCRATCH_EN: 0
; COMPUTE_PGM_RSRC2:USER_SGPR: 2
; COMPUTE_PGM_RSRC2:TRAP_HANDLER: 0
; COMPUTE_PGM_RSRC2:TGID_X_EN: 1
; COMPUTE_PGM_RSRC2:TGID_Y_EN: 0
; COMPUTE_PGM_RSRC2:TGID_Z_EN: 0
; COMPUTE_PGM_RSRC2:TIDIG_COMP_CNT: 0
; COMPUTE_PGM_RSRC3_GFX90A:ACCUM_OFFSET: 0
; COMPUTE_PGM_RSRC3_GFX90A:TG_SPLIT: 0
	.section	.text._ZN7rocprim17ROCPRIM_400000_NS6detail17trampoline_kernelINS0_14default_configENS1_20scan_config_selectorIfEEZZNS1_9scan_implILNS1_25lookback_scan_determinismE0ELb0ELb0ES3_PKfPffZZZN2at6native31launch_logcumsumexp_cuda_kernelERKNSB_10TensorBaseESF_lENKUlvE_clEvENKUlvE0_clEvEUlffE_fEEDaPvRmT3_T4_T5_mT6_P12ihipStream_tbENKUlT_T0_E_clISt17integral_constantIbLb1EESW_EEDaSR_SS_EUlSR_E_NS1_11comp_targetILNS1_3genE10ELNS1_11target_archE1201ELNS1_3gpuE5ELNS1_3repE0EEENS1_30default_config_static_selectorELNS0_4arch9wavefront6targetE1EEEvT1_,"axG",@progbits,_ZN7rocprim17ROCPRIM_400000_NS6detail17trampoline_kernelINS0_14default_configENS1_20scan_config_selectorIfEEZZNS1_9scan_implILNS1_25lookback_scan_determinismE0ELb0ELb0ES3_PKfPffZZZN2at6native31launch_logcumsumexp_cuda_kernelERKNSB_10TensorBaseESF_lENKUlvE_clEvENKUlvE0_clEvEUlffE_fEEDaPvRmT3_T4_T5_mT6_P12ihipStream_tbENKUlT_T0_E_clISt17integral_constantIbLb1EESW_EEDaSR_SS_EUlSR_E_NS1_11comp_targetILNS1_3genE10ELNS1_11target_archE1201ELNS1_3gpuE5ELNS1_3repE0EEENS1_30default_config_static_selectorELNS0_4arch9wavefront6targetE1EEEvT1_,comdat
	.globl	_ZN7rocprim17ROCPRIM_400000_NS6detail17trampoline_kernelINS0_14default_configENS1_20scan_config_selectorIfEEZZNS1_9scan_implILNS1_25lookback_scan_determinismE0ELb0ELb0ES3_PKfPffZZZN2at6native31launch_logcumsumexp_cuda_kernelERKNSB_10TensorBaseESF_lENKUlvE_clEvENKUlvE0_clEvEUlffE_fEEDaPvRmT3_T4_T5_mT6_P12ihipStream_tbENKUlT_T0_E_clISt17integral_constantIbLb1EESW_EEDaSR_SS_EUlSR_E_NS1_11comp_targetILNS1_3genE10ELNS1_11target_archE1201ELNS1_3gpuE5ELNS1_3repE0EEENS1_30default_config_static_selectorELNS0_4arch9wavefront6targetE1EEEvT1_ ; -- Begin function _ZN7rocprim17ROCPRIM_400000_NS6detail17trampoline_kernelINS0_14default_configENS1_20scan_config_selectorIfEEZZNS1_9scan_implILNS1_25lookback_scan_determinismE0ELb0ELb0ES3_PKfPffZZZN2at6native31launch_logcumsumexp_cuda_kernelERKNSB_10TensorBaseESF_lENKUlvE_clEvENKUlvE0_clEvEUlffE_fEEDaPvRmT3_T4_T5_mT6_P12ihipStream_tbENKUlT_T0_E_clISt17integral_constantIbLb1EESW_EEDaSR_SS_EUlSR_E_NS1_11comp_targetILNS1_3genE10ELNS1_11target_archE1201ELNS1_3gpuE5ELNS1_3repE0EEENS1_30default_config_static_selectorELNS0_4arch9wavefront6targetE1EEEvT1_
	.p2align	8
	.type	_ZN7rocprim17ROCPRIM_400000_NS6detail17trampoline_kernelINS0_14default_configENS1_20scan_config_selectorIfEEZZNS1_9scan_implILNS1_25lookback_scan_determinismE0ELb0ELb0ES3_PKfPffZZZN2at6native31launch_logcumsumexp_cuda_kernelERKNSB_10TensorBaseESF_lENKUlvE_clEvENKUlvE0_clEvEUlffE_fEEDaPvRmT3_T4_T5_mT6_P12ihipStream_tbENKUlT_T0_E_clISt17integral_constantIbLb1EESW_EEDaSR_SS_EUlSR_E_NS1_11comp_targetILNS1_3genE10ELNS1_11target_archE1201ELNS1_3gpuE5ELNS1_3repE0EEENS1_30default_config_static_selectorELNS0_4arch9wavefront6targetE1EEEvT1_,@function
_ZN7rocprim17ROCPRIM_400000_NS6detail17trampoline_kernelINS0_14default_configENS1_20scan_config_selectorIfEEZZNS1_9scan_implILNS1_25lookback_scan_determinismE0ELb0ELb0ES3_PKfPffZZZN2at6native31launch_logcumsumexp_cuda_kernelERKNSB_10TensorBaseESF_lENKUlvE_clEvENKUlvE0_clEvEUlffE_fEEDaPvRmT3_T4_T5_mT6_P12ihipStream_tbENKUlT_T0_E_clISt17integral_constantIbLb1EESW_EEDaSR_SS_EUlSR_E_NS1_11comp_targetILNS1_3genE10ELNS1_11target_archE1201ELNS1_3gpuE5ELNS1_3repE0EEENS1_30default_config_static_selectorELNS0_4arch9wavefront6targetE1EEEvT1_: ; @_ZN7rocprim17ROCPRIM_400000_NS6detail17trampoline_kernelINS0_14default_configENS1_20scan_config_selectorIfEEZZNS1_9scan_implILNS1_25lookback_scan_determinismE0ELb0ELb0ES3_PKfPffZZZN2at6native31launch_logcumsumexp_cuda_kernelERKNSB_10TensorBaseESF_lENKUlvE_clEvENKUlvE0_clEvEUlffE_fEEDaPvRmT3_T4_T5_mT6_P12ihipStream_tbENKUlT_T0_E_clISt17integral_constantIbLb1EESW_EEDaSR_SS_EUlSR_E_NS1_11comp_targetILNS1_3genE10ELNS1_11target_archE1201ELNS1_3gpuE5ELNS1_3repE0EEENS1_30default_config_static_selectorELNS0_4arch9wavefront6targetE1EEEvT1_
; %bb.0:
	.section	.rodata,"a",@progbits
	.p2align	6, 0x0
	.amdhsa_kernel _ZN7rocprim17ROCPRIM_400000_NS6detail17trampoline_kernelINS0_14default_configENS1_20scan_config_selectorIfEEZZNS1_9scan_implILNS1_25lookback_scan_determinismE0ELb0ELb0ES3_PKfPffZZZN2at6native31launch_logcumsumexp_cuda_kernelERKNSB_10TensorBaseESF_lENKUlvE_clEvENKUlvE0_clEvEUlffE_fEEDaPvRmT3_T4_T5_mT6_P12ihipStream_tbENKUlT_T0_E_clISt17integral_constantIbLb1EESW_EEDaSR_SS_EUlSR_E_NS1_11comp_targetILNS1_3genE10ELNS1_11target_archE1201ELNS1_3gpuE5ELNS1_3repE0EEENS1_30default_config_static_selectorELNS0_4arch9wavefront6targetE1EEEvT1_
		.amdhsa_group_segment_fixed_size 0
		.amdhsa_private_segment_fixed_size 0
		.amdhsa_kernarg_size 96
		.amdhsa_user_sgpr_count 2
		.amdhsa_user_sgpr_dispatch_ptr 0
		.amdhsa_user_sgpr_queue_ptr 0
		.amdhsa_user_sgpr_kernarg_segment_ptr 1
		.amdhsa_user_sgpr_dispatch_id 0
		.amdhsa_user_sgpr_kernarg_preload_length 0
		.amdhsa_user_sgpr_kernarg_preload_offset 0
		.amdhsa_user_sgpr_private_segment_size 0
		.amdhsa_uses_dynamic_stack 0
		.amdhsa_enable_private_segment 0
		.amdhsa_system_sgpr_workgroup_id_x 1
		.amdhsa_system_sgpr_workgroup_id_y 0
		.amdhsa_system_sgpr_workgroup_id_z 0
		.amdhsa_system_sgpr_workgroup_info 0
		.amdhsa_system_vgpr_workitem_id 0
		.amdhsa_next_free_vgpr 1
		.amdhsa_next_free_sgpr 0
		.amdhsa_accum_offset 4
		.amdhsa_reserve_vcc 0
		.amdhsa_float_round_mode_32 0
		.amdhsa_float_round_mode_16_64 0
		.amdhsa_float_denorm_mode_32 3
		.amdhsa_float_denorm_mode_16_64 3
		.amdhsa_dx10_clamp 1
		.amdhsa_ieee_mode 1
		.amdhsa_fp16_overflow 0
		.amdhsa_tg_split 0
		.amdhsa_exception_fp_ieee_invalid_op 0
		.amdhsa_exception_fp_denorm_src 0
		.amdhsa_exception_fp_ieee_div_zero 0
		.amdhsa_exception_fp_ieee_overflow 0
		.amdhsa_exception_fp_ieee_underflow 0
		.amdhsa_exception_fp_ieee_inexact 0
		.amdhsa_exception_int_div_zero 0
	.end_amdhsa_kernel
	.section	.text._ZN7rocprim17ROCPRIM_400000_NS6detail17trampoline_kernelINS0_14default_configENS1_20scan_config_selectorIfEEZZNS1_9scan_implILNS1_25lookback_scan_determinismE0ELb0ELb0ES3_PKfPffZZZN2at6native31launch_logcumsumexp_cuda_kernelERKNSB_10TensorBaseESF_lENKUlvE_clEvENKUlvE0_clEvEUlffE_fEEDaPvRmT3_T4_T5_mT6_P12ihipStream_tbENKUlT_T0_E_clISt17integral_constantIbLb1EESW_EEDaSR_SS_EUlSR_E_NS1_11comp_targetILNS1_3genE10ELNS1_11target_archE1201ELNS1_3gpuE5ELNS1_3repE0EEENS1_30default_config_static_selectorELNS0_4arch9wavefront6targetE1EEEvT1_,"axG",@progbits,_ZN7rocprim17ROCPRIM_400000_NS6detail17trampoline_kernelINS0_14default_configENS1_20scan_config_selectorIfEEZZNS1_9scan_implILNS1_25lookback_scan_determinismE0ELb0ELb0ES3_PKfPffZZZN2at6native31launch_logcumsumexp_cuda_kernelERKNSB_10TensorBaseESF_lENKUlvE_clEvENKUlvE0_clEvEUlffE_fEEDaPvRmT3_T4_T5_mT6_P12ihipStream_tbENKUlT_T0_E_clISt17integral_constantIbLb1EESW_EEDaSR_SS_EUlSR_E_NS1_11comp_targetILNS1_3genE10ELNS1_11target_archE1201ELNS1_3gpuE5ELNS1_3repE0EEENS1_30default_config_static_selectorELNS0_4arch9wavefront6targetE1EEEvT1_,comdat
.Lfunc_end126:
	.size	_ZN7rocprim17ROCPRIM_400000_NS6detail17trampoline_kernelINS0_14default_configENS1_20scan_config_selectorIfEEZZNS1_9scan_implILNS1_25lookback_scan_determinismE0ELb0ELb0ES3_PKfPffZZZN2at6native31launch_logcumsumexp_cuda_kernelERKNSB_10TensorBaseESF_lENKUlvE_clEvENKUlvE0_clEvEUlffE_fEEDaPvRmT3_T4_T5_mT6_P12ihipStream_tbENKUlT_T0_E_clISt17integral_constantIbLb1EESW_EEDaSR_SS_EUlSR_E_NS1_11comp_targetILNS1_3genE10ELNS1_11target_archE1201ELNS1_3gpuE5ELNS1_3repE0EEENS1_30default_config_static_selectorELNS0_4arch9wavefront6targetE1EEEvT1_, .Lfunc_end126-_ZN7rocprim17ROCPRIM_400000_NS6detail17trampoline_kernelINS0_14default_configENS1_20scan_config_selectorIfEEZZNS1_9scan_implILNS1_25lookback_scan_determinismE0ELb0ELb0ES3_PKfPffZZZN2at6native31launch_logcumsumexp_cuda_kernelERKNSB_10TensorBaseESF_lENKUlvE_clEvENKUlvE0_clEvEUlffE_fEEDaPvRmT3_T4_T5_mT6_P12ihipStream_tbENKUlT_T0_E_clISt17integral_constantIbLb1EESW_EEDaSR_SS_EUlSR_E_NS1_11comp_targetILNS1_3genE10ELNS1_11target_archE1201ELNS1_3gpuE5ELNS1_3repE0EEENS1_30default_config_static_selectorELNS0_4arch9wavefront6targetE1EEEvT1_
                                        ; -- End function
	.section	.AMDGPU.csdata,"",@progbits
; Kernel info:
; codeLenInByte = 0
; NumSgprs: 6
; NumVgprs: 0
; NumAgprs: 0
; TotalNumVgprs: 0
; ScratchSize: 0
; MemoryBound: 0
; FloatMode: 240
; IeeeMode: 1
; LDSByteSize: 0 bytes/workgroup (compile time only)
; SGPRBlocks: 0
; VGPRBlocks: 0
; NumSGPRsForWavesPerEU: 6
; NumVGPRsForWavesPerEU: 1
; AccumOffset: 4
; Occupancy: 8
; WaveLimiterHint : 0
; COMPUTE_PGM_RSRC2:SCRATCH_EN: 0
; COMPUTE_PGM_RSRC2:USER_SGPR: 2
; COMPUTE_PGM_RSRC2:TRAP_HANDLER: 0
; COMPUTE_PGM_RSRC2:TGID_X_EN: 1
; COMPUTE_PGM_RSRC2:TGID_Y_EN: 0
; COMPUTE_PGM_RSRC2:TGID_Z_EN: 0
; COMPUTE_PGM_RSRC2:TIDIG_COMP_CNT: 0
; COMPUTE_PGM_RSRC3_GFX90A:ACCUM_OFFSET: 0
; COMPUTE_PGM_RSRC3_GFX90A:TG_SPLIT: 0
	.section	.text._ZN7rocprim17ROCPRIM_400000_NS6detail17trampoline_kernelINS0_14default_configENS1_20scan_config_selectorIfEEZZNS1_9scan_implILNS1_25lookback_scan_determinismE0ELb0ELb0ES3_PKfPffZZZN2at6native31launch_logcumsumexp_cuda_kernelERKNSB_10TensorBaseESF_lENKUlvE_clEvENKUlvE0_clEvEUlffE_fEEDaPvRmT3_T4_T5_mT6_P12ihipStream_tbENKUlT_T0_E_clISt17integral_constantIbLb1EESW_EEDaSR_SS_EUlSR_E_NS1_11comp_targetILNS1_3genE10ELNS1_11target_archE1200ELNS1_3gpuE4ELNS1_3repE0EEENS1_30default_config_static_selectorELNS0_4arch9wavefront6targetE1EEEvT1_,"axG",@progbits,_ZN7rocprim17ROCPRIM_400000_NS6detail17trampoline_kernelINS0_14default_configENS1_20scan_config_selectorIfEEZZNS1_9scan_implILNS1_25lookback_scan_determinismE0ELb0ELb0ES3_PKfPffZZZN2at6native31launch_logcumsumexp_cuda_kernelERKNSB_10TensorBaseESF_lENKUlvE_clEvENKUlvE0_clEvEUlffE_fEEDaPvRmT3_T4_T5_mT6_P12ihipStream_tbENKUlT_T0_E_clISt17integral_constantIbLb1EESW_EEDaSR_SS_EUlSR_E_NS1_11comp_targetILNS1_3genE10ELNS1_11target_archE1200ELNS1_3gpuE4ELNS1_3repE0EEENS1_30default_config_static_selectorELNS0_4arch9wavefront6targetE1EEEvT1_,comdat
	.globl	_ZN7rocprim17ROCPRIM_400000_NS6detail17trampoline_kernelINS0_14default_configENS1_20scan_config_selectorIfEEZZNS1_9scan_implILNS1_25lookback_scan_determinismE0ELb0ELb0ES3_PKfPffZZZN2at6native31launch_logcumsumexp_cuda_kernelERKNSB_10TensorBaseESF_lENKUlvE_clEvENKUlvE0_clEvEUlffE_fEEDaPvRmT3_T4_T5_mT6_P12ihipStream_tbENKUlT_T0_E_clISt17integral_constantIbLb1EESW_EEDaSR_SS_EUlSR_E_NS1_11comp_targetILNS1_3genE10ELNS1_11target_archE1200ELNS1_3gpuE4ELNS1_3repE0EEENS1_30default_config_static_selectorELNS0_4arch9wavefront6targetE1EEEvT1_ ; -- Begin function _ZN7rocprim17ROCPRIM_400000_NS6detail17trampoline_kernelINS0_14default_configENS1_20scan_config_selectorIfEEZZNS1_9scan_implILNS1_25lookback_scan_determinismE0ELb0ELb0ES3_PKfPffZZZN2at6native31launch_logcumsumexp_cuda_kernelERKNSB_10TensorBaseESF_lENKUlvE_clEvENKUlvE0_clEvEUlffE_fEEDaPvRmT3_T4_T5_mT6_P12ihipStream_tbENKUlT_T0_E_clISt17integral_constantIbLb1EESW_EEDaSR_SS_EUlSR_E_NS1_11comp_targetILNS1_3genE10ELNS1_11target_archE1200ELNS1_3gpuE4ELNS1_3repE0EEENS1_30default_config_static_selectorELNS0_4arch9wavefront6targetE1EEEvT1_
	.p2align	8
	.type	_ZN7rocprim17ROCPRIM_400000_NS6detail17trampoline_kernelINS0_14default_configENS1_20scan_config_selectorIfEEZZNS1_9scan_implILNS1_25lookback_scan_determinismE0ELb0ELb0ES3_PKfPffZZZN2at6native31launch_logcumsumexp_cuda_kernelERKNSB_10TensorBaseESF_lENKUlvE_clEvENKUlvE0_clEvEUlffE_fEEDaPvRmT3_T4_T5_mT6_P12ihipStream_tbENKUlT_T0_E_clISt17integral_constantIbLb1EESW_EEDaSR_SS_EUlSR_E_NS1_11comp_targetILNS1_3genE10ELNS1_11target_archE1200ELNS1_3gpuE4ELNS1_3repE0EEENS1_30default_config_static_selectorELNS0_4arch9wavefront6targetE1EEEvT1_,@function
_ZN7rocprim17ROCPRIM_400000_NS6detail17trampoline_kernelINS0_14default_configENS1_20scan_config_selectorIfEEZZNS1_9scan_implILNS1_25lookback_scan_determinismE0ELb0ELb0ES3_PKfPffZZZN2at6native31launch_logcumsumexp_cuda_kernelERKNSB_10TensorBaseESF_lENKUlvE_clEvENKUlvE0_clEvEUlffE_fEEDaPvRmT3_T4_T5_mT6_P12ihipStream_tbENKUlT_T0_E_clISt17integral_constantIbLb1EESW_EEDaSR_SS_EUlSR_E_NS1_11comp_targetILNS1_3genE10ELNS1_11target_archE1200ELNS1_3gpuE4ELNS1_3repE0EEENS1_30default_config_static_selectorELNS0_4arch9wavefront6targetE1EEEvT1_: ; @_ZN7rocprim17ROCPRIM_400000_NS6detail17trampoline_kernelINS0_14default_configENS1_20scan_config_selectorIfEEZZNS1_9scan_implILNS1_25lookback_scan_determinismE0ELb0ELb0ES3_PKfPffZZZN2at6native31launch_logcumsumexp_cuda_kernelERKNSB_10TensorBaseESF_lENKUlvE_clEvENKUlvE0_clEvEUlffE_fEEDaPvRmT3_T4_T5_mT6_P12ihipStream_tbENKUlT_T0_E_clISt17integral_constantIbLb1EESW_EEDaSR_SS_EUlSR_E_NS1_11comp_targetILNS1_3genE10ELNS1_11target_archE1200ELNS1_3gpuE4ELNS1_3repE0EEENS1_30default_config_static_selectorELNS0_4arch9wavefront6targetE1EEEvT1_
; %bb.0:
	.section	.rodata,"a",@progbits
	.p2align	6, 0x0
	.amdhsa_kernel _ZN7rocprim17ROCPRIM_400000_NS6detail17trampoline_kernelINS0_14default_configENS1_20scan_config_selectorIfEEZZNS1_9scan_implILNS1_25lookback_scan_determinismE0ELb0ELb0ES3_PKfPffZZZN2at6native31launch_logcumsumexp_cuda_kernelERKNSB_10TensorBaseESF_lENKUlvE_clEvENKUlvE0_clEvEUlffE_fEEDaPvRmT3_T4_T5_mT6_P12ihipStream_tbENKUlT_T0_E_clISt17integral_constantIbLb1EESW_EEDaSR_SS_EUlSR_E_NS1_11comp_targetILNS1_3genE10ELNS1_11target_archE1200ELNS1_3gpuE4ELNS1_3repE0EEENS1_30default_config_static_selectorELNS0_4arch9wavefront6targetE1EEEvT1_
		.amdhsa_group_segment_fixed_size 0
		.amdhsa_private_segment_fixed_size 0
		.amdhsa_kernarg_size 96
		.amdhsa_user_sgpr_count 2
		.amdhsa_user_sgpr_dispatch_ptr 0
		.amdhsa_user_sgpr_queue_ptr 0
		.amdhsa_user_sgpr_kernarg_segment_ptr 1
		.amdhsa_user_sgpr_dispatch_id 0
		.amdhsa_user_sgpr_kernarg_preload_length 0
		.amdhsa_user_sgpr_kernarg_preload_offset 0
		.amdhsa_user_sgpr_private_segment_size 0
		.amdhsa_uses_dynamic_stack 0
		.amdhsa_enable_private_segment 0
		.amdhsa_system_sgpr_workgroup_id_x 1
		.amdhsa_system_sgpr_workgroup_id_y 0
		.amdhsa_system_sgpr_workgroup_id_z 0
		.amdhsa_system_sgpr_workgroup_info 0
		.amdhsa_system_vgpr_workitem_id 0
		.amdhsa_next_free_vgpr 1
		.amdhsa_next_free_sgpr 0
		.amdhsa_accum_offset 4
		.amdhsa_reserve_vcc 0
		.amdhsa_float_round_mode_32 0
		.amdhsa_float_round_mode_16_64 0
		.amdhsa_float_denorm_mode_32 3
		.amdhsa_float_denorm_mode_16_64 3
		.amdhsa_dx10_clamp 1
		.amdhsa_ieee_mode 1
		.amdhsa_fp16_overflow 0
		.amdhsa_tg_split 0
		.amdhsa_exception_fp_ieee_invalid_op 0
		.amdhsa_exception_fp_denorm_src 0
		.amdhsa_exception_fp_ieee_div_zero 0
		.amdhsa_exception_fp_ieee_overflow 0
		.amdhsa_exception_fp_ieee_underflow 0
		.amdhsa_exception_fp_ieee_inexact 0
		.amdhsa_exception_int_div_zero 0
	.end_amdhsa_kernel
	.section	.text._ZN7rocprim17ROCPRIM_400000_NS6detail17trampoline_kernelINS0_14default_configENS1_20scan_config_selectorIfEEZZNS1_9scan_implILNS1_25lookback_scan_determinismE0ELb0ELb0ES3_PKfPffZZZN2at6native31launch_logcumsumexp_cuda_kernelERKNSB_10TensorBaseESF_lENKUlvE_clEvENKUlvE0_clEvEUlffE_fEEDaPvRmT3_T4_T5_mT6_P12ihipStream_tbENKUlT_T0_E_clISt17integral_constantIbLb1EESW_EEDaSR_SS_EUlSR_E_NS1_11comp_targetILNS1_3genE10ELNS1_11target_archE1200ELNS1_3gpuE4ELNS1_3repE0EEENS1_30default_config_static_selectorELNS0_4arch9wavefront6targetE1EEEvT1_,"axG",@progbits,_ZN7rocprim17ROCPRIM_400000_NS6detail17trampoline_kernelINS0_14default_configENS1_20scan_config_selectorIfEEZZNS1_9scan_implILNS1_25lookback_scan_determinismE0ELb0ELb0ES3_PKfPffZZZN2at6native31launch_logcumsumexp_cuda_kernelERKNSB_10TensorBaseESF_lENKUlvE_clEvENKUlvE0_clEvEUlffE_fEEDaPvRmT3_T4_T5_mT6_P12ihipStream_tbENKUlT_T0_E_clISt17integral_constantIbLb1EESW_EEDaSR_SS_EUlSR_E_NS1_11comp_targetILNS1_3genE10ELNS1_11target_archE1200ELNS1_3gpuE4ELNS1_3repE0EEENS1_30default_config_static_selectorELNS0_4arch9wavefront6targetE1EEEvT1_,comdat
.Lfunc_end127:
	.size	_ZN7rocprim17ROCPRIM_400000_NS6detail17trampoline_kernelINS0_14default_configENS1_20scan_config_selectorIfEEZZNS1_9scan_implILNS1_25lookback_scan_determinismE0ELb0ELb0ES3_PKfPffZZZN2at6native31launch_logcumsumexp_cuda_kernelERKNSB_10TensorBaseESF_lENKUlvE_clEvENKUlvE0_clEvEUlffE_fEEDaPvRmT3_T4_T5_mT6_P12ihipStream_tbENKUlT_T0_E_clISt17integral_constantIbLb1EESW_EEDaSR_SS_EUlSR_E_NS1_11comp_targetILNS1_3genE10ELNS1_11target_archE1200ELNS1_3gpuE4ELNS1_3repE0EEENS1_30default_config_static_selectorELNS0_4arch9wavefront6targetE1EEEvT1_, .Lfunc_end127-_ZN7rocprim17ROCPRIM_400000_NS6detail17trampoline_kernelINS0_14default_configENS1_20scan_config_selectorIfEEZZNS1_9scan_implILNS1_25lookback_scan_determinismE0ELb0ELb0ES3_PKfPffZZZN2at6native31launch_logcumsumexp_cuda_kernelERKNSB_10TensorBaseESF_lENKUlvE_clEvENKUlvE0_clEvEUlffE_fEEDaPvRmT3_T4_T5_mT6_P12ihipStream_tbENKUlT_T0_E_clISt17integral_constantIbLb1EESW_EEDaSR_SS_EUlSR_E_NS1_11comp_targetILNS1_3genE10ELNS1_11target_archE1200ELNS1_3gpuE4ELNS1_3repE0EEENS1_30default_config_static_selectorELNS0_4arch9wavefront6targetE1EEEvT1_
                                        ; -- End function
	.section	.AMDGPU.csdata,"",@progbits
; Kernel info:
; codeLenInByte = 0
; NumSgprs: 6
; NumVgprs: 0
; NumAgprs: 0
; TotalNumVgprs: 0
; ScratchSize: 0
; MemoryBound: 0
; FloatMode: 240
; IeeeMode: 1
; LDSByteSize: 0 bytes/workgroup (compile time only)
; SGPRBlocks: 0
; VGPRBlocks: 0
; NumSGPRsForWavesPerEU: 6
; NumVGPRsForWavesPerEU: 1
; AccumOffset: 4
; Occupancy: 8
; WaveLimiterHint : 0
; COMPUTE_PGM_RSRC2:SCRATCH_EN: 0
; COMPUTE_PGM_RSRC2:USER_SGPR: 2
; COMPUTE_PGM_RSRC2:TRAP_HANDLER: 0
; COMPUTE_PGM_RSRC2:TGID_X_EN: 1
; COMPUTE_PGM_RSRC2:TGID_Y_EN: 0
; COMPUTE_PGM_RSRC2:TGID_Z_EN: 0
; COMPUTE_PGM_RSRC2:TIDIG_COMP_CNT: 0
; COMPUTE_PGM_RSRC3_GFX90A:ACCUM_OFFSET: 0
; COMPUTE_PGM_RSRC3_GFX90A:TG_SPLIT: 0
	.section	.text._ZN7rocprim17ROCPRIM_400000_NS6detail17trampoline_kernelINS0_14default_configENS1_20scan_config_selectorIfEEZZNS1_9scan_implILNS1_25lookback_scan_determinismE0ELb0ELb0ES3_PKfPffZZZN2at6native31launch_logcumsumexp_cuda_kernelERKNSB_10TensorBaseESF_lENKUlvE_clEvENKUlvE0_clEvEUlffE_fEEDaPvRmT3_T4_T5_mT6_P12ihipStream_tbENKUlT_T0_E_clISt17integral_constantIbLb1EESW_EEDaSR_SS_EUlSR_E_NS1_11comp_targetILNS1_3genE9ELNS1_11target_archE1100ELNS1_3gpuE3ELNS1_3repE0EEENS1_30default_config_static_selectorELNS0_4arch9wavefront6targetE1EEEvT1_,"axG",@progbits,_ZN7rocprim17ROCPRIM_400000_NS6detail17trampoline_kernelINS0_14default_configENS1_20scan_config_selectorIfEEZZNS1_9scan_implILNS1_25lookback_scan_determinismE0ELb0ELb0ES3_PKfPffZZZN2at6native31launch_logcumsumexp_cuda_kernelERKNSB_10TensorBaseESF_lENKUlvE_clEvENKUlvE0_clEvEUlffE_fEEDaPvRmT3_T4_T5_mT6_P12ihipStream_tbENKUlT_T0_E_clISt17integral_constantIbLb1EESW_EEDaSR_SS_EUlSR_E_NS1_11comp_targetILNS1_3genE9ELNS1_11target_archE1100ELNS1_3gpuE3ELNS1_3repE0EEENS1_30default_config_static_selectorELNS0_4arch9wavefront6targetE1EEEvT1_,comdat
	.globl	_ZN7rocprim17ROCPRIM_400000_NS6detail17trampoline_kernelINS0_14default_configENS1_20scan_config_selectorIfEEZZNS1_9scan_implILNS1_25lookback_scan_determinismE0ELb0ELb0ES3_PKfPffZZZN2at6native31launch_logcumsumexp_cuda_kernelERKNSB_10TensorBaseESF_lENKUlvE_clEvENKUlvE0_clEvEUlffE_fEEDaPvRmT3_T4_T5_mT6_P12ihipStream_tbENKUlT_T0_E_clISt17integral_constantIbLb1EESW_EEDaSR_SS_EUlSR_E_NS1_11comp_targetILNS1_3genE9ELNS1_11target_archE1100ELNS1_3gpuE3ELNS1_3repE0EEENS1_30default_config_static_selectorELNS0_4arch9wavefront6targetE1EEEvT1_ ; -- Begin function _ZN7rocprim17ROCPRIM_400000_NS6detail17trampoline_kernelINS0_14default_configENS1_20scan_config_selectorIfEEZZNS1_9scan_implILNS1_25lookback_scan_determinismE0ELb0ELb0ES3_PKfPffZZZN2at6native31launch_logcumsumexp_cuda_kernelERKNSB_10TensorBaseESF_lENKUlvE_clEvENKUlvE0_clEvEUlffE_fEEDaPvRmT3_T4_T5_mT6_P12ihipStream_tbENKUlT_T0_E_clISt17integral_constantIbLb1EESW_EEDaSR_SS_EUlSR_E_NS1_11comp_targetILNS1_3genE9ELNS1_11target_archE1100ELNS1_3gpuE3ELNS1_3repE0EEENS1_30default_config_static_selectorELNS0_4arch9wavefront6targetE1EEEvT1_
	.p2align	8
	.type	_ZN7rocprim17ROCPRIM_400000_NS6detail17trampoline_kernelINS0_14default_configENS1_20scan_config_selectorIfEEZZNS1_9scan_implILNS1_25lookback_scan_determinismE0ELb0ELb0ES3_PKfPffZZZN2at6native31launch_logcumsumexp_cuda_kernelERKNSB_10TensorBaseESF_lENKUlvE_clEvENKUlvE0_clEvEUlffE_fEEDaPvRmT3_T4_T5_mT6_P12ihipStream_tbENKUlT_T0_E_clISt17integral_constantIbLb1EESW_EEDaSR_SS_EUlSR_E_NS1_11comp_targetILNS1_3genE9ELNS1_11target_archE1100ELNS1_3gpuE3ELNS1_3repE0EEENS1_30default_config_static_selectorELNS0_4arch9wavefront6targetE1EEEvT1_,@function
_ZN7rocprim17ROCPRIM_400000_NS6detail17trampoline_kernelINS0_14default_configENS1_20scan_config_selectorIfEEZZNS1_9scan_implILNS1_25lookback_scan_determinismE0ELb0ELb0ES3_PKfPffZZZN2at6native31launch_logcumsumexp_cuda_kernelERKNSB_10TensorBaseESF_lENKUlvE_clEvENKUlvE0_clEvEUlffE_fEEDaPvRmT3_T4_T5_mT6_P12ihipStream_tbENKUlT_T0_E_clISt17integral_constantIbLb1EESW_EEDaSR_SS_EUlSR_E_NS1_11comp_targetILNS1_3genE9ELNS1_11target_archE1100ELNS1_3gpuE3ELNS1_3repE0EEENS1_30default_config_static_selectorELNS0_4arch9wavefront6targetE1EEEvT1_: ; @_ZN7rocprim17ROCPRIM_400000_NS6detail17trampoline_kernelINS0_14default_configENS1_20scan_config_selectorIfEEZZNS1_9scan_implILNS1_25lookback_scan_determinismE0ELb0ELb0ES3_PKfPffZZZN2at6native31launch_logcumsumexp_cuda_kernelERKNSB_10TensorBaseESF_lENKUlvE_clEvENKUlvE0_clEvEUlffE_fEEDaPvRmT3_T4_T5_mT6_P12ihipStream_tbENKUlT_T0_E_clISt17integral_constantIbLb1EESW_EEDaSR_SS_EUlSR_E_NS1_11comp_targetILNS1_3genE9ELNS1_11target_archE1100ELNS1_3gpuE3ELNS1_3repE0EEENS1_30default_config_static_selectorELNS0_4arch9wavefront6targetE1EEEvT1_
; %bb.0:
	.section	.rodata,"a",@progbits
	.p2align	6, 0x0
	.amdhsa_kernel _ZN7rocprim17ROCPRIM_400000_NS6detail17trampoline_kernelINS0_14default_configENS1_20scan_config_selectorIfEEZZNS1_9scan_implILNS1_25lookback_scan_determinismE0ELb0ELb0ES3_PKfPffZZZN2at6native31launch_logcumsumexp_cuda_kernelERKNSB_10TensorBaseESF_lENKUlvE_clEvENKUlvE0_clEvEUlffE_fEEDaPvRmT3_T4_T5_mT6_P12ihipStream_tbENKUlT_T0_E_clISt17integral_constantIbLb1EESW_EEDaSR_SS_EUlSR_E_NS1_11comp_targetILNS1_3genE9ELNS1_11target_archE1100ELNS1_3gpuE3ELNS1_3repE0EEENS1_30default_config_static_selectorELNS0_4arch9wavefront6targetE1EEEvT1_
		.amdhsa_group_segment_fixed_size 0
		.amdhsa_private_segment_fixed_size 0
		.amdhsa_kernarg_size 96
		.amdhsa_user_sgpr_count 2
		.amdhsa_user_sgpr_dispatch_ptr 0
		.amdhsa_user_sgpr_queue_ptr 0
		.amdhsa_user_sgpr_kernarg_segment_ptr 1
		.amdhsa_user_sgpr_dispatch_id 0
		.amdhsa_user_sgpr_kernarg_preload_length 0
		.amdhsa_user_sgpr_kernarg_preload_offset 0
		.amdhsa_user_sgpr_private_segment_size 0
		.amdhsa_uses_dynamic_stack 0
		.amdhsa_enable_private_segment 0
		.amdhsa_system_sgpr_workgroup_id_x 1
		.amdhsa_system_sgpr_workgroup_id_y 0
		.amdhsa_system_sgpr_workgroup_id_z 0
		.amdhsa_system_sgpr_workgroup_info 0
		.amdhsa_system_vgpr_workitem_id 0
		.amdhsa_next_free_vgpr 1
		.amdhsa_next_free_sgpr 0
		.amdhsa_accum_offset 4
		.amdhsa_reserve_vcc 0
		.amdhsa_float_round_mode_32 0
		.amdhsa_float_round_mode_16_64 0
		.amdhsa_float_denorm_mode_32 3
		.amdhsa_float_denorm_mode_16_64 3
		.amdhsa_dx10_clamp 1
		.amdhsa_ieee_mode 1
		.amdhsa_fp16_overflow 0
		.amdhsa_tg_split 0
		.amdhsa_exception_fp_ieee_invalid_op 0
		.amdhsa_exception_fp_denorm_src 0
		.amdhsa_exception_fp_ieee_div_zero 0
		.amdhsa_exception_fp_ieee_overflow 0
		.amdhsa_exception_fp_ieee_underflow 0
		.amdhsa_exception_fp_ieee_inexact 0
		.amdhsa_exception_int_div_zero 0
	.end_amdhsa_kernel
	.section	.text._ZN7rocprim17ROCPRIM_400000_NS6detail17trampoline_kernelINS0_14default_configENS1_20scan_config_selectorIfEEZZNS1_9scan_implILNS1_25lookback_scan_determinismE0ELb0ELb0ES3_PKfPffZZZN2at6native31launch_logcumsumexp_cuda_kernelERKNSB_10TensorBaseESF_lENKUlvE_clEvENKUlvE0_clEvEUlffE_fEEDaPvRmT3_T4_T5_mT6_P12ihipStream_tbENKUlT_T0_E_clISt17integral_constantIbLb1EESW_EEDaSR_SS_EUlSR_E_NS1_11comp_targetILNS1_3genE9ELNS1_11target_archE1100ELNS1_3gpuE3ELNS1_3repE0EEENS1_30default_config_static_selectorELNS0_4arch9wavefront6targetE1EEEvT1_,"axG",@progbits,_ZN7rocprim17ROCPRIM_400000_NS6detail17trampoline_kernelINS0_14default_configENS1_20scan_config_selectorIfEEZZNS1_9scan_implILNS1_25lookback_scan_determinismE0ELb0ELb0ES3_PKfPffZZZN2at6native31launch_logcumsumexp_cuda_kernelERKNSB_10TensorBaseESF_lENKUlvE_clEvENKUlvE0_clEvEUlffE_fEEDaPvRmT3_T4_T5_mT6_P12ihipStream_tbENKUlT_T0_E_clISt17integral_constantIbLb1EESW_EEDaSR_SS_EUlSR_E_NS1_11comp_targetILNS1_3genE9ELNS1_11target_archE1100ELNS1_3gpuE3ELNS1_3repE0EEENS1_30default_config_static_selectorELNS0_4arch9wavefront6targetE1EEEvT1_,comdat
.Lfunc_end128:
	.size	_ZN7rocprim17ROCPRIM_400000_NS6detail17trampoline_kernelINS0_14default_configENS1_20scan_config_selectorIfEEZZNS1_9scan_implILNS1_25lookback_scan_determinismE0ELb0ELb0ES3_PKfPffZZZN2at6native31launch_logcumsumexp_cuda_kernelERKNSB_10TensorBaseESF_lENKUlvE_clEvENKUlvE0_clEvEUlffE_fEEDaPvRmT3_T4_T5_mT6_P12ihipStream_tbENKUlT_T0_E_clISt17integral_constantIbLb1EESW_EEDaSR_SS_EUlSR_E_NS1_11comp_targetILNS1_3genE9ELNS1_11target_archE1100ELNS1_3gpuE3ELNS1_3repE0EEENS1_30default_config_static_selectorELNS0_4arch9wavefront6targetE1EEEvT1_, .Lfunc_end128-_ZN7rocprim17ROCPRIM_400000_NS6detail17trampoline_kernelINS0_14default_configENS1_20scan_config_selectorIfEEZZNS1_9scan_implILNS1_25lookback_scan_determinismE0ELb0ELb0ES3_PKfPffZZZN2at6native31launch_logcumsumexp_cuda_kernelERKNSB_10TensorBaseESF_lENKUlvE_clEvENKUlvE0_clEvEUlffE_fEEDaPvRmT3_T4_T5_mT6_P12ihipStream_tbENKUlT_T0_E_clISt17integral_constantIbLb1EESW_EEDaSR_SS_EUlSR_E_NS1_11comp_targetILNS1_3genE9ELNS1_11target_archE1100ELNS1_3gpuE3ELNS1_3repE0EEENS1_30default_config_static_selectorELNS0_4arch9wavefront6targetE1EEEvT1_
                                        ; -- End function
	.section	.AMDGPU.csdata,"",@progbits
; Kernel info:
; codeLenInByte = 0
; NumSgprs: 6
; NumVgprs: 0
; NumAgprs: 0
; TotalNumVgprs: 0
; ScratchSize: 0
; MemoryBound: 0
; FloatMode: 240
; IeeeMode: 1
; LDSByteSize: 0 bytes/workgroup (compile time only)
; SGPRBlocks: 0
; VGPRBlocks: 0
; NumSGPRsForWavesPerEU: 6
; NumVGPRsForWavesPerEU: 1
; AccumOffset: 4
; Occupancy: 8
; WaveLimiterHint : 0
; COMPUTE_PGM_RSRC2:SCRATCH_EN: 0
; COMPUTE_PGM_RSRC2:USER_SGPR: 2
; COMPUTE_PGM_RSRC2:TRAP_HANDLER: 0
; COMPUTE_PGM_RSRC2:TGID_X_EN: 1
; COMPUTE_PGM_RSRC2:TGID_Y_EN: 0
; COMPUTE_PGM_RSRC2:TGID_Z_EN: 0
; COMPUTE_PGM_RSRC2:TIDIG_COMP_CNT: 0
; COMPUTE_PGM_RSRC3_GFX90A:ACCUM_OFFSET: 0
; COMPUTE_PGM_RSRC3_GFX90A:TG_SPLIT: 0
	.section	.text._ZN7rocprim17ROCPRIM_400000_NS6detail17trampoline_kernelINS0_14default_configENS1_20scan_config_selectorIfEEZZNS1_9scan_implILNS1_25lookback_scan_determinismE0ELb0ELb0ES3_PKfPffZZZN2at6native31launch_logcumsumexp_cuda_kernelERKNSB_10TensorBaseESF_lENKUlvE_clEvENKUlvE0_clEvEUlffE_fEEDaPvRmT3_T4_T5_mT6_P12ihipStream_tbENKUlT_T0_E_clISt17integral_constantIbLb1EESW_EEDaSR_SS_EUlSR_E_NS1_11comp_targetILNS1_3genE8ELNS1_11target_archE1030ELNS1_3gpuE2ELNS1_3repE0EEENS1_30default_config_static_selectorELNS0_4arch9wavefront6targetE1EEEvT1_,"axG",@progbits,_ZN7rocprim17ROCPRIM_400000_NS6detail17trampoline_kernelINS0_14default_configENS1_20scan_config_selectorIfEEZZNS1_9scan_implILNS1_25lookback_scan_determinismE0ELb0ELb0ES3_PKfPffZZZN2at6native31launch_logcumsumexp_cuda_kernelERKNSB_10TensorBaseESF_lENKUlvE_clEvENKUlvE0_clEvEUlffE_fEEDaPvRmT3_T4_T5_mT6_P12ihipStream_tbENKUlT_T0_E_clISt17integral_constantIbLb1EESW_EEDaSR_SS_EUlSR_E_NS1_11comp_targetILNS1_3genE8ELNS1_11target_archE1030ELNS1_3gpuE2ELNS1_3repE0EEENS1_30default_config_static_selectorELNS0_4arch9wavefront6targetE1EEEvT1_,comdat
	.globl	_ZN7rocprim17ROCPRIM_400000_NS6detail17trampoline_kernelINS0_14default_configENS1_20scan_config_selectorIfEEZZNS1_9scan_implILNS1_25lookback_scan_determinismE0ELb0ELb0ES3_PKfPffZZZN2at6native31launch_logcumsumexp_cuda_kernelERKNSB_10TensorBaseESF_lENKUlvE_clEvENKUlvE0_clEvEUlffE_fEEDaPvRmT3_T4_T5_mT6_P12ihipStream_tbENKUlT_T0_E_clISt17integral_constantIbLb1EESW_EEDaSR_SS_EUlSR_E_NS1_11comp_targetILNS1_3genE8ELNS1_11target_archE1030ELNS1_3gpuE2ELNS1_3repE0EEENS1_30default_config_static_selectorELNS0_4arch9wavefront6targetE1EEEvT1_ ; -- Begin function _ZN7rocprim17ROCPRIM_400000_NS6detail17trampoline_kernelINS0_14default_configENS1_20scan_config_selectorIfEEZZNS1_9scan_implILNS1_25lookback_scan_determinismE0ELb0ELb0ES3_PKfPffZZZN2at6native31launch_logcumsumexp_cuda_kernelERKNSB_10TensorBaseESF_lENKUlvE_clEvENKUlvE0_clEvEUlffE_fEEDaPvRmT3_T4_T5_mT6_P12ihipStream_tbENKUlT_T0_E_clISt17integral_constantIbLb1EESW_EEDaSR_SS_EUlSR_E_NS1_11comp_targetILNS1_3genE8ELNS1_11target_archE1030ELNS1_3gpuE2ELNS1_3repE0EEENS1_30default_config_static_selectorELNS0_4arch9wavefront6targetE1EEEvT1_
	.p2align	8
	.type	_ZN7rocprim17ROCPRIM_400000_NS6detail17trampoline_kernelINS0_14default_configENS1_20scan_config_selectorIfEEZZNS1_9scan_implILNS1_25lookback_scan_determinismE0ELb0ELb0ES3_PKfPffZZZN2at6native31launch_logcumsumexp_cuda_kernelERKNSB_10TensorBaseESF_lENKUlvE_clEvENKUlvE0_clEvEUlffE_fEEDaPvRmT3_T4_T5_mT6_P12ihipStream_tbENKUlT_T0_E_clISt17integral_constantIbLb1EESW_EEDaSR_SS_EUlSR_E_NS1_11comp_targetILNS1_3genE8ELNS1_11target_archE1030ELNS1_3gpuE2ELNS1_3repE0EEENS1_30default_config_static_selectorELNS0_4arch9wavefront6targetE1EEEvT1_,@function
_ZN7rocprim17ROCPRIM_400000_NS6detail17trampoline_kernelINS0_14default_configENS1_20scan_config_selectorIfEEZZNS1_9scan_implILNS1_25lookback_scan_determinismE0ELb0ELb0ES3_PKfPffZZZN2at6native31launch_logcumsumexp_cuda_kernelERKNSB_10TensorBaseESF_lENKUlvE_clEvENKUlvE0_clEvEUlffE_fEEDaPvRmT3_T4_T5_mT6_P12ihipStream_tbENKUlT_T0_E_clISt17integral_constantIbLb1EESW_EEDaSR_SS_EUlSR_E_NS1_11comp_targetILNS1_3genE8ELNS1_11target_archE1030ELNS1_3gpuE2ELNS1_3repE0EEENS1_30default_config_static_selectorELNS0_4arch9wavefront6targetE1EEEvT1_: ; @_ZN7rocprim17ROCPRIM_400000_NS6detail17trampoline_kernelINS0_14default_configENS1_20scan_config_selectorIfEEZZNS1_9scan_implILNS1_25lookback_scan_determinismE0ELb0ELb0ES3_PKfPffZZZN2at6native31launch_logcumsumexp_cuda_kernelERKNSB_10TensorBaseESF_lENKUlvE_clEvENKUlvE0_clEvEUlffE_fEEDaPvRmT3_T4_T5_mT6_P12ihipStream_tbENKUlT_T0_E_clISt17integral_constantIbLb1EESW_EEDaSR_SS_EUlSR_E_NS1_11comp_targetILNS1_3genE8ELNS1_11target_archE1030ELNS1_3gpuE2ELNS1_3repE0EEENS1_30default_config_static_selectorELNS0_4arch9wavefront6targetE1EEEvT1_
; %bb.0:
	.section	.rodata,"a",@progbits
	.p2align	6, 0x0
	.amdhsa_kernel _ZN7rocprim17ROCPRIM_400000_NS6detail17trampoline_kernelINS0_14default_configENS1_20scan_config_selectorIfEEZZNS1_9scan_implILNS1_25lookback_scan_determinismE0ELb0ELb0ES3_PKfPffZZZN2at6native31launch_logcumsumexp_cuda_kernelERKNSB_10TensorBaseESF_lENKUlvE_clEvENKUlvE0_clEvEUlffE_fEEDaPvRmT3_T4_T5_mT6_P12ihipStream_tbENKUlT_T0_E_clISt17integral_constantIbLb1EESW_EEDaSR_SS_EUlSR_E_NS1_11comp_targetILNS1_3genE8ELNS1_11target_archE1030ELNS1_3gpuE2ELNS1_3repE0EEENS1_30default_config_static_selectorELNS0_4arch9wavefront6targetE1EEEvT1_
		.amdhsa_group_segment_fixed_size 0
		.amdhsa_private_segment_fixed_size 0
		.amdhsa_kernarg_size 96
		.amdhsa_user_sgpr_count 2
		.amdhsa_user_sgpr_dispatch_ptr 0
		.amdhsa_user_sgpr_queue_ptr 0
		.amdhsa_user_sgpr_kernarg_segment_ptr 1
		.amdhsa_user_sgpr_dispatch_id 0
		.amdhsa_user_sgpr_kernarg_preload_length 0
		.amdhsa_user_sgpr_kernarg_preload_offset 0
		.amdhsa_user_sgpr_private_segment_size 0
		.amdhsa_uses_dynamic_stack 0
		.amdhsa_enable_private_segment 0
		.amdhsa_system_sgpr_workgroup_id_x 1
		.amdhsa_system_sgpr_workgroup_id_y 0
		.amdhsa_system_sgpr_workgroup_id_z 0
		.amdhsa_system_sgpr_workgroup_info 0
		.amdhsa_system_vgpr_workitem_id 0
		.amdhsa_next_free_vgpr 1
		.amdhsa_next_free_sgpr 0
		.amdhsa_accum_offset 4
		.amdhsa_reserve_vcc 0
		.amdhsa_float_round_mode_32 0
		.amdhsa_float_round_mode_16_64 0
		.amdhsa_float_denorm_mode_32 3
		.amdhsa_float_denorm_mode_16_64 3
		.amdhsa_dx10_clamp 1
		.amdhsa_ieee_mode 1
		.amdhsa_fp16_overflow 0
		.amdhsa_tg_split 0
		.amdhsa_exception_fp_ieee_invalid_op 0
		.amdhsa_exception_fp_denorm_src 0
		.amdhsa_exception_fp_ieee_div_zero 0
		.amdhsa_exception_fp_ieee_overflow 0
		.amdhsa_exception_fp_ieee_underflow 0
		.amdhsa_exception_fp_ieee_inexact 0
		.amdhsa_exception_int_div_zero 0
	.end_amdhsa_kernel
	.section	.text._ZN7rocprim17ROCPRIM_400000_NS6detail17trampoline_kernelINS0_14default_configENS1_20scan_config_selectorIfEEZZNS1_9scan_implILNS1_25lookback_scan_determinismE0ELb0ELb0ES3_PKfPffZZZN2at6native31launch_logcumsumexp_cuda_kernelERKNSB_10TensorBaseESF_lENKUlvE_clEvENKUlvE0_clEvEUlffE_fEEDaPvRmT3_T4_T5_mT6_P12ihipStream_tbENKUlT_T0_E_clISt17integral_constantIbLb1EESW_EEDaSR_SS_EUlSR_E_NS1_11comp_targetILNS1_3genE8ELNS1_11target_archE1030ELNS1_3gpuE2ELNS1_3repE0EEENS1_30default_config_static_selectorELNS0_4arch9wavefront6targetE1EEEvT1_,"axG",@progbits,_ZN7rocprim17ROCPRIM_400000_NS6detail17trampoline_kernelINS0_14default_configENS1_20scan_config_selectorIfEEZZNS1_9scan_implILNS1_25lookback_scan_determinismE0ELb0ELb0ES3_PKfPffZZZN2at6native31launch_logcumsumexp_cuda_kernelERKNSB_10TensorBaseESF_lENKUlvE_clEvENKUlvE0_clEvEUlffE_fEEDaPvRmT3_T4_T5_mT6_P12ihipStream_tbENKUlT_T0_E_clISt17integral_constantIbLb1EESW_EEDaSR_SS_EUlSR_E_NS1_11comp_targetILNS1_3genE8ELNS1_11target_archE1030ELNS1_3gpuE2ELNS1_3repE0EEENS1_30default_config_static_selectorELNS0_4arch9wavefront6targetE1EEEvT1_,comdat
.Lfunc_end129:
	.size	_ZN7rocprim17ROCPRIM_400000_NS6detail17trampoline_kernelINS0_14default_configENS1_20scan_config_selectorIfEEZZNS1_9scan_implILNS1_25lookback_scan_determinismE0ELb0ELb0ES3_PKfPffZZZN2at6native31launch_logcumsumexp_cuda_kernelERKNSB_10TensorBaseESF_lENKUlvE_clEvENKUlvE0_clEvEUlffE_fEEDaPvRmT3_T4_T5_mT6_P12ihipStream_tbENKUlT_T0_E_clISt17integral_constantIbLb1EESW_EEDaSR_SS_EUlSR_E_NS1_11comp_targetILNS1_3genE8ELNS1_11target_archE1030ELNS1_3gpuE2ELNS1_3repE0EEENS1_30default_config_static_selectorELNS0_4arch9wavefront6targetE1EEEvT1_, .Lfunc_end129-_ZN7rocprim17ROCPRIM_400000_NS6detail17trampoline_kernelINS0_14default_configENS1_20scan_config_selectorIfEEZZNS1_9scan_implILNS1_25lookback_scan_determinismE0ELb0ELb0ES3_PKfPffZZZN2at6native31launch_logcumsumexp_cuda_kernelERKNSB_10TensorBaseESF_lENKUlvE_clEvENKUlvE0_clEvEUlffE_fEEDaPvRmT3_T4_T5_mT6_P12ihipStream_tbENKUlT_T0_E_clISt17integral_constantIbLb1EESW_EEDaSR_SS_EUlSR_E_NS1_11comp_targetILNS1_3genE8ELNS1_11target_archE1030ELNS1_3gpuE2ELNS1_3repE0EEENS1_30default_config_static_selectorELNS0_4arch9wavefront6targetE1EEEvT1_
                                        ; -- End function
	.section	.AMDGPU.csdata,"",@progbits
; Kernel info:
; codeLenInByte = 0
; NumSgprs: 6
; NumVgprs: 0
; NumAgprs: 0
; TotalNumVgprs: 0
; ScratchSize: 0
; MemoryBound: 0
; FloatMode: 240
; IeeeMode: 1
; LDSByteSize: 0 bytes/workgroup (compile time only)
; SGPRBlocks: 0
; VGPRBlocks: 0
; NumSGPRsForWavesPerEU: 6
; NumVGPRsForWavesPerEU: 1
; AccumOffset: 4
; Occupancy: 8
; WaveLimiterHint : 0
; COMPUTE_PGM_RSRC2:SCRATCH_EN: 0
; COMPUTE_PGM_RSRC2:USER_SGPR: 2
; COMPUTE_PGM_RSRC2:TRAP_HANDLER: 0
; COMPUTE_PGM_RSRC2:TGID_X_EN: 1
; COMPUTE_PGM_RSRC2:TGID_Y_EN: 0
; COMPUTE_PGM_RSRC2:TGID_Z_EN: 0
; COMPUTE_PGM_RSRC2:TIDIG_COMP_CNT: 0
; COMPUTE_PGM_RSRC3_GFX90A:ACCUM_OFFSET: 0
; COMPUTE_PGM_RSRC3_GFX90A:TG_SPLIT: 0
	.section	.text._ZN7rocprim17ROCPRIM_400000_NS6detail17trampoline_kernelINS0_14default_configENS1_20scan_config_selectorIfEEZZNS1_9scan_implILNS1_25lookback_scan_determinismE0ELb0ELb0ES3_PKfPffZZZN2at6native31launch_logcumsumexp_cuda_kernelERKNSB_10TensorBaseESF_lENKUlvE_clEvENKUlvE0_clEvEUlffE_fEEDaPvRmT3_T4_T5_mT6_P12ihipStream_tbENKUlT_T0_E_clISt17integral_constantIbLb1EESW_EEDaSR_SS_EUlSR_E0_NS1_11comp_targetILNS1_3genE0ELNS1_11target_archE4294967295ELNS1_3gpuE0ELNS1_3repE0EEENS1_30default_config_static_selectorELNS0_4arch9wavefront6targetE1EEEvT1_,"axG",@progbits,_ZN7rocprim17ROCPRIM_400000_NS6detail17trampoline_kernelINS0_14default_configENS1_20scan_config_selectorIfEEZZNS1_9scan_implILNS1_25lookback_scan_determinismE0ELb0ELb0ES3_PKfPffZZZN2at6native31launch_logcumsumexp_cuda_kernelERKNSB_10TensorBaseESF_lENKUlvE_clEvENKUlvE0_clEvEUlffE_fEEDaPvRmT3_T4_T5_mT6_P12ihipStream_tbENKUlT_T0_E_clISt17integral_constantIbLb1EESW_EEDaSR_SS_EUlSR_E0_NS1_11comp_targetILNS1_3genE0ELNS1_11target_archE4294967295ELNS1_3gpuE0ELNS1_3repE0EEENS1_30default_config_static_selectorELNS0_4arch9wavefront6targetE1EEEvT1_,comdat
	.globl	_ZN7rocprim17ROCPRIM_400000_NS6detail17trampoline_kernelINS0_14default_configENS1_20scan_config_selectorIfEEZZNS1_9scan_implILNS1_25lookback_scan_determinismE0ELb0ELb0ES3_PKfPffZZZN2at6native31launch_logcumsumexp_cuda_kernelERKNSB_10TensorBaseESF_lENKUlvE_clEvENKUlvE0_clEvEUlffE_fEEDaPvRmT3_T4_T5_mT6_P12ihipStream_tbENKUlT_T0_E_clISt17integral_constantIbLb1EESW_EEDaSR_SS_EUlSR_E0_NS1_11comp_targetILNS1_3genE0ELNS1_11target_archE4294967295ELNS1_3gpuE0ELNS1_3repE0EEENS1_30default_config_static_selectorELNS0_4arch9wavefront6targetE1EEEvT1_ ; -- Begin function _ZN7rocprim17ROCPRIM_400000_NS6detail17trampoline_kernelINS0_14default_configENS1_20scan_config_selectorIfEEZZNS1_9scan_implILNS1_25lookback_scan_determinismE0ELb0ELb0ES3_PKfPffZZZN2at6native31launch_logcumsumexp_cuda_kernelERKNSB_10TensorBaseESF_lENKUlvE_clEvENKUlvE0_clEvEUlffE_fEEDaPvRmT3_T4_T5_mT6_P12ihipStream_tbENKUlT_T0_E_clISt17integral_constantIbLb1EESW_EEDaSR_SS_EUlSR_E0_NS1_11comp_targetILNS1_3genE0ELNS1_11target_archE4294967295ELNS1_3gpuE0ELNS1_3repE0EEENS1_30default_config_static_selectorELNS0_4arch9wavefront6targetE1EEEvT1_
	.p2align	8
	.type	_ZN7rocprim17ROCPRIM_400000_NS6detail17trampoline_kernelINS0_14default_configENS1_20scan_config_selectorIfEEZZNS1_9scan_implILNS1_25lookback_scan_determinismE0ELb0ELb0ES3_PKfPffZZZN2at6native31launch_logcumsumexp_cuda_kernelERKNSB_10TensorBaseESF_lENKUlvE_clEvENKUlvE0_clEvEUlffE_fEEDaPvRmT3_T4_T5_mT6_P12ihipStream_tbENKUlT_T0_E_clISt17integral_constantIbLb1EESW_EEDaSR_SS_EUlSR_E0_NS1_11comp_targetILNS1_3genE0ELNS1_11target_archE4294967295ELNS1_3gpuE0ELNS1_3repE0EEENS1_30default_config_static_selectorELNS0_4arch9wavefront6targetE1EEEvT1_,@function
_ZN7rocprim17ROCPRIM_400000_NS6detail17trampoline_kernelINS0_14default_configENS1_20scan_config_selectorIfEEZZNS1_9scan_implILNS1_25lookback_scan_determinismE0ELb0ELb0ES3_PKfPffZZZN2at6native31launch_logcumsumexp_cuda_kernelERKNSB_10TensorBaseESF_lENKUlvE_clEvENKUlvE0_clEvEUlffE_fEEDaPvRmT3_T4_T5_mT6_P12ihipStream_tbENKUlT_T0_E_clISt17integral_constantIbLb1EESW_EEDaSR_SS_EUlSR_E0_NS1_11comp_targetILNS1_3genE0ELNS1_11target_archE4294967295ELNS1_3gpuE0ELNS1_3repE0EEENS1_30default_config_static_selectorELNS0_4arch9wavefront6targetE1EEEvT1_: ; @_ZN7rocprim17ROCPRIM_400000_NS6detail17trampoline_kernelINS0_14default_configENS1_20scan_config_selectorIfEEZZNS1_9scan_implILNS1_25lookback_scan_determinismE0ELb0ELb0ES3_PKfPffZZZN2at6native31launch_logcumsumexp_cuda_kernelERKNSB_10TensorBaseESF_lENKUlvE_clEvENKUlvE0_clEvEUlffE_fEEDaPvRmT3_T4_T5_mT6_P12ihipStream_tbENKUlT_T0_E_clISt17integral_constantIbLb1EESW_EEDaSR_SS_EUlSR_E0_NS1_11comp_targetILNS1_3genE0ELNS1_11target_archE4294967295ELNS1_3gpuE0ELNS1_3repE0EEENS1_30default_config_static_selectorELNS0_4arch9wavefront6targetE1EEEvT1_
; %bb.0:
	.section	.rodata,"a",@progbits
	.p2align	6, 0x0
	.amdhsa_kernel _ZN7rocprim17ROCPRIM_400000_NS6detail17trampoline_kernelINS0_14default_configENS1_20scan_config_selectorIfEEZZNS1_9scan_implILNS1_25lookback_scan_determinismE0ELb0ELb0ES3_PKfPffZZZN2at6native31launch_logcumsumexp_cuda_kernelERKNSB_10TensorBaseESF_lENKUlvE_clEvENKUlvE0_clEvEUlffE_fEEDaPvRmT3_T4_T5_mT6_P12ihipStream_tbENKUlT_T0_E_clISt17integral_constantIbLb1EESW_EEDaSR_SS_EUlSR_E0_NS1_11comp_targetILNS1_3genE0ELNS1_11target_archE4294967295ELNS1_3gpuE0ELNS1_3repE0EEENS1_30default_config_static_selectorELNS0_4arch9wavefront6targetE1EEEvT1_
		.amdhsa_group_segment_fixed_size 0
		.amdhsa_private_segment_fixed_size 0
		.amdhsa_kernarg_size 32
		.amdhsa_user_sgpr_count 2
		.amdhsa_user_sgpr_dispatch_ptr 0
		.amdhsa_user_sgpr_queue_ptr 0
		.amdhsa_user_sgpr_kernarg_segment_ptr 1
		.amdhsa_user_sgpr_dispatch_id 0
		.amdhsa_user_sgpr_kernarg_preload_length 0
		.amdhsa_user_sgpr_kernarg_preload_offset 0
		.amdhsa_user_sgpr_private_segment_size 0
		.amdhsa_uses_dynamic_stack 0
		.amdhsa_enable_private_segment 0
		.amdhsa_system_sgpr_workgroup_id_x 1
		.amdhsa_system_sgpr_workgroup_id_y 0
		.amdhsa_system_sgpr_workgroup_id_z 0
		.amdhsa_system_sgpr_workgroup_info 0
		.amdhsa_system_vgpr_workitem_id 0
		.amdhsa_next_free_vgpr 1
		.amdhsa_next_free_sgpr 0
		.amdhsa_accum_offset 4
		.amdhsa_reserve_vcc 0
		.amdhsa_float_round_mode_32 0
		.amdhsa_float_round_mode_16_64 0
		.amdhsa_float_denorm_mode_32 3
		.amdhsa_float_denorm_mode_16_64 3
		.amdhsa_dx10_clamp 1
		.amdhsa_ieee_mode 1
		.amdhsa_fp16_overflow 0
		.amdhsa_tg_split 0
		.amdhsa_exception_fp_ieee_invalid_op 0
		.amdhsa_exception_fp_denorm_src 0
		.amdhsa_exception_fp_ieee_div_zero 0
		.amdhsa_exception_fp_ieee_overflow 0
		.amdhsa_exception_fp_ieee_underflow 0
		.amdhsa_exception_fp_ieee_inexact 0
		.amdhsa_exception_int_div_zero 0
	.end_amdhsa_kernel
	.section	.text._ZN7rocprim17ROCPRIM_400000_NS6detail17trampoline_kernelINS0_14default_configENS1_20scan_config_selectorIfEEZZNS1_9scan_implILNS1_25lookback_scan_determinismE0ELb0ELb0ES3_PKfPffZZZN2at6native31launch_logcumsumexp_cuda_kernelERKNSB_10TensorBaseESF_lENKUlvE_clEvENKUlvE0_clEvEUlffE_fEEDaPvRmT3_T4_T5_mT6_P12ihipStream_tbENKUlT_T0_E_clISt17integral_constantIbLb1EESW_EEDaSR_SS_EUlSR_E0_NS1_11comp_targetILNS1_3genE0ELNS1_11target_archE4294967295ELNS1_3gpuE0ELNS1_3repE0EEENS1_30default_config_static_selectorELNS0_4arch9wavefront6targetE1EEEvT1_,"axG",@progbits,_ZN7rocprim17ROCPRIM_400000_NS6detail17trampoline_kernelINS0_14default_configENS1_20scan_config_selectorIfEEZZNS1_9scan_implILNS1_25lookback_scan_determinismE0ELb0ELb0ES3_PKfPffZZZN2at6native31launch_logcumsumexp_cuda_kernelERKNSB_10TensorBaseESF_lENKUlvE_clEvENKUlvE0_clEvEUlffE_fEEDaPvRmT3_T4_T5_mT6_P12ihipStream_tbENKUlT_T0_E_clISt17integral_constantIbLb1EESW_EEDaSR_SS_EUlSR_E0_NS1_11comp_targetILNS1_3genE0ELNS1_11target_archE4294967295ELNS1_3gpuE0ELNS1_3repE0EEENS1_30default_config_static_selectorELNS0_4arch9wavefront6targetE1EEEvT1_,comdat
.Lfunc_end130:
	.size	_ZN7rocprim17ROCPRIM_400000_NS6detail17trampoline_kernelINS0_14default_configENS1_20scan_config_selectorIfEEZZNS1_9scan_implILNS1_25lookback_scan_determinismE0ELb0ELb0ES3_PKfPffZZZN2at6native31launch_logcumsumexp_cuda_kernelERKNSB_10TensorBaseESF_lENKUlvE_clEvENKUlvE0_clEvEUlffE_fEEDaPvRmT3_T4_T5_mT6_P12ihipStream_tbENKUlT_T0_E_clISt17integral_constantIbLb1EESW_EEDaSR_SS_EUlSR_E0_NS1_11comp_targetILNS1_3genE0ELNS1_11target_archE4294967295ELNS1_3gpuE0ELNS1_3repE0EEENS1_30default_config_static_selectorELNS0_4arch9wavefront6targetE1EEEvT1_, .Lfunc_end130-_ZN7rocprim17ROCPRIM_400000_NS6detail17trampoline_kernelINS0_14default_configENS1_20scan_config_selectorIfEEZZNS1_9scan_implILNS1_25lookback_scan_determinismE0ELb0ELb0ES3_PKfPffZZZN2at6native31launch_logcumsumexp_cuda_kernelERKNSB_10TensorBaseESF_lENKUlvE_clEvENKUlvE0_clEvEUlffE_fEEDaPvRmT3_T4_T5_mT6_P12ihipStream_tbENKUlT_T0_E_clISt17integral_constantIbLb1EESW_EEDaSR_SS_EUlSR_E0_NS1_11comp_targetILNS1_3genE0ELNS1_11target_archE4294967295ELNS1_3gpuE0ELNS1_3repE0EEENS1_30default_config_static_selectorELNS0_4arch9wavefront6targetE1EEEvT1_
                                        ; -- End function
	.section	.AMDGPU.csdata,"",@progbits
; Kernel info:
; codeLenInByte = 0
; NumSgprs: 6
; NumVgprs: 0
; NumAgprs: 0
; TotalNumVgprs: 0
; ScratchSize: 0
; MemoryBound: 0
; FloatMode: 240
; IeeeMode: 1
; LDSByteSize: 0 bytes/workgroup (compile time only)
; SGPRBlocks: 0
; VGPRBlocks: 0
; NumSGPRsForWavesPerEU: 6
; NumVGPRsForWavesPerEU: 1
; AccumOffset: 4
; Occupancy: 8
; WaveLimiterHint : 0
; COMPUTE_PGM_RSRC2:SCRATCH_EN: 0
; COMPUTE_PGM_RSRC2:USER_SGPR: 2
; COMPUTE_PGM_RSRC2:TRAP_HANDLER: 0
; COMPUTE_PGM_RSRC2:TGID_X_EN: 1
; COMPUTE_PGM_RSRC2:TGID_Y_EN: 0
; COMPUTE_PGM_RSRC2:TGID_Z_EN: 0
; COMPUTE_PGM_RSRC2:TIDIG_COMP_CNT: 0
; COMPUTE_PGM_RSRC3_GFX90A:ACCUM_OFFSET: 0
; COMPUTE_PGM_RSRC3_GFX90A:TG_SPLIT: 0
	.section	.text._ZN7rocprim17ROCPRIM_400000_NS6detail17trampoline_kernelINS0_14default_configENS1_20scan_config_selectorIfEEZZNS1_9scan_implILNS1_25lookback_scan_determinismE0ELb0ELb0ES3_PKfPffZZZN2at6native31launch_logcumsumexp_cuda_kernelERKNSB_10TensorBaseESF_lENKUlvE_clEvENKUlvE0_clEvEUlffE_fEEDaPvRmT3_T4_T5_mT6_P12ihipStream_tbENKUlT_T0_E_clISt17integral_constantIbLb1EESW_EEDaSR_SS_EUlSR_E0_NS1_11comp_targetILNS1_3genE5ELNS1_11target_archE942ELNS1_3gpuE9ELNS1_3repE0EEENS1_30default_config_static_selectorELNS0_4arch9wavefront6targetE1EEEvT1_,"axG",@progbits,_ZN7rocprim17ROCPRIM_400000_NS6detail17trampoline_kernelINS0_14default_configENS1_20scan_config_selectorIfEEZZNS1_9scan_implILNS1_25lookback_scan_determinismE0ELb0ELb0ES3_PKfPffZZZN2at6native31launch_logcumsumexp_cuda_kernelERKNSB_10TensorBaseESF_lENKUlvE_clEvENKUlvE0_clEvEUlffE_fEEDaPvRmT3_T4_T5_mT6_P12ihipStream_tbENKUlT_T0_E_clISt17integral_constantIbLb1EESW_EEDaSR_SS_EUlSR_E0_NS1_11comp_targetILNS1_3genE5ELNS1_11target_archE942ELNS1_3gpuE9ELNS1_3repE0EEENS1_30default_config_static_selectorELNS0_4arch9wavefront6targetE1EEEvT1_,comdat
	.globl	_ZN7rocprim17ROCPRIM_400000_NS6detail17trampoline_kernelINS0_14default_configENS1_20scan_config_selectorIfEEZZNS1_9scan_implILNS1_25lookback_scan_determinismE0ELb0ELb0ES3_PKfPffZZZN2at6native31launch_logcumsumexp_cuda_kernelERKNSB_10TensorBaseESF_lENKUlvE_clEvENKUlvE0_clEvEUlffE_fEEDaPvRmT3_T4_T5_mT6_P12ihipStream_tbENKUlT_T0_E_clISt17integral_constantIbLb1EESW_EEDaSR_SS_EUlSR_E0_NS1_11comp_targetILNS1_3genE5ELNS1_11target_archE942ELNS1_3gpuE9ELNS1_3repE0EEENS1_30default_config_static_selectorELNS0_4arch9wavefront6targetE1EEEvT1_ ; -- Begin function _ZN7rocprim17ROCPRIM_400000_NS6detail17trampoline_kernelINS0_14default_configENS1_20scan_config_selectorIfEEZZNS1_9scan_implILNS1_25lookback_scan_determinismE0ELb0ELb0ES3_PKfPffZZZN2at6native31launch_logcumsumexp_cuda_kernelERKNSB_10TensorBaseESF_lENKUlvE_clEvENKUlvE0_clEvEUlffE_fEEDaPvRmT3_T4_T5_mT6_P12ihipStream_tbENKUlT_T0_E_clISt17integral_constantIbLb1EESW_EEDaSR_SS_EUlSR_E0_NS1_11comp_targetILNS1_3genE5ELNS1_11target_archE942ELNS1_3gpuE9ELNS1_3repE0EEENS1_30default_config_static_selectorELNS0_4arch9wavefront6targetE1EEEvT1_
	.p2align	8
	.type	_ZN7rocprim17ROCPRIM_400000_NS6detail17trampoline_kernelINS0_14default_configENS1_20scan_config_selectorIfEEZZNS1_9scan_implILNS1_25lookback_scan_determinismE0ELb0ELb0ES3_PKfPffZZZN2at6native31launch_logcumsumexp_cuda_kernelERKNSB_10TensorBaseESF_lENKUlvE_clEvENKUlvE0_clEvEUlffE_fEEDaPvRmT3_T4_T5_mT6_P12ihipStream_tbENKUlT_T0_E_clISt17integral_constantIbLb1EESW_EEDaSR_SS_EUlSR_E0_NS1_11comp_targetILNS1_3genE5ELNS1_11target_archE942ELNS1_3gpuE9ELNS1_3repE0EEENS1_30default_config_static_selectorELNS0_4arch9wavefront6targetE1EEEvT1_,@function
_ZN7rocprim17ROCPRIM_400000_NS6detail17trampoline_kernelINS0_14default_configENS1_20scan_config_selectorIfEEZZNS1_9scan_implILNS1_25lookback_scan_determinismE0ELb0ELb0ES3_PKfPffZZZN2at6native31launch_logcumsumexp_cuda_kernelERKNSB_10TensorBaseESF_lENKUlvE_clEvENKUlvE0_clEvEUlffE_fEEDaPvRmT3_T4_T5_mT6_P12ihipStream_tbENKUlT_T0_E_clISt17integral_constantIbLb1EESW_EEDaSR_SS_EUlSR_E0_NS1_11comp_targetILNS1_3genE5ELNS1_11target_archE942ELNS1_3gpuE9ELNS1_3repE0EEENS1_30default_config_static_selectorELNS0_4arch9wavefront6targetE1EEEvT1_: ; @_ZN7rocprim17ROCPRIM_400000_NS6detail17trampoline_kernelINS0_14default_configENS1_20scan_config_selectorIfEEZZNS1_9scan_implILNS1_25lookback_scan_determinismE0ELb0ELb0ES3_PKfPffZZZN2at6native31launch_logcumsumexp_cuda_kernelERKNSB_10TensorBaseESF_lENKUlvE_clEvENKUlvE0_clEvEUlffE_fEEDaPvRmT3_T4_T5_mT6_P12ihipStream_tbENKUlT_T0_E_clISt17integral_constantIbLb1EESW_EEDaSR_SS_EUlSR_E0_NS1_11comp_targetILNS1_3genE5ELNS1_11target_archE942ELNS1_3gpuE9ELNS1_3repE0EEENS1_30default_config_static_selectorELNS0_4arch9wavefront6targetE1EEEvT1_
; %bb.0:
	s_load_dwordx4 s[48:51], s[0:1], 0x0
	v_lshlrev_b32_e32 v26, 2, v0
	s_waitcnt lgkmcnt(0)
	s_load_dword s4, s[48:49], 0x0
	v_cmp_gt_u32_e64 s[6:7], s50, v0
	s_waitcnt lgkmcnt(0)
	v_mov_b32_e32 v1, s4
	s_mov_b64 s[2:3], exec
                                        ; implicit-def: $vgpr77 : SGPR spill to VGPR lane
	v_writelane_b32 v77, s6, 0
	s_nop 1
	v_writelane_b32 v77, s7, 1
	s_and_b64 s[6:7], s[2:3], s[6:7]
	s_mov_b64 exec, s[6:7]
	s_cbranch_execz .LBB131_2
; %bb.1:
	global_load_dword v1, v26, s[48:49]
.LBB131_2:
	s_or_b64 exec, exec, s[2:3]
	v_or_b32_e32 v2, 0x100, v0
	v_cmp_gt_u32_e64 s[6:7], s50, v2
	v_mov_b32_e32 v2, s4
	s_mov_b64 s[2:3], exec
	v_writelane_b32 v77, s6, 2
	s_nop 1
	v_writelane_b32 v77, s7, 3
	s_and_b64 s[6:7], s[2:3], s[6:7]
	s_mov_b64 exec, s[6:7]
	s_cbranch_execz .LBB131_4
; %bb.3:
	global_load_dword v2, v26, s[48:49] offset:1024
.LBB131_4:
	s_or_b64 exec, exec, s[2:3]
	v_or_b32_e32 v3, 0x200, v0
	v_cmp_gt_u32_e64 s[6:7], s50, v3
	v_mov_b32_e32 v3, s4
	s_mov_b64 s[2:3], exec
	v_writelane_b32 v77, s6, 4
	s_nop 1
	v_writelane_b32 v77, s7, 5
	s_and_b64 s[6:7], s[2:3], s[6:7]
	s_mov_b64 exec, s[6:7]
	s_cbranch_execz .LBB131_6
; %bb.5:
	global_load_dword v3, v26, s[48:49] offset:2048
.LBB131_6:
	;; [unrolled: 14-line block ×3, first 2 shown]
	s_or_b64 exec, exec, s[2:3]
	v_or_b32_e32 v6, 0x400, v0
	v_cmp_gt_u32_e64 s[6:7], s50, v6
	v_mov_b32_e32 v5, s4
	s_nop 0
	v_writelane_b32 v77, s6, 8
	s_nop 1
	v_writelane_b32 v77, s7, 9
	s_and_saveexec_b64 s[2:3], s[6:7]
	s_cbranch_execz .LBB131_10
; %bb.9:
	v_lshlrev_b32_e32 v5, 2, v6
	global_load_dword v5, v5, s[48:49]
.LBB131_10:
	s_or_b64 exec, exec, s[2:3]
	v_or_b32_e32 v7, 0x500, v0
	v_cmp_gt_u32_e64 s[8:9], s50, v7
	v_mov_b32_e32 v6, s4
	s_and_saveexec_b64 s[2:3], s[8:9]
	s_cbranch_execz .LBB131_12
; %bb.11:
	v_lshlrev_b32_e32 v6, 2, v7
	global_load_dword v6, v6, s[48:49]
.LBB131_12:
	s_or_b64 exec, exec, s[2:3]
	v_or_b32_e32 v8, 0x600, v0
	v_cmp_gt_u32_e64 s[10:11], s50, v8
	v_mov_b32_e32 v7, s4
	;; [unrolled: 10-line block ×19, first 2 shown]
	s_and_saveexec_b64 s[2:3], s[46:47]
	s_cbranch_execz .LBB131_48
; %bb.47:
	v_lshlrev_b32_e32 v24, 2, v25
	global_load_dword v24, v24, s[48:49]
.LBB131_48:
	s_or_b64 exec, exec, s[2:3]
	s_movk_i32 s2, 0x5c
	s_waitcnt vmcnt(0)
	ds_write2st64_b32 v26, v1, v2 offset1:4
	ds_write2st64_b32 v26, v3, v4 offset0:8 offset1:12
	ds_write2st64_b32 v26, v5, v6 offset0:16 offset1:20
	;; [unrolled: 1-line block ×11, first 2 shown]
	v_mad_u32_u24 v1, v0, s2, v26
	s_waitcnt lgkmcnt(0)
	s_barrier
	ds_read_b128 v[2:5], v1
	ds_read_b128 v[22:25], v1 offset:16
	ds_read_b128 v[18:21], v1 offset:32
	;; [unrolled: 1-line block ×5, first 2 shown]
	s_waitcnt lgkmcnt(5)
	v_max_f32_e32 v34, v3, v3
	v_max_f32_e32 v53, v2, v2
	v_min_f32_e32 v51, v53, v34
	v_cmp_u_f32_e64 s[96:97], v2, v2
	v_cmp_u_f32_e64 s[50:51], v3, v3
	v_max_f32_e32 v52, v53, v34
	v_cndmask_b32_e64 v1, v51, v2, s[96:97]
	v_cndmask_b32_e64 v27, v1, v3, s[50:51]
	;; [unrolled: 1-line block ×4, first 2 shown]
	s_movk_i32 s4, 0x1f8
	v_cmp_neq_f32_e64 s[52:53], v27, v1
	v_cmp_class_f32_e64 s[2:3], v27, s4
	s_or_b64 s[48:49], s[52:53], s[2:3]
	v_mov_b32_e32 v54, v2
	s_waitcnt lgkmcnt(0)
	s_barrier
	s_and_saveexec_b64 s[2:3], s[48:49]
	s_cbranch_execz .LBB131_50
; %bb.49:
	v_sub_f32_e32 v27, v27, v1
	s_mov_b32 s5, 0x3fb8aa3b
	v_mul_f32_e32 v28, 0x3fb8aa3b, v27
	v_fma_f32 v29, v27, s5, -v28
	v_rndne_f32_e32 v30, v28
	v_fmamk_f32 v29, v27, 0x32a5705f, v29
	v_sub_f32_e32 v28, v28, v30
	v_add_f32_e32 v28, v28, v29
	v_exp_f32_e32 v28, v28
	v_cvt_i32_f32_e32 v29, v30
	s_mov_b32 s5, 0xc2ce8ed0
	v_cmp_ngt_f32_e64 s[52:53], s5, v27
	s_mov_b32 s5, 0x42b17218
	v_ldexp_f32 v28, v28, v29
	v_cndmask_b32_e64 v28, 0, v28, s[52:53]
	v_mov_b32_e32 v29, 0x7f800000
	v_cmp_nlt_f32_e64 s[52:53], s5, v27
	s_mov_b32 s5, 0x3f2aaaab
	s_mov_b32 s6, 0x7f800000
	v_cndmask_b32_e64 v35, v29, v28, s[52:53]
	v_add_f32_e32 v27, 1.0, v35
	v_add_f32_e32 v28, -1.0, v27
	v_sub_f32_e32 v29, v28, v27
	v_add_f32_e32 v29, 1.0, v29
	v_sub_f32_e32 v28, v35, v28
	v_add_f32_e32 v30, v28, v29
	v_frexp_mant_f32_e32 v31, v27
	v_cvt_f64_f32_e32 v[28:29], v27
	v_frexp_exp_i32_f64_e32 v28, v[28:29]
	v_cmp_gt_f32_e64 s[52:53], s5, v31
	s_mov_b32 s5, 0x3f317218
	s_nop 0
	v_subbrev_co_u32_e64 v38, s[52:53], 0, v28, s[52:53]
	v_sub_u32_e32 v28, 0, v38
	v_ldexp_f32 v27, v27, v28
	v_ldexp_f32 v28, v30, v28
	v_add_f32_e32 v30, -1.0, v27
	v_add_f32_e32 v29, 1.0, v30
	v_sub_f32_e32 v29, v27, v29
	v_add_f32_e32 v31, v28, v29
	v_add_f32_e32 v29, 1.0, v27
	v_add_f32_e32 v32, -1.0, v29
	v_sub_f32_e32 v27, v27, v32
	v_add_f32_e32 v27, v28, v27
	v_add_f32_e32 v39, v29, v27
	v_rcp_f32_e32 v40, v39
	v_sub_f32_e32 v28, v29, v39
	v_add_f32_e32 v29, v30, v31
	v_add_f32_e32 v27, v27, v28
	v_mul_f32_e32 v42, v29, v40
	v_sub_f32_e32 v28, v30, v29
	v_mul_f32_e32 v30, v39, v42
	v_fma_f32 v32, v42, v39, -v30
	v_fmac_f32_e32 v32, v42, v27
	v_add_f32_e32 v41, v31, v28
	v_add_f32_e32 v28, v30, v32
	v_sub_f32_e32 v31, v29, v28
	v_pk_add_f32 v[36:37], v[28:29], v[30:31] neg_lo:[0,1] neg_hi:[0,1]
	v_mov_b32_e32 v33, v28
	v_pk_add_f32 v[28:29], v[36:37], v[32:33] neg_lo:[0,1] neg_hi:[0,1]
	v_cmp_eq_f32_e64 s[52:53], s6, v35
	v_add_f32_e32 v29, v41, v29
	v_add_f32_e32 v28, v28, v29
	;; [unrolled: 1-line block ×3, first 2 shown]
	v_mul_f32_e32 v41, v40, v29
	v_mul_f32_e32 v30, v39, v41
	v_fma_f32 v32, v41, v39, -v30
	v_fmac_f32_e32 v32, v41, v27
	v_sub_f32_e32 v27, v31, v29
	v_add_f32_e32 v27, v28, v27
	v_add_f32_e32 v28, v30, v32
	v_sub_f32_e32 v31, v29, v28
	v_pk_add_f32 v[36:37], v[28:29], v[30:31] neg_lo:[0,1] neg_hi:[0,1]
	v_mov_b32_e32 v33, v28
	v_pk_add_f32 v[28:29], v[36:37], v[32:33] neg_lo:[0,1] neg_hi:[0,1]
	v_cvt_f32_i32_e32 v30, v38
	v_add_f32_e32 v27, v27, v29
	v_add_f32_e32 v27, v28, v27
	;; [unrolled: 1-line block ×4, first 2 shown]
	v_sub_f32_e32 v29, v28, v42
	v_mul_f32_e32 v27, v40, v27
	v_sub_f32_e32 v29, v41, v29
	v_add_f32_e32 v27, v29, v27
	v_add_f32_e32 v31, v28, v27
	v_mul_f32_e32 v32, v31, v31
	v_mov_b32_e32 v29, 0x3ecc95a3
	v_fmac_f32_e32 v29, 0x3e9b6dac, v32
	v_sub_f32_e32 v28, v31, v28
	v_fmaak_f32 v29, v32, v29, 0x3f2aaada
	v_sub_f32_e32 v27, v27, v28
	v_ldexp_f32 v33, v31, 1
	v_mul_f32_e32 v31, v31, v32
	v_mov_b32_e32 v28, 0x3f317218
	v_pk_mul_f32 v[28:29], v[30:31], v[28:29]
	v_ldexp_f32 v27, v27, 1
	v_fma_f32 v31, v30, s5, -v28
	v_fmamk_f32 v32, v30, 0xb102e308, v31
	v_pk_add_f32 v[30:31], v[28:29], v[32:33]
	v_mov_b32_e32 v36, v28
	v_sub_f32_e32 v33, v31, v33
	v_sub_f32_e32 v33, v29, v33
	v_add_f32_e32 v37, v27, v33
	v_pk_add_f32 v[28:29], v[30:31], v[28:29] neg_lo:[0,1] neg_hi:[0,1]
	v_pk_add_f32 v[38:39], v[30:31], v[36:37]
	v_mov_b32_e32 v33, v30
	v_mov_b32_e32 v29, v39
	v_pk_add_f32 v[40:41], v[32:33], v[28:29] neg_lo:[0,1] neg_hi:[0,1]
	v_pk_add_f32 v[28:29], v[32:33], v[28:29]
	v_mov_b32_e32 v36, v37
	v_mov_b32_e32 v32, v29
	v_pk_add_f32 v[42:43], v[32:33], v[30:31] neg_lo:[0,1] neg_hi:[0,1]
	v_mov_b32_e32 v28, v39
	v_mov_b32_e32 v27, v42
	v_pk_add_f32 v[44:45], v[38:39], v[26:27] neg_lo:[0,1] neg_hi:[0,1]
	v_mov_b32_e32 v38, v31
	v_mov_b32_e32 v39, v42
	;; [unrolled: 1-line block ×3, first 2 shown]
	v_pk_add_f32 v[28:29], v[28:29], v[38:39] neg_lo:[0,1] neg_hi:[0,1]
	v_mov_b32_e32 v37, v30
	v_pk_add_f32 v[28:29], v[36:37], v[28:29] neg_lo:[0,1] neg_hi:[0,1]
	v_mov_b32_e32 v44, v40
	v_pk_add_f32 v[30:31], v[44:45], v[28:29]
	s_mov_b32 s5, 0x33800000
	v_mov_b32_e32 v36, v31
	v_pk_add_f32 v[36:37], v[30:31], v[36:37]
	v_cmp_lt_f32_e64 s[48:49], |v35|, s5
	v_pk_add_f32 v[32:33], v[32:33], v[36:37]
	v_mov_b32_e32 v29, v36
	v_mov_b32_e32 v31, v32
	v_pk_add_f32 v[38:39], v[30:31], v[40:41] neg_lo:[0,1] neg_hi:[0,1]
	s_or_b64 s[52:53], s[52:53], s[48:49]
	v_sub_f32_e32 v27, v30, v38
	v_pk_add_f32 v[28:29], v[28:29], v[38:39] neg_lo:[0,1] neg_hi:[0,1]
	v_sub_f32_e32 v27, v40, v27
	v_add_f32_e32 v27, v28, v27
	v_add_f32_e32 v27, v27, v29
	;; [unrolled: 1-line block ×3, first 2 shown]
	v_cndmask_b32_e64 v27, v27, v35, s[52:53]
	v_add_f32_e32 v54, v1, v27
.LBB131_50:
	s_or_b64 exec, exec, s[2:3]
	v_max_f32_e32 v27, v54, v54
	v_max_f32_e32 v1, v4, v4
	v_min_f32_e32 v28, v27, v1
	v_cmp_u_f32_e64 s[54:55], v54, v54
	v_max_f32_e32 v27, v27, v1
	v_cmp_u_f32_e64 s[52:53], v4, v4
	v_cndmask_b32_e64 v28, v28, v54, s[54:55]
	v_cndmask_b32_e64 v27, v27, v54, s[54:55]
	;; [unrolled: 1-line block ×4, first 2 shown]
	v_cmp_neq_f32_e64 s[54:55], v28, v27
	v_cmp_class_f32_e64 s[2:3], v28, s4
	s_or_b64 s[4:5], s[54:55], s[2:3]
	s_and_saveexec_b64 s[2:3], s[4:5]
	s_cbranch_execz .LBB131_52
; %bb.51:
	v_sub_f32_e32 v28, v28, v27
	s_mov_b32 s4, 0x3fb8aa3b
	v_mul_f32_e32 v29, 0x3fb8aa3b, v28
	v_fma_f32 v30, v28, s4, -v29
	v_rndne_f32_e32 v31, v29
	v_fmamk_f32 v30, v28, 0x32a5705f, v30
	v_sub_f32_e32 v29, v29, v31
	v_add_f32_e32 v29, v29, v30
	v_exp_f32_e32 v29, v29
	v_cvt_i32_f32_e32 v30, v31
	s_mov_b32 s4, 0xc2ce8ed0
	v_cmp_ngt_f32_e64 s[54:55], s4, v28
	s_mov_b32 s4, 0x42b17218
	v_ldexp_f32 v29, v29, v30
	v_cndmask_b32_e64 v29, 0, v29, s[54:55]
	v_mov_b32_e32 v30, 0x7f800000
	v_cmp_nlt_f32_e64 s[54:55], s4, v28
	s_mov_b32 s4, 0x3f2aaaab
	s_mov_b32 s5, 0x7f800000
	v_cndmask_b32_e64 v35, v30, v29, s[54:55]
	v_add_f32_e32 v30, 1.0, v35
	v_add_f32_e32 v28, -1.0, v30
	v_sub_f32_e32 v29, v28, v30
	v_add_f32_e32 v29, 1.0, v29
	v_sub_f32_e32 v28, v35, v28
	v_add_f32_e32 v31, v28, v29
	v_frexp_mant_f32_e32 v32, v30
	v_cvt_f64_f32_e32 v[28:29], v30
	v_frexp_exp_i32_f64_e32 v28, v[28:29]
	v_cmp_gt_f32_e64 s[54:55], s4, v32
	s_mov_b32 s4, 0x3f317218
	s_nop 0
	v_subbrev_co_u32_e64 v38, s[54:55], 0, v28, s[54:55]
	v_sub_u32_e32 v28, 0, v38
	v_ldexp_f32 v29, v30, v28
	v_add_f32_e32 v30, -1.0, v29
	v_add_f32_e32 v32, 1.0, v29
	v_ldexp_f32 v28, v31, v28
	v_add_f32_e32 v31, 1.0, v30
	v_add_f32_e32 v33, -1.0, v32
	v_sub_f32_e32 v31, v29, v31
	v_sub_f32_e32 v29, v29, v33
	v_add_f32_e32 v31, v28, v31
	v_add_f32_e32 v28, v28, v29
	;; [unrolled: 1-line block ×3, first 2 shown]
	v_rcp_f32_e32 v41, v39
	v_sub_f32_e32 v29, v32, v39
	v_add_f32_e32 v40, v28, v29
	v_add_f32_e32 v29, v30, v31
	v_mul_f32_e32 v43, v29, v41
	v_sub_f32_e32 v28, v30, v29
	v_mul_f32_e32 v30, v39, v43
	v_fma_f32 v32, v43, v39, -v30
	v_fmac_f32_e32 v32, v43, v40
	v_add_f32_e32 v42, v31, v28
	v_add_f32_e32 v28, v30, v32
	v_sub_f32_e32 v31, v29, v28
	v_pk_add_f32 v[36:37], v[28:29], v[30:31] neg_lo:[0,1] neg_hi:[0,1]
	v_mov_b32_e32 v33, v28
	v_pk_add_f32 v[28:29], v[36:37], v[32:33] neg_lo:[0,1] neg_hi:[0,1]
	v_cmp_eq_f32_e64 s[54:55], s5, v35
	v_add_f32_e32 v29, v42, v29
	v_add_f32_e32 v28, v28, v29
	;; [unrolled: 1-line block ×3, first 2 shown]
	v_mul_f32_e32 v42, v41, v29
	v_mul_f32_e32 v30, v39, v42
	v_fma_f32 v32, v42, v39, -v30
	v_fmac_f32_e32 v32, v42, v40
	v_sub_f32_e32 v31, v31, v29
	v_add_f32_e32 v39, v28, v31
	v_add_f32_e32 v28, v30, v32
	v_sub_f32_e32 v31, v29, v28
	v_pk_add_f32 v[36:37], v[28:29], v[30:31] neg_lo:[0,1] neg_hi:[0,1]
	v_mov_b32_e32 v33, v28
	v_pk_add_f32 v[28:29], v[36:37], v[32:33] neg_lo:[0,1] neg_hi:[0,1]
	v_cvt_f32_i32_e32 v30, v38
	v_add_f32_e32 v29, v39, v29
	v_add_f32_e32 v28, v28, v29
	v_add_f32_e32 v28, v31, v28
	v_add_f32_e32 v31, v43, v42
	v_sub_f32_e32 v29, v31, v43
	v_mul_f32_e32 v28, v41, v28
	v_sub_f32_e32 v29, v42, v29
	v_add_f32_e32 v28, v29, v28
	v_add_f32_e32 v32, v31, v28
	v_mul_f32_e32 v36, v32, v32
	v_mov_b32_e32 v29, 0x3ecc95a3
	v_sub_f32_e32 v31, v32, v31
	v_fmac_f32_e32 v29, 0x3e9b6dac, v36
	v_sub_f32_e32 v28, v28, v31
	v_fmaak_f32 v29, v36, v29, 0x3f2aaada
	v_ldexp_f32 v37, v28, 1
	v_mul_f32_e32 v31, v32, v36
	v_mov_b32_e32 v28, 0x3f317218
	v_pk_mul_f32 v[28:29], v[30:31], v[28:29]
	v_ldexp_f32 v33, v32, 1
	v_fma_f32 v31, v30, s4, -v28
	v_fmamk_f32 v32, v30, 0xb102e308, v31
	v_pk_add_f32 v[30:31], v[28:29], v[32:33]
	v_mov_b32_e32 v36, v28
	v_sub_f32_e32 v33, v31, v33
	v_sub_f32_e32 v33, v29, v33
	v_add_f32_e32 v37, v37, v33
	v_pk_add_f32 v[28:29], v[30:31], v[28:29] neg_lo:[0,1] neg_hi:[0,1]
	v_pk_add_f32 v[38:39], v[30:31], v[36:37]
	v_mov_b32_e32 v33, v30
	v_mov_b32_e32 v29, v39
	v_pk_add_f32 v[40:41], v[32:33], v[28:29] neg_lo:[0,1] neg_hi:[0,1]
	v_pk_add_f32 v[28:29], v[32:33], v[28:29]
	v_mov_b32_e32 v36, v37
	v_mov_b32_e32 v32, v29
	v_pk_add_f32 v[42:43], v[32:33], v[30:31] neg_lo:[0,1] neg_hi:[0,1]
	v_mov_b32_e32 v28, v39
	v_mov_b32_e32 v33, v42
	v_pk_add_f32 v[44:45], v[38:39], v[32:33] neg_lo:[0,1] neg_hi:[0,1]
	v_mov_b32_e32 v38, v31
	v_mov_b32_e32 v39, v42
	;; [unrolled: 1-line block ×3, first 2 shown]
	v_pk_add_f32 v[28:29], v[28:29], v[38:39] neg_lo:[0,1] neg_hi:[0,1]
	v_mov_b32_e32 v37, v30
	v_pk_add_f32 v[28:29], v[36:37], v[28:29] neg_lo:[0,1] neg_hi:[0,1]
	v_mov_b32_e32 v44, v40
	v_pk_add_f32 v[30:31], v[44:45], v[28:29]
	s_mov_b32 s4, 0x33800000
	v_mov_b32_e32 v36, v31
	v_pk_add_f32 v[36:37], v[30:31], v[36:37]
	v_cmp_lt_f32_e64 s[4:5], |v35|, s4
	v_pk_add_f32 v[32:33], v[32:33], v[36:37]
	v_mov_b32_e32 v29, v36
	v_mov_b32_e32 v31, v32
	v_pk_add_f32 v[38:39], v[30:31], v[40:41] neg_lo:[0,1] neg_hi:[0,1]
	s_or_b64 s[54:55], s[54:55], s[4:5]
	v_sub_f32_e32 v30, v30, v38
	v_pk_add_f32 v[28:29], v[28:29], v[38:39] neg_lo:[0,1] neg_hi:[0,1]
	v_sub_f32_e32 v30, v40, v30
	v_add_f32_e32 v28, v28, v30
	v_add_f32_e32 v28, v28, v29
	;; [unrolled: 1-line block ×3, first 2 shown]
	v_cndmask_b32_e64 v28, v28, v35, s[54:55]
	v_add_f32_e32 v54, v27, v28
.LBB131_52:
	s_or_b64 exec, exec, s[2:3]
	v_max_f32_e32 v28, v54, v54
	v_max_f32_e32 v27, v5, v5
	v_min_f32_e32 v29, v28, v27
	v_cmp_u_f32_e64 s[56:57], v54, v54
	v_max_f32_e32 v28, v28, v27
	v_cmp_u_f32_e64 s[54:55], v5, v5
	v_cndmask_b32_e64 v29, v29, v54, s[56:57]
	v_cndmask_b32_e64 v28, v28, v54, s[56:57]
	v_cndmask_b32_e64 v29, v29, v5, s[54:55]
	v_cndmask_b32_e64 v28, v28, v5, s[54:55]
	s_movk_i32 s4, 0x1f8
	v_cmp_neq_f32_e64 s[56:57], v29, v28
	v_cmp_class_f32_e64 s[2:3], v29, s4
	s_or_b64 s[48:49], s[56:57], s[2:3]
	s_and_saveexec_b64 s[2:3], s[48:49]
	s_cbranch_execz .LBB131_54
; %bb.53:
	v_sub_f32_e32 v29, v29, v28
	s_mov_b32 s5, 0x3fb8aa3b
	v_mul_f32_e32 v30, 0x3fb8aa3b, v29
	v_fma_f32 v31, v29, s5, -v30
	v_rndne_f32_e32 v32, v30
	v_fmamk_f32 v31, v29, 0x32a5705f, v31
	v_sub_f32_e32 v30, v30, v32
	v_add_f32_e32 v30, v30, v31
	v_exp_f32_e32 v30, v30
	v_cvt_i32_f32_e32 v31, v32
	s_mov_b32 s5, 0xc2ce8ed0
	v_cmp_ngt_f32_e64 s[56:57], s5, v29
	s_mov_b32 s5, 0x42b17218
	v_ldexp_f32 v30, v30, v31
	v_cndmask_b32_e64 v30, 0, v30, s[56:57]
	v_mov_b32_e32 v31, 0x7f800000
	v_cmp_nlt_f32_e64 s[56:57], s5, v29
	s_mov_b32 s5, 0x3f2aaaab
	s_mov_b32 s6, 0x7f800000
	v_cndmask_b32_e64 v35, v31, v30, s[56:57]
	v_add_f32_e32 v29, 1.0, v35
	v_add_f32_e32 v30, -1.0, v29
	v_sub_f32_e32 v31, v30, v29
	v_add_f32_e32 v31, 1.0, v31
	v_sub_f32_e32 v30, v35, v30
	v_add_f32_e32 v32, v30, v31
	v_frexp_mant_f32_e32 v33, v29
	v_cvt_f64_f32_e32 v[30:31], v29
	v_frexp_exp_i32_f64_e32 v30, v[30:31]
	v_cmp_gt_f32_e64 s[56:57], s5, v33
	s_mov_b32 s5, 0x3f317218
	s_nop 0
	v_subbrev_co_u32_e64 v40, s[56:57], 0, v30, s[56:57]
	v_sub_u32_e32 v30, 0, v40
	v_ldexp_f32 v29, v29, v30
	v_ldexp_f32 v30, v32, v30
	v_add_f32_e32 v32, -1.0, v29
	v_add_f32_e32 v31, 1.0, v32
	v_sub_f32_e32 v31, v29, v31
	v_add_f32_e32 v33, v30, v31
	v_add_f32_e32 v31, 1.0, v29
	v_add_f32_e32 v36, -1.0, v31
	v_sub_f32_e32 v29, v29, v36
	v_add_f32_e32 v29, v30, v29
	v_add_f32_e32 v41, v31, v29
	v_rcp_f32_e32 v42, v41
	v_sub_f32_e32 v30, v31, v41
	v_add_f32_e32 v31, v32, v33
	v_add_f32_e32 v29, v29, v30
	v_mul_f32_e32 v44, v31, v42
	v_sub_f32_e32 v30, v32, v31
	v_mul_f32_e32 v32, v41, v44
	v_fma_f32 v36, v44, v41, -v32
	v_fmac_f32_e32 v36, v44, v29
	v_add_f32_e32 v43, v33, v30
	v_add_f32_e32 v30, v32, v36
	v_sub_f32_e32 v33, v31, v30
	v_pk_add_f32 v[38:39], v[30:31], v[32:33] neg_lo:[0,1] neg_hi:[0,1]
	v_mov_b32_e32 v37, v30
	v_pk_add_f32 v[30:31], v[38:39], v[36:37] neg_lo:[0,1] neg_hi:[0,1]
	v_cmp_eq_f32_e64 s[56:57], s6, v35
	v_add_f32_e32 v31, v43, v31
	v_add_f32_e32 v30, v30, v31
	;; [unrolled: 1-line block ×3, first 2 shown]
	v_mul_f32_e32 v43, v42, v31
	v_mul_f32_e32 v32, v41, v43
	v_fma_f32 v36, v43, v41, -v32
	v_fmac_f32_e32 v36, v43, v29
	v_sub_f32_e32 v29, v33, v31
	v_add_f32_e32 v29, v30, v29
	v_add_f32_e32 v30, v32, v36
	v_sub_f32_e32 v33, v31, v30
	v_pk_add_f32 v[38:39], v[30:31], v[32:33] neg_lo:[0,1] neg_hi:[0,1]
	v_mov_b32_e32 v37, v30
	v_pk_add_f32 v[30:31], v[38:39], v[36:37] neg_lo:[0,1] neg_hi:[0,1]
	v_cvt_f32_i32_e32 v32, v40
	v_add_f32_e32 v29, v29, v31
	v_add_f32_e32 v29, v30, v29
	v_add_f32_e32 v30, v44, v43
	v_add_f32_e32 v29, v33, v29
	v_sub_f32_e32 v31, v30, v44
	v_mul_f32_e32 v29, v42, v29
	v_sub_f32_e32 v31, v43, v31
	v_add_f32_e32 v29, v31, v29
	v_add_f32_e32 v33, v30, v29
	v_mul_f32_e32 v36, v33, v33
	v_mov_b32_e32 v31, 0x3ecc95a3
	v_fmac_f32_e32 v31, 0x3e9b6dac, v36
	v_sub_f32_e32 v30, v33, v30
	v_fmaak_f32 v31, v36, v31, 0x3f2aaada
	v_sub_f32_e32 v29, v29, v30
	v_ldexp_f32 v37, v33, 1
	v_mul_f32_e32 v33, v33, v36
	v_mov_b32_e32 v30, 0x3f317218
	v_pk_mul_f32 v[30:31], v[32:33], v[30:31]
	v_ldexp_f32 v29, v29, 1
	v_fma_f32 v33, v32, s5, -v30
	v_fmamk_f32 v36, v32, 0xb102e308, v33
	v_pk_add_f32 v[32:33], v[30:31], v[36:37]
	v_mov_b32_e32 v38, v30
	v_sub_f32_e32 v37, v33, v37
	v_sub_f32_e32 v37, v31, v37
	v_add_f32_e32 v39, v29, v37
	v_pk_add_f32 v[30:31], v[32:33], v[30:31] neg_lo:[0,1] neg_hi:[0,1]
	v_pk_add_f32 v[40:41], v[32:33], v[38:39]
	v_mov_b32_e32 v37, v32
	v_mov_b32_e32 v31, v41
	v_pk_add_f32 v[42:43], v[36:37], v[30:31] neg_lo:[0,1] neg_hi:[0,1]
	v_pk_add_f32 v[30:31], v[36:37], v[30:31]
	v_mov_b32_e32 v38, v39
	v_mov_b32_e32 v36, v31
	v_pk_add_f32 v[44:45], v[36:37], v[32:33] neg_lo:[0,1] neg_hi:[0,1]
	v_mov_b32_e32 v30, v41
	v_mov_b32_e32 v29, v44
	v_pk_add_f32 v[46:47], v[40:41], v[28:29] neg_lo:[0,1] neg_hi:[0,1]
	v_mov_b32_e32 v40, v33
	v_mov_b32_e32 v41, v44
	;; [unrolled: 1-line block ×3, first 2 shown]
	v_pk_add_f32 v[30:31], v[30:31], v[40:41] neg_lo:[0,1] neg_hi:[0,1]
	v_mov_b32_e32 v39, v32
	v_pk_add_f32 v[30:31], v[38:39], v[30:31] neg_lo:[0,1] neg_hi:[0,1]
	v_mov_b32_e32 v46, v42
	v_pk_add_f32 v[32:33], v[46:47], v[30:31]
	s_mov_b32 s5, 0x33800000
	v_mov_b32_e32 v38, v33
	v_pk_add_f32 v[38:39], v[32:33], v[38:39]
	v_cmp_lt_f32_e64 s[48:49], |v35|, s5
	v_pk_add_f32 v[36:37], v[36:37], v[38:39]
	v_mov_b32_e32 v31, v38
	v_mov_b32_e32 v33, v36
	v_pk_add_f32 v[40:41], v[32:33], v[42:43] neg_lo:[0,1] neg_hi:[0,1]
	s_or_b64 s[56:57], s[56:57], s[48:49]
	v_sub_f32_e32 v29, v32, v40
	v_pk_add_f32 v[30:31], v[30:31], v[40:41] neg_lo:[0,1] neg_hi:[0,1]
	v_sub_f32_e32 v29, v42, v29
	v_add_f32_e32 v29, v30, v29
	v_add_f32_e32 v29, v29, v31
	;; [unrolled: 1-line block ×3, first 2 shown]
	v_cndmask_b32_e64 v29, v29, v35, s[56:57]
	v_add_f32_e32 v54, v28, v29
.LBB131_54:
	s_or_b64 exec, exec, s[2:3]
	v_max_f32_e32 v28, v54, v54
	v_max_f32_e32 v30, v22, v22
	v_min_f32_e32 v29, v28, v30
	v_cmp_u_f32_e64 s[58:59], v54, v54
	v_max_f32_e32 v28, v28, v30
	v_cmp_u_f32_e64 s[56:57], v22, v22
	v_cndmask_b32_e64 v29, v29, v54, s[58:59]
	v_cndmask_b32_e64 v28, v28, v54, s[58:59]
	;; [unrolled: 1-line block ×4, first 2 shown]
	v_cmp_neq_f32_e64 s[58:59], v29, v28
	v_cmp_class_f32_e64 s[2:3], v29, s4
	s_or_b64 s[4:5], s[58:59], s[2:3]
	s_and_saveexec_b64 s[2:3], s[4:5]
	s_cbranch_execz .LBB131_56
; %bb.55:
	v_sub_f32_e32 v29, v29, v28
	s_mov_b32 s4, 0x3fb8aa3b
	v_mul_f32_e32 v31, 0x3fb8aa3b, v29
	v_fma_f32 v32, v29, s4, -v31
	v_rndne_f32_e32 v33, v31
	v_fmamk_f32 v32, v29, 0x32a5705f, v32
	v_sub_f32_e32 v31, v31, v33
	v_add_f32_e32 v31, v31, v32
	v_exp_f32_e32 v31, v31
	v_cvt_i32_f32_e32 v32, v33
	s_mov_b32 s4, 0xc2ce8ed0
	v_cmp_ngt_f32_e64 s[58:59], s4, v29
	s_mov_b32 s4, 0x42b17218
	v_ldexp_f32 v31, v31, v32
	v_cndmask_b32_e64 v31, 0, v31, s[58:59]
	v_mov_b32_e32 v32, 0x7f800000
	v_cmp_nlt_f32_e64 s[58:59], s4, v29
	s_mov_b32 s4, 0x3f2aaaab
	s_mov_b32 s5, 0x7f800000
	v_cndmask_b32_e64 v31, v32, v31, s[58:59]
	v_add_f32_e32 v29, 1.0, v31
	v_add_f32_e32 v32, -1.0, v29
	v_sub_f32_e32 v33, v32, v29
	v_add_f32_e32 v33, 1.0, v33
	v_sub_f32_e32 v32, v31, v32
	v_add_f32_e32 v35, v32, v33
	v_frexp_mant_f32_e32 v36, v29
	v_cvt_f64_f32_e32 v[32:33], v29
	v_frexp_exp_i32_f64_e32 v32, v[32:33]
	v_cmp_gt_f32_e64 s[58:59], s4, v36
	s_mov_b32 s4, 0x3f317218
	s_nop 0
	v_subbrev_co_u32_e64 v42, s[58:59], 0, v32, s[58:59]
	v_sub_u32_e32 v32, 0, v42
	v_ldexp_f32 v29, v29, v32
	v_ldexp_f32 v32, v35, v32
	v_add_f32_e32 v35, -1.0, v29
	v_add_f32_e32 v33, 1.0, v35
	v_sub_f32_e32 v33, v29, v33
	v_add_f32_e32 v36, v32, v33
	v_add_f32_e32 v33, 1.0, v29
	v_add_f32_e32 v37, -1.0, v33
	v_sub_f32_e32 v29, v29, v37
	v_add_f32_e32 v29, v32, v29
	v_add_f32_e32 v43, v33, v29
	v_rcp_f32_e32 v44, v43
	v_sub_f32_e32 v32, v33, v43
	v_add_f32_e32 v33, v35, v36
	v_add_f32_e32 v29, v29, v32
	v_sub_f32_e32 v32, v35, v33
	v_mul_f32_e32 v45, v33, v44
	v_add_f32_e32 v35, v36, v32
	v_mul_f32_e32 v36, v43, v45
	v_fma_f32 v38, v45, v43, -v36
	v_fmac_f32_e32 v38, v45, v29
	v_add_f32_e32 v32, v36, v38
	v_sub_f32_e32 v37, v33, v32
	v_pk_add_f32 v[40:41], v[32:33], v[36:37] neg_lo:[0,1] neg_hi:[0,1]
	v_mov_b32_e32 v39, v32
	v_pk_add_f32 v[32:33], v[40:41], v[38:39] neg_lo:[0,1] neg_hi:[0,1]
	v_cmp_eq_f32_e64 s[58:59], s5, v31
	v_add_f32_e32 v33, v35, v33
	v_add_f32_e32 v32, v32, v33
	;; [unrolled: 1-line block ×3, first 2 shown]
	v_mul_f32_e32 v35, v44, v33
	v_mul_f32_e32 v36, v43, v35
	v_fma_f32 v38, v35, v43, -v36
	v_fmac_f32_e32 v38, v35, v29
	v_sub_f32_e32 v29, v37, v33
	v_add_f32_e32 v29, v32, v29
	v_add_f32_e32 v32, v36, v38
	v_sub_f32_e32 v37, v33, v32
	v_pk_add_f32 v[40:41], v[32:33], v[36:37] neg_lo:[0,1] neg_hi:[0,1]
	v_mov_b32_e32 v39, v32
	v_pk_add_f32 v[32:33], v[40:41], v[38:39] neg_lo:[0,1] neg_hi:[0,1]
	v_cvt_f32_i32_e32 v36, v42
	v_add_f32_e32 v29, v29, v33
	v_add_f32_e32 v29, v32, v29
	;; [unrolled: 1-line block ×4, first 2 shown]
	v_sub_f32_e32 v33, v32, v45
	v_mul_f32_e32 v29, v44, v29
	v_sub_f32_e32 v33, v35, v33
	v_add_f32_e32 v29, v33, v29
	v_add_f32_e32 v35, v32, v29
	v_mul_f32_e32 v37, v35, v35
	v_mov_b32_e32 v33, 0x3ecc95a3
	v_fmac_f32_e32 v33, 0x3e9b6dac, v37
	v_sub_f32_e32 v32, v35, v32
	v_fmaak_f32 v33, v37, v33, 0x3f2aaada
	v_sub_f32_e32 v29, v29, v32
	v_mul_f32_e32 v37, v35, v37
	v_mov_b32_e32 v32, 0x3f317218
	v_pk_mul_f32 v[32:33], v[36:37], v[32:33]
	v_ldexp_f32 v39, v35, 1
	v_fma_f32 v35, v36, s4, -v32
	v_fmamk_f32 v38, v36, 0xb102e308, v35
	v_pk_add_f32 v[36:37], v[32:33], v[38:39]
	v_ldexp_f32 v29, v29, 1
	v_sub_f32_e32 v35, v37, v39
	v_sub_f32_e32 v35, v33, v35
	v_add_f32_e32 v41, v29, v35
	v_mov_b32_e32 v40, v32
	v_pk_add_f32 v[32:33], v[36:37], v[32:33] neg_lo:[0,1] neg_hi:[0,1]
	v_pk_add_f32 v[42:43], v[36:37], v[40:41]
	v_mov_b32_e32 v39, v36
	v_mov_b32_e32 v33, v43
	v_pk_add_f32 v[44:45], v[38:39], v[32:33] neg_lo:[0,1] neg_hi:[0,1]
	v_pk_add_f32 v[32:33], v[38:39], v[32:33]
	v_mov_b32_e32 v40, v41
	v_mov_b32_e32 v38, v33
	v_pk_add_f32 v[46:47], v[38:39], v[36:37] neg_lo:[0,1] neg_hi:[0,1]
	v_mov_b32_e32 v32, v43
	v_mov_b32_e32 v29, v46
	v_pk_add_f32 v[48:49], v[42:43], v[28:29] neg_lo:[0,1] neg_hi:[0,1]
	v_mov_b32_e32 v42, v37
	v_mov_b32_e32 v43, v46
	;; [unrolled: 1-line block ×3, first 2 shown]
	v_pk_add_f32 v[32:33], v[32:33], v[42:43] neg_lo:[0,1] neg_hi:[0,1]
	v_mov_b32_e32 v41, v36
	v_pk_add_f32 v[32:33], v[40:41], v[32:33] neg_lo:[0,1] neg_hi:[0,1]
	v_mov_b32_e32 v48, v44
	v_pk_add_f32 v[36:37], v[48:49], v[32:33]
	s_mov_b32 s4, 0x33800000
	v_mov_b32_e32 v40, v37
	v_pk_add_f32 v[40:41], v[36:37], v[40:41]
	v_cmp_lt_f32_e64 s[4:5], |v31|, s4
	v_pk_add_f32 v[38:39], v[38:39], v[40:41]
	v_mov_b32_e32 v33, v40
	v_mov_b32_e32 v37, v38
	v_pk_add_f32 v[42:43], v[36:37], v[44:45] neg_lo:[0,1] neg_hi:[0,1]
	s_or_b64 s[58:59], s[58:59], s[4:5]
	v_sub_f32_e32 v29, v36, v42
	v_pk_add_f32 v[32:33], v[32:33], v[42:43] neg_lo:[0,1] neg_hi:[0,1]
	v_sub_f32_e32 v29, v44, v29
	v_add_f32_e32 v29, v32, v29
	v_add_f32_e32 v29, v29, v33
	;; [unrolled: 1-line block ×3, first 2 shown]
	v_cndmask_b32_e64 v29, v29, v31, s[58:59]
	v_add_f32_e32 v54, v28, v29
.LBB131_56:
	s_or_b64 exec, exec, s[2:3]
	v_max_f32_e32 v28, v54, v54
	v_max_f32_e32 v31, v23, v23
	v_min_f32_e32 v29, v28, v31
	v_cmp_u_f32_e64 s[60:61], v54, v54
	v_max_f32_e32 v28, v28, v31
	v_cmp_u_f32_e64 s[58:59], v23, v23
	v_cndmask_b32_e64 v29, v29, v54, s[60:61]
	v_cndmask_b32_e64 v28, v28, v54, s[60:61]
	v_cndmask_b32_e64 v29, v29, v23, s[58:59]
	v_cndmask_b32_e64 v28, v28, v23, s[58:59]
	s_movk_i32 s4, 0x1f8
	v_cmp_neq_f32_e64 s[60:61], v29, v28
	v_cmp_class_f32_e64 s[2:3], v29, s4
	s_or_b64 s[48:49], s[60:61], s[2:3]
	s_and_saveexec_b64 s[2:3], s[48:49]
	s_cbranch_execz .LBB131_58
; %bb.57:
	v_sub_f32_e32 v29, v29, v28
	s_mov_b32 s5, 0x3fb8aa3b
	v_mul_f32_e32 v32, 0x3fb8aa3b, v29
	v_fma_f32 v33, v29, s5, -v32
	v_rndne_f32_e32 v35, v32
	v_fmamk_f32 v33, v29, 0x32a5705f, v33
	v_sub_f32_e32 v32, v32, v35
	v_add_f32_e32 v32, v32, v33
	v_exp_f32_e32 v32, v32
	v_cvt_i32_f32_e32 v33, v35
	s_mov_b32 s5, 0xc2ce8ed0
	v_cmp_ngt_f32_e64 s[60:61], s5, v29
	s_mov_b32 s5, 0x42b17218
	v_ldexp_f32 v32, v32, v33
	v_cndmask_b32_e64 v32, 0, v32, s[60:61]
	v_mov_b32_e32 v33, 0x7f800000
	v_cmp_nlt_f32_e64 s[60:61], s5, v29
	s_mov_b32 s5, 0x3f2aaaab
	s_mov_b32 s6, 0x7f800000
	v_cndmask_b32_e64 v35, v33, v32, s[60:61]
	v_add_f32_e32 v29, 1.0, v35
	v_add_f32_e32 v32, -1.0, v29
	v_sub_f32_e32 v33, v32, v29
	v_add_f32_e32 v33, 1.0, v33
	v_sub_f32_e32 v32, v35, v32
	v_add_f32_e32 v36, v32, v33
	v_frexp_mant_f32_e32 v37, v29
	v_cvt_f64_f32_e32 v[32:33], v29
	v_frexp_exp_i32_f64_e32 v32, v[32:33]
	v_cmp_gt_f32_e64 s[60:61], s5, v37
	s_mov_b32 s5, 0x3f317218
	s_nop 0
	v_subbrev_co_u32_e64 v42, s[60:61], 0, v32, s[60:61]
	v_sub_u32_e32 v32, 0, v42
	v_ldexp_f32 v29, v29, v32
	v_ldexp_f32 v32, v36, v32
	v_add_f32_e32 v36, -1.0, v29
	v_add_f32_e32 v33, 1.0, v36
	v_sub_f32_e32 v33, v29, v33
	v_add_f32_e32 v37, v32, v33
	v_add_f32_e32 v33, 1.0, v29
	v_add_f32_e32 v38, -1.0, v33
	v_sub_f32_e32 v29, v29, v38
	v_add_f32_e32 v29, v32, v29
	v_add_f32_e32 v43, v33, v29
	v_rcp_f32_e32 v44, v43
	v_sub_f32_e32 v32, v33, v43
	v_add_f32_e32 v33, v36, v37
	v_add_f32_e32 v29, v29, v32
	v_mul_f32_e32 v46, v33, v44
	v_sub_f32_e32 v32, v36, v33
	v_mul_f32_e32 v36, v43, v46
	v_fma_f32 v38, v46, v43, -v36
	v_fmac_f32_e32 v38, v46, v29
	v_add_f32_e32 v45, v37, v32
	v_add_f32_e32 v32, v36, v38
	v_sub_f32_e32 v37, v33, v32
	v_pk_add_f32 v[40:41], v[32:33], v[36:37] neg_lo:[0,1] neg_hi:[0,1]
	v_mov_b32_e32 v39, v32
	v_pk_add_f32 v[32:33], v[40:41], v[38:39] neg_lo:[0,1] neg_hi:[0,1]
	v_cmp_eq_f32_e64 s[60:61], s6, v35
	v_add_f32_e32 v33, v45, v33
	v_add_f32_e32 v32, v32, v33
	;; [unrolled: 1-line block ×3, first 2 shown]
	v_mul_f32_e32 v45, v44, v33
	v_mul_f32_e32 v36, v43, v45
	v_fma_f32 v38, v45, v43, -v36
	v_fmac_f32_e32 v38, v45, v29
	v_sub_f32_e32 v29, v37, v33
	v_add_f32_e32 v29, v32, v29
	v_add_f32_e32 v32, v36, v38
	v_sub_f32_e32 v37, v33, v32
	v_pk_add_f32 v[40:41], v[32:33], v[36:37] neg_lo:[0,1] neg_hi:[0,1]
	v_mov_b32_e32 v39, v32
	v_pk_add_f32 v[32:33], v[40:41], v[38:39] neg_lo:[0,1] neg_hi:[0,1]
	v_cvt_f32_i32_e32 v36, v42
	v_add_f32_e32 v29, v29, v33
	v_add_f32_e32 v29, v32, v29
	;; [unrolled: 1-line block ×4, first 2 shown]
	v_sub_f32_e32 v33, v32, v46
	v_mul_f32_e32 v29, v44, v29
	v_sub_f32_e32 v33, v45, v33
	v_add_f32_e32 v29, v33, v29
	v_add_f32_e32 v37, v32, v29
	v_mul_f32_e32 v38, v37, v37
	v_mov_b32_e32 v33, 0x3ecc95a3
	v_fmac_f32_e32 v33, 0x3e9b6dac, v38
	v_sub_f32_e32 v32, v37, v32
	v_fmaak_f32 v33, v38, v33, 0x3f2aaada
	v_sub_f32_e32 v29, v29, v32
	v_ldexp_f32 v39, v37, 1
	v_mul_f32_e32 v37, v37, v38
	v_mov_b32_e32 v32, 0x3f317218
	v_pk_mul_f32 v[32:33], v[36:37], v[32:33]
	v_ldexp_f32 v29, v29, 1
	v_fma_f32 v37, v36, s5, -v32
	v_fmamk_f32 v38, v36, 0xb102e308, v37
	v_pk_add_f32 v[36:37], v[32:33], v[38:39]
	v_mov_b32_e32 v40, v32
	v_sub_f32_e32 v39, v37, v39
	v_sub_f32_e32 v39, v33, v39
	v_add_f32_e32 v41, v29, v39
	v_pk_add_f32 v[32:33], v[36:37], v[32:33] neg_lo:[0,1] neg_hi:[0,1]
	v_pk_add_f32 v[42:43], v[36:37], v[40:41]
	v_mov_b32_e32 v39, v36
	v_mov_b32_e32 v33, v43
	v_pk_add_f32 v[44:45], v[38:39], v[32:33] neg_lo:[0,1] neg_hi:[0,1]
	v_pk_add_f32 v[32:33], v[38:39], v[32:33]
	v_mov_b32_e32 v40, v41
	v_mov_b32_e32 v38, v33
	v_pk_add_f32 v[46:47], v[38:39], v[36:37] neg_lo:[0,1] neg_hi:[0,1]
	v_mov_b32_e32 v32, v43
	v_mov_b32_e32 v29, v46
	v_pk_add_f32 v[48:49], v[42:43], v[28:29] neg_lo:[0,1] neg_hi:[0,1]
	v_mov_b32_e32 v42, v37
	v_mov_b32_e32 v43, v46
	;; [unrolled: 1-line block ×3, first 2 shown]
	v_pk_add_f32 v[32:33], v[32:33], v[42:43] neg_lo:[0,1] neg_hi:[0,1]
	v_mov_b32_e32 v41, v36
	v_pk_add_f32 v[32:33], v[40:41], v[32:33] neg_lo:[0,1] neg_hi:[0,1]
	v_mov_b32_e32 v48, v44
	v_pk_add_f32 v[36:37], v[48:49], v[32:33]
	s_mov_b32 s5, 0x33800000
	v_mov_b32_e32 v40, v37
	v_pk_add_f32 v[40:41], v[36:37], v[40:41]
	v_cmp_lt_f32_e64 s[48:49], |v35|, s5
	v_pk_add_f32 v[38:39], v[38:39], v[40:41]
	v_mov_b32_e32 v33, v40
	v_mov_b32_e32 v37, v38
	v_pk_add_f32 v[42:43], v[36:37], v[44:45] neg_lo:[0,1] neg_hi:[0,1]
	s_or_b64 s[60:61], s[60:61], s[48:49]
	v_sub_f32_e32 v29, v36, v42
	v_pk_add_f32 v[32:33], v[32:33], v[42:43] neg_lo:[0,1] neg_hi:[0,1]
	v_sub_f32_e32 v29, v44, v29
	v_add_f32_e32 v29, v32, v29
	v_add_f32_e32 v29, v29, v33
	;; [unrolled: 1-line block ×3, first 2 shown]
	v_cndmask_b32_e64 v29, v29, v35, s[60:61]
	v_add_f32_e32 v54, v28, v29
.LBB131_58:
	s_or_b64 exec, exec, s[2:3]
	v_max_f32_e32 v28, v54, v54
	v_max_f32_e32 v32, v24, v24
	v_min_f32_e32 v29, v28, v32
	v_cmp_u_f32_e64 s[62:63], v54, v54
	v_max_f32_e32 v28, v28, v32
	v_cmp_u_f32_e64 s[60:61], v24, v24
	v_cndmask_b32_e64 v29, v29, v54, s[62:63]
	v_cndmask_b32_e64 v28, v28, v54, s[62:63]
	;; [unrolled: 1-line block ×4, first 2 shown]
	v_cmp_neq_f32_e64 s[62:63], v29, v28
	v_cmp_class_f32_e64 s[2:3], v29, s4
	s_or_b64 s[4:5], s[62:63], s[2:3]
	s_and_saveexec_b64 s[2:3], s[4:5]
	s_cbranch_execz .LBB131_60
; %bb.59:
	v_sub_f32_e32 v29, v29, v28
	s_mov_b32 s4, 0x3fb8aa3b
	v_mul_f32_e32 v33, 0x3fb8aa3b, v29
	v_fma_f32 v35, v29, s4, -v33
	v_rndne_f32_e32 v36, v33
	v_fmamk_f32 v35, v29, 0x32a5705f, v35
	v_sub_f32_e32 v33, v33, v36
	v_add_f32_e32 v33, v33, v35
	v_exp_f32_e32 v33, v33
	v_cvt_i32_f32_e32 v35, v36
	s_mov_b32 s4, 0xc2ce8ed0
	v_cmp_ngt_f32_e64 s[62:63], s4, v29
	s_mov_b32 s4, 0x42b17218
	v_ldexp_f32 v33, v33, v35
	v_cndmask_b32_e64 v33, 0, v33, s[62:63]
	v_mov_b32_e32 v35, 0x7f800000
	v_cmp_nlt_f32_e64 s[62:63], s4, v29
	s_mov_b32 s4, 0x3f2aaaab
	s_mov_b32 s5, 0x7f800000
	v_cndmask_b32_e64 v33, v35, v33, s[62:63]
	v_add_f32_e32 v29, 1.0, v33
	v_add_f32_e32 v35, -1.0, v29
	v_sub_f32_e32 v36, v35, v29
	v_add_f32_e32 v36, 1.0, v36
	v_sub_f32_e32 v35, v33, v35
	v_add_f32_e32 v35, v35, v36
	v_frexp_mant_f32_e32 v38, v29
	v_cvt_f64_f32_e32 v[36:37], v29
	v_frexp_exp_i32_f64_e32 v36, v[36:37]
	v_cmp_gt_f32_e64 s[62:63], s4, v38
	s_mov_b32 s4, 0x3f317218
	s_nop 0
	v_subbrev_co_u32_e64 v44, s[62:63], 0, v36, s[62:63]
	v_sub_u32_e32 v36, 0, v44
	v_ldexp_f32 v29, v29, v36
	v_ldexp_f32 v35, v35, v36
	v_add_f32_e32 v36, -1.0, v29
	v_add_f32_e32 v37, 1.0, v36
	v_sub_f32_e32 v37, v29, v37
	v_add_f32_e32 v38, v35, v37
	v_add_f32_e32 v37, 1.0, v29
	v_add_f32_e32 v39, -1.0, v37
	v_sub_f32_e32 v29, v29, v39
	v_add_f32_e32 v29, v35, v29
	v_add_f32_e32 v35, v37, v29
	v_rcp_f32_e32 v45, v35
	v_sub_f32_e32 v37, v37, v35
	v_add_f32_e32 v29, v29, v37
	v_add_f32_e32 v37, v36, v38
	v_sub_f32_e32 v36, v36, v37
	v_mul_f32_e32 v47, v37, v45
	v_add_f32_e32 v46, v38, v36
	v_mul_f32_e32 v38, v35, v47
	v_fma_f32 v40, v47, v35, -v38
	v_fmac_f32_e32 v40, v47, v29
	v_add_f32_e32 v36, v38, v40
	v_sub_f32_e32 v39, v37, v36
	v_pk_add_f32 v[42:43], v[36:37], v[38:39] neg_lo:[0,1] neg_hi:[0,1]
	v_mov_b32_e32 v41, v36
	v_pk_add_f32 v[36:37], v[42:43], v[40:41] neg_lo:[0,1] neg_hi:[0,1]
	v_cmp_eq_f32_e64 s[62:63], s5, v33
	v_add_f32_e32 v37, v46, v37
	v_add_f32_e32 v36, v36, v37
	;; [unrolled: 1-line block ×3, first 2 shown]
	v_mul_f32_e32 v46, v45, v37
	v_mul_f32_e32 v38, v35, v46
	v_fma_f32 v40, v46, v35, -v38
	v_fmac_f32_e32 v40, v46, v29
	v_sub_f32_e32 v29, v39, v37
	v_add_f32_e32 v29, v36, v29
	v_add_f32_e32 v36, v38, v40
	v_sub_f32_e32 v39, v37, v36
	v_pk_add_f32 v[42:43], v[36:37], v[38:39] neg_lo:[0,1] neg_hi:[0,1]
	v_mov_b32_e32 v41, v36
	v_pk_add_f32 v[36:37], v[42:43], v[40:41] neg_lo:[0,1] neg_hi:[0,1]
	v_add_f32_e32 v35, v47, v46
	v_add_f32_e32 v29, v29, v37
	;; [unrolled: 1-line block ×4, first 2 shown]
	v_sub_f32_e32 v36, v35, v47
	v_mul_f32_e32 v29, v45, v29
	v_sub_f32_e32 v36, v46, v36
	v_add_f32_e32 v29, v36, v29
	v_add_f32_e32 v36, v35, v29
	v_cvt_f32_i32_e32 v38, v44
	v_mul_f32_e32 v39, v36, v36
	v_mov_b32_e32 v37, 0x3ecc95a3
	v_fmac_f32_e32 v37, 0x3e9b6dac, v39
	v_fmaak_f32 v37, v39, v37, 0x3f2aaada
	v_sub_f32_e32 v35, v36, v35
	v_ldexp_f32 v41, v36, 1
	v_mul_f32_e32 v39, v36, v39
	v_mov_b32_e32 v36, 0x3f317218
	v_pk_mul_f32 v[36:37], v[38:39], v[36:37]
	v_sub_f32_e32 v29, v29, v35
	v_fma_f32 v35, v38, s4, -v36
	v_fmamk_f32 v40, v38, 0xb102e308, v35
	v_pk_add_f32 v[38:39], v[36:37], v[40:41]
	v_ldexp_f32 v29, v29, 1
	v_sub_f32_e32 v35, v39, v41
	v_sub_f32_e32 v35, v37, v35
	v_add_f32_e32 v43, v29, v35
	v_mov_b32_e32 v42, v36
	v_pk_add_f32 v[36:37], v[38:39], v[36:37] neg_lo:[0,1] neg_hi:[0,1]
	v_pk_add_f32 v[44:45], v[38:39], v[42:43]
	v_mov_b32_e32 v41, v38
	v_mov_b32_e32 v37, v45
	v_pk_add_f32 v[46:47], v[40:41], v[36:37] neg_lo:[0,1] neg_hi:[0,1]
	v_pk_add_f32 v[36:37], v[40:41], v[36:37]
	v_mov_b32_e32 v42, v43
	v_mov_b32_e32 v40, v37
	v_pk_add_f32 v[48:49], v[40:41], v[38:39] neg_lo:[0,1] neg_hi:[0,1]
	v_mov_b32_e32 v36, v45
	v_mov_b32_e32 v29, v48
	v_pk_add_f32 v[54:55], v[44:45], v[28:29] neg_lo:[0,1] neg_hi:[0,1]
	v_mov_b32_e32 v44, v39
	v_mov_b32_e32 v45, v48
	;; [unrolled: 1-line block ×3, first 2 shown]
	v_pk_add_f32 v[36:37], v[36:37], v[44:45] neg_lo:[0,1] neg_hi:[0,1]
	v_mov_b32_e32 v43, v38
	v_pk_add_f32 v[36:37], v[42:43], v[36:37] neg_lo:[0,1] neg_hi:[0,1]
	v_mov_b32_e32 v54, v46
	v_pk_add_f32 v[38:39], v[54:55], v[36:37]
	s_mov_b32 s4, 0x33800000
	v_mov_b32_e32 v42, v39
	v_pk_add_f32 v[42:43], v[38:39], v[42:43]
	v_cmp_lt_f32_e64 s[4:5], |v33|, s4
	v_pk_add_f32 v[40:41], v[40:41], v[42:43]
	v_mov_b32_e32 v37, v42
	v_mov_b32_e32 v39, v40
	v_pk_add_f32 v[44:45], v[38:39], v[46:47] neg_lo:[0,1] neg_hi:[0,1]
	s_or_b64 s[62:63], s[62:63], s[4:5]
	v_sub_f32_e32 v29, v38, v44
	v_pk_add_f32 v[36:37], v[36:37], v[44:45] neg_lo:[0,1] neg_hi:[0,1]
	v_sub_f32_e32 v29, v46, v29
	v_add_f32_e32 v29, v36, v29
	v_add_f32_e32 v29, v29, v37
	;; [unrolled: 1-line block ×3, first 2 shown]
	v_cndmask_b32_e64 v29, v29, v33, s[62:63]
	v_add_f32_e32 v54, v28, v29
.LBB131_60:
	s_or_b64 exec, exec, s[2:3]
	v_max_f32_e32 v28, v54, v54
	v_max_f32_e32 v33, v25, v25
	v_min_f32_e32 v29, v28, v33
	v_cmp_u_f32_e64 s[64:65], v54, v54
	v_max_f32_e32 v28, v28, v33
	v_cmp_u_f32_e64 s[62:63], v25, v25
	v_cndmask_b32_e64 v29, v29, v54, s[64:65]
	v_cndmask_b32_e64 v28, v28, v54, s[64:65]
	;; [unrolled: 1-line block ×4, first 2 shown]
	s_movk_i32 s4, 0x1f8
	v_cmp_neq_f32_e64 s[64:65], v29, v28
	v_cmp_class_f32_e64 s[2:3], v29, s4
	s_or_b64 s[48:49], s[64:65], s[2:3]
	s_and_saveexec_b64 s[2:3], s[48:49]
	s_cbranch_execz .LBB131_62
; %bb.61:
	v_sub_f32_e32 v29, v29, v28
	s_mov_b32 s5, 0x3fb8aa3b
	v_mul_f32_e32 v35, 0x3fb8aa3b, v29
	v_fma_f32 v36, v29, s5, -v35
	v_rndne_f32_e32 v37, v35
	v_fmamk_f32 v36, v29, 0x32a5705f, v36
	v_sub_f32_e32 v35, v35, v37
	v_add_f32_e32 v35, v35, v36
	v_exp_f32_e32 v35, v35
	v_cvt_i32_f32_e32 v36, v37
	s_mov_b32 s5, 0xc2ce8ed0
	v_cmp_ngt_f32_e64 s[64:65], s5, v29
	s_mov_b32 s5, 0x42b17218
	v_ldexp_f32 v35, v35, v36
	v_cndmask_b32_e64 v35, 0, v35, s[64:65]
	v_mov_b32_e32 v36, 0x7f800000
	v_cmp_nlt_f32_e64 s[64:65], s5, v29
	s_mov_b32 s5, 0x3f2aaaab
	s_mov_b32 s6, 0x7f800000
	v_cndmask_b32_e64 v35, v36, v35, s[64:65]
	v_add_f32_e32 v29, 1.0, v35
	v_add_f32_e32 v36, -1.0, v29
	v_sub_f32_e32 v37, v36, v29
	v_add_f32_e32 v37, 1.0, v37
	v_sub_f32_e32 v36, v35, v36
	v_add_f32_e32 v38, v36, v37
	v_frexp_mant_f32_e32 v39, v29
	v_cvt_f64_f32_e32 v[36:37], v29
	v_frexp_exp_i32_f64_e32 v36, v[36:37]
	v_cmp_gt_f32_e64 s[64:65], s5, v39
	s_mov_b32 s5, 0x3f317218
	s_nop 0
	v_subbrev_co_u32_e64 v44, s[64:65], 0, v36, s[64:65]
	v_sub_u32_e32 v36, 0, v44
	v_ldexp_f32 v29, v29, v36
	v_ldexp_f32 v36, v38, v36
	v_add_f32_e32 v38, -1.0, v29
	v_add_f32_e32 v37, 1.0, v38
	v_sub_f32_e32 v37, v29, v37
	v_add_f32_e32 v39, v36, v37
	v_add_f32_e32 v37, 1.0, v29
	v_add_f32_e32 v40, -1.0, v37
	v_sub_f32_e32 v29, v29, v40
	v_add_f32_e32 v29, v36, v29
	v_add_f32_e32 v45, v37, v29
	v_rcp_f32_e32 v46, v45
	v_sub_f32_e32 v36, v37, v45
	v_add_f32_e32 v37, v38, v39
	v_add_f32_e32 v29, v29, v36
	v_mul_f32_e32 v48, v37, v46
	v_sub_f32_e32 v36, v38, v37
	v_mul_f32_e32 v38, v45, v48
	v_fma_f32 v40, v48, v45, -v38
	v_fmac_f32_e32 v40, v48, v29
	v_add_f32_e32 v47, v39, v36
	v_add_f32_e32 v36, v38, v40
	v_sub_f32_e32 v39, v37, v36
	v_pk_add_f32 v[42:43], v[36:37], v[38:39] neg_lo:[0,1] neg_hi:[0,1]
	v_mov_b32_e32 v41, v36
	v_pk_add_f32 v[36:37], v[42:43], v[40:41] neg_lo:[0,1] neg_hi:[0,1]
	v_cmp_eq_f32_e64 s[64:65], s6, v35
	v_add_f32_e32 v37, v47, v37
	v_add_f32_e32 v36, v36, v37
	;; [unrolled: 1-line block ×3, first 2 shown]
	v_mul_f32_e32 v47, v46, v37
	v_mul_f32_e32 v38, v45, v47
	v_fma_f32 v40, v47, v45, -v38
	v_fmac_f32_e32 v40, v47, v29
	v_sub_f32_e32 v29, v39, v37
	v_add_f32_e32 v29, v36, v29
	v_add_f32_e32 v36, v38, v40
	v_sub_f32_e32 v39, v37, v36
	v_pk_add_f32 v[42:43], v[36:37], v[38:39] neg_lo:[0,1] neg_hi:[0,1]
	v_mov_b32_e32 v41, v36
	v_pk_add_f32 v[36:37], v[42:43], v[40:41] neg_lo:[0,1] neg_hi:[0,1]
	v_cvt_f32_i32_e32 v38, v44
	v_add_f32_e32 v29, v29, v37
	v_add_f32_e32 v29, v36, v29
	;; [unrolled: 1-line block ×4, first 2 shown]
	v_sub_f32_e32 v37, v36, v48
	v_mul_f32_e32 v29, v46, v29
	v_sub_f32_e32 v37, v47, v37
	v_add_f32_e32 v29, v37, v29
	v_add_f32_e32 v39, v36, v29
	v_mul_f32_e32 v40, v39, v39
	v_mov_b32_e32 v37, 0x3ecc95a3
	v_fmac_f32_e32 v37, 0x3e9b6dac, v40
	v_sub_f32_e32 v36, v39, v36
	v_fmaak_f32 v37, v40, v37, 0x3f2aaada
	v_sub_f32_e32 v29, v29, v36
	v_ldexp_f32 v41, v39, 1
	v_mul_f32_e32 v39, v39, v40
	v_mov_b32_e32 v36, 0x3f317218
	v_pk_mul_f32 v[36:37], v[38:39], v[36:37]
	v_ldexp_f32 v29, v29, 1
	v_fma_f32 v39, v38, s5, -v36
	v_fmamk_f32 v40, v38, 0xb102e308, v39
	v_pk_add_f32 v[38:39], v[36:37], v[40:41]
	v_mov_b32_e32 v42, v36
	v_sub_f32_e32 v41, v39, v41
	v_sub_f32_e32 v41, v37, v41
	v_add_f32_e32 v43, v29, v41
	v_pk_add_f32 v[36:37], v[38:39], v[36:37] neg_lo:[0,1] neg_hi:[0,1]
	v_pk_add_f32 v[44:45], v[38:39], v[42:43]
	v_mov_b32_e32 v41, v38
	v_mov_b32_e32 v37, v45
	v_pk_add_f32 v[46:47], v[40:41], v[36:37] neg_lo:[0,1] neg_hi:[0,1]
	v_pk_add_f32 v[36:37], v[40:41], v[36:37]
	v_mov_b32_e32 v42, v43
	v_mov_b32_e32 v40, v37
	v_pk_add_f32 v[48:49], v[40:41], v[38:39] neg_lo:[0,1] neg_hi:[0,1]
	v_mov_b32_e32 v36, v45
	v_mov_b32_e32 v29, v48
	v_pk_add_f32 v[54:55], v[44:45], v[28:29] neg_lo:[0,1] neg_hi:[0,1]
	v_mov_b32_e32 v44, v39
	v_mov_b32_e32 v45, v48
	;; [unrolled: 1-line block ×3, first 2 shown]
	v_pk_add_f32 v[36:37], v[36:37], v[44:45] neg_lo:[0,1] neg_hi:[0,1]
	v_mov_b32_e32 v43, v38
	v_pk_add_f32 v[36:37], v[42:43], v[36:37] neg_lo:[0,1] neg_hi:[0,1]
	v_mov_b32_e32 v54, v46
	v_pk_add_f32 v[38:39], v[54:55], v[36:37]
	s_mov_b32 s5, 0x33800000
	v_mov_b32_e32 v42, v39
	v_pk_add_f32 v[42:43], v[38:39], v[42:43]
	v_cmp_lt_f32_e64 s[48:49], |v35|, s5
	v_pk_add_f32 v[40:41], v[40:41], v[42:43]
	v_mov_b32_e32 v37, v42
	v_mov_b32_e32 v39, v40
	v_pk_add_f32 v[44:45], v[38:39], v[46:47] neg_lo:[0,1] neg_hi:[0,1]
	s_or_b64 s[64:65], s[64:65], s[48:49]
	v_sub_f32_e32 v29, v38, v44
	v_pk_add_f32 v[36:37], v[36:37], v[44:45] neg_lo:[0,1] neg_hi:[0,1]
	v_sub_f32_e32 v29, v46, v29
	v_add_f32_e32 v29, v36, v29
	v_add_f32_e32 v29, v29, v37
	;; [unrolled: 1-line block ×3, first 2 shown]
	v_cndmask_b32_e64 v29, v29, v35, s[64:65]
	v_add_f32_e32 v54, v28, v29
.LBB131_62:
	s_or_b64 exec, exec, s[2:3]
	v_max_f32_e32 v28, v54, v54
	v_max_f32_e32 v35, v18, v18
	v_min_f32_e32 v29, v28, v35
	v_cmp_u_f32_e64 s[66:67], v54, v54
	v_max_f32_e32 v28, v28, v35
	v_cmp_u_f32_e64 s[64:65], v18, v18
	v_cndmask_b32_e64 v29, v29, v54, s[66:67]
	v_cndmask_b32_e64 v28, v28, v54, s[66:67]
	;; [unrolled: 1-line block ×4, first 2 shown]
	v_cmp_neq_f32_e64 s[66:67], v29, v28
	v_cmp_class_f32_e64 s[2:3], v29, s4
	s_or_b64 s[4:5], s[66:67], s[2:3]
	s_and_saveexec_b64 s[2:3], s[4:5]
	s_cbranch_execz .LBB131_64
; %bb.63:
	v_sub_f32_e32 v29, v29, v28
	s_mov_b32 s4, 0x3fb8aa3b
	v_mul_f32_e32 v36, 0x3fb8aa3b, v29
	v_fma_f32 v37, v29, s4, -v36
	v_rndne_f32_e32 v38, v36
	v_fmamk_f32 v37, v29, 0x32a5705f, v37
	v_sub_f32_e32 v36, v36, v38
	v_add_f32_e32 v36, v36, v37
	v_exp_f32_e32 v36, v36
	v_cvt_i32_f32_e32 v37, v38
	s_mov_b32 s4, 0xc2ce8ed0
	v_cmp_ngt_f32_e64 s[66:67], s4, v29
	s_mov_b32 s4, 0x42b17218
	v_ldexp_f32 v36, v36, v37
	v_cndmask_b32_e64 v36, 0, v36, s[66:67]
	v_mov_b32_e32 v37, 0x7f800000
	v_cmp_nlt_f32_e64 s[66:67], s4, v29
	s_mov_b32 s4, 0x3f2aaaab
	s_mov_b32 s5, 0x7f800000
	v_cndmask_b32_e64 v50, v37, v36, s[66:67]
	v_add_f32_e32 v29, 1.0, v50
	v_add_f32_e32 v36, -1.0, v29
	v_sub_f32_e32 v37, v36, v29
	v_add_f32_e32 v37, 1.0, v37
	v_sub_f32_e32 v36, v50, v36
	v_add_f32_e32 v38, v36, v37
	v_frexp_mant_f32_e32 v39, v29
	v_cvt_f64_f32_e32 v[36:37], v29
	v_frexp_exp_i32_f64_e32 v36, v[36:37]
	v_cmp_gt_f32_e64 s[66:67], s4, v39
	s_mov_b32 s4, 0x3f317218
	s_nop 0
	v_subbrev_co_u32_e64 v44, s[66:67], 0, v36, s[66:67]
	v_sub_u32_e32 v36, 0, v44
	v_ldexp_f32 v29, v29, v36
	v_ldexp_f32 v36, v38, v36
	v_add_f32_e32 v38, -1.0, v29
	v_add_f32_e32 v37, 1.0, v38
	v_sub_f32_e32 v37, v29, v37
	v_add_f32_e32 v39, v36, v37
	v_add_f32_e32 v37, 1.0, v29
	v_add_f32_e32 v40, -1.0, v37
	v_sub_f32_e32 v29, v29, v40
	v_add_f32_e32 v29, v36, v29
	v_add_f32_e32 v45, v37, v29
	v_rcp_f32_e32 v46, v45
	v_sub_f32_e32 v36, v37, v45
	v_add_f32_e32 v37, v38, v39
	v_add_f32_e32 v29, v29, v36
	v_mul_f32_e32 v48, v37, v46
	v_sub_f32_e32 v36, v38, v37
	v_mul_f32_e32 v38, v45, v48
	v_fma_f32 v40, v48, v45, -v38
	v_fmac_f32_e32 v40, v48, v29
	v_add_f32_e32 v47, v39, v36
	v_add_f32_e32 v36, v38, v40
	v_sub_f32_e32 v39, v37, v36
	v_pk_add_f32 v[42:43], v[36:37], v[38:39] neg_lo:[0,1] neg_hi:[0,1]
	v_mov_b32_e32 v41, v36
	v_pk_add_f32 v[36:37], v[42:43], v[40:41] neg_lo:[0,1] neg_hi:[0,1]
	v_cmp_eq_f32_e64 s[66:67], s5, v50
	v_add_f32_e32 v37, v47, v37
	v_add_f32_e32 v36, v36, v37
	;; [unrolled: 1-line block ×3, first 2 shown]
	v_mul_f32_e32 v47, v46, v37
	v_mul_f32_e32 v38, v45, v47
	v_fma_f32 v40, v47, v45, -v38
	v_fmac_f32_e32 v40, v47, v29
	v_sub_f32_e32 v29, v39, v37
	v_add_f32_e32 v29, v36, v29
	v_add_f32_e32 v36, v38, v40
	v_sub_f32_e32 v39, v37, v36
	v_pk_add_f32 v[42:43], v[36:37], v[38:39] neg_lo:[0,1] neg_hi:[0,1]
	v_mov_b32_e32 v41, v36
	v_pk_add_f32 v[36:37], v[42:43], v[40:41] neg_lo:[0,1] neg_hi:[0,1]
	v_cvt_f32_i32_e32 v38, v44
	v_add_f32_e32 v29, v29, v37
	v_add_f32_e32 v29, v36, v29
	;; [unrolled: 1-line block ×4, first 2 shown]
	v_sub_f32_e32 v37, v36, v48
	v_mul_f32_e32 v29, v46, v29
	v_sub_f32_e32 v37, v47, v37
	v_add_f32_e32 v29, v37, v29
	v_add_f32_e32 v39, v36, v29
	v_mul_f32_e32 v40, v39, v39
	v_mov_b32_e32 v37, 0x3ecc95a3
	v_fmac_f32_e32 v37, 0x3e9b6dac, v40
	v_sub_f32_e32 v36, v39, v36
	v_fmaak_f32 v37, v40, v37, 0x3f2aaada
	v_sub_f32_e32 v29, v29, v36
	v_ldexp_f32 v41, v39, 1
	v_mul_f32_e32 v39, v39, v40
	v_mov_b32_e32 v36, 0x3f317218
	v_pk_mul_f32 v[36:37], v[38:39], v[36:37]
	v_ldexp_f32 v29, v29, 1
	v_fma_f32 v39, v38, s4, -v36
	v_fmamk_f32 v40, v38, 0xb102e308, v39
	v_pk_add_f32 v[38:39], v[36:37], v[40:41]
	v_mov_b32_e32 v42, v36
	v_sub_f32_e32 v41, v39, v41
	v_sub_f32_e32 v41, v37, v41
	v_add_f32_e32 v43, v29, v41
	v_pk_add_f32 v[36:37], v[38:39], v[36:37] neg_lo:[0,1] neg_hi:[0,1]
	v_pk_add_f32 v[44:45], v[38:39], v[42:43]
	v_mov_b32_e32 v41, v38
	v_mov_b32_e32 v37, v45
	v_pk_add_f32 v[46:47], v[40:41], v[36:37] neg_lo:[0,1] neg_hi:[0,1]
	v_pk_add_f32 v[36:37], v[40:41], v[36:37]
	v_mov_b32_e32 v42, v43
	v_mov_b32_e32 v40, v37
	v_pk_add_f32 v[48:49], v[40:41], v[38:39] neg_lo:[0,1] neg_hi:[0,1]
	v_mov_b32_e32 v36, v45
	v_mov_b32_e32 v29, v48
	v_pk_add_f32 v[54:55], v[44:45], v[28:29] neg_lo:[0,1] neg_hi:[0,1]
	v_mov_b32_e32 v44, v39
	v_mov_b32_e32 v45, v48
	;; [unrolled: 1-line block ×3, first 2 shown]
	v_pk_add_f32 v[36:37], v[36:37], v[44:45] neg_lo:[0,1] neg_hi:[0,1]
	v_mov_b32_e32 v43, v38
	v_pk_add_f32 v[36:37], v[42:43], v[36:37] neg_lo:[0,1] neg_hi:[0,1]
	v_mov_b32_e32 v54, v46
	v_pk_add_f32 v[38:39], v[54:55], v[36:37]
	s_mov_b32 s4, 0x33800000
	v_mov_b32_e32 v42, v39
	v_pk_add_f32 v[42:43], v[38:39], v[42:43]
	v_cmp_lt_f32_e64 s[4:5], |v50|, s4
	v_pk_add_f32 v[40:41], v[40:41], v[42:43]
	v_mov_b32_e32 v37, v42
	v_mov_b32_e32 v39, v40
	v_pk_add_f32 v[44:45], v[38:39], v[46:47] neg_lo:[0,1] neg_hi:[0,1]
	s_or_b64 s[66:67], s[66:67], s[4:5]
	v_sub_f32_e32 v29, v38, v44
	v_pk_add_f32 v[36:37], v[36:37], v[44:45] neg_lo:[0,1] neg_hi:[0,1]
	v_sub_f32_e32 v29, v46, v29
	v_add_f32_e32 v29, v36, v29
	v_add_f32_e32 v29, v29, v37
	;; [unrolled: 1-line block ×3, first 2 shown]
	v_cndmask_b32_e64 v29, v29, v50, s[66:67]
	v_add_f32_e32 v54, v28, v29
.LBB131_64:
	s_or_b64 exec, exec, s[2:3]
	v_max_f32_e32 v28, v54, v54
	v_max_f32_e32 v36, v19, v19
	v_min_f32_e32 v29, v28, v36
	v_cmp_u_f32_e64 s[68:69], v54, v54
	v_max_f32_e32 v28, v28, v36
	v_cmp_u_f32_e64 s[66:67], v19, v19
	v_cndmask_b32_e64 v29, v29, v54, s[68:69]
	v_cndmask_b32_e64 v28, v28, v54, s[68:69]
	;; [unrolled: 1-line block ×4, first 2 shown]
	s_movk_i32 s4, 0x1f8
	v_cmp_neq_f32_e64 s[68:69], v29, v28
	v_cmp_class_f32_e64 s[2:3], v29, s4
	s_or_b64 s[48:49], s[68:69], s[2:3]
	s_and_saveexec_b64 s[2:3], s[48:49]
	s_cbranch_execz .LBB131_66
; %bb.65:
	v_sub_f32_e32 v29, v29, v28
	s_mov_b32 s5, 0x3fb8aa3b
	v_mul_f32_e32 v37, 0x3fb8aa3b, v29
	v_fma_f32 v38, v29, s5, -v37
	v_rndne_f32_e32 v39, v37
	v_fmamk_f32 v38, v29, 0x32a5705f, v38
	v_sub_f32_e32 v37, v37, v39
	v_add_f32_e32 v37, v37, v38
	v_exp_f32_e32 v37, v37
	v_cvt_i32_f32_e32 v38, v39
	s_mov_b32 s5, 0xc2ce8ed0
	v_cmp_ngt_f32_e64 s[68:69], s5, v29
	s_mov_b32 s5, 0x42b17218
	v_ldexp_f32 v37, v37, v38
	v_cndmask_b32_e64 v37, 0, v37, s[68:69]
	v_mov_b32_e32 v38, 0x7f800000
	v_cmp_nlt_f32_e64 s[68:69], s5, v29
	s_mov_b32 s5, 0x3f2aaaab
	s_mov_b32 s6, 0x7f800000
	v_cndmask_b32_e64 v37, v38, v37, s[68:69]
	v_add_f32_e32 v29, 1.0, v37
	v_add_f32_e32 v38, -1.0, v29
	v_sub_f32_e32 v39, v38, v29
	v_add_f32_e32 v39, 1.0, v39
	v_sub_f32_e32 v38, v37, v38
	v_add_f32_e32 v40, v38, v39
	v_frexp_mant_f32_e32 v41, v29
	v_cvt_f64_f32_e32 v[38:39], v29
	v_frexp_exp_i32_f64_e32 v38, v[38:39]
	v_cmp_gt_f32_e64 s[68:69], s5, v41
	s_mov_b32 s5, 0x3f317218
	s_nop 0
	v_subbrev_co_u32_e64 v46, s[68:69], 0, v38, s[68:69]
	v_sub_u32_e32 v38, 0, v46
	v_ldexp_f32 v29, v29, v38
	v_ldexp_f32 v38, v40, v38
	v_add_f32_e32 v40, -1.0, v29
	v_add_f32_e32 v39, 1.0, v40
	v_sub_f32_e32 v39, v29, v39
	v_add_f32_e32 v41, v38, v39
	v_add_f32_e32 v39, 1.0, v29
	v_add_f32_e32 v42, -1.0, v39
	v_sub_f32_e32 v29, v29, v42
	v_add_f32_e32 v29, v38, v29
	v_add_f32_e32 v47, v39, v29
	v_rcp_f32_e32 v48, v47
	v_sub_f32_e32 v38, v39, v47
	v_add_f32_e32 v39, v40, v41
	v_add_f32_e32 v29, v29, v38
	v_mul_f32_e32 v50, v39, v48
	v_sub_f32_e32 v38, v40, v39
	v_mul_f32_e32 v40, v47, v50
	v_fma_f32 v42, v50, v47, -v40
	v_fmac_f32_e32 v42, v50, v29
	v_add_f32_e32 v49, v41, v38
	v_add_f32_e32 v38, v40, v42
	v_sub_f32_e32 v41, v39, v38
	v_pk_add_f32 v[44:45], v[38:39], v[40:41] neg_lo:[0,1] neg_hi:[0,1]
	v_mov_b32_e32 v43, v38
	v_pk_add_f32 v[38:39], v[44:45], v[42:43] neg_lo:[0,1] neg_hi:[0,1]
	v_cmp_eq_f32_e64 s[68:69], s6, v37
	v_add_f32_e32 v39, v49, v39
	v_add_f32_e32 v38, v38, v39
	;; [unrolled: 1-line block ×3, first 2 shown]
	v_mul_f32_e32 v49, v48, v39
	v_mul_f32_e32 v40, v47, v49
	v_fma_f32 v42, v49, v47, -v40
	v_fmac_f32_e32 v42, v49, v29
	v_sub_f32_e32 v29, v41, v39
	v_add_f32_e32 v29, v38, v29
	v_add_f32_e32 v38, v40, v42
	v_sub_f32_e32 v41, v39, v38
	v_pk_add_f32 v[44:45], v[38:39], v[40:41] neg_lo:[0,1] neg_hi:[0,1]
	v_mov_b32_e32 v43, v38
	v_pk_add_f32 v[38:39], v[44:45], v[42:43] neg_lo:[0,1] neg_hi:[0,1]
	v_cvt_f32_i32_e32 v40, v46
	v_add_f32_e32 v29, v29, v39
	v_add_f32_e32 v29, v38, v29
	;; [unrolled: 1-line block ×4, first 2 shown]
	v_sub_f32_e32 v39, v38, v50
	v_mul_f32_e32 v29, v48, v29
	v_sub_f32_e32 v39, v49, v39
	v_add_f32_e32 v29, v39, v29
	v_add_f32_e32 v41, v38, v29
	v_mul_f32_e32 v42, v41, v41
	v_mov_b32_e32 v39, 0x3ecc95a3
	v_fmac_f32_e32 v39, 0x3e9b6dac, v42
	v_sub_f32_e32 v38, v41, v38
	v_fmaak_f32 v39, v42, v39, 0x3f2aaada
	v_sub_f32_e32 v29, v29, v38
	v_ldexp_f32 v43, v41, 1
	v_mul_f32_e32 v41, v41, v42
	v_mov_b32_e32 v38, 0x3f317218
	v_pk_mul_f32 v[38:39], v[40:41], v[38:39]
	v_ldexp_f32 v29, v29, 1
	v_fma_f32 v41, v40, s5, -v38
	v_fmamk_f32 v42, v40, 0xb102e308, v41
	v_pk_add_f32 v[40:41], v[38:39], v[42:43]
	v_mov_b32_e32 v44, v38
	v_sub_f32_e32 v43, v41, v43
	v_sub_f32_e32 v43, v39, v43
	v_add_f32_e32 v45, v29, v43
	v_pk_add_f32 v[38:39], v[40:41], v[38:39] neg_lo:[0,1] neg_hi:[0,1]
	v_pk_add_f32 v[46:47], v[40:41], v[44:45]
	v_mov_b32_e32 v43, v40
	v_mov_b32_e32 v39, v47
	v_pk_add_f32 v[48:49], v[42:43], v[38:39] neg_lo:[0,1] neg_hi:[0,1]
	v_pk_add_f32 v[38:39], v[42:43], v[38:39]
	v_mov_b32_e32 v44, v45
	v_mov_b32_e32 v42, v39
	v_pk_add_f32 v[54:55], v[42:43], v[40:41] neg_lo:[0,1] neg_hi:[0,1]
	v_mov_b32_e32 v38, v47
	v_mov_b32_e32 v29, v54
	v_pk_add_f32 v[56:57], v[46:47], v[28:29] neg_lo:[0,1] neg_hi:[0,1]
	v_mov_b32_e32 v46, v41
	v_mov_b32_e32 v47, v54
	;; [unrolled: 1-line block ×3, first 2 shown]
	v_pk_add_f32 v[38:39], v[38:39], v[46:47] neg_lo:[0,1] neg_hi:[0,1]
	v_mov_b32_e32 v45, v40
	v_pk_add_f32 v[38:39], v[44:45], v[38:39] neg_lo:[0,1] neg_hi:[0,1]
	v_mov_b32_e32 v56, v48
	v_pk_add_f32 v[40:41], v[56:57], v[38:39]
	s_mov_b32 s5, 0x33800000
	v_mov_b32_e32 v44, v41
	v_pk_add_f32 v[44:45], v[40:41], v[44:45]
	v_cmp_lt_f32_e64 s[48:49], |v37|, s5
	v_pk_add_f32 v[42:43], v[42:43], v[44:45]
	v_mov_b32_e32 v39, v44
	v_mov_b32_e32 v41, v42
	v_pk_add_f32 v[46:47], v[40:41], v[48:49] neg_lo:[0,1] neg_hi:[0,1]
	s_or_b64 s[68:69], s[68:69], s[48:49]
	v_sub_f32_e32 v29, v40, v46
	v_pk_add_f32 v[38:39], v[38:39], v[46:47] neg_lo:[0,1] neg_hi:[0,1]
	v_sub_f32_e32 v29, v48, v29
	v_add_f32_e32 v29, v38, v29
	v_add_f32_e32 v29, v29, v39
	v_add_f32_e32 v29, v42, v29
	v_cndmask_b32_e64 v29, v29, v37, s[68:69]
	v_add_f32_e32 v54, v28, v29
.LBB131_66:
	s_or_b64 exec, exec, s[2:3]
	v_max_f32_e32 v28, v54, v54
	v_max_f32_e32 v37, v20, v20
	v_min_f32_e32 v29, v28, v37
	v_cmp_u_f32_e64 s[70:71], v54, v54
	v_max_f32_e32 v28, v28, v37
	v_cmp_u_f32_e64 s[68:69], v20, v20
	v_cndmask_b32_e64 v29, v29, v54, s[70:71]
	v_cndmask_b32_e64 v28, v28, v54, s[70:71]
	;; [unrolled: 1-line block ×4, first 2 shown]
	v_cmp_neq_f32_e64 s[70:71], v29, v28
	v_cmp_class_f32_e64 s[2:3], v29, s4
	s_or_b64 s[4:5], s[70:71], s[2:3]
	s_and_saveexec_b64 s[2:3], s[4:5]
	s_cbranch_execz .LBB131_68
; %bb.67:
	v_sub_f32_e32 v29, v29, v28
	s_mov_b32 s4, 0x3fb8aa3b
	v_mul_f32_e32 v38, 0x3fb8aa3b, v29
	v_fma_f32 v39, v29, s4, -v38
	v_rndne_f32_e32 v40, v38
	v_fmamk_f32 v39, v29, 0x32a5705f, v39
	v_sub_f32_e32 v38, v38, v40
	v_add_f32_e32 v38, v38, v39
	v_exp_f32_e32 v38, v38
	v_cvt_i32_f32_e32 v39, v40
	s_mov_b32 s4, 0xc2ce8ed0
	v_cmp_ngt_f32_e64 s[70:71], s4, v29
	s_mov_b32 s4, 0x42b17218
	v_ldexp_f32 v38, v38, v39
	v_cndmask_b32_e64 v38, 0, v38, s[70:71]
	v_mov_b32_e32 v39, 0x7f800000
	v_cmp_nlt_f32_e64 s[70:71], s4, v29
	s_mov_b32 s4, 0x3f2aaaab
	s_mov_b32 s5, 0x7f800000
	v_cndmask_b32_e64 v50, v39, v38, s[70:71]
	v_add_f32_e32 v29, 1.0, v50
	v_add_f32_e32 v38, -1.0, v29
	v_sub_f32_e32 v39, v38, v29
	v_add_f32_e32 v39, 1.0, v39
	v_sub_f32_e32 v38, v50, v38
	v_add_f32_e32 v40, v38, v39
	v_frexp_mant_f32_e32 v41, v29
	v_cvt_f64_f32_e32 v[38:39], v29
	v_frexp_exp_i32_f64_e32 v38, v[38:39]
	v_cmp_gt_f32_e64 s[70:71], s4, v41
	s_mov_b32 s4, 0x3f317218
	s_nop 0
	v_subbrev_co_u32_e64 v46, s[70:71], 0, v38, s[70:71]
	v_sub_u32_e32 v38, 0, v46
	v_ldexp_f32 v29, v29, v38
	v_ldexp_f32 v38, v40, v38
	v_add_f32_e32 v40, -1.0, v29
	v_add_f32_e32 v39, 1.0, v40
	v_sub_f32_e32 v39, v29, v39
	v_add_f32_e32 v41, v38, v39
	v_add_f32_e32 v39, 1.0, v29
	v_add_f32_e32 v42, -1.0, v39
	v_sub_f32_e32 v29, v29, v42
	v_add_f32_e32 v29, v38, v29
	v_add_f32_e32 v47, v39, v29
	v_rcp_f32_e32 v48, v47
	v_sub_f32_e32 v38, v39, v47
	v_add_f32_e32 v39, v40, v41
	v_add_f32_e32 v29, v29, v38
	v_mul_f32_e32 v54, v39, v48
	v_sub_f32_e32 v38, v40, v39
	v_mul_f32_e32 v40, v47, v54
	v_fma_f32 v42, v54, v47, -v40
	v_fmac_f32_e32 v42, v54, v29
	v_add_f32_e32 v49, v41, v38
	v_add_f32_e32 v38, v40, v42
	v_sub_f32_e32 v41, v39, v38
	v_pk_add_f32 v[44:45], v[38:39], v[40:41] neg_lo:[0,1] neg_hi:[0,1]
	v_mov_b32_e32 v43, v38
	v_pk_add_f32 v[38:39], v[44:45], v[42:43] neg_lo:[0,1] neg_hi:[0,1]
	v_cmp_eq_f32_e64 s[70:71], s5, v50
	v_add_f32_e32 v39, v49, v39
	v_add_f32_e32 v38, v38, v39
	;; [unrolled: 1-line block ×3, first 2 shown]
	v_mul_f32_e32 v49, v48, v39
	v_mul_f32_e32 v40, v47, v49
	v_fma_f32 v42, v49, v47, -v40
	v_fmac_f32_e32 v42, v49, v29
	v_sub_f32_e32 v29, v41, v39
	v_add_f32_e32 v29, v38, v29
	v_add_f32_e32 v38, v40, v42
	v_sub_f32_e32 v41, v39, v38
	v_pk_add_f32 v[44:45], v[38:39], v[40:41] neg_lo:[0,1] neg_hi:[0,1]
	v_mov_b32_e32 v43, v38
	v_pk_add_f32 v[38:39], v[44:45], v[42:43] neg_lo:[0,1] neg_hi:[0,1]
	v_cvt_f32_i32_e32 v40, v46
	v_add_f32_e32 v29, v29, v39
	v_add_f32_e32 v29, v38, v29
	;; [unrolled: 1-line block ×4, first 2 shown]
	v_sub_f32_e32 v39, v38, v54
	v_mul_f32_e32 v29, v48, v29
	v_sub_f32_e32 v39, v49, v39
	v_add_f32_e32 v29, v39, v29
	v_add_f32_e32 v41, v38, v29
	v_mul_f32_e32 v42, v41, v41
	v_mov_b32_e32 v39, 0x3ecc95a3
	v_fmac_f32_e32 v39, 0x3e9b6dac, v42
	v_sub_f32_e32 v38, v41, v38
	v_fmaak_f32 v39, v42, v39, 0x3f2aaada
	v_sub_f32_e32 v29, v29, v38
	v_ldexp_f32 v43, v41, 1
	v_mul_f32_e32 v41, v41, v42
	v_mov_b32_e32 v38, 0x3f317218
	v_pk_mul_f32 v[38:39], v[40:41], v[38:39]
	v_ldexp_f32 v29, v29, 1
	v_fma_f32 v41, v40, s4, -v38
	v_fmamk_f32 v42, v40, 0xb102e308, v41
	v_pk_add_f32 v[40:41], v[38:39], v[42:43]
	v_mov_b32_e32 v44, v38
	v_sub_f32_e32 v43, v41, v43
	v_sub_f32_e32 v43, v39, v43
	v_add_f32_e32 v45, v29, v43
	v_pk_add_f32 v[38:39], v[40:41], v[38:39] neg_lo:[0,1] neg_hi:[0,1]
	v_pk_add_f32 v[46:47], v[40:41], v[44:45]
	v_mov_b32_e32 v43, v40
	v_mov_b32_e32 v39, v47
	v_pk_add_f32 v[48:49], v[42:43], v[38:39] neg_lo:[0,1] neg_hi:[0,1]
	v_pk_add_f32 v[38:39], v[42:43], v[38:39]
	v_mov_b32_e32 v44, v45
	v_mov_b32_e32 v42, v39
	v_pk_add_f32 v[54:55], v[42:43], v[40:41] neg_lo:[0,1] neg_hi:[0,1]
	v_mov_b32_e32 v38, v47
	v_mov_b32_e32 v29, v54
	v_pk_add_f32 v[56:57], v[46:47], v[28:29] neg_lo:[0,1] neg_hi:[0,1]
	v_mov_b32_e32 v46, v41
	v_mov_b32_e32 v47, v54
	v_mov_b32_e32 v49, v39
	v_pk_add_f32 v[38:39], v[38:39], v[46:47] neg_lo:[0,1] neg_hi:[0,1]
	v_mov_b32_e32 v45, v40
	v_pk_add_f32 v[38:39], v[44:45], v[38:39] neg_lo:[0,1] neg_hi:[0,1]
	v_mov_b32_e32 v56, v48
	v_pk_add_f32 v[40:41], v[56:57], v[38:39]
	s_mov_b32 s4, 0x33800000
	v_mov_b32_e32 v44, v41
	v_pk_add_f32 v[44:45], v[40:41], v[44:45]
	v_cmp_lt_f32_e64 s[4:5], |v50|, s4
	v_pk_add_f32 v[42:43], v[42:43], v[44:45]
	v_mov_b32_e32 v39, v44
	v_mov_b32_e32 v41, v42
	v_pk_add_f32 v[46:47], v[40:41], v[48:49] neg_lo:[0,1] neg_hi:[0,1]
	s_or_b64 s[70:71], s[70:71], s[4:5]
	v_sub_f32_e32 v29, v40, v46
	v_pk_add_f32 v[38:39], v[38:39], v[46:47] neg_lo:[0,1] neg_hi:[0,1]
	v_sub_f32_e32 v29, v48, v29
	v_add_f32_e32 v29, v38, v29
	v_add_f32_e32 v29, v29, v39
	;; [unrolled: 1-line block ×3, first 2 shown]
	v_cndmask_b32_e64 v29, v29, v50, s[70:71]
	v_add_f32_e32 v54, v28, v29
.LBB131_68:
	s_or_b64 exec, exec, s[2:3]
	v_max_f32_e32 v28, v54, v54
	v_max_f32_e32 v38, v21, v21
	v_min_f32_e32 v29, v28, v38
	v_cmp_u_f32_e64 s[72:73], v54, v54
	v_max_f32_e32 v28, v28, v38
	v_cmp_u_f32_e64 s[70:71], v21, v21
	v_cndmask_b32_e64 v29, v29, v54, s[72:73]
	v_cndmask_b32_e64 v28, v28, v54, s[72:73]
	;; [unrolled: 1-line block ×4, first 2 shown]
	s_movk_i32 s4, 0x1f8
	v_cmp_neq_f32_e64 s[72:73], v29, v28
	v_cmp_class_f32_e64 s[2:3], v29, s4
	s_or_b64 s[48:49], s[72:73], s[2:3]
	s_and_saveexec_b64 s[2:3], s[48:49]
	s_cbranch_execz .LBB131_70
; %bb.69:
	v_sub_f32_e32 v29, v29, v28
	s_mov_b32 s5, 0x3fb8aa3b
	v_mul_f32_e32 v39, 0x3fb8aa3b, v29
	v_fma_f32 v40, v29, s5, -v39
	v_rndne_f32_e32 v41, v39
	v_fmamk_f32 v40, v29, 0x32a5705f, v40
	v_sub_f32_e32 v39, v39, v41
	v_add_f32_e32 v39, v39, v40
	v_exp_f32_e32 v39, v39
	v_cvt_i32_f32_e32 v40, v41
	s_mov_b32 s5, 0xc2ce8ed0
	v_cmp_ngt_f32_e64 s[72:73], s5, v29
	s_mov_b32 s5, 0x42b17218
	v_ldexp_f32 v39, v39, v40
	v_cndmask_b32_e64 v39, 0, v39, s[72:73]
	v_mov_b32_e32 v40, 0x7f800000
	v_cmp_nlt_f32_e64 s[72:73], s5, v29
	s_mov_b32 s5, 0x3f2aaaab
	s_mov_b32 s6, 0x7f800000
	v_cndmask_b32_e64 v39, v40, v39, s[72:73]
	v_add_f32_e32 v29, 1.0, v39
	v_add_f32_e32 v40, -1.0, v29
	v_sub_f32_e32 v41, v40, v29
	v_add_f32_e32 v41, 1.0, v41
	v_sub_f32_e32 v40, v39, v40
	v_add_f32_e32 v42, v40, v41
	v_frexp_mant_f32_e32 v43, v29
	v_cvt_f64_f32_e32 v[40:41], v29
	v_frexp_exp_i32_f64_e32 v40, v[40:41]
	v_cmp_gt_f32_e64 s[72:73], s5, v43
	s_mov_b32 s5, 0x3f317218
	s_nop 0
	v_subbrev_co_u32_e64 v48, s[72:73], 0, v40, s[72:73]
	v_sub_u32_e32 v40, 0, v48
	v_ldexp_f32 v29, v29, v40
	v_ldexp_f32 v40, v42, v40
	v_add_f32_e32 v42, -1.0, v29
	v_add_f32_e32 v41, 1.0, v42
	v_sub_f32_e32 v41, v29, v41
	v_add_f32_e32 v43, v40, v41
	v_add_f32_e32 v41, 1.0, v29
	v_add_f32_e32 v44, -1.0, v41
	v_sub_f32_e32 v29, v29, v44
	v_add_f32_e32 v29, v40, v29
	v_add_f32_e32 v49, v41, v29
	v_rcp_f32_e32 v50, v49
	v_sub_f32_e32 v40, v41, v49
	v_add_f32_e32 v41, v42, v43
	v_add_f32_e32 v29, v29, v40
	v_mul_f32_e32 v55, v41, v50
	v_sub_f32_e32 v40, v42, v41
	v_mul_f32_e32 v42, v49, v55
	v_fma_f32 v44, v55, v49, -v42
	v_fmac_f32_e32 v44, v55, v29
	v_add_f32_e32 v54, v43, v40
	v_add_f32_e32 v40, v42, v44
	v_sub_f32_e32 v43, v41, v40
	v_pk_add_f32 v[46:47], v[40:41], v[42:43] neg_lo:[0,1] neg_hi:[0,1]
	v_mov_b32_e32 v45, v40
	v_pk_add_f32 v[40:41], v[46:47], v[44:45] neg_lo:[0,1] neg_hi:[0,1]
	v_cmp_eq_f32_e64 s[72:73], s6, v39
	v_add_f32_e32 v41, v54, v41
	v_add_f32_e32 v40, v40, v41
	v_add_f32_e32 v41, v43, v40
	v_mul_f32_e32 v54, v50, v41
	v_mul_f32_e32 v42, v49, v54
	v_fma_f32 v44, v54, v49, -v42
	v_fmac_f32_e32 v44, v54, v29
	v_sub_f32_e32 v29, v43, v41
	v_add_f32_e32 v29, v40, v29
	v_add_f32_e32 v40, v42, v44
	v_sub_f32_e32 v43, v41, v40
	v_pk_add_f32 v[46:47], v[40:41], v[42:43] neg_lo:[0,1] neg_hi:[0,1]
	v_mov_b32_e32 v45, v40
	v_pk_add_f32 v[40:41], v[46:47], v[44:45] neg_lo:[0,1] neg_hi:[0,1]
	v_cvt_f32_i32_e32 v42, v48
	v_add_f32_e32 v29, v29, v41
	v_add_f32_e32 v29, v40, v29
	;; [unrolled: 1-line block ×4, first 2 shown]
	v_sub_f32_e32 v41, v40, v55
	v_mul_f32_e32 v29, v50, v29
	v_sub_f32_e32 v41, v54, v41
	v_add_f32_e32 v29, v41, v29
	v_add_f32_e32 v43, v40, v29
	v_mul_f32_e32 v44, v43, v43
	v_mov_b32_e32 v41, 0x3ecc95a3
	v_fmac_f32_e32 v41, 0x3e9b6dac, v44
	v_sub_f32_e32 v40, v43, v40
	v_fmaak_f32 v41, v44, v41, 0x3f2aaada
	v_sub_f32_e32 v29, v29, v40
	v_ldexp_f32 v45, v43, 1
	v_mul_f32_e32 v43, v43, v44
	v_mov_b32_e32 v40, 0x3f317218
	v_pk_mul_f32 v[40:41], v[42:43], v[40:41]
	v_ldexp_f32 v29, v29, 1
	v_fma_f32 v43, v42, s5, -v40
	v_fmamk_f32 v44, v42, 0xb102e308, v43
	v_pk_add_f32 v[42:43], v[40:41], v[44:45]
	v_mov_b32_e32 v46, v40
	v_sub_f32_e32 v45, v43, v45
	v_sub_f32_e32 v45, v41, v45
	v_add_f32_e32 v47, v29, v45
	v_pk_add_f32 v[40:41], v[42:43], v[40:41] neg_lo:[0,1] neg_hi:[0,1]
	v_pk_add_f32 v[48:49], v[42:43], v[46:47]
	v_mov_b32_e32 v45, v42
	v_mov_b32_e32 v41, v49
	v_pk_add_f32 v[54:55], v[44:45], v[40:41] neg_lo:[0,1] neg_hi:[0,1]
	v_pk_add_f32 v[40:41], v[44:45], v[40:41]
	v_mov_b32_e32 v46, v47
	v_mov_b32_e32 v44, v41
	v_pk_add_f32 v[56:57], v[44:45], v[42:43] neg_lo:[0,1] neg_hi:[0,1]
	v_mov_b32_e32 v40, v49
	v_mov_b32_e32 v29, v56
	v_pk_add_f32 v[58:59], v[48:49], v[28:29] neg_lo:[0,1] neg_hi:[0,1]
	v_mov_b32_e32 v48, v43
	v_mov_b32_e32 v49, v56
	v_mov_b32_e32 v55, v41
	v_pk_add_f32 v[40:41], v[40:41], v[48:49] neg_lo:[0,1] neg_hi:[0,1]
	v_mov_b32_e32 v47, v42
	v_pk_add_f32 v[40:41], v[46:47], v[40:41] neg_lo:[0,1] neg_hi:[0,1]
	v_mov_b32_e32 v58, v54
	v_pk_add_f32 v[42:43], v[58:59], v[40:41]
	s_mov_b32 s5, 0x33800000
	v_mov_b32_e32 v46, v43
	v_pk_add_f32 v[46:47], v[42:43], v[46:47]
	v_cmp_lt_f32_e64 s[48:49], |v39|, s5
	v_pk_add_f32 v[44:45], v[44:45], v[46:47]
	v_mov_b32_e32 v41, v46
	v_mov_b32_e32 v43, v44
	v_pk_add_f32 v[48:49], v[42:43], v[54:55] neg_lo:[0,1] neg_hi:[0,1]
	s_or_b64 s[72:73], s[72:73], s[48:49]
	v_sub_f32_e32 v29, v42, v48
	v_pk_add_f32 v[40:41], v[40:41], v[48:49] neg_lo:[0,1] neg_hi:[0,1]
	v_sub_f32_e32 v29, v54, v29
	v_add_f32_e32 v29, v40, v29
	v_add_f32_e32 v29, v29, v41
	;; [unrolled: 1-line block ×3, first 2 shown]
	v_cndmask_b32_e64 v29, v29, v39, s[72:73]
	v_add_f32_e32 v54, v28, v29
.LBB131_70:
	s_or_b64 exec, exec, s[2:3]
	v_max_f32_e32 v28, v54, v54
	v_max_f32_e32 v39, v14, v14
	v_min_f32_e32 v29, v28, v39
	v_cmp_u_f32_e64 s[74:75], v54, v54
	v_max_f32_e32 v28, v28, v39
	v_cmp_u_f32_e64 s[72:73], v14, v14
	v_cndmask_b32_e64 v29, v29, v54, s[74:75]
	v_cndmask_b32_e64 v28, v28, v54, s[74:75]
	;; [unrolled: 1-line block ×4, first 2 shown]
	v_cmp_neq_f32_e64 s[74:75], v29, v28
	v_cmp_class_f32_e64 s[2:3], v29, s4
	s_or_b64 s[4:5], s[74:75], s[2:3]
	s_and_saveexec_b64 s[2:3], s[4:5]
	s_cbranch_execz .LBB131_72
; %bb.71:
	v_sub_f32_e32 v29, v29, v28
	s_mov_b32 s4, 0x3fb8aa3b
	v_mul_f32_e32 v40, 0x3fb8aa3b, v29
	v_fma_f32 v41, v29, s4, -v40
	v_rndne_f32_e32 v42, v40
	v_fmamk_f32 v41, v29, 0x32a5705f, v41
	v_sub_f32_e32 v40, v40, v42
	v_add_f32_e32 v40, v40, v41
	v_exp_f32_e32 v40, v40
	v_cvt_i32_f32_e32 v41, v42
	s_mov_b32 s4, 0xc2ce8ed0
	v_cmp_ngt_f32_e64 s[74:75], s4, v29
	s_mov_b32 s4, 0x42b17218
	v_ldexp_f32 v40, v40, v41
	v_cndmask_b32_e64 v40, 0, v40, s[74:75]
	v_mov_b32_e32 v41, 0x7f800000
	v_cmp_nlt_f32_e64 s[74:75], s4, v29
	s_mov_b32 s4, 0x3f2aaaab
	s_mov_b32 s5, 0x7f800000
	v_cndmask_b32_e64 v50, v41, v40, s[74:75]
	v_add_f32_e32 v29, 1.0, v50
	v_add_f32_e32 v40, -1.0, v29
	v_sub_f32_e32 v41, v40, v29
	v_add_f32_e32 v41, 1.0, v41
	v_sub_f32_e32 v40, v50, v40
	v_add_f32_e32 v42, v40, v41
	v_frexp_mant_f32_e32 v43, v29
	v_cvt_f64_f32_e32 v[40:41], v29
	v_frexp_exp_i32_f64_e32 v40, v[40:41]
	v_cmp_gt_f32_e64 s[74:75], s4, v43
	s_mov_b32 s4, 0x3f317218
	s_nop 0
	v_subbrev_co_u32_e64 v48, s[74:75], 0, v40, s[74:75]
	v_sub_u32_e32 v40, 0, v48
	v_ldexp_f32 v29, v29, v40
	v_ldexp_f32 v40, v42, v40
	v_add_f32_e32 v42, -1.0, v29
	v_add_f32_e32 v41, 1.0, v42
	v_sub_f32_e32 v41, v29, v41
	v_add_f32_e32 v43, v40, v41
	v_add_f32_e32 v41, 1.0, v29
	v_add_f32_e32 v44, -1.0, v41
	v_sub_f32_e32 v29, v29, v44
	v_add_f32_e32 v29, v40, v29
	v_add_f32_e32 v49, v41, v29
	v_rcp_f32_e32 v54, v49
	v_sub_f32_e32 v40, v41, v49
	v_add_f32_e32 v41, v42, v43
	v_add_f32_e32 v29, v29, v40
	v_mul_f32_e32 v56, v41, v54
	v_sub_f32_e32 v40, v42, v41
	v_mul_f32_e32 v42, v49, v56
	v_fma_f32 v44, v56, v49, -v42
	v_fmac_f32_e32 v44, v56, v29
	v_add_f32_e32 v55, v43, v40
	v_add_f32_e32 v40, v42, v44
	v_sub_f32_e32 v43, v41, v40
	v_pk_add_f32 v[46:47], v[40:41], v[42:43] neg_lo:[0,1] neg_hi:[0,1]
	v_mov_b32_e32 v45, v40
	v_pk_add_f32 v[40:41], v[46:47], v[44:45] neg_lo:[0,1] neg_hi:[0,1]
	v_cmp_eq_f32_e64 s[74:75], s5, v50
	v_add_f32_e32 v41, v55, v41
	v_add_f32_e32 v40, v40, v41
	;; [unrolled: 1-line block ×3, first 2 shown]
	v_mul_f32_e32 v55, v54, v41
	v_mul_f32_e32 v42, v49, v55
	v_fma_f32 v44, v55, v49, -v42
	v_fmac_f32_e32 v44, v55, v29
	v_sub_f32_e32 v29, v43, v41
	v_add_f32_e32 v29, v40, v29
	v_add_f32_e32 v40, v42, v44
	v_sub_f32_e32 v43, v41, v40
	v_pk_add_f32 v[46:47], v[40:41], v[42:43] neg_lo:[0,1] neg_hi:[0,1]
	v_mov_b32_e32 v45, v40
	v_pk_add_f32 v[40:41], v[46:47], v[44:45] neg_lo:[0,1] neg_hi:[0,1]
	v_cvt_f32_i32_e32 v42, v48
	v_add_f32_e32 v29, v29, v41
	v_add_f32_e32 v29, v40, v29
	;; [unrolled: 1-line block ×4, first 2 shown]
	v_sub_f32_e32 v41, v40, v56
	v_mul_f32_e32 v29, v54, v29
	v_sub_f32_e32 v41, v55, v41
	v_add_f32_e32 v29, v41, v29
	v_add_f32_e32 v43, v40, v29
	v_mul_f32_e32 v44, v43, v43
	v_mov_b32_e32 v41, 0x3ecc95a3
	v_fmac_f32_e32 v41, 0x3e9b6dac, v44
	v_sub_f32_e32 v40, v43, v40
	v_fmaak_f32 v41, v44, v41, 0x3f2aaada
	v_sub_f32_e32 v29, v29, v40
	v_ldexp_f32 v45, v43, 1
	v_mul_f32_e32 v43, v43, v44
	v_mov_b32_e32 v40, 0x3f317218
	v_pk_mul_f32 v[40:41], v[42:43], v[40:41]
	v_ldexp_f32 v29, v29, 1
	v_fma_f32 v43, v42, s4, -v40
	v_fmamk_f32 v44, v42, 0xb102e308, v43
	v_pk_add_f32 v[42:43], v[40:41], v[44:45]
	v_mov_b32_e32 v46, v40
	v_sub_f32_e32 v45, v43, v45
	v_sub_f32_e32 v45, v41, v45
	v_add_f32_e32 v47, v29, v45
	v_pk_add_f32 v[40:41], v[42:43], v[40:41] neg_lo:[0,1] neg_hi:[0,1]
	v_pk_add_f32 v[48:49], v[42:43], v[46:47]
	v_mov_b32_e32 v45, v42
	v_mov_b32_e32 v41, v49
	v_pk_add_f32 v[54:55], v[44:45], v[40:41] neg_lo:[0,1] neg_hi:[0,1]
	v_pk_add_f32 v[40:41], v[44:45], v[40:41]
	v_mov_b32_e32 v46, v47
	v_mov_b32_e32 v44, v41
	v_pk_add_f32 v[56:57], v[44:45], v[42:43] neg_lo:[0,1] neg_hi:[0,1]
	v_mov_b32_e32 v40, v49
	v_mov_b32_e32 v29, v56
	v_pk_add_f32 v[58:59], v[48:49], v[28:29] neg_lo:[0,1] neg_hi:[0,1]
	v_mov_b32_e32 v48, v43
	v_mov_b32_e32 v49, v56
	;; [unrolled: 1-line block ×3, first 2 shown]
	v_pk_add_f32 v[40:41], v[40:41], v[48:49] neg_lo:[0,1] neg_hi:[0,1]
	v_mov_b32_e32 v47, v42
	v_pk_add_f32 v[40:41], v[46:47], v[40:41] neg_lo:[0,1] neg_hi:[0,1]
	v_mov_b32_e32 v58, v54
	v_pk_add_f32 v[42:43], v[58:59], v[40:41]
	s_mov_b32 s4, 0x33800000
	v_mov_b32_e32 v46, v43
	v_pk_add_f32 v[46:47], v[42:43], v[46:47]
	v_cmp_lt_f32_e64 s[4:5], |v50|, s4
	v_pk_add_f32 v[44:45], v[44:45], v[46:47]
	v_mov_b32_e32 v41, v46
	v_mov_b32_e32 v43, v44
	v_pk_add_f32 v[48:49], v[42:43], v[54:55] neg_lo:[0,1] neg_hi:[0,1]
	s_or_b64 s[74:75], s[74:75], s[4:5]
	v_sub_f32_e32 v29, v42, v48
	v_pk_add_f32 v[40:41], v[40:41], v[48:49] neg_lo:[0,1] neg_hi:[0,1]
	v_sub_f32_e32 v29, v54, v29
	v_add_f32_e32 v29, v40, v29
	v_add_f32_e32 v29, v29, v41
	;; [unrolled: 1-line block ×3, first 2 shown]
	v_cndmask_b32_e64 v29, v29, v50, s[74:75]
	v_add_f32_e32 v54, v28, v29
.LBB131_72:
	s_or_b64 exec, exec, s[2:3]
	v_max_f32_e32 v28, v54, v54
	v_max_f32_e32 v40, v15, v15
	v_min_f32_e32 v29, v28, v40
	v_cmp_u_f32_e64 s[76:77], v54, v54
	v_max_f32_e32 v28, v28, v40
	v_cmp_u_f32_e64 s[74:75], v15, v15
	v_cndmask_b32_e64 v29, v29, v54, s[76:77]
	v_cndmask_b32_e64 v28, v28, v54, s[76:77]
	v_cndmask_b32_e64 v29, v29, v15, s[74:75]
	v_cndmask_b32_e64 v28, v28, v15, s[74:75]
	s_movk_i32 s4, 0x1f8
	v_cmp_neq_f32_e64 s[76:77], v29, v28
	v_cmp_class_f32_e64 s[2:3], v29, s4
	s_or_b64 s[48:49], s[76:77], s[2:3]
	s_and_saveexec_b64 s[2:3], s[48:49]
	s_cbranch_execz .LBB131_74
; %bb.73:
	v_sub_f32_e32 v29, v29, v28
	s_mov_b32 s5, 0x3fb8aa3b
	v_mul_f32_e32 v41, 0x3fb8aa3b, v29
	v_fma_f32 v42, v29, s5, -v41
	v_rndne_f32_e32 v43, v41
	v_fmamk_f32 v42, v29, 0x32a5705f, v42
	v_sub_f32_e32 v41, v41, v43
	v_add_f32_e32 v41, v41, v42
	v_exp_f32_e32 v41, v41
	v_cvt_i32_f32_e32 v42, v43
	s_mov_b32 s5, 0xc2ce8ed0
	v_cmp_ngt_f32_e64 s[76:77], s5, v29
	s_mov_b32 s5, 0x42b17218
	v_ldexp_f32 v41, v41, v42
	v_cndmask_b32_e64 v41, 0, v41, s[76:77]
	v_mov_b32_e32 v42, 0x7f800000
	v_cmp_nlt_f32_e64 s[76:77], s5, v29
	s_mov_b32 s5, 0x3f2aaaab
	s_mov_b32 s6, 0x7f800000
	v_cndmask_b32_e64 v41, v42, v41, s[76:77]
	v_add_f32_e32 v29, 1.0, v41
	v_add_f32_e32 v42, -1.0, v29
	v_sub_f32_e32 v43, v42, v29
	v_add_f32_e32 v43, 1.0, v43
	v_sub_f32_e32 v42, v41, v42
	v_add_f32_e32 v44, v42, v43
	v_frexp_mant_f32_e32 v45, v29
	v_cvt_f64_f32_e32 v[42:43], v29
	v_frexp_exp_i32_f64_e32 v42, v[42:43]
	v_cmp_gt_f32_e64 s[76:77], s5, v45
	s_mov_b32 s5, 0x3f317218
	s_nop 0
	v_subbrev_co_u32_e64 v50, s[76:77], 0, v42, s[76:77]
	v_sub_u32_e32 v42, 0, v50
	v_ldexp_f32 v29, v29, v42
	v_ldexp_f32 v42, v44, v42
	v_add_f32_e32 v44, -1.0, v29
	v_add_f32_e32 v43, 1.0, v44
	v_sub_f32_e32 v43, v29, v43
	v_add_f32_e32 v45, v42, v43
	v_add_f32_e32 v43, 1.0, v29
	v_add_f32_e32 v46, -1.0, v43
	v_sub_f32_e32 v29, v29, v46
	v_add_f32_e32 v29, v42, v29
	v_add_f32_e32 v54, v43, v29
	v_rcp_f32_e32 v55, v54
	v_sub_f32_e32 v42, v43, v54
	v_add_f32_e32 v43, v44, v45
	v_add_f32_e32 v29, v29, v42
	v_mul_f32_e32 v57, v43, v55
	v_sub_f32_e32 v42, v44, v43
	v_mul_f32_e32 v44, v54, v57
	v_fma_f32 v46, v57, v54, -v44
	v_fmac_f32_e32 v46, v57, v29
	v_add_f32_e32 v56, v45, v42
	v_add_f32_e32 v42, v44, v46
	v_sub_f32_e32 v45, v43, v42
	v_pk_add_f32 v[48:49], v[42:43], v[44:45] neg_lo:[0,1] neg_hi:[0,1]
	v_mov_b32_e32 v47, v42
	v_pk_add_f32 v[42:43], v[48:49], v[46:47] neg_lo:[0,1] neg_hi:[0,1]
	v_cmp_eq_f32_e64 s[76:77], s6, v41
	v_add_f32_e32 v43, v56, v43
	v_add_f32_e32 v42, v42, v43
	;; [unrolled: 1-line block ×3, first 2 shown]
	v_mul_f32_e32 v56, v55, v43
	v_mul_f32_e32 v44, v54, v56
	v_fma_f32 v46, v56, v54, -v44
	v_fmac_f32_e32 v46, v56, v29
	v_sub_f32_e32 v29, v45, v43
	v_add_f32_e32 v29, v42, v29
	v_add_f32_e32 v42, v44, v46
	v_sub_f32_e32 v45, v43, v42
	v_pk_add_f32 v[48:49], v[42:43], v[44:45] neg_lo:[0,1] neg_hi:[0,1]
	v_mov_b32_e32 v47, v42
	v_pk_add_f32 v[42:43], v[48:49], v[46:47] neg_lo:[0,1] neg_hi:[0,1]
	v_cvt_f32_i32_e32 v44, v50
	v_add_f32_e32 v29, v29, v43
	v_add_f32_e32 v29, v42, v29
	v_add_f32_e32 v42, v57, v56
	v_add_f32_e32 v29, v45, v29
	v_sub_f32_e32 v43, v42, v57
	v_mul_f32_e32 v29, v55, v29
	v_sub_f32_e32 v43, v56, v43
	v_add_f32_e32 v29, v43, v29
	v_add_f32_e32 v45, v42, v29
	v_mul_f32_e32 v46, v45, v45
	v_mov_b32_e32 v43, 0x3ecc95a3
	v_fmac_f32_e32 v43, 0x3e9b6dac, v46
	v_sub_f32_e32 v42, v45, v42
	v_fmaak_f32 v43, v46, v43, 0x3f2aaada
	v_sub_f32_e32 v29, v29, v42
	v_ldexp_f32 v47, v45, 1
	v_mul_f32_e32 v45, v45, v46
	v_mov_b32_e32 v42, 0x3f317218
	v_pk_mul_f32 v[42:43], v[44:45], v[42:43]
	v_ldexp_f32 v29, v29, 1
	v_fma_f32 v45, v44, s5, -v42
	v_fmamk_f32 v46, v44, 0xb102e308, v45
	v_pk_add_f32 v[44:45], v[42:43], v[46:47]
	v_mov_b32_e32 v48, v42
	v_sub_f32_e32 v47, v45, v47
	v_sub_f32_e32 v47, v43, v47
	v_add_f32_e32 v49, v29, v47
	v_pk_add_f32 v[42:43], v[44:45], v[42:43] neg_lo:[0,1] neg_hi:[0,1]
	v_pk_add_f32 v[54:55], v[44:45], v[48:49]
	v_mov_b32_e32 v47, v44
	v_mov_b32_e32 v43, v55
	v_pk_add_f32 v[56:57], v[46:47], v[42:43] neg_lo:[0,1] neg_hi:[0,1]
	v_pk_add_f32 v[42:43], v[46:47], v[42:43]
	v_mov_b32_e32 v48, v49
	v_mov_b32_e32 v46, v43
	v_pk_add_f32 v[58:59], v[46:47], v[44:45] neg_lo:[0,1] neg_hi:[0,1]
	v_mov_b32_e32 v42, v55
	v_mov_b32_e32 v29, v58
	v_pk_add_f32 v[60:61], v[54:55], v[28:29] neg_lo:[0,1] neg_hi:[0,1]
	v_mov_b32_e32 v54, v45
	v_mov_b32_e32 v55, v58
	;; [unrolled: 1-line block ×3, first 2 shown]
	v_pk_add_f32 v[42:43], v[42:43], v[54:55] neg_lo:[0,1] neg_hi:[0,1]
	v_mov_b32_e32 v49, v44
	v_pk_add_f32 v[42:43], v[48:49], v[42:43] neg_lo:[0,1] neg_hi:[0,1]
	v_mov_b32_e32 v60, v56
	v_pk_add_f32 v[44:45], v[60:61], v[42:43]
	s_mov_b32 s5, 0x33800000
	v_mov_b32_e32 v48, v45
	v_pk_add_f32 v[48:49], v[44:45], v[48:49]
	v_cmp_lt_f32_e64 s[48:49], |v41|, s5
	v_pk_add_f32 v[46:47], v[46:47], v[48:49]
	v_mov_b32_e32 v43, v48
	v_mov_b32_e32 v45, v46
	v_pk_add_f32 v[54:55], v[44:45], v[56:57] neg_lo:[0,1] neg_hi:[0,1]
	s_or_b64 s[76:77], s[76:77], s[48:49]
	v_sub_f32_e32 v29, v44, v54
	v_pk_add_f32 v[42:43], v[42:43], v[54:55] neg_lo:[0,1] neg_hi:[0,1]
	v_sub_f32_e32 v29, v56, v29
	v_add_f32_e32 v29, v42, v29
	v_add_f32_e32 v29, v29, v43
	;; [unrolled: 1-line block ×3, first 2 shown]
	v_cndmask_b32_e64 v29, v29, v41, s[76:77]
	v_add_f32_e32 v54, v28, v29
.LBB131_74:
	s_or_b64 exec, exec, s[2:3]
	v_max_f32_e32 v28, v54, v54
	v_max_f32_e32 v41, v16, v16
	v_min_f32_e32 v29, v28, v41
	v_cmp_u_f32_e64 s[78:79], v54, v54
	v_max_f32_e32 v28, v28, v41
	v_cmp_u_f32_e64 s[76:77], v16, v16
	v_cndmask_b32_e64 v29, v29, v54, s[78:79]
	v_cndmask_b32_e64 v28, v28, v54, s[78:79]
	;; [unrolled: 1-line block ×4, first 2 shown]
	v_cmp_neq_f32_e64 s[78:79], v29, v28
	v_cmp_class_f32_e64 s[2:3], v29, s4
	s_or_b64 s[4:5], s[78:79], s[2:3]
	s_and_saveexec_b64 s[2:3], s[4:5]
	s_cbranch_execz .LBB131_76
; %bb.75:
	v_sub_f32_e32 v29, v29, v28
	s_mov_b32 s4, 0x3fb8aa3b
	v_mul_f32_e32 v42, 0x3fb8aa3b, v29
	v_fma_f32 v43, v29, s4, -v42
	v_rndne_f32_e32 v44, v42
	v_fmamk_f32 v43, v29, 0x32a5705f, v43
	v_sub_f32_e32 v42, v42, v44
	v_add_f32_e32 v42, v42, v43
	v_exp_f32_e32 v42, v42
	v_cvt_i32_f32_e32 v43, v44
	s_mov_b32 s4, 0xc2ce8ed0
	v_cmp_ngt_f32_e64 s[78:79], s4, v29
	s_mov_b32 s4, 0x42b17218
	v_ldexp_f32 v42, v42, v43
	v_cndmask_b32_e64 v42, 0, v42, s[78:79]
	v_mov_b32_e32 v43, 0x7f800000
	v_cmp_nlt_f32_e64 s[78:79], s4, v29
	s_mov_b32 s4, 0x3f2aaaab
	s_mov_b32 s5, 0x7f800000
	v_cndmask_b32_e64 v50, v43, v42, s[78:79]
	v_add_f32_e32 v29, 1.0, v50
	v_add_f32_e32 v42, -1.0, v29
	v_sub_f32_e32 v43, v42, v29
	v_add_f32_e32 v43, 1.0, v43
	v_sub_f32_e32 v42, v50, v42
	v_add_f32_e32 v44, v42, v43
	v_frexp_mant_f32_e32 v45, v29
	v_cvt_f64_f32_e32 v[42:43], v29
	v_frexp_exp_i32_f64_e32 v42, v[42:43]
	v_cmp_gt_f32_e64 s[78:79], s4, v45
	s_mov_b32 s4, 0x3f317218
	s_nop 0
	v_subbrev_co_u32_e64 v54, s[78:79], 0, v42, s[78:79]
	v_sub_u32_e32 v42, 0, v54
	v_ldexp_f32 v29, v29, v42
	v_ldexp_f32 v42, v44, v42
	v_add_f32_e32 v44, -1.0, v29
	v_add_f32_e32 v43, 1.0, v44
	v_sub_f32_e32 v43, v29, v43
	v_add_f32_e32 v45, v42, v43
	v_add_f32_e32 v43, 1.0, v29
	v_add_f32_e32 v46, -1.0, v43
	v_sub_f32_e32 v29, v29, v46
	v_add_f32_e32 v29, v42, v29
	v_add_f32_e32 v55, v43, v29
	v_rcp_f32_e32 v56, v55
	v_sub_f32_e32 v42, v43, v55
	v_add_f32_e32 v43, v44, v45
	v_add_f32_e32 v29, v29, v42
	v_mul_f32_e32 v58, v43, v56
	v_sub_f32_e32 v42, v44, v43
	v_mul_f32_e32 v44, v55, v58
	v_fma_f32 v46, v58, v55, -v44
	v_fmac_f32_e32 v46, v58, v29
	v_add_f32_e32 v57, v45, v42
	v_add_f32_e32 v42, v44, v46
	v_sub_f32_e32 v45, v43, v42
	v_pk_add_f32 v[48:49], v[42:43], v[44:45] neg_lo:[0,1] neg_hi:[0,1]
	v_mov_b32_e32 v47, v42
	v_pk_add_f32 v[42:43], v[48:49], v[46:47] neg_lo:[0,1] neg_hi:[0,1]
	v_cmp_eq_f32_e64 s[78:79], s5, v50
	v_add_f32_e32 v43, v57, v43
	v_add_f32_e32 v42, v42, v43
	;; [unrolled: 1-line block ×3, first 2 shown]
	v_mul_f32_e32 v57, v56, v43
	v_mul_f32_e32 v44, v55, v57
	v_fma_f32 v46, v57, v55, -v44
	v_fmac_f32_e32 v46, v57, v29
	v_sub_f32_e32 v29, v45, v43
	v_add_f32_e32 v29, v42, v29
	v_add_f32_e32 v42, v44, v46
	v_sub_f32_e32 v45, v43, v42
	v_pk_add_f32 v[48:49], v[42:43], v[44:45] neg_lo:[0,1] neg_hi:[0,1]
	v_mov_b32_e32 v47, v42
	v_pk_add_f32 v[42:43], v[48:49], v[46:47] neg_lo:[0,1] neg_hi:[0,1]
	v_cvt_f32_i32_e32 v44, v54
	v_add_f32_e32 v29, v29, v43
	v_add_f32_e32 v29, v42, v29
	;; [unrolled: 1-line block ×4, first 2 shown]
	v_sub_f32_e32 v43, v42, v58
	v_mul_f32_e32 v29, v56, v29
	v_sub_f32_e32 v43, v57, v43
	v_add_f32_e32 v29, v43, v29
	v_add_f32_e32 v45, v42, v29
	v_mul_f32_e32 v46, v45, v45
	v_mov_b32_e32 v43, 0x3ecc95a3
	v_fmac_f32_e32 v43, 0x3e9b6dac, v46
	v_sub_f32_e32 v42, v45, v42
	v_fmaak_f32 v43, v46, v43, 0x3f2aaada
	v_sub_f32_e32 v29, v29, v42
	v_ldexp_f32 v47, v45, 1
	v_mul_f32_e32 v45, v45, v46
	v_mov_b32_e32 v42, 0x3f317218
	v_pk_mul_f32 v[42:43], v[44:45], v[42:43]
	v_ldexp_f32 v29, v29, 1
	v_fma_f32 v45, v44, s4, -v42
	v_fmamk_f32 v46, v44, 0xb102e308, v45
	v_pk_add_f32 v[44:45], v[42:43], v[46:47]
	v_mov_b32_e32 v48, v42
	v_sub_f32_e32 v47, v45, v47
	v_sub_f32_e32 v47, v43, v47
	v_add_f32_e32 v49, v29, v47
	v_pk_add_f32 v[42:43], v[44:45], v[42:43] neg_lo:[0,1] neg_hi:[0,1]
	v_pk_add_f32 v[54:55], v[44:45], v[48:49]
	v_mov_b32_e32 v47, v44
	v_mov_b32_e32 v43, v55
	v_pk_add_f32 v[56:57], v[46:47], v[42:43] neg_lo:[0,1] neg_hi:[0,1]
	v_pk_add_f32 v[42:43], v[46:47], v[42:43]
	v_mov_b32_e32 v48, v49
	v_mov_b32_e32 v46, v43
	v_pk_add_f32 v[58:59], v[46:47], v[44:45] neg_lo:[0,1] neg_hi:[0,1]
	v_mov_b32_e32 v42, v55
	v_mov_b32_e32 v29, v58
	v_pk_add_f32 v[60:61], v[54:55], v[28:29] neg_lo:[0,1] neg_hi:[0,1]
	v_mov_b32_e32 v54, v45
	v_mov_b32_e32 v55, v58
	;; [unrolled: 1-line block ×3, first 2 shown]
	v_pk_add_f32 v[42:43], v[42:43], v[54:55] neg_lo:[0,1] neg_hi:[0,1]
	v_mov_b32_e32 v49, v44
	v_pk_add_f32 v[42:43], v[48:49], v[42:43] neg_lo:[0,1] neg_hi:[0,1]
	v_mov_b32_e32 v60, v56
	v_pk_add_f32 v[44:45], v[60:61], v[42:43]
	s_mov_b32 s4, 0x33800000
	v_mov_b32_e32 v48, v45
	v_pk_add_f32 v[48:49], v[44:45], v[48:49]
	v_cmp_lt_f32_e64 s[4:5], |v50|, s4
	v_pk_add_f32 v[46:47], v[46:47], v[48:49]
	v_mov_b32_e32 v43, v48
	v_mov_b32_e32 v45, v46
	v_pk_add_f32 v[54:55], v[44:45], v[56:57] neg_lo:[0,1] neg_hi:[0,1]
	s_or_b64 s[78:79], s[78:79], s[4:5]
	v_sub_f32_e32 v29, v44, v54
	v_pk_add_f32 v[42:43], v[42:43], v[54:55] neg_lo:[0,1] neg_hi:[0,1]
	v_sub_f32_e32 v29, v56, v29
	v_add_f32_e32 v29, v42, v29
	v_add_f32_e32 v29, v29, v43
	;; [unrolled: 1-line block ×3, first 2 shown]
	v_cndmask_b32_e64 v29, v29, v50, s[78:79]
	v_add_f32_e32 v54, v28, v29
.LBB131_76:
	s_or_b64 exec, exec, s[2:3]
	v_max_f32_e32 v28, v54, v54
	v_max_f32_e32 v42, v17, v17
	v_min_f32_e32 v29, v28, v42
	v_cmp_u_f32_e64 s[80:81], v54, v54
	v_max_f32_e32 v28, v28, v42
	v_cmp_u_f32_e64 s[78:79], v17, v17
	v_cndmask_b32_e64 v29, v29, v54, s[80:81]
	v_cndmask_b32_e64 v28, v28, v54, s[80:81]
	;; [unrolled: 1-line block ×4, first 2 shown]
	s_movk_i32 s4, 0x1f8
	v_cmp_neq_f32_e64 s[80:81], v29, v28
	v_cmp_class_f32_e64 s[2:3], v29, s4
	s_or_b64 s[48:49], s[80:81], s[2:3]
	s_and_saveexec_b64 s[2:3], s[48:49]
	s_cbranch_execz .LBB131_78
; %bb.77:
	v_sub_f32_e32 v29, v29, v28
	s_mov_b32 s5, 0x3fb8aa3b
	v_mul_f32_e32 v43, 0x3fb8aa3b, v29
	v_fma_f32 v44, v29, s5, -v43
	v_rndne_f32_e32 v45, v43
	v_fmamk_f32 v44, v29, 0x32a5705f, v44
	v_sub_f32_e32 v43, v43, v45
	v_add_f32_e32 v43, v43, v44
	v_exp_f32_e32 v43, v43
	v_cvt_i32_f32_e32 v44, v45
	s_mov_b32 s5, 0xc2ce8ed0
	v_cmp_ngt_f32_e64 s[80:81], s5, v29
	s_mov_b32 s5, 0x42b17218
	v_ldexp_f32 v43, v43, v44
	v_cndmask_b32_e64 v43, 0, v43, s[80:81]
	v_mov_b32_e32 v44, 0x7f800000
	v_cmp_nlt_f32_e64 s[80:81], s5, v29
	s_mov_b32 s5, 0x3f2aaaab
	s_mov_b32 s6, 0x7f800000
	v_cndmask_b32_e64 v43, v44, v43, s[80:81]
	v_add_f32_e32 v29, 1.0, v43
	v_add_f32_e32 v44, -1.0, v29
	v_sub_f32_e32 v45, v44, v29
	v_add_f32_e32 v45, 1.0, v45
	v_sub_f32_e32 v44, v43, v44
	v_add_f32_e32 v46, v44, v45
	v_frexp_mant_f32_e32 v47, v29
	v_cvt_f64_f32_e32 v[44:45], v29
	v_frexp_exp_i32_f64_e32 v44, v[44:45]
	v_cmp_gt_f32_e64 s[80:81], s5, v47
	s_mov_b32 s5, 0x3f317218
	s_nop 0
	v_subbrev_co_u32_e64 v50, s[80:81], 0, v44, s[80:81]
	v_sub_u32_e32 v44, 0, v50
	v_ldexp_f32 v29, v29, v44
	v_ldexp_f32 v44, v46, v44
	v_add_f32_e32 v46, -1.0, v29
	v_add_f32_e32 v45, 1.0, v46
	v_sub_f32_e32 v45, v29, v45
	v_add_f32_e32 v47, v44, v45
	v_add_f32_e32 v45, 1.0, v29
	v_add_f32_e32 v48, -1.0, v45
	v_sub_f32_e32 v29, v29, v48
	v_add_f32_e32 v29, v44, v29
	v_add_f32_e32 v56, v45, v29
	v_rcp_f32_e32 v57, v56
	v_sub_f32_e32 v44, v45, v56
	v_add_f32_e32 v45, v46, v47
	v_add_f32_e32 v29, v29, v44
	v_mul_f32_e32 v59, v45, v57
	v_sub_f32_e32 v44, v46, v45
	v_mul_f32_e32 v46, v56, v59
	v_fma_f32 v48, v59, v56, -v46
	v_fmac_f32_e32 v48, v59, v29
	v_add_f32_e32 v58, v47, v44
	v_add_f32_e32 v44, v46, v48
	v_sub_f32_e32 v47, v45, v44
	v_pk_add_f32 v[54:55], v[44:45], v[46:47] neg_lo:[0,1] neg_hi:[0,1]
	v_mov_b32_e32 v49, v44
	v_pk_add_f32 v[44:45], v[54:55], v[48:49] neg_lo:[0,1] neg_hi:[0,1]
	v_cmp_eq_f32_e64 s[80:81], s6, v43
	v_add_f32_e32 v45, v58, v45
	v_add_f32_e32 v44, v44, v45
	;; [unrolled: 1-line block ×3, first 2 shown]
	v_mul_f32_e32 v58, v57, v45
	v_mul_f32_e32 v46, v56, v58
	v_fma_f32 v48, v58, v56, -v46
	v_fmac_f32_e32 v48, v58, v29
	v_sub_f32_e32 v29, v47, v45
	v_add_f32_e32 v29, v44, v29
	v_add_f32_e32 v44, v46, v48
	v_sub_f32_e32 v47, v45, v44
	v_pk_add_f32 v[54:55], v[44:45], v[46:47] neg_lo:[0,1] neg_hi:[0,1]
	v_mov_b32_e32 v49, v44
	v_pk_add_f32 v[44:45], v[54:55], v[48:49] neg_lo:[0,1] neg_hi:[0,1]
	v_cvt_f32_i32_e32 v46, v50
	v_add_f32_e32 v29, v29, v45
	v_add_f32_e32 v29, v44, v29
	;; [unrolled: 1-line block ×4, first 2 shown]
	v_sub_f32_e32 v45, v44, v59
	v_mul_f32_e32 v29, v57, v29
	v_sub_f32_e32 v45, v58, v45
	v_add_f32_e32 v29, v45, v29
	v_add_f32_e32 v47, v44, v29
	v_mul_f32_e32 v48, v47, v47
	v_mov_b32_e32 v45, 0x3ecc95a3
	v_fmac_f32_e32 v45, 0x3e9b6dac, v48
	v_sub_f32_e32 v44, v47, v44
	v_fmaak_f32 v45, v48, v45, 0x3f2aaada
	v_sub_f32_e32 v29, v29, v44
	v_ldexp_f32 v49, v47, 1
	v_mul_f32_e32 v47, v47, v48
	v_mov_b32_e32 v44, 0x3f317218
	v_pk_mul_f32 v[44:45], v[46:47], v[44:45]
	v_ldexp_f32 v29, v29, 1
	v_fma_f32 v47, v46, s5, -v44
	v_fmamk_f32 v48, v46, 0xb102e308, v47
	v_pk_add_f32 v[46:47], v[44:45], v[48:49]
	v_mov_b32_e32 v54, v44
	v_sub_f32_e32 v49, v47, v49
	v_sub_f32_e32 v49, v45, v49
	v_add_f32_e32 v55, v29, v49
	v_pk_add_f32 v[44:45], v[46:47], v[44:45] neg_lo:[0,1] neg_hi:[0,1]
	v_pk_add_f32 v[56:57], v[46:47], v[54:55]
	v_mov_b32_e32 v49, v46
	v_mov_b32_e32 v45, v57
	v_pk_add_f32 v[58:59], v[48:49], v[44:45] neg_lo:[0,1] neg_hi:[0,1]
	v_pk_add_f32 v[44:45], v[48:49], v[44:45]
	v_mov_b32_e32 v54, v55
	v_mov_b32_e32 v48, v45
	v_pk_add_f32 v[60:61], v[48:49], v[46:47] neg_lo:[0,1] neg_hi:[0,1]
	v_mov_b32_e32 v44, v57
	v_mov_b32_e32 v29, v60
	v_pk_add_f32 v[62:63], v[56:57], v[28:29] neg_lo:[0,1] neg_hi:[0,1]
	v_mov_b32_e32 v56, v47
	v_mov_b32_e32 v57, v60
	;; [unrolled: 1-line block ×3, first 2 shown]
	v_pk_add_f32 v[44:45], v[44:45], v[56:57] neg_lo:[0,1] neg_hi:[0,1]
	v_mov_b32_e32 v55, v46
	v_pk_add_f32 v[44:45], v[54:55], v[44:45] neg_lo:[0,1] neg_hi:[0,1]
	v_mov_b32_e32 v62, v58
	v_pk_add_f32 v[46:47], v[62:63], v[44:45]
	s_mov_b32 s5, 0x33800000
	v_mov_b32_e32 v50, v47
	v_pk_add_f32 v[54:55], v[46:47], v[50:51]
	v_cmp_lt_f32_e64 s[48:49], |v43|, s5
	v_pk_add_f32 v[48:49], v[48:49], v[54:55]
	v_mov_b32_e32 v45, v54
	v_mov_b32_e32 v47, v48
	v_pk_add_f32 v[56:57], v[46:47], v[58:59] neg_lo:[0,1] neg_hi:[0,1]
	s_or_b64 s[80:81], s[80:81], s[48:49]
	v_sub_f32_e32 v29, v46, v56
	v_pk_add_f32 v[44:45], v[44:45], v[56:57] neg_lo:[0,1] neg_hi:[0,1]
	v_sub_f32_e32 v29, v58, v29
	v_add_f32_e32 v29, v44, v29
	v_add_f32_e32 v29, v29, v45
	;; [unrolled: 1-line block ×3, first 2 shown]
	v_cndmask_b32_e64 v29, v29, v43, s[80:81]
	v_add_f32_e32 v54, v28, v29
.LBB131_78:
	s_or_b64 exec, exec, s[2:3]
	v_max_f32_e32 v28, v54, v54
	v_max_f32_e32 v43, v10, v10
	v_min_f32_e32 v29, v28, v43
	v_cmp_u_f32_e64 s[82:83], v54, v54
	v_max_f32_e32 v28, v28, v43
	v_cmp_u_f32_e64 s[80:81], v10, v10
	v_cndmask_b32_e64 v29, v29, v54, s[82:83]
	v_cndmask_b32_e64 v28, v28, v54, s[82:83]
	;; [unrolled: 1-line block ×4, first 2 shown]
	v_cmp_neq_f32_e64 s[82:83], v29, v28
	v_cmp_class_f32_e64 s[2:3], v29, s4
	s_or_b64 s[4:5], s[82:83], s[2:3]
	s_and_saveexec_b64 s[2:3], s[4:5]
	s_cbranch_execz .LBB131_80
; %bb.79:
	v_sub_f32_e32 v29, v29, v28
	s_mov_b32 s4, 0x3fb8aa3b
	v_mul_f32_e32 v44, 0x3fb8aa3b, v29
	v_fma_f32 v45, v29, s4, -v44
	v_rndne_f32_e32 v46, v44
	v_fmamk_f32 v45, v29, 0x32a5705f, v45
	v_sub_f32_e32 v44, v44, v46
	v_add_f32_e32 v44, v44, v45
	v_exp_f32_e32 v44, v44
	v_cvt_i32_f32_e32 v45, v46
	s_mov_b32 s4, 0xc2ce8ed0
	v_cmp_ngt_f32_e64 s[82:83], s4, v29
	s_mov_b32 s4, 0x42b17218
	v_ldexp_f32 v44, v44, v45
	v_cndmask_b32_e64 v44, 0, v44, s[82:83]
	v_mov_b32_e32 v45, 0x7f800000
	v_cmp_nlt_f32_e64 s[82:83], s4, v29
	s_mov_b32 s4, 0x3f2aaaab
	s_mov_b32 s5, 0x7f800000
	v_cndmask_b32_e64 v64, v45, v44, s[82:83]
	v_add_f32_e32 v29, 1.0, v64
	v_add_f32_e32 v44, -1.0, v29
	v_sub_f32_e32 v45, v44, v29
	v_add_f32_e32 v45, 1.0, v45
	v_sub_f32_e32 v44, v64, v44
	v_add_f32_e32 v46, v44, v45
	v_frexp_mant_f32_e32 v47, v29
	v_cvt_f64_f32_e32 v[44:45], v29
	v_frexp_exp_i32_f64_e32 v44, v[44:45]
	v_cmp_gt_f32_e64 s[82:83], s4, v47
	s_mov_b32 s4, 0x3f317218
	s_nop 0
	v_subbrev_co_u32_e64 v50, s[82:83], 0, v44, s[82:83]
	v_sub_u32_e32 v44, 0, v50
	v_ldexp_f32 v29, v29, v44
	v_ldexp_f32 v44, v46, v44
	v_add_f32_e32 v46, -1.0, v29
	v_add_f32_e32 v45, 1.0, v46
	v_sub_f32_e32 v45, v29, v45
	v_add_f32_e32 v47, v44, v45
	v_add_f32_e32 v45, 1.0, v29
	v_add_f32_e32 v48, -1.0, v45
	v_sub_f32_e32 v29, v29, v48
	v_add_f32_e32 v29, v44, v29
	v_add_f32_e32 v56, v45, v29
	v_rcp_f32_e32 v57, v56
	v_sub_f32_e32 v44, v45, v56
	v_add_f32_e32 v45, v46, v47
	v_add_f32_e32 v29, v29, v44
	v_mul_f32_e32 v59, v45, v57
	v_sub_f32_e32 v44, v46, v45
	v_mul_f32_e32 v46, v56, v59
	v_fma_f32 v48, v59, v56, -v46
	v_fmac_f32_e32 v48, v59, v29
	v_add_f32_e32 v58, v47, v44
	v_add_f32_e32 v44, v46, v48
	v_sub_f32_e32 v47, v45, v44
	v_pk_add_f32 v[54:55], v[44:45], v[46:47] neg_lo:[0,1] neg_hi:[0,1]
	v_mov_b32_e32 v49, v44
	v_pk_add_f32 v[44:45], v[54:55], v[48:49] neg_lo:[0,1] neg_hi:[0,1]
	v_cmp_eq_f32_e64 s[82:83], s5, v64
	v_add_f32_e32 v45, v58, v45
	v_add_f32_e32 v44, v44, v45
	v_add_f32_e32 v45, v47, v44
	v_mul_f32_e32 v58, v57, v45
	v_mul_f32_e32 v46, v56, v58
	v_fma_f32 v48, v58, v56, -v46
	v_fmac_f32_e32 v48, v58, v29
	v_sub_f32_e32 v29, v47, v45
	v_add_f32_e32 v29, v44, v29
	v_add_f32_e32 v44, v46, v48
	v_sub_f32_e32 v47, v45, v44
	v_pk_add_f32 v[54:55], v[44:45], v[46:47] neg_lo:[0,1] neg_hi:[0,1]
	v_mov_b32_e32 v49, v44
	v_pk_add_f32 v[44:45], v[54:55], v[48:49] neg_lo:[0,1] neg_hi:[0,1]
	v_cvt_f32_i32_e32 v46, v50
	v_add_f32_e32 v29, v29, v45
	v_add_f32_e32 v29, v44, v29
	;; [unrolled: 1-line block ×4, first 2 shown]
	v_sub_f32_e32 v45, v44, v59
	v_mul_f32_e32 v29, v57, v29
	v_sub_f32_e32 v45, v58, v45
	v_add_f32_e32 v29, v45, v29
	v_add_f32_e32 v47, v44, v29
	v_mul_f32_e32 v48, v47, v47
	v_mov_b32_e32 v45, 0x3ecc95a3
	v_fmac_f32_e32 v45, 0x3e9b6dac, v48
	v_sub_f32_e32 v44, v47, v44
	v_fmaak_f32 v45, v48, v45, 0x3f2aaada
	v_sub_f32_e32 v29, v29, v44
	v_ldexp_f32 v49, v47, 1
	v_mul_f32_e32 v47, v47, v48
	v_mov_b32_e32 v44, 0x3f317218
	v_pk_mul_f32 v[44:45], v[46:47], v[44:45]
	v_ldexp_f32 v29, v29, 1
	v_fma_f32 v47, v46, s4, -v44
	v_fmamk_f32 v48, v46, 0xb102e308, v47
	v_pk_add_f32 v[46:47], v[44:45], v[48:49]
	v_mov_b32_e32 v54, v44
	v_sub_f32_e32 v49, v47, v49
	v_sub_f32_e32 v49, v45, v49
	v_add_f32_e32 v55, v29, v49
	v_pk_add_f32 v[44:45], v[46:47], v[44:45] neg_lo:[0,1] neg_hi:[0,1]
	v_pk_add_f32 v[56:57], v[46:47], v[54:55]
	v_mov_b32_e32 v49, v46
	v_mov_b32_e32 v45, v57
	v_pk_add_f32 v[58:59], v[48:49], v[44:45] neg_lo:[0,1] neg_hi:[0,1]
	v_pk_add_f32 v[44:45], v[48:49], v[44:45]
	v_mov_b32_e32 v54, v55
	v_mov_b32_e32 v48, v45
	v_pk_add_f32 v[60:61], v[48:49], v[46:47] neg_lo:[0,1] neg_hi:[0,1]
	v_mov_b32_e32 v44, v57
	v_mov_b32_e32 v29, v60
	v_pk_add_f32 v[62:63], v[56:57], v[28:29] neg_lo:[0,1] neg_hi:[0,1]
	v_mov_b32_e32 v56, v47
	v_mov_b32_e32 v57, v60
	;; [unrolled: 1-line block ×3, first 2 shown]
	v_pk_add_f32 v[44:45], v[44:45], v[56:57] neg_lo:[0,1] neg_hi:[0,1]
	v_mov_b32_e32 v55, v46
	v_pk_add_f32 v[44:45], v[54:55], v[44:45] neg_lo:[0,1] neg_hi:[0,1]
	v_mov_b32_e32 v62, v58
	v_pk_add_f32 v[46:47], v[62:63], v[44:45]
	s_mov_b32 s4, 0x33800000
	v_mov_b32_e32 v50, v47
	v_pk_add_f32 v[54:55], v[46:47], v[50:51]
	v_cmp_lt_f32_e64 s[4:5], |v64|, s4
	v_pk_add_f32 v[48:49], v[48:49], v[54:55]
	v_mov_b32_e32 v45, v54
	v_mov_b32_e32 v47, v48
	v_pk_add_f32 v[56:57], v[46:47], v[58:59] neg_lo:[0,1] neg_hi:[0,1]
	s_or_b64 s[82:83], s[82:83], s[4:5]
	v_sub_f32_e32 v29, v46, v56
	v_pk_add_f32 v[44:45], v[44:45], v[56:57] neg_lo:[0,1] neg_hi:[0,1]
	v_sub_f32_e32 v29, v58, v29
	v_add_f32_e32 v29, v44, v29
	v_add_f32_e32 v29, v29, v45
	;; [unrolled: 1-line block ×3, first 2 shown]
	v_cndmask_b32_e64 v29, v29, v64, s[82:83]
	v_add_f32_e32 v54, v28, v29
.LBB131_80:
	s_or_b64 exec, exec, s[2:3]
	v_max_f32_e32 v28, v54, v54
	v_max_f32_e32 v44, v11, v11
	v_min_f32_e32 v29, v28, v44
	v_cmp_u_f32_e64 s[84:85], v54, v54
	v_max_f32_e32 v28, v28, v44
	v_cmp_u_f32_e64 s[82:83], v11, v11
	v_cndmask_b32_e64 v29, v29, v54, s[84:85]
	v_cndmask_b32_e64 v28, v28, v54, s[84:85]
	;; [unrolled: 1-line block ×4, first 2 shown]
	s_movk_i32 s4, 0x1f8
	v_cmp_neq_f32_e64 s[84:85], v29, v28
	v_cmp_class_f32_e64 s[2:3], v29, s4
	s_or_b64 s[48:49], s[84:85], s[2:3]
	s_and_saveexec_b64 s[2:3], s[48:49]
	s_cbranch_execz .LBB131_82
; %bb.81:
	v_sub_f32_e32 v29, v29, v28
	s_mov_b32 s5, 0x3fb8aa3b
	v_mul_f32_e32 v45, 0x3fb8aa3b, v29
	v_fma_f32 v46, v29, s5, -v45
	v_rndne_f32_e32 v47, v45
	v_fmamk_f32 v46, v29, 0x32a5705f, v46
	v_sub_f32_e32 v45, v45, v47
	v_add_f32_e32 v45, v45, v46
	v_exp_f32_e32 v45, v45
	v_cvt_i32_f32_e32 v46, v47
	s_mov_b32 s5, 0xc2ce8ed0
	v_cmp_ngt_f32_e64 s[84:85], s5, v29
	s_mov_b32 s5, 0x42b17218
	v_ldexp_f32 v45, v45, v46
	v_cndmask_b32_e64 v45, 0, v45, s[84:85]
	v_mov_b32_e32 v46, 0x7f800000
	v_cmp_nlt_f32_e64 s[84:85], s5, v29
	s_mov_b32 s5, 0x3f2aaaab
	s_mov_b32 s6, 0x7f800000
	v_cndmask_b32_e64 v45, v46, v45, s[84:85]
	v_add_f32_e32 v29, 1.0, v45
	v_add_f32_e32 v46, -1.0, v29
	v_sub_f32_e32 v47, v46, v29
	v_add_f32_e32 v47, 1.0, v47
	v_sub_f32_e32 v46, v45, v46
	v_add_f32_e32 v48, v46, v47
	v_frexp_mant_f32_e32 v49, v29
	v_cvt_f64_f32_e32 v[46:47], v29
	v_frexp_exp_i32_f64_e32 v46, v[46:47]
	v_cmp_gt_f32_e64 s[84:85], s5, v49
	s_mov_b32 s5, 0x3f317218
	s_nop 0
	v_subbrev_co_u32_e64 v50, s[84:85], 0, v46, s[84:85]
	v_sub_u32_e32 v46, 0, v50
	v_ldexp_f32 v29, v29, v46
	v_ldexp_f32 v46, v48, v46
	v_add_f32_e32 v48, -1.0, v29
	v_add_f32_e32 v47, 1.0, v48
	v_sub_f32_e32 v47, v29, v47
	v_add_f32_e32 v49, v46, v47
	v_add_f32_e32 v47, 1.0, v29
	v_add_f32_e32 v54, -1.0, v47
	v_sub_f32_e32 v29, v29, v54
	v_add_f32_e32 v29, v46, v29
	v_add_f32_e32 v58, v47, v29
	v_rcp_f32_e32 v59, v58
	v_sub_f32_e32 v46, v47, v58
	v_add_f32_e32 v47, v48, v49
	v_add_f32_e32 v29, v29, v46
	v_mul_f32_e32 v61, v47, v59
	v_sub_f32_e32 v46, v48, v47
	v_mul_f32_e32 v48, v58, v61
	v_fma_f32 v54, v61, v58, -v48
	v_fmac_f32_e32 v54, v61, v29
	v_add_f32_e32 v60, v49, v46
	v_add_f32_e32 v46, v48, v54
	v_sub_f32_e32 v49, v47, v46
	v_pk_add_f32 v[56:57], v[46:47], v[48:49] neg_lo:[0,1] neg_hi:[0,1]
	v_mov_b32_e32 v55, v46
	v_pk_add_f32 v[46:47], v[56:57], v[54:55] neg_lo:[0,1] neg_hi:[0,1]
	v_cmp_eq_f32_e64 s[84:85], s6, v45
	v_add_f32_e32 v47, v60, v47
	v_add_f32_e32 v46, v46, v47
	;; [unrolled: 1-line block ×3, first 2 shown]
	v_mul_f32_e32 v60, v59, v47
	v_mul_f32_e32 v48, v58, v60
	v_fma_f32 v54, v60, v58, -v48
	v_fmac_f32_e32 v54, v60, v29
	v_sub_f32_e32 v29, v49, v47
	v_add_f32_e32 v29, v46, v29
	v_add_f32_e32 v46, v48, v54
	v_sub_f32_e32 v49, v47, v46
	v_pk_add_f32 v[56:57], v[46:47], v[48:49] neg_lo:[0,1] neg_hi:[0,1]
	v_mov_b32_e32 v55, v46
	v_pk_add_f32 v[46:47], v[56:57], v[54:55] neg_lo:[0,1] neg_hi:[0,1]
	v_cvt_f32_i32_e32 v48, v50
	v_add_f32_e32 v29, v29, v47
	v_add_f32_e32 v29, v46, v29
	;; [unrolled: 1-line block ×4, first 2 shown]
	v_sub_f32_e32 v47, v46, v61
	v_mul_f32_e32 v29, v59, v29
	v_sub_f32_e32 v47, v60, v47
	v_add_f32_e32 v29, v47, v29
	v_add_f32_e32 v49, v46, v29
	v_mul_f32_e32 v54, v49, v49
	v_mov_b32_e32 v47, 0x3ecc95a3
	v_fmac_f32_e32 v47, 0x3e9b6dac, v54
	v_sub_f32_e32 v46, v49, v46
	v_fmaak_f32 v47, v54, v47, 0x3f2aaada
	v_sub_f32_e32 v29, v29, v46
	v_ldexp_f32 v55, v49, 1
	v_mul_f32_e32 v49, v49, v54
	v_mov_b32_e32 v46, 0x3f317218
	v_pk_mul_f32 v[46:47], v[48:49], v[46:47]
	v_ldexp_f32 v29, v29, 1
	v_fma_f32 v49, v48, s5, -v46
	v_fmamk_f32 v54, v48, 0xb102e308, v49
	v_pk_add_f32 v[48:49], v[46:47], v[54:55]
	v_mov_b32_e32 v56, v46
	v_sub_f32_e32 v50, v49, v55
	v_sub_f32_e32 v50, v47, v50
	v_add_f32_e32 v57, v29, v50
	v_pk_add_f32 v[46:47], v[48:49], v[46:47] neg_lo:[0,1] neg_hi:[0,1]
	v_pk_add_f32 v[58:59], v[48:49], v[56:57]
	v_mov_b32_e32 v55, v48
	v_mov_b32_e32 v47, v59
	v_pk_add_f32 v[60:61], v[54:55], v[46:47] neg_lo:[0,1] neg_hi:[0,1]
	v_pk_add_f32 v[46:47], v[54:55], v[46:47]
	s_mov_b32 s5, 0x33800000
	v_mov_b32_e32 v50, v47
	v_pk_add_f32 v[54:55], v[50:51], v[48:49] neg_lo:[0,1] neg_hi:[0,1]
	v_mov_b32_e32 v46, v59
	v_mov_b32_e32 v29, v54
	v_pk_add_f32 v[62:63], v[58:59], v[28:29] neg_lo:[0,1] neg_hi:[0,1]
	v_mov_b32_e32 v58, v49
	v_mov_b32_e32 v59, v54
	;; [unrolled: 1-line block ×3, first 2 shown]
	v_pk_add_f32 v[46:47], v[46:47], v[58:59] neg_lo:[0,1] neg_hi:[0,1]
	v_mov_b32_e32 v54, v57
	v_mov_b32_e32 v55, v48
	v_pk_add_f32 v[46:47], v[54:55], v[46:47] neg_lo:[0,1] neg_hi:[0,1]
	v_mov_b32_e32 v62, v60
	v_pk_add_f32 v[48:49], v[62:63], v[46:47]
	v_cmp_lt_f32_e64 s[48:49], |v45|, s5
	v_mov_b32_e32 v54, v49
	v_pk_add_f32 v[54:55], v[48:49], v[54:55]
	s_or_b64 s[84:85], s[84:85], s[48:49]
	v_pk_add_f32 v[56:57], v[50:51], v[54:55]
	v_mov_b32_e32 v47, v54
	v_mov_b32_e32 v49, v56
	v_pk_add_f32 v[58:59], v[48:49], v[60:61] neg_lo:[0,1] neg_hi:[0,1]
	s_nop 0
	v_sub_f32_e32 v29, v48, v58
	v_pk_add_f32 v[46:47], v[46:47], v[58:59] neg_lo:[0,1] neg_hi:[0,1]
	v_sub_f32_e32 v29, v60, v29
	v_add_f32_e32 v29, v46, v29
	v_add_f32_e32 v29, v29, v47
	;; [unrolled: 1-line block ×3, first 2 shown]
	v_cndmask_b32_e64 v29, v29, v45, s[84:85]
	v_add_f32_e32 v54, v28, v29
.LBB131_82:
	s_or_b64 exec, exec, s[2:3]
	v_max_f32_e32 v28, v54, v54
	v_max_f32_e32 v45, v12, v12
	v_min_f32_e32 v29, v28, v45
	v_cmp_u_f32_e64 s[86:87], v54, v54
	v_max_f32_e32 v28, v28, v45
	v_cmp_u_f32_e64 s[84:85], v12, v12
	v_cndmask_b32_e64 v29, v29, v54, s[86:87]
	v_cndmask_b32_e64 v28, v28, v54, s[86:87]
	;; [unrolled: 1-line block ×4, first 2 shown]
	v_cmp_neq_f32_e64 s[86:87], v29, v28
	v_cmp_class_f32_e64 s[2:3], v29, s4
	s_or_b64 s[4:5], s[86:87], s[2:3]
	s_and_saveexec_b64 s[2:3], s[4:5]
	s_cbranch_execz .LBB131_84
; %bb.83:
	v_sub_f32_e32 v29, v29, v28
	s_mov_b32 s4, 0x3fb8aa3b
	v_mul_f32_e32 v46, 0x3fb8aa3b, v29
	v_fma_f32 v47, v29, s4, -v46
	v_rndne_f32_e32 v48, v46
	v_fmamk_f32 v47, v29, 0x32a5705f, v47
	v_sub_f32_e32 v46, v46, v48
	v_add_f32_e32 v46, v46, v47
	v_exp_f32_e32 v46, v46
	v_cvt_i32_f32_e32 v47, v48
	s_mov_b32 s4, 0xc2ce8ed0
	v_cmp_ngt_f32_e64 s[86:87], s4, v29
	s_mov_b32 s4, 0x42b17218
	v_ldexp_f32 v46, v46, v47
	v_cndmask_b32_e64 v46, 0, v46, s[86:87]
	v_mov_b32_e32 v47, 0x7f800000
	v_cmp_nlt_f32_e64 s[86:87], s4, v29
	s_mov_b32 s4, 0x3f2aaaab
	s_mov_b32 s5, 0x7f800000
	v_cndmask_b32_e64 v64, v47, v46, s[86:87]
	v_add_f32_e32 v29, 1.0, v64
	v_add_f32_e32 v46, -1.0, v29
	v_sub_f32_e32 v47, v46, v29
	v_add_f32_e32 v47, 1.0, v47
	v_sub_f32_e32 v46, v64, v46
	v_add_f32_e32 v48, v46, v47
	v_frexp_mant_f32_e32 v49, v29
	v_cvt_f64_f32_e32 v[46:47], v29
	v_frexp_exp_i32_f64_e32 v46, v[46:47]
	v_cmp_gt_f32_e64 s[86:87], s4, v49
	s_mov_b32 s4, 0x3f317218
	s_nop 0
	v_subbrev_co_u32_e64 v50, s[86:87], 0, v46, s[86:87]
	v_sub_u32_e32 v46, 0, v50
	v_ldexp_f32 v29, v29, v46
	v_ldexp_f32 v46, v48, v46
	v_add_f32_e32 v48, -1.0, v29
	v_add_f32_e32 v47, 1.0, v48
	v_sub_f32_e32 v47, v29, v47
	v_add_f32_e32 v49, v46, v47
	v_add_f32_e32 v47, 1.0, v29
	v_add_f32_e32 v54, -1.0, v47
	v_sub_f32_e32 v29, v29, v54
	v_add_f32_e32 v29, v46, v29
	v_add_f32_e32 v58, v47, v29
	v_rcp_f32_e32 v59, v58
	v_sub_f32_e32 v46, v47, v58
	v_add_f32_e32 v47, v48, v49
	v_add_f32_e32 v29, v29, v46
	v_mul_f32_e32 v61, v47, v59
	v_sub_f32_e32 v46, v48, v47
	v_mul_f32_e32 v48, v58, v61
	v_fma_f32 v54, v61, v58, -v48
	v_fmac_f32_e32 v54, v61, v29
	v_add_f32_e32 v60, v49, v46
	v_add_f32_e32 v46, v48, v54
	v_sub_f32_e32 v49, v47, v46
	v_pk_add_f32 v[56:57], v[46:47], v[48:49] neg_lo:[0,1] neg_hi:[0,1]
	v_mov_b32_e32 v55, v46
	v_pk_add_f32 v[46:47], v[56:57], v[54:55] neg_lo:[0,1] neg_hi:[0,1]
	v_cmp_eq_f32_e64 s[86:87], s5, v64
	v_add_f32_e32 v47, v60, v47
	v_add_f32_e32 v46, v46, v47
	;; [unrolled: 1-line block ×3, first 2 shown]
	v_mul_f32_e32 v60, v59, v47
	v_mul_f32_e32 v48, v58, v60
	v_fma_f32 v54, v60, v58, -v48
	v_fmac_f32_e32 v54, v60, v29
	v_sub_f32_e32 v29, v49, v47
	v_add_f32_e32 v29, v46, v29
	v_add_f32_e32 v46, v48, v54
	v_sub_f32_e32 v49, v47, v46
	v_pk_add_f32 v[56:57], v[46:47], v[48:49] neg_lo:[0,1] neg_hi:[0,1]
	v_mov_b32_e32 v55, v46
	v_pk_add_f32 v[46:47], v[56:57], v[54:55] neg_lo:[0,1] neg_hi:[0,1]
	v_cvt_f32_i32_e32 v48, v50
	v_add_f32_e32 v29, v29, v47
	v_add_f32_e32 v29, v46, v29
	;; [unrolled: 1-line block ×4, first 2 shown]
	v_sub_f32_e32 v47, v46, v61
	v_mul_f32_e32 v29, v59, v29
	v_sub_f32_e32 v47, v60, v47
	v_add_f32_e32 v29, v47, v29
	v_add_f32_e32 v49, v46, v29
	v_mul_f32_e32 v54, v49, v49
	v_mov_b32_e32 v47, 0x3ecc95a3
	v_fmac_f32_e32 v47, 0x3e9b6dac, v54
	v_sub_f32_e32 v46, v49, v46
	v_fmaak_f32 v47, v54, v47, 0x3f2aaada
	v_sub_f32_e32 v29, v29, v46
	v_ldexp_f32 v55, v49, 1
	v_mul_f32_e32 v49, v49, v54
	v_mov_b32_e32 v46, 0x3f317218
	v_pk_mul_f32 v[46:47], v[48:49], v[46:47]
	v_ldexp_f32 v29, v29, 1
	v_fma_f32 v49, v48, s4, -v46
	v_fmamk_f32 v54, v48, 0xb102e308, v49
	v_pk_add_f32 v[48:49], v[46:47], v[54:55]
	v_mov_b32_e32 v56, v46
	v_sub_f32_e32 v50, v49, v55
	v_sub_f32_e32 v50, v47, v50
	v_add_f32_e32 v57, v29, v50
	v_pk_add_f32 v[46:47], v[48:49], v[46:47] neg_lo:[0,1] neg_hi:[0,1]
	v_pk_add_f32 v[58:59], v[48:49], v[56:57]
	v_mov_b32_e32 v55, v48
	v_mov_b32_e32 v47, v59
	v_pk_add_f32 v[60:61], v[54:55], v[46:47] neg_lo:[0,1] neg_hi:[0,1]
	v_pk_add_f32 v[46:47], v[54:55], v[46:47]
	s_mov_b32 s4, 0x33800000
	v_mov_b32_e32 v50, v47
	v_pk_add_f32 v[54:55], v[50:51], v[48:49] neg_lo:[0,1] neg_hi:[0,1]
	v_mov_b32_e32 v46, v59
	v_mov_b32_e32 v29, v54
	v_pk_add_f32 v[62:63], v[58:59], v[28:29] neg_lo:[0,1] neg_hi:[0,1]
	v_mov_b32_e32 v58, v49
	v_mov_b32_e32 v59, v54
	;; [unrolled: 1-line block ×3, first 2 shown]
	v_pk_add_f32 v[46:47], v[46:47], v[58:59] neg_lo:[0,1] neg_hi:[0,1]
	v_mov_b32_e32 v54, v57
	v_mov_b32_e32 v55, v48
	v_pk_add_f32 v[46:47], v[54:55], v[46:47] neg_lo:[0,1] neg_hi:[0,1]
	v_mov_b32_e32 v62, v60
	v_pk_add_f32 v[48:49], v[62:63], v[46:47]
	v_cmp_lt_f32_e64 s[4:5], |v64|, s4
	v_mov_b32_e32 v54, v49
	v_pk_add_f32 v[54:55], v[48:49], v[54:55]
	s_or_b64 s[86:87], s[86:87], s[4:5]
	v_pk_add_f32 v[56:57], v[50:51], v[54:55]
	v_mov_b32_e32 v47, v54
	v_mov_b32_e32 v49, v56
	v_pk_add_f32 v[58:59], v[48:49], v[60:61] neg_lo:[0,1] neg_hi:[0,1]
	s_nop 0
	v_sub_f32_e32 v29, v48, v58
	v_pk_add_f32 v[46:47], v[46:47], v[58:59] neg_lo:[0,1] neg_hi:[0,1]
	v_sub_f32_e32 v29, v60, v29
	v_add_f32_e32 v29, v46, v29
	v_add_f32_e32 v29, v29, v47
	;; [unrolled: 1-line block ×3, first 2 shown]
	v_cndmask_b32_e64 v29, v29, v64, s[86:87]
	v_add_f32_e32 v54, v28, v29
.LBB131_84:
	s_or_b64 exec, exec, s[2:3]
	v_max_f32_e32 v28, v54, v54
	v_max_f32_e32 v46, v13, v13
	v_min_f32_e32 v29, v28, v46
	v_cmp_u_f32_e64 s[88:89], v54, v54
	v_max_f32_e32 v28, v28, v46
	v_cmp_u_f32_e64 s[86:87], v13, v13
	v_cndmask_b32_e64 v29, v29, v54, s[88:89]
	v_cndmask_b32_e64 v28, v28, v54, s[88:89]
	;; [unrolled: 1-line block ×4, first 2 shown]
	s_movk_i32 s4, 0x1f8
	v_cmp_neq_f32_e64 s[88:89], v29, v28
	v_cmp_class_f32_e64 s[2:3], v29, s4
	s_or_b64 s[48:49], s[88:89], s[2:3]
	s_and_saveexec_b64 s[2:3], s[48:49]
	s_cbranch_execz .LBB131_86
; %bb.85:
	v_sub_f32_e32 v29, v29, v28
	s_mov_b32 s5, 0x3fb8aa3b
	v_mul_f32_e32 v47, 0x3fb8aa3b, v29
	v_fma_f32 v48, v29, s5, -v47
	v_rndne_f32_e32 v49, v47
	v_fmamk_f32 v48, v29, 0x32a5705f, v48
	v_sub_f32_e32 v47, v47, v49
	v_add_f32_e32 v47, v47, v48
	v_exp_f32_e32 v47, v47
	v_cvt_i32_f32_e32 v48, v49
	s_mov_b32 s5, 0xc2ce8ed0
	v_cmp_ngt_f32_e64 s[88:89], s5, v29
	s_mov_b32 s5, 0x42b17218
	v_ldexp_f32 v47, v47, v48
	v_cndmask_b32_e64 v47, 0, v47, s[88:89]
	v_mov_b32_e32 v48, 0x7f800000
	v_cmp_nlt_f32_e64 s[88:89], s5, v29
	s_mov_b32 s5, 0x3f2aaaab
	s_mov_b32 s6, 0x7f800000
	v_cndmask_b32_e64 v47, v48, v47, s[88:89]
	v_add_f32_e32 v29, 1.0, v47
	v_add_f32_e32 v48, -1.0, v29
	v_sub_f32_e32 v49, v48, v29
	v_add_f32_e32 v49, 1.0, v49
	v_sub_f32_e32 v48, v47, v48
	v_add_f32_e32 v50, v48, v49
	v_frexp_mant_f32_e32 v54, v29
	v_cvt_f64_f32_e32 v[48:49], v29
	v_frexp_exp_i32_f64_e32 v48, v[48:49]
	v_cmp_gt_f32_e64 s[88:89], s5, v54
	s_mov_b32 s5, 0x3f317218
	s_nop 0
	v_subbrev_co_u32_e64 v60, s[88:89], 0, v48, s[88:89]
	v_sub_u32_e32 v48, 0, v60
	v_ldexp_f32 v29, v29, v48
	v_ldexp_f32 v48, v50, v48
	v_add_f32_e32 v50, -1.0, v29
	v_add_f32_e32 v49, 1.0, v50
	v_sub_f32_e32 v49, v29, v49
	v_add_f32_e32 v54, v48, v49
	v_add_f32_e32 v49, 1.0, v29
	v_add_f32_e32 v55, -1.0, v49
	v_sub_f32_e32 v29, v29, v55
	v_add_f32_e32 v29, v48, v29
	v_add_f32_e32 v61, v49, v29
	v_rcp_f32_e32 v62, v61
	v_sub_f32_e32 v48, v49, v61
	v_add_f32_e32 v49, v50, v54
	v_add_f32_e32 v29, v29, v48
	v_sub_f32_e32 v48, v50, v49
	v_mul_f32_e32 v63, v49, v62
	v_add_f32_e32 v50, v54, v48
	v_mul_f32_e32 v54, v61, v63
	v_fma_f32 v56, v63, v61, -v54
	v_fmac_f32_e32 v56, v63, v29
	v_add_f32_e32 v48, v54, v56
	v_sub_f32_e32 v55, v49, v48
	v_pk_add_f32 v[58:59], v[48:49], v[54:55] neg_lo:[0,1] neg_hi:[0,1]
	v_mov_b32_e32 v57, v48
	v_pk_add_f32 v[48:49], v[58:59], v[56:57] neg_lo:[0,1] neg_hi:[0,1]
	v_cmp_eq_f32_e64 s[88:89], s6, v47
	v_add_f32_e32 v49, v50, v49
	v_add_f32_e32 v48, v48, v49
	;; [unrolled: 1-line block ×3, first 2 shown]
	v_mul_f32_e32 v50, v62, v49
	v_mul_f32_e32 v54, v61, v50
	v_fma_f32 v56, v50, v61, -v54
	v_fmac_f32_e32 v56, v50, v29
	v_sub_f32_e32 v29, v55, v49
	v_add_f32_e32 v29, v48, v29
	v_add_f32_e32 v48, v54, v56
	v_sub_f32_e32 v55, v49, v48
	v_pk_add_f32 v[58:59], v[48:49], v[54:55] neg_lo:[0,1] neg_hi:[0,1]
	v_mov_b32_e32 v57, v48
	v_pk_add_f32 v[48:49], v[58:59], v[56:57] neg_lo:[0,1] neg_hi:[0,1]
	v_cvt_f32_i32_e32 v54, v60
	v_add_f32_e32 v29, v29, v49
	v_add_f32_e32 v29, v48, v29
	;; [unrolled: 1-line block ×4, first 2 shown]
	v_sub_f32_e32 v49, v48, v63
	v_mul_f32_e32 v29, v62, v29
	v_sub_f32_e32 v49, v50, v49
	v_add_f32_e32 v29, v49, v29
	v_add_f32_e32 v50, v48, v29
	v_mul_f32_e32 v55, v50, v50
	v_mov_b32_e32 v49, 0x3ecc95a3
	v_fmac_f32_e32 v49, 0x3e9b6dac, v55
	v_sub_f32_e32 v48, v50, v48
	v_fmaak_f32 v49, v55, v49, 0x3f2aaada
	v_sub_f32_e32 v29, v29, v48
	v_mul_f32_e32 v55, v50, v55
	v_mov_b32_e32 v48, 0x3f317218
	v_pk_mul_f32 v[48:49], v[54:55], v[48:49]
	v_ldexp_f32 v57, v50, 1
	v_fma_f32 v50, v54, s5, -v48
	v_fmamk_f32 v56, v54, 0xb102e308, v50
	v_pk_add_f32 v[54:55], v[48:49], v[56:57]
	v_ldexp_f32 v29, v29, 1
	v_sub_f32_e32 v50, v55, v57
	v_sub_f32_e32 v50, v49, v50
	v_add_f32_e32 v59, v29, v50
	v_mov_b32_e32 v58, v48
	v_pk_add_f32 v[48:49], v[54:55], v[48:49] neg_lo:[0,1] neg_hi:[0,1]
	v_pk_add_f32 v[60:61], v[54:55], v[58:59]
	v_mov_b32_e32 v57, v54
	v_mov_b32_e32 v49, v61
	v_pk_add_f32 v[62:63], v[56:57], v[48:49] neg_lo:[0,1] neg_hi:[0,1]
	v_pk_add_f32 v[48:49], v[56:57], v[48:49]
	s_mov_b32 s5, 0x33800000
	v_mov_b32_e32 v50, v49
	v_pk_add_f32 v[56:57], v[50:51], v[54:55] neg_lo:[0,1] neg_hi:[0,1]
	v_mov_b32_e32 v48, v61
	v_mov_b32_e32 v29, v56
	v_pk_add_f32 v[64:65], v[60:61], v[28:29] neg_lo:[0,1] neg_hi:[0,1]
	v_mov_b32_e32 v60, v55
	v_mov_b32_e32 v61, v56
	v_mov_b32_e32 v63, v49
	v_pk_add_f32 v[48:49], v[48:49], v[60:61] neg_lo:[0,1] neg_hi:[0,1]
	v_mov_b32_e32 v56, v59
	v_mov_b32_e32 v57, v54
	v_pk_add_f32 v[48:49], v[56:57], v[48:49] neg_lo:[0,1] neg_hi:[0,1]
	v_mov_b32_e32 v64, v62
	v_pk_add_f32 v[54:55], v[64:65], v[48:49]
	v_cmp_lt_f32_e64 s[48:49], |v47|, s5
	v_mov_b32_e32 v56, v55
	v_pk_add_f32 v[56:57], v[54:55], v[56:57]
	s_or_b64 s[88:89], s[88:89], s[48:49]
	v_pk_add_f32 v[58:59], v[50:51], v[56:57]
	v_mov_b32_e32 v49, v56
	v_mov_b32_e32 v55, v58
	v_pk_add_f32 v[60:61], v[54:55], v[62:63] neg_lo:[0,1] neg_hi:[0,1]
	s_nop 0
	v_sub_f32_e32 v29, v54, v60
	v_pk_add_f32 v[48:49], v[48:49], v[60:61] neg_lo:[0,1] neg_hi:[0,1]
	v_sub_f32_e32 v29, v62, v29
	v_add_f32_e32 v29, v48, v29
	v_add_f32_e32 v29, v29, v49
	;; [unrolled: 1-line block ×3, first 2 shown]
	v_cndmask_b32_e64 v29, v29, v47, s[88:89]
	v_add_f32_e32 v54, v28, v29
.LBB131_86:
	s_or_b64 exec, exec, s[2:3]
	v_max_f32_e32 v28, v54, v54
	v_max_f32_e32 v47, v6, v6
	v_min_f32_e32 v29, v28, v47
	v_cmp_u_f32_e64 s[90:91], v54, v54
	v_max_f32_e32 v28, v28, v47
	v_cmp_u_f32_e64 s[88:89], v6, v6
	v_cndmask_b32_e64 v29, v29, v54, s[90:91]
	v_cndmask_b32_e64 v28, v28, v54, s[90:91]
	;; [unrolled: 1-line block ×4, first 2 shown]
	v_cmp_neq_f32_e64 s[90:91], v29, v28
	v_cmp_class_f32_e64 s[2:3], v29, s4
	s_or_b64 s[4:5], s[90:91], s[2:3]
	s_and_saveexec_b64 s[2:3], s[4:5]
	s_cbranch_execz .LBB131_88
; %bb.87:
	v_sub_f32_e32 v29, v29, v28
	s_mov_b32 s4, 0x3fb8aa3b
	v_mul_f32_e32 v48, 0x3fb8aa3b, v29
	v_fma_f32 v49, v29, s4, -v48
	v_rndne_f32_e32 v50, v48
	v_fmamk_f32 v49, v29, 0x32a5705f, v49
	v_sub_f32_e32 v48, v48, v50
	v_add_f32_e32 v48, v48, v49
	v_exp_f32_e32 v48, v48
	v_cvt_i32_f32_e32 v49, v50
	s_mov_b32 s4, 0xc2ce8ed0
	v_cmp_ngt_f32_e64 s[90:91], s4, v29
	s_mov_b32 s4, 0x42b17218
	v_ldexp_f32 v48, v48, v49
	v_cndmask_b32_e64 v48, 0, v48, s[90:91]
	v_mov_b32_e32 v49, 0x7f800000
	v_cmp_nlt_f32_e64 s[90:91], s4, v29
	s_mov_b32 s4, 0x3f2aaaab
	s_mov_b32 s5, 0x7f800000
	v_cndmask_b32_e64 v66, v49, v48, s[90:91]
	v_add_f32_e32 v29, 1.0, v66
	v_add_f32_e32 v48, -1.0, v29
	v_sub_f32_e32 v49, v48, v29
	v_add_f32_e32 v49, 1.0, v49
	v_sub_f32_e32 v48, v66, v48
	v_add_f32_e32 v50, v48, v49
	v_frexp_mant_f32_e32 v54, v29
	v_cvt_f64_f32_e32 v[48:49], v29
	v_frexp_exp_i32_f64_e32 v48, v[48:49]
	v_cmp_gt_f32_e64 s[90:91], s4, v54
	s_mov_b32 s4, 0x3f317218
	s_nop 0
	v_subbrev_co_u32_e64 v60, s[90:91], 0, v48, s[90:91]
	v_sub_u32_e32 v48, 0, v60
	v_ldexp_f32 v29, v29, v48
	v_ldexp_f32 v48, v50, v48
	v_add_f32_e32 v50, -1.0, v29
	v_add_f32_e32 v49, 1.0, v50
	v_sub_f32_e32 v49, v29, v49
	v_add_f32_e32 v54, v48, v49
	v_add_f32_e32 v49, 1.0, v29
	v_add_f32_e32 v55, -1.0, v49
	v_sub_f32_e32 v29, v29, v55
	v_add_f32_e32 v29, v48, v29
	v_add_f32_e32 v61, v49, v29
	v_rcp_f32_e32 v62, v61
	v_sub_f32_e32 v48, v49, v61
	v_add_f32_e32 v49, v50, v54
	v_add_f32_e32 v29, v29, v48
	v_sub_f32_e32 v48, v50, v49
	v_mul_f32_e32 v63, v49, v62
	v_add_f32_e32 v50, v54, v48
	v_mul_f32_e32 v54, v61, v63
	v_fma_f32 v56, v63, v61, -v54
	v_fmac_f32_e32 v56, v63, v29
	v_add_f32_e32 v48, v54, v56
	v_sub_f32_e32 v55, v49, v48
	v_pk_add_f32 v[58:59], v[48:49], v[54:55] neg_lo:[0,1] neg_hi:[0,1]
	v_mov_b32_e32 v57, v48
	v_pk_add_f32 v[48:49], v[58:59], v[56:57] neg_lo:[0,1] neg_hi:[0,1]
	v_cmp_eq_f32_e64 s[90:91], s5, v66
	v_add_f32_e32 v49, v50, v49
	v_add_f32_e32 v48, v48, v49
	;; [unrolled: 1-line block ×3, first 2 shown]
	v_mul_f32_e32 v50, v62, v49
	v_mul_f32_e32 v54, v61, v50
	v_fma_f32 v56, v50, v61, -v54
	v_fmac_f32_e32 v56, v50, v29
	v_sub_f32_e32 v29, v55, v49
	v_add_f32_e32 v29, v48, v29
	v_add_f32_e32 v48, v54, v56
	v_sub_f32_e32 v55, v49, v48
	v_pk_add_f32 v[58:59], v[48:49], v[54:55] neg_lo:[0,1] neg_hi:[0,1]
	v_mov_b32_e32 v57, v48
	v_pk_add_f32 v[48:49], v[58:59], v[56:57] neg_lo:[0,1] neg_hi:[0,1]
	v_cvt_f32_i32_e32 v54, v60
	v_add_f32_e32 v29, v29, v49
	v_add_f32_e32 v29, v48, v29
	;; [unrolled: 1-line block ×4, first 2 shown]
	v_sub_f32_e32 v49, v48, v63
	v_mul_f32_e32 v29, v62, v29
	v_sub_f32_e32 v49, v50, v49
	v_add_f32_e32 v29, v49, v29
	v_add_f32_e32 v50, v48, v29
	v_mul_f32_e32 v55, v50, v50
	v_mov_b32_e32 v49, 0x3ecc95a3
	v_fmac_f32_e32 v49, 0x3e9b6dac, v55
	v_sub_f32_e32 v48, v50, v48
	v_fmaak_f32 v49, v55, v49, 0x3f2aaada
	v_sub_f32_e32 v29, v29, v48
	v_mul_f32_e32 v55, v50, v55
	v_mov_b32_e32 v48, 0x3f317218
	v_pk_mul_f32 v[48:49], v[54:55], v[48:49]
	v_ldexp_f32 v57, v50, 1
	v_fma_f32 v50, v54, s4, -v48
	v_fmamk_f32 v56, v54, 0xb102e308, v50
	v_pk_add_f32 v[54:55], v[48:49], v[56:57]
	v_ldexp_f32 v29, v29, 1
	v_sub_f32_e32 v50, v55, v57
	v_sub_f32_e32 v50, v49, v50
	v_add_f32_e32 v59, v29, v50
	v_mov_b32_e32 v58, v48
	v_pk_add_f32 v[48:49], v[54:55], v[48:49] neg_lo:[0,1] neg_hi:[0,1]
	v_pk_add_f32 v[60:61], v[54:55], v[58:59]
	v_mov_b32_e32 v57, v54
	v_mov_b32_e32 v49, v61
	v_pk_add_f32 v[62:63], v[56:57], v[48:49] neg_lo:[0,1] neg_hi:[0,1]
	v_pk_add_f32 v[48:49], v[56:57], v[48:49]
	s_mov_b32 s4, 0x33800000
	v_mov_b32_e32 v50, v49
	v_pk_add_f32 v[56:57], v[50:51], v[54:55] neg_lo:[0,1] neg_hi:[0,1]
	v_mov_b32_e32 v48, v61
	v_mov_b32_e32 v29, v56
	v_pk_add_f32 v[64:65], v[60:61], v[28:29] neg_lo:[0,1] neg_hi:[0,1]
	v_mov_b32_e32 v60, v55
	v_mov_b32_e32 v61, v56
	;; [unrolled: 1-line block ×3, first 2 shown]
	v_pk_add_f32 v[48:49], v[48:49], v[60:61] neg_lo:[0,1] neg_hi:[0,1]
	v_mov_b32_e32 v56, v59
	v_mov_b32_e32 v57, v54
	v_pk_add_f32 v[48:49], v[56:57], v[48:49] neg_lo:[0,1] neg_hi:[0,1]
	v_mov_b32_e32 v64, v62
	v_pk_add_f32 v[54:55], v[64:65], v[48:49]
	v_cmp_lt_f32_e64 s[4:5], |v66|, s4
	v_mov_b32_e32 v56, v55
	v_pk_add_f32 v[56:57], v[54:55], v[56:57]
	s_or_b64 s[90:91], s[90:91], s[4:5]
	v_pk_add_f32 v[58:59], v[50:51], v[56:57]
	v_mov_b32_e32 v49, v56
	v_mov_b32_e32 v55, v58
	v_pk_add_f32 v[60:61], v[54:55], v[62:63] neg_lo:[0,1] neg_hi:[0,1]
	s_nop 0
	v_sub_f32_e32 v29, v54, v60
	v_pk_add_f32 v[48:49], v[48:49], v[60:61] neg_lo:[0,1] neg_hi:[0,1]
	v_sub_f32_e32 v29, v62, v29
	v_add_f32_e32 v29, v48, v29
	v_add_f32_e32 v29, v29, v49
	;; [unrolled: 1-line block ×3, first 2 shown]
	v_cndmask_b32_e64 v29, v29, v66, s[90:91]
	v_add_f32_e32 v54, v28, v29
.LBB131_88:
	s_or_b64 exec, exec, s[2:3]
	v_max_f32_e32 v28, v54, v54
	v_max_f32_e32 v48, v7, v7
	v_min_f32_e32 v29, v28, v48
	v_cmp_u_f32_e64 s[92:93], v54, v54
	v_max_f32_e32 v28, v28, v48
	v_cmp_u_f32_e64 s[90:91], v7, v7
	v_cndmask_b32_e64 v29, v29, v54, s[92:93]
	v_cndmask_b32_e64 v28, v28, v54, s[92:93]
	;; [unrolled: 1-line block ×4, first 2 shown]
	s_movk_i32 s4, 0x1f8
	v_cmp_neq_f32_e64 s[92:93], v29, v28
	v_cmp_class_f32_e64 s[2:3], v29, s4
	s_or_b64 s[48:49], s[92:93], s[2:3]
	s_and_saveexec_b64 s[2:3], s[48:49]
	s_cbranch_execz .LBB131_90
; %bb.89:
	v_sub_f32_e32 v29, v29, v28
	s_mov_b32 s5, 0x3fb8aa3b
	v_mul_f32_e32 v49, 0x3fb8aa3b, v29
	v_fma_f32 v50, v29, s5, -v49
	v_rndne_f32_e32 v54, v49
	v_fmamk_f32 v50, v29, 0x32a5705f, v50
	v_sub_f32_e32 v49, v49, v54
	v_add_f32_e32 v49, v49, v50
	v_exp_f32_e32 v49, v49
	v_cvt_i32_f32_e32 v50, v54
	s_mov_b32 s5, 0xc2ce8ed0
	v_cmp_ngt_f32_e64 s[92:93], s5, v29
	s_mov_b32 s5, 0x42b17218
	v_ldexp_f32 v49, v49, v50
	v_cndmask_b32_e64 v49, 0, v49, s[92:93]
	v_mov_b32_e32 v50, 0x7f800000
	v_cmp_nlt_f32_e64 s[92:93], s5, v29
	s_mov_b32 s5, 0x3f2aaaab
	s_mov_b32 s6, 0x7f800000
	v_cndmask_b32_e64 v49, v50, v49, s[92:93]
	v_add_f32_e32 v29, 1.0, v49
	v_add_f32_e32 v50, -1.0, v29
	v_sub_f32_e32 v54, v50, v29
	v_add_f32_e32 v54, 1.0, v54
	v_sub_f32_e32 v50, v49, v50
	v_add_f32_e32 v50, v50, v54
	v_frexp_mant_f32_e32 v56, v29
	v_cvt_f64_f32_e32 v[54:55], v29
	v_frexp_exp_i32_f64_e32 v54, v[54:55]
	v_cmp_gt_f32_e64 s[92:93], s5, v56
	s_mov_b32 s5, 0x3f317218
	s_nop 0
	v_subbrev_co_u32_e64 v62, s[92:93], 0, v54, s[92:93]
	v_sub_u32_e32 v54, 0, v62
	v_ldexp_f32 v29, v29, v54
	v_ldexp_f32 v50, v50, v54
	v_add_f32_e32 v54, -1.0, v29
	v_add_f32_e32 v55, 1.0, v54
	v_sub_f32_e32 v55, v29, v55
	v_add_f32_e32 v56, v50, v55
	v_add_f32_e32 v55, 1.0, v29
	v_add_f32_e32 v57, -1.0, v55
	v_sub_f32_e32 v29, v29, v57
	v_add_f32_e32 v29, v50, v29
	v_add_f32_e32 v50, v55, v29
	v_rcp_f32_e32 v63, v50
	v_sub_f32_e32 v55, v55, v50
	v_add_f32_e32 v29, v29, v55
	v_add_f32_e32 v55, v54, v56
	v_sub_f32_e32 v54, v54, v55
	v_mul_f32_e32 v65, v55, v63
	v_add_f32_e32 v64, v56, v54
	v_mul_f32_e32 v56, v50, v65
	v_fma_f32 v58, v65, v50, -v56
	v_fmac_f32_e32 v58, v65, v29
	v_add_f32_e32 v54, v56, v58
	v_sub_f32_e32 v57, v55, v54
	v_pk_add_f32 v[60:61], v[54:55], v[56:57] neg_lo:[0,1] neg_hi:[0,1]
	v_mov_b32_e32 v59, v54
	v_pk_add_f32 v[54:55], v[60:61], v[58:59] neg_lo:[0,1] neg_hi:[0,1]
	v_cmp_eq_f32_e64 s[92:93], s6, v49
	v_add_f32_e32 v55, v64, v55
	v_add_f32_e32 v54, v54, v55
	;; [unrolled: 1-line block ×3, first 2 shown]
	v_mul_f32_e32 v64, v63, v55
	v_mul_f32_e32 v56, v50, v64
	v_fma_f32 v58, v64, v50, -v56
	v_fmac_f32_e32 v58, v64, v29
	v_sub_f32_e32 v29, v57, v55
	v_add_f32_e32 v29, v54, v29
	v_add_f32_e32 v54, v56, v58
	v_sub_f32_e32 v57, v55, v54
	v_pk_add_f32 v[60:61], v[54:55], v[56:57] neg_lo:[0,1] neg_hi:[0,1]
	v_mov_b32_e32 v59, v54
	v_pk_add_f32 v[54:55], v[60:61], v[58:59] neg_lo:[0,1] neg_hi:[0,1]
	v_add_f32_e32 v50, v65, v64
	v_add_f32_e32 v29, v29, v55
	;; [unrolled: 1-line block ×4, first 2 shown]
	v_sub_f32_e32 v54, v50, v65
	v_mul_f32_e32 v29, v63, v29
	v_sub_f32_e32 v54, v64, v54
	v_add_f32_e32 v29, v54, v29
	v_add_f32_e32 v54, v50, v29
	v_cvt_f32_i32_e32 v56, v62
	v_mul_f32_e32 v57, v54, v54
	v_mov_b32_e32 v55, 0x3ecc95a3
	v_fmac_f32_e32 v55, 0x3e9b6dac, v57
	v_fmaak_f32 v55, v57, v55, 0x3f2aaada
	v_sub_f32_e32 v50, v54, v50
	v_ldexp_f32 v59, v54, 1
	v_mul_f32_e32 v57, v54, v57
	v_mov_b32_e32 v54, 0x3f317218
	v_pk_mul_f32 v[54:55], v[56:57], v[54:55]
	v_sub_f32_e32 v29, v29, v50
	v_fma_f32 v50, v56, s5, -v54
	v_fmamk_f32 v58, v56, 0xb102e308, v50
	v_pk_add_f32 v[56:57], v[54:55], v[58:59]
	v_ldexp_f32 v29, v29, 1
	v_sub_f32_e32 v50, v57, v59
	v_sub_f32_e32 v50, v55, v50
	v_add_f32_e32 v61, v29, v50
	v_mov_b32_e32 v60, v54
	v_pk_add_f32 v[54:55], v[56:57], v[54:55] neg_lo:[0,1] neg_hi:[0,1]
	v_pk_add_f32 v[62:63], v[56:57], v[60:61]
	v_mov_b32_e32 v59, v56
	v_mov_b32_e32 v55, v63
	v_pk_add_f32 v[64:65], v[58:59], v[54:55] neg_lo:[0,1] neg_hi:[0,1]
	v_pk_add_f32 v[54:55], v[58:59], v[54:55]
	s_mov_b32 s5, 0x33800000
	v_mov_b32_e32 v50, v55
	v_pk_add_f32 v[58:59], v[50:51], v[56:57] neg_lo:[0,1] neg_hi:[0,1]
	v_mov_b32_e32 v54, v63
	v_mov_b32_e32 v29, v58
	v_pk_add_f32 v[66:67], v[62:63], v[28:29] neg_lo:[0,1] neg_hi:[0,1]
	v_mov_b32_e32 v62, v57
	v_mov_b32_e32 v63, v58
	;; [unrolled: 1-line block ×3, first 2 shown]
	v_pk_add_f32 v[54:55], v[54:55], v[62:63] neg_lo:[0,1] neg_hi:[0,1]
	v_mov_b32_e32 v58, v61
	v_mov_b32_e32 v59, v56
	v_pk_add_f32 v[54:55], v[58:59], v[54:55] neg_lo:[0,1] neg_hi:[0,1]
	v_mov_b32_e32 v66, v64
	v_pk_add_f32 v[56:57], v[66:67], v[54:55]
	v_cmp_lt_f32_e64 s[48:49], |v49|, s5
	v_mov_b32_e32 v58, v57
	v_pk_add_f32 v[58:59], v[56:57], v[58:59]
	s_or_b64 s[92:93], s[92:93], s[48:49]
	v_pk_add_f32 v[60:61], v[50:51], v[58:59]
	v_mov_b32_e32 v55, v58
	v_mov_b32_e32 v57, v60
	v_pk_add_f32 v[62:63], v[56:57], v[64:65] neg_lo:[0,1] neg_hi:[0,1]
	s_nop 0
	v_sub_f32_e32 v29, v56, v62
	v_pk_add_f32 v[54:55], v[54:55], v[62:63] neg_lo:[0,1] neg_hi:[0,1]
	v_sub_f32_e32 v29, v64, v29
	v_add_f32_e32 v29, v54, v29
	v_add_f32_e32 v29, v29, v55
	;; [unrolled: 1-line block ×3, first 2 shown]
	v_cndmask_b32_e64 v29, v29, v49, s[92:93]
	v_add_f32_e32 v54, v28, v29
.LBB131_90:
	s_or_b64 exec, exec, s[2:3]
	v_max_f32_e32 v28, v54, v54
	v_max_f32_e32 v49, v8, v8
	v_min_f32_e32 v29, v28, v49
	v_cmp_u_f32_e64 s[94:95], v54, v54
	v_max_f32_e32 v28, v28, v49
	v_cmp_u_f32_e64 s[92:93], v8, v8
	v_cndmask_b32_e64 v29, v29, v54, s[94:95]
	v_cndmask_b32_e64 v28, v28, v54, s[94:95]
	;; [unrolled: 1-line block ×4, first 2 shown]
	v_cmp_neq_f32_e64 s[94:95], v29, v28
	v_cmp_class_f32_e64 s[2:3], v29, s4
	s_or_b64 s[4:5], s[94:95], s[2:3]
	s_and_saveexec_b64 s[2:3], s[4:5]
	s_cbranch_execz .LBB131_92
; %bb.91:
	v_sub_f32_e32 v29, v29, v28
	s_mov_b32 s4, 0x3fb8aa3b
	v_mul_f32_e32 v50, 0x3fb8aa3b, v29
	v_fma_f32 v54, v29, s4, -v50
	v_rndne_f32_e32 v55, v50
	v_fmamk_f32 v54, v29, 0x32a5705f, v54
	v_sub_f32_e32 v50, v50, v55
	v_add_f32_e32 v50, v50, v54
	v_exp_f32_e32 v50, v50
	v_cvt_i32_f32_e32 v54, v55
	s_mov_b32 s4, 0xc2ce8ed0
	v_cmp_ngt_f32_e64 s[94:95], s4, v29
	s_mov_b32 s4, 0x42b17218
	v_ldexp_f32 v50, v50, v54
	v_cndmask_b32_e64 v50, 0, v50, s[94:95]
	v_mov_b32_e32 v54, 0x7f800000
	v_cmp_nlt_f32_e64 s[94:95], s4, v29
	s_mov_b32 s4, 0x3f2aaaab
	s_mov_b32 s5, 0x7f800000
	v_cndmask_b32_e64 v68, v54, v50, s[94:95]
	v_add_f32_e32 v29, 1.0, v68
	v_add_f32_e32 v50, -1.0, v29
	v_sub_f32_e32 v54, v50, v29
	v_add_f32_e32 v54, 1.0, v54
	v_sub_f32_e32 v50, v68, v50
	v_add_f32_e32 v50, v50, v54
	v_frexp_mant_f32_e32 v56, v29
	v_cvt_f64_f32_e32 v[54:55], v29
	v_frexp_exp_i32_f64_e32 v54, v[54:55]
	v_cmp_gt_f32_e64 s[94:95], s4, v56
	s_mov_b32 s4, 0x3f317218
	s_nop 0
	v_subbrev_co_u32_e64 v62, s[94:95], 0, v54, s[94:95]
	v_sub_u32_e32 v54, 0, v62
	v_ldexp_f32 v29, v29, v54
	v_ldexp_f32 v50, v50, v54
	v_add_f32_e32 v54, -1.0, v29
	v_add_f32_e32 v55, 1.0, v54
	v_sub_f32_e32 v55, v29, v55
	v_add_f32_e32 v56, v50, v55
	v_add_f32_e32 v55, 1.0, v29
	v_add_f32_e32 v57, -1.0, v55
	v_sub_f32_e32 v29, v29, v57
	v_add_f32_e32 v29, v50, v29
	v_add_f32_e32 v50, v55, v29
	v_rcp_f32_e32 v63, v50
	v_sub_f32_e32 v55, v55, v50
	v_add_f32_e32 v29, v29, v55
	v_add_f32_e32 v55, v54, v56
	v_sub_f32_e32 v54, v54, v55
	v_mul_f32_e32 v65, v55, v63
	v_add_f32_e32 v64, v56, v54
	v_mul_f32_e32 v56, v50, v65
	v_fma_f32 v58, v65, v50, -v56
	v_fmac_f32_e32 v58, v65, v29
	v_add_f32_e32 v54, v56, v58
	v_sub_f32_e32 v57, v55, v54
	v_pk_add_f32 v[60:61], v[54:55], v[56:57] neg_lo:[0,1] neg_hi:[0,1]
	v_mov_b32_e32 v59, v54
	v_pk_add_f32 v[54:55], v[60:61], v[58:59] neg_lo:[0,1] neg_hi:[0,1]
	v_cmp_eq_f32_e64 s[94:95], s5, v68
	v_add_f32_e32 v55, v64, v55
	v_add_f32_e32 v54, v54, v55
	;; [unrolled: 1-line block ×3, first 2 shown]
	v_mul_f32_e32 v64, v63, v55
	v_mul_f32_e32 v56, v50, v64
	v_fma_f32 v58, v64, v50, -v56
	v_fmac_f32_e32 v58, v64, v29
	v_sub_f32_e32 v29, v57, v55
	v_add_f32_e32 v29, v54, v29
	v_add_f32_e32 v54, v56, v58
	v_sub_f32_e32 v57, v55, v54
	v_pk_add_f32 v[60:61], v[54:55], v[56:57] neg_lo:[0,1] neg_hi:[0,1]
	v_mov_b32_e32 v59, v54
	v_pk_add_f32 v[54:55], v[60:61], v[58:59] neg_lo:[0,1] neg_hi:[0,1]
	v_add_f32_e32 v50, v65, v64
	v_add_f32_e32 v29, v29, v55
	;; [unrolled: 1-line block ×4, first 2 shown]
	v_sub_f32_e32 v54, v50, v65
	v_mul_f32_e32 v29, v63, v29
	v_sub_f32_e32 v54, v64, v54
	v_add_f32_e32 v29, v54, v29
	v_add_f32_e32 v54, v50, v29
	v_cvt_f32_i32_e32 v56, v62
	v_mul_f32_e32 v57, v54, v54
	v_mov_b32_e32 v55, 0x3ecc95a3
	v_fmac_f32_e32 v55, 0x3e9b6dac, v57
	v_fmaak_f32 v55, v57, v55, 0x3f2aaada
	v_sub_f32_e32 v50, v54, v50
	v_ldexp_f32 v59, v54, 1
	v_mul_f32_e32 v57, v54, v57
	v_mov_b32_e32 v54, 0x3f317218
	v_pk_mul_f32 v[54:55], v[56:57], v[54:55]
	v_sub_f32_e32 v29, v29, v50
	v_fma_f32 v50, v56, s4, -v54
	v_fmamk_f32 v58, v56, 0xb102e308, v50
	v_pk_add_f32 v[56:57], v[54:55], v[58:59]
	v_ldexp_f32 v29, v29, 1
	v_sub_f32_e32 v50, v57, v59
	v_sub_f32_e32 v50, v55, v50
	v_add_f32_e32 v61, v29, v50
	v_mov_b32_e32 v60, v54
	v_pk_add_f32 v[54:55], v[56:57], v[54:55] neg_lo:[0,1] neg_hi:[0,1]
	v_pk_add_f32 v[62:63], v[56:57], v[60:61]
	v_mov_b32_e32 v59, v56
	v_mov_b32_e32 v55, v63
	v_pk_add_f32 v[64:65], v[58:59], v[54:55] neg_lo:[0,1] neg_hi:[0,1]
	v_pk_add_f32 v[54:55], v[58:59], v[54:55]
	s_mov_b32 s4, 0x33800000
	v_mov_b32_e32 v50, v55
	v_pk_add_f32 v[58:59], v[50:51], v[56:57] neg_lo:[0,1] neg_hi:[0,1]
	v_mov_b32_e32 v54, v63
	v_mov_b32_e32 v29, v58
	v_pk_add_f32 v[66:67], v[62:63], v[28:29] neg_lo:[0,1] neg_hi:[0,1]
	v_mov_b32_e32 v62, v57
	v_mov_b32_e32 v63, v58
	;; [unrolled: 1-line block ×3, first 2 shown]
	v_pk_add_f32 v[54:55], v[54:55], v[62:63] neg_lo:[0,1] neg_hi:[0,1]
	v_mov_b32_e32 v58, v61
	v_mov_b32_e32 v59, v56
	v_pk_add_f32 v[54:55], v[58:59], v[54:55] neg_lo:[0,1] neg_hi:[0,1]
	v_mov_b32_e32 v66, v64
	v_pk_add_f32 v[56:57], v[66:67], v[54:55]
	v_cmp_lt_f32_e64 s[4:5], |v68|, s4
	v_mov_b32_e32 v58, v57
	v_pk_add_f32 v[58:59], v[56:57], v[58:59]
	s_or_b64 s[94:95], s[94:95], s[4:5]
	v_pk_add_f32 v[60:61], v[50:51], v[58:59]
	v_mov_b32_e32 v55, v58
	v_mov_b32_e32 v57, v60
	v_pk_add_f32 v[62:63], v[56:57], v[64:65] neg_lo:[0,1] neg_hi:[0,1]
	s_nop 0
	v_sub_f32_e32 v29, v56, v62
	v_pk_add_f32 v[54:55], v[54:55], v[62:63] neg_lo:[0,1] neg_hi:[0,1]
	v_sub_f32_e32 v29, v64, v29
	v_add_f32_e32 v29, v54, v29
	v_add_f32_e32 v29, v29, v55
	;; [unrolled: 1-line block ×3, first 2 shown]
	v_cndmask_b32_e64 v29, v29, v68, s[94:95]
	v_add_f32_e32 v54, v28, v29
.LBB131_92:
	s_or_b64 exec, exec, s[2:3]
	v_max_f32_e32 v28, v54, v54
	v_max_f32_e32 v50, v9, v9
	v_min_f32_e32 v29, v28, v50
	v_cmp_u_f32_e64 s[98:99], v54, v54
	v_max_f32_e32 v28, v28, v50
	v_cmp_u_f32_e64 s[94:95], v9, v9
	v_cndmask_b32_e64 v29, v29, v54, s[98:99]
	v_cndmask_b32_e64 v28, v28, v54, s[98:99]
	;; [unrolled: 1-line block ×4, first 2 shown]
	s_movk_i32 s2, 0x1f8
	v_cmp_neq_f32_e64 s[98:99], v29, v28
	v_cmp_class_f32_e64 s[2:3], v29, s2
	s_or_b64 s[4:5], s[98:99], s[2:3]
	s_and_saveexec_b64 s[2:3], s[4:5]
	s_cbranch_execz .LBB131_94
; %bb.93:
	v_sub_f32_e32 v29, v29, v28
	s_mov_b32 s4, 0x3fb8aa3b
	v_mul_f32_e32 v54, 0x3fb8aa3b, v29
	v_fma_f32 v55, v29, s4, -v54
	v_rndne_f32_e32 v56, v54
	v_fmamk_f32 v55, v29, 0x32a5705f, v55
	v_sub_f32_e32 v54, v54, v56
	v_add_f32_e32 v54, v54, v55
	v_exp_f32_e32 v54, v54
	v_cvt_i32_f32_e32 v55, v56
	s_mov_b32 s4, 0xc2ce8ed0
	v_cmp_ngt_f32_e64 s[98:99], s4, v29
	s_mov_b32 s4, 0x42b17218
	v_ldexp_f32 v54, v54, v55
	v_cndmask_b32_e64 v54, 0, v54, s[98:99]
	v_mov_b32_e32 v55, 0x7f800000
	v_cmp_nlt_f32_e64 s[98:99], s4, v29
	s_mov_b32 s4, 0x3f2aaaab
	s_mov_b32 s5, 0x7f800000
	v_cndmask_b32_e64 v70, v55, v54, s[98:99]
	v_add_f32_e32 v29, 1.0, v70
	v_add_f32_e32 v54, -1.0, v29
	v_sub_f32_e32 v55, v54, v29
	v_add_f32_e32 v55, 1.0, v55
	v_sub_f32_e32 v54, v70, v54
	v_add_f32_e32 v56, v54, v55
	v_frexp_mant_f32_e32 v57, v29
	v_cvt_f64_f32_e32 v[54:55], v29
	v_frexp_exp_i32_f64_e32 v54, v[54:55]
	v_cmp_gt_f32_e64 s[98:99], s4, v57
	s_mov_b32 s4, 0x3f317218
	s_nop 0
	v_subbrev_co_u32_e64 v62, s[98:99], 0, v54, s[98:99]
	v_sub_u32_e32 v54, 0, v62
	v_ldexp_f32 v29, v29, v54
	v_ldexp_f32 v54, v56, v54
	v_add_f32_e32 v56, -1.0, v29
	v_add_f32_e32 v55, 1.0, v56
	v_sub_f32_e32 v55, v29, v55
	v_add_f32_e32 v57, v54, v55
	v_add_f32_e32 v55, 1.0, v29
	v_add_f32_e32 v58, -1.0, v55
	v_sub_f32_e32 v29, v29, v58
	v_add_f32_e32 v29, v54, v29
	v_add_f32_e32 v63, v55, v29
	v_rcp_f32_e32 v64, v63
	v_sub_f32_e32 v54, v55, v63
	v_add_f32_e32 v55, v56, v57
	v_add_f32_e32 v29, v29, v54
	v_mul_f32_e32 v66, v55, v64
	v_sub_f32_e32 v54, v56, v55
	v_mul_f32_e32 v56, v63, v66
	v_fma_f32 v58, v66, v63, -v56
	v_fmac_f32_e32 v58, v66, v29
	v_add_f32_e32 v65, v57, v54
	v_add_f32_e32 v54, v56, v58
	v_sub_f32_e32 v57, v55, v54
	v_pk_add_f32 v[60:61], v[54:55], v[56:57] neg_lo:[0,1] neg_hi:[0,1]
	v_mov_b32_e32 v59, v54
	v_pk_add_f32 v[54:55], v[60:61], v[58:59] neg_lo:[0,1] neg_hi:[0,1]
	v_cmp_eq_f32_e64 s[98:99], s5, v70
	v_add_f32_e32 v55, v65, v55
	v_add_f32_e32 v54, v54, v55
	;; [unrolled: 1-line block ×3, first 2 shown]
	v_mul_f32_e32 v65, v64, v55
	v_mul_f32_e32 v56, v63, v65
	v_fma_f32 v58, v65, v63, -v56
	v_fmac_f32_e32 v58, v65, v29
	v_sub_f32_e32 v29, v57, v55
	v_add_f32_e32 v29, v54, v29
	v_add_f32_e32 v54, v56, v58
	v_sub_f32_e32 v57, v55, v54
	v_pk_add_f32 v[60:61], v[54:55], v[56:57] neg_lo:[0,1] neg_hi:[0,1]
	v_mov_b32_e32 v59, v54
	v_pk_add_f32 v[54:55], v[60:61], v[58:59] neg_lo:[0,1] neg_hi:[0,1]
	v_cvt_f32_i32_e32 v56, v62
	v_add_f32_e32 v29, v29, v55
	v_add_f32_e32 v29, v54, v29
	v_add_f32_e32 v54, v66, v65
	v_add_f32_e32 v29, v57, v29
	v_sub_f32_e32 v55, v54, v66
	v_mul_f32_e32 v29, v64, v29
	v_sub_f32_e32 v55, v65, v55
	v_add_f32_e32 v29, v55, v29
	v_add_f32_e32 v57, v54, v29
	v_mul_f32_e32 v58, v57, v57
	v_mov_b32_e32 v55, 0x3ecc95a3
	v_fmac_f32_e32 v55, 0x3e9b6dac, v58
	v_sub_f32_e32 v54, v57, v54
	v_fmaak_f32 v55, v58, v55, 0x3f2aaada
	v_sub_f32_e32 v29, v29, v54
	v_ldexp_f32 v59, v57, 1
	v_mul_f32_e32 v57, v57, v58
	v_mov_b32_e32 v54, 0x3f317218
	v_pk_mul_f32 v[54:55], v[56:57], v[54:55]
	v_ldexp_f32 v29, v29, 1
	v_fma_f32 v57, v56, s4, -v54
	v_fmamk_f32 v58, v56, 0xb102e308, v57
	v_pk_add_f32 v[56:57], v[54:55], v[58:59]
	v_mov_b32_e32 v60, v54
	v_sub_f32_e32 v59, v57, v59
	v_sub_f32_e32 v59, v55, v59
	v_add_f32_e32 v61, v29, v59
	v_pk_add_f32 v[54:55], v[56:57], v[54:55] neg_lo:[0,1] neg_hi:[0,1]
	v_pk_add_f32 v[62:63], v[56:57], v[60:61]
	v_mov_b32_e32 v59, v56
	v_mov_b32_e32 v55, v63
	v_pk_add_f32 v[64:65], v[58:59], v[54:55] neg_lo:[0,1] neg_hi:[0,1]
	v_pk_add_f32 v[54:55], v[58:59], v[54:55]
	v_mov_b32_e32 v60, v61
	v_mov_b32_e32 v58, v55
	v_pk_add_f32 v[66:67], v[58:59], v[56:57] neg_lo:[0,1] neg_hi:[0,1]
	v_mov_b32_e32 v54, v63
	v_mov_b32_e32 v29, v66
	v_pk_add_f32 v[68:69], v[62:63], v[28:29] neg_lo:[0,1] neg_hi:[0,1]
	v_mov_b32_e32 v62, v57
	v_mov_b32_e32 v63, v66
	;; [unrolled: 1-line block ×3, first 2 shown]
	v_pk_add_f32 v[54:55], v[54:55], v[62:63] neg_lo:[0,1] neg_hi:[0,1]
	v_mov_b32_e32 v61, v56
	v_pk_add_f32 v[54:55], v[60:61], v[54:55] neg_lo:[0,1] neg_hi:[0,1]
	v_mov_b32_e32 v68, v64
	v_pk_add_f32 v[56:57], v[68:69], v[54:55]
	s_mov_b32 s4, 0x33800000
	v_mov_b32_e32 v60, v57
	v_pk_add_f32 v[60:61], v[56:57], v[60:61]
	v_cmp_lt_f32_e64 s[4:5], |v70|, s4
	v_pk_add_f32 v[58:59], v[58:59], v[60:61]
	v_mov_b32_e32 v55, v60
	v_mov_b32_e32 v57, v58
	v_pk_add_f32 v[62:63], v[56:57], v[64:65] neg_lo:[0,1] neg_hi:[0,1]
	s_or_b64 s[98:99], s[98:99], s[4:5]
	v_sub_f32_e32 v29, v56, v62
	v_pk_add_f32 v[54:55], v[54:55], v[62:63] neg_lo:[0,1] neg_hi:[0,1]
	v_sub_f32_e32 v29, v64, v29
	v_add_f32_e32 v29, v54, v29
	v_add_f32_e32 v29, v29, v55
	;; [unrolled: 1-line block ×3, first 2 shown]
	v_cndmask_b32_e64 v29, v29, v70, s[98:99]
	v_add_f32_e32 v54, v28, v29
.LBB131_94:
	s_or_b64 exec, exec, s[2:3]
	v_lshrrev_b32_e32 v28, 3, v0
	v_and_b32_e32 v29, 28, v28
	v_add_u32_e32 v29, v26, v29
	v_cmp_gt_u32_e64 s[98:99], 64, v0
	ds_write_b32 v29, v54
	s_waitcnt lgkmcnt(0)
	s_barrier
	s_and_saveexec_b64 s[2:3], s[98:99]
	s_cbranch_execz .LBB131_134
; %bb.95:
	v_add_lshl_u32 v55, v28, v26, 2
	ds_read2_b32 v[28:29], v55 offset1:1
	s_movk_i32 s33, 0x1f8
	s_waitcnt lgkmcnt(0)
	v_max_f32_e32 v57, v29, v29
	v_max_f32_e32 v56, v28, v28
	v_cmp_u_f32_e64 s[98:99], v28, v28
	v_min_f32_e32 v58, v56, v57
	v_max_f32_e32 v59, v56, v57
	v_cmp_u_f32_e32 vcc, v29, v29
	v_cndmask_b32_e64 v57, v58, v28, s[98:99]
	v_cndmask_b32_e64 v58, v59, v28, s[98:99]
	v_cndmask_b32_e32 v57, v57, v29, vcc
	v_cndmask_b32_e32 v29, v58, v29, vcc
	v_cmp_neq_f32_e32 vcc, v57, v29
	v_cmp_class_f32_e64 s[4:5], v57, s33
	s_or_b64 s[48:49], vcc, s[4:5]
	v_mov_b32_e32 v58, v28
	s_and_saveexec_b64 s[4:5], s[48:49]
	s_cbranch_execz .LBB131_97
; %bb.96:
	v_sub_f32_e32 v57, v57, v29
	s_mov_b32 s6, 0x3fb8aa3b
	v_mul_f32_e32 v58, 0x3fb8aa3b, v57
	v_fma_f32 v59, v57, s6, -v58
	v_rndne_f32_e32 v60, v58
	v_fmamk_f32 v59, v57, 0x32a5705f, v59
	v_sub_f32_e32 v58, v58, v60
	v_add_f32_e32 v58, v58, v59
	v_exp_f32_e32 v58, v58
	v_cvt_i32_f32_e32 v59, v60
	s_mov_b32 s6, 0xc2ce8ed0
	v_cmp_ngt_f32_e32 vcc, s6, v57
	s_mov_b32 s6, 0x42b17218
	v_ldexp_f32 v58, v58, v59
	v_cndmask_b32_e32 v58, 0, v58, vcc
	v_mov_b32_e32 v59, 0x7f800000
	v_cmp_nlt_f32_e32 vcc, s6, v57
	s_mov_b32 s6, 0x3f2aaaab
	s_mov_b32 s7, 0x7f800000
	v_cndmask_b32_e32 v74, v59, v58, vcc
	v_add_f32_e32 v57, 1.0, v74
	v_add_f32_e32 v58, -1.0, v57
	v_sub_f32_e32 v59, v58, v57
	v_add_f32_e32 v59, 1.0, v59
	v_sub_f32_e32 v58, v74, v58
	v_add_f32_e32 v60, v58, v59
	v_frexp_mant_f32_e32 v61, v57
	v_cvt_f64_f32_e32 v[58:59], v57
	v_frexp_exp_i32_f64_e32 v58, v[58:59]
	v_cmp_gt_f32_e32 vcc, s6, v61
	s_mov_b32 s6, 0x3f317218
	s_nop 0
	v_subbrev_co_u32_e32 v66, vcc, 0, v58, vcc
	v_sub_u32_e32 v58, 0, v66
	v_ldexp_f32 v57, v57, v58
	v_ldexp_f32 v58, v60, v58
	v_add_f32_e32 v60, -1.0, v57
	v_add_f32_e32 v59, 1.0, v60
	v_sub_f32_e32 v59, v57, v59
	v_add_f32_e32 v61, v58, v59
	v_add_f32_e32 v59, 1.0, v57
	v_add_f32_e32 v62, -1.0, v59
	v_sub_f32_e32 v57, v57, v62
	v_add_f32_e32 v57, v58, v57
	v_add_f32_e32 v67, v59, v57
	v_rcp_f32_e32 v68, v67
	v_sub_f32_e32 v58, v59, v67
	v_add_f32_e32 v59, v60, v61
	v_add_f32_e32 v57, v57, v58
	v_mul_f32_e32 v70, v59, v68
	v_sub_f32_e32 v58, v60, v59
	v_mul_f32_e32 v60, v67, v70
	v_fma_f32 v62, v70, v67, -v60
	v_fmac_f32_e32 v62, v70, v57
	v_add_f32_e32 v69, v61, v58
	v_add_f32_e32 v58, v60, v62
	v_sub_f32_e32 v61, v59, v58
	v_pk_add_f32 v[64:65], v[58:59], v[60:61] neg_lo:[0,1] neg_hi:[0,1]
	v_mov_b32_e32 v63, v58
	v_pk_add_f32 v[58:59], v[64:65], v[62:63] neg_lo:[0,1] neg_hi:[0,1]
	v_cmp_eq_f32_e32 vcc, s7, v74
	v_add_f32_e32 v59, v69, v59
	v_add_f32_e32 v58, v58, v59
	v_add_f32_e32 v59, v61, v58
	v_mul_f32_e32 v69, v68, v59
	v_mul_f32_e32 v60, v67, v69
	v_fma_f32 v62, v69, v67, -v60
	v_fmac_f32_e32 v62, v69, v57
	v_sub_f32_e32 v57, v61, v59
	v_add_f32_e32 v57, v58, v57
	v_add_f32_e32 v58, v60, v62
	v_sub_f32_e32 v61, v59, v58
	v_pk_add_f32 v[64:65], v[58:59], v[60:61] neg_lo:[0,1] neg_hi:[0,1]
	v_mov_b32_e32 v63, v58
	v_pk_add_f32 v[58:59], v[64:65], v[62:63] neg_lo:[0,1] neg_hi:[0,1]
	v_cvt_f32_i32_e32 v60, v66
	v_add_f32_e32 v57, v57, v59
	v_add_f32_e32 v57, v58, v57
	v_add_f32_e32 v58, v70, v69
	v_add_f32_e32 v57, v61, v57
	v_sub_f32_e32 v59, v58, v70
	v_mul_f32_e32 v57, v68, v57
	v_sub_f32_e32 v59, v69, v59
	v_add_f32_e32 v57, v59, v57
	v_add_f32_e32 v61, v58, v57
	v_mul_f32_e32 v62, v61, v61
	v_mov_b32_e32 v59, 0x3ecc95a3
	v_fmac_f32_e32 v59, 0x3e9b6dac, v62
	v_sub_f32_e32 v58, v61, v58
	v_fmaak_f32 v59, v62, v59, 0x3f2aaada
	v_sub_f32_e32 v57, v57, v58
	v_ldexp_f32 v63, v61, 1
	v_mul_f32_e32 v61, v61, v62
	v_mov_b32_e32 v58, 0x3f317218
	v_pk_mul_f32 v[58:59], v[60:61], v[58:59]
	v_ldexp_f32 v57, v57, 1
	v_fma_f32 v61, v60, s6, -v58
	v_fmamk_f32 v62, v60, 0xb102e308, v61
	v_pk_add_f32 v[60:61], v[58:59], v[62:63]
	v_mov_b32_e32 v64, v58
	v_sub_f32_e32 v63, v61, v63
	v_sub_f32_e32 v63, v59, v63
	v_add_f32_e32 v65, v57, v63
	v_pk_add_f32 v[58:59], v[60:61], v[58:59] neg_lo:[0,1] neg_hi:[0,1]
	v_pk_add_f32 v[66:67], v[60:61], v[64:65]
	v_mov_b32_e32 v63, v60
	v_mov_b32_e32 v59, v67
	v_pk_add_f32 v[68:69], v[62:63], v[58:59] neg_lo:[0,1] neg_hi:[0,1]
	v_pk_add_f32 v[58:59], v[62:63], v[58:59]
	v_mov_b32_e32 v64, v65
	v_mov_b32_e32 v62, v59
	v_pk_add_f32 v[70:71], v[62:63], v[60:61] neg_lo:[0,1] neg_hi:[0,1]
	v_mov_b32_e32 v58, v67
	v_mov_b32_e32 v57, v70
	v_pk_add_f32 v[72:73], v[66:67], v[56:57] neg_lo:[0,1] neg_hi:[0,1]
	v_mov_b32_e32 v66, v61
	v_mov_b32_e32 v67, v70
	;; [unrolled: 1-line block ×3, first 2 shown]
	v_pk_add_f32 v[58:59], v[58:59], v[66:67] neg_lo:[0,1] neg_hi:[0,1]
	v_mov_b32_e32 v65, v60
	v_pk_add_f32 v[58:59], v[64:65], v[58:59] neg_lo:[0,1] neg_hi:[0,1]
	v_mov_b32_e32 v72, v68
	v_pk_add_f32 v[60:61], v[72:73], v[58:59]
	s_mov_b32 s6, 0x33800000
	v_mov_b32_e32 v64, v61
	v_pk_add_f32 v[64:65], v[60:61], v[64:65]
	v_cmp_lt_f32_e64 s[6:7], |v74|, s6
	v_pk_add_f32 v[62:63], v[62:63], v[64:65]
	v_mov_b32_e32 v59, v64
	v_mov_b32_e32 v61, v62
	v_pk_add_f32 v[66:67], v[60:61], v[68:69] neg_lo:[0,1] neg_hi:[0,1]
	s_or_b64 vcc, vcc, s[6:7]
	v_sub_f32_e32 v57, v60, v66
	v_pk_add_f32 v[58:59], v[58:59], v[66:67] neg_lo:[0,1] neg_hi:[0,1]
	v_sub_f32_e32 v57, v68, v57
	v_add_f32_e32 v57, v58, v57
	v_add_f32_e32 v57, v57, v59
	;; [unrolled: 1-line block ×3, first 2 shown]
	v_cndmask_b32_e32 v57, v57, v74, vcc
	v_add_f32_e32 v58, v29, v57
.LBB131_97:
	s_or_b64 exec, exec, s[4:5]
	ds_read_b32 v29, v55 offset:8
	v_max_f32_e32 v57, v58, v58
	v_cmp_u_f32_e32 vcc, v58, v58
	s_waitcnt lgkmcnt(0)
	v_max_f32_e32 v59, v29, v29
	v_min_f32_e32 v60, v57, v59
	v_max_f32_e32 v59, v57, v59
	v_cmp_u_f32_e64 s[48:49], v29, v29
	v_cndmask_b32_e32 v57, v60, v58, vcc
	v_cndmask_b32_e32 v59, v59, v58, vcc
	v_cndmask_b32_e64 v57, v57, v29, s[48:49]
	v_cndmask_b32_e64 v29, v59, v29, s[48:49]
	v_cmp_neq_f32_e32 vcc, v57, v29
	v_cmp_class_f32_e64 s[4:5], v57, s33
	s_or_b64 s[6:7], vcc, s[4:5]
	s_and_saveexec_b64 s[4:5], s[6:7]
	s_cbranch_execz .LBB131_99
; %bb.98:
	v_sub_f32_e32 v57, v57, v29
	s_mov_b32 s6, 0x3fb8aa3b
	v_mul_f32_e32 v58, 0x3fb8aa3b, v57
	v_fma_f32 v59, v57, s6, -v58
	v_rndne_f32_e32 v60, v58
	v_fmamk_f32 v59, v57, 0x32a5705f, v59
	v_sub_f32_e32 v58, v58, v60
	v_add_f32_e32 v58, v58, v59
	v_exp_f32_e32 v58, v58
	v_cvt_i32_f32_e32 v59, v60
	s_mov_b32 s6, 0xc2ce8ed0
	v_cmp_ngt_f32_e32 vcc, s6, v57
	s_mov_b32 s6, 0x42b17218
	v_ldexp_f32 v58, v58, v59
	v_cndmask_b32_e32 v58, 0, v58, vcc
	v_mov_b32_e32 v59, 0x7f800000
	v_cmp_nlt_f32_e32 vcc, s6, v57
	s_mov_b32 s6, 0x3f2aaaab
	s_mov_b32 s7, 0x7f800000
	v_cndmask_b32_e32 v74, v59, v58, vcc
	v_add_f32_e32 v57, 1.0, v74
	v_add_f32_e32 v58, -1.0, v57
	v_sub_f32_e32 v59, v58, v57
	v_add_f32_e32 v59, 1.0, v59
	v_sub_f32_e32 v58, v74, v58
	v_add_f32_e32 v60, v58, v59
	v_frexp_mant_f32_e32 v61, v57
	v_cvt_f64_f32_e32 v[58:59], v57
	v_frexp_exp_i32_f64_e32 v58, v[58:59]
	v_cmp_gt_f32_e32 vcc, s6, v61
	s_mov_b32 s6, 0x3f317218
	s_nop 0
	v_subbrev_co_u32_e32 v66, vcc, 0, v58, vcc
	v_sub_u32_e32 v58, 0, v66
	v_ldexp_f32 v57, v57, v58
	v_ldexp_f32 v58, v60, v58
	v_add_f32_e32 v60, -1.0, v57
	v_add_f32_e32 v59, 1.0, v60
	v_sub_f32_e32 v59, v57, v59
	v_add_f32_e32 v61, v58, v59
	v_add_f32_e32 v59, 1.0, v57
	v_add_f32_e32 v62, -1.0, v59
	v_sub_f32_e32 v57, v57, v62
	v_add_f32_e32 v57, v58, v57
	v_add_f32_e32 v67, v59, v57
	v_rcp_f32_e32 v68, v67
	v_sub_f32_e32 v58, v59, v67
	v_add_f32_e32 v59, v60, v61
	v_add_f32_e32 v57, v57, v58
	v_mul_f32_e32 v70, v59, v68
	v_sub_f32_e32 v58, v60, v59
	v_mul_f32_e32 v60, v67, v70
	v_fma_f32 v62, v70, v67, -v60
	v_fmac_f32_e32 v62, v70, v57
	v_add_f32_e32 v69, v61, v58
	v_add_f32_e32 v58, v60, v62
	v_sub_f32_e32 v61, v59, v58
	v_pk_add_f32 v[64:65], v[58:59], v[60:61] neg_lo:[0,1] neg_hi:[0,1]
	v_mov_b32_e32 v63, v58
	v_pk_add_f32 v[58:59], v[64:65], v[62:63] neg_lo:[0,1] neg_hi:[0,1]
	v_cmp_eq_f32_e32 vcc, s7, v74
	v_add_f32_e32 v59, v69, v59
	v_add_f32_e32 v58, v58, v59
	;; [unrolled: 1-line block ×3, first 2 shown]
	v_mul_f32_e32 v69, v68, v59
	v_mul_f32_e32 v60, v67, v69
	v_fma_f32 v62, v69, v67, -v60
	v_fmac_f32_e32 v62, v69, v57
	v_sub_f32_e32 v57, v61, v59
	v_add_f32_e32 v57, v58, v57
	v_add_f32_e32 v58, v60, v62
	v_sub_f32_e32 v61, v59, v58
	v_pk_add_f32 v[64:65], v[58:59], v[60:61] neg_lo:[0,1] neg_hi:[0,1]
	v_mov_b32_e32 v63, v58
	v_pk_add_f32 v[58:59], v[64:65], v[62:63] neg_lo:[0,1] neg_hi:[0,1]
	v_cvt_f32_i32_e32 v60, v66
	v_add_f32_e32 v57, v57, v59
	v_add_f32_e32 v57, v58, v57
	v_add_f32_e32 v58, v70, v69
	v_add_f32_e32 v57, v61, v57
	v_sub_f32_e32 v59, v58, v70
	v_mul_f32_e32 v57, v68, v57
	v_sub_f32_e32 v59, v69, v59
	v_add_f32_e32 v57, v59, v57
	v_add_f32_e32 v61, v58, v57
	v_mul_f32_e32 v62, v61, v61
	v_mov_b32_e32 v59, 0x3ecc95a3
	v_fmac_f32_e32 v59, 0x3e9b6dac, v62
	v_sub_f32_e32 v58, v61, v58
	v_fmaak_f32 v59, v62, v59, 0x3f2aaada
	v_sub_f32_e32 v57, v57, v58
	v_ldexp_f32 v63, v61, 1
	v_mul_f32_e32 v61, v61, v62
	v_mov_b32_e32 v58, 0x3f317218
	v_pk_mul_f32 v[58:59], v[60:61], v[58:59]
	v_ldexp_f32 v57, v57, 1
	v_fma_f32 v61, v60, s6, -v58
	v_fmamk_f32 v62, v60, 0xb102e308, v61
	v_pk_add_f32 v[60:61], v[58:59], v[62:63]
	v_mov_b32_e32 v64, v58
	v_sub_f32_e32 v63, v61, v63
	v_sub_f32_e32 v63, v59, v63
	v_add_f32_e32 v65, v57, v63
	v_pk_add_f32 v[58:59], v[60:61], v[58:59] neg_lo:[0,1] neg_hi:[0,1]
	v_pk_add_f32 v[66:67], v[60:61], v[64:65]
	v_mov_b32_e32 v63, v60
	v_mov_b32_e32 v59, v67
	v_pk_add_f32 v[68:69], v[62:63], v[58:59] neg_lo:[0,1] neg_hi:[0,1]
	v_pk_add_f32 v[58:59], v[62:63], v[58:59]
	v_mov_b32_e32 v64, v65
	v_mov_b32_e32 v62, v59
	v_pk_add_f32 v[70:71], v[62:63], v[60:61] neg_lo:[0,1] neg_hi:[0,1]
	v_mov_b32_e32 v58, v67
	v_mov_b32_e32 v57, v70
	v_pk_add_f32 v[72:73], v[66:67], v[56:57] neg_lo:[0,1] neg_hi:[0,1]
	v_mov_b32_e32 v66, v61
	v_mov_b32_e32 v67, v70
	;; [unrolled: 1-line block ×3, first 2 shown]
	v_pk_add_f32 v[58:59], v[58:59], v[66:67] neg_lo:[0,1] neg_hi:[0,1]
	v_mov_b32_e32 v65, v60
	v_pk_add_f32 v[58:59], v[64:65], v[58:59] neg_lo:[0,1] neg_hi:[0,1]
	v_mov_b32_e32 v72, v68
	v_pk_add_f32 v[60:61], v[72:73], v[58:59]
	s_mov_b32 s6, 0x33800000
	v_mov_b32_e32 v64, v61
	v_pk_add_f32 v[64:65], v[60:61], v[64:65]
	v_cmp_lt_f32_e64 s[6:7], |v74|, s6
	v_pk_add_f32 v[62:63], v[62:63], v[64:65]
	v_mov_b32_e32 v59, v64
	v_mov_b32_e32 v61, v62
	v_pk_add_f32 v[66:67], v[60:61], v[68:69] neg_lo:[0,1] neg_hi:[0,1]
	s_or_b64 vcc, vcc, s[6:7]
	v_sub_f32_e32 v57, v60, v66
	v_pk_add_f32 v[58:59], v[58:59], v[66:67] neg_lo:[0,1] neg_hi:[0,1]
	v_sub_f32_e32 v57, v68, v57
	v_add_f32_e32 v57, v58, v57
	v_add_f32_e32 v57, v57, v59
	;; [unrolled: 1-line block ×3, first 2 shown]
	v_cndmask_b32_e32 v57, v57, v74, vcc
	v_add_f32_e32 v58, v29, v57
.LBB131_99:
	s_or_b64 exec, exec, s[4:5]
	ds_read_b32 v29, v55 offset:12
	v_max_f32_e32 v57, v58, v58
	v_cmp_u_f32_e32 vcc, v58, v58
	s_movk_i32 s4, 0x1f8
	s_waitcnt lgkmcnt(0)
	v_max_f32_e32 v59, v29, v29
	v_min_f32_e32 v60, v57, v59
	v_max_f32_e32 v59, v57, v59
	v_cmp_u_f32_e64 s[48:49], v29, v29
	v_cndmask_b32_e32 v57, v60, v58, vcc
	v_cndmask_b32_e32 v59, v59, v58, vcc
	v_cndmask_b32_e64 v57, v57, v29, s[48:49]
	v_cndmask_b32_e64 v29, v59, v29, s[48:49]
	v_cmp_neq_f32_e32 vcc, v57, v29
	v_cmp_class_f32_e64 s[4:5], v57, s4
	s_or_b64 s[6:7], vcc, s[4:5]
	s_and_saveexec_b64 s[4:5], s[6:7]
	s_cbranch_execz .LBB131_101
; %bb.100:
	v_sub_f32_e32 v57, v57, v29
	s_mov_b32 s6, 0x3fb8aa3b
	v_mul_f32_e32 v58, 0x3fb8aa3b, v57
	v_fma_f32 v59, v57, s6, -v58
	v_rndne_f32_e32 v60, v58
	v_fmamk_f32 v59, v57, 0x32a5705f, v59
	v_sub_f32_e32 v58, v58, v60
	v_add_f32_e32 v58, v58, v59
	v_exp_f32_e32 v58, v58
	v_cvt_i32_f32_e32 v59, v60
	s_mov_b32 s6, 0xc2ce8ed0
	v_cmp_ngt_f32_e32 vcc, s6, v57
	s_mov_b32 s6, 0x42b17218
	v_ldexp_f32 v58, v58, v59
	v_cndmask_b32_e32 v58, 0, v58, vcc
	v_mov_b32_e32 v59, 0x7f800000
	v_cmp_nlt_f32_e32 vcc, s6, v57
	s_mov_b32 s6, 0x3f2aaaab
	s_mov_b32 s7, 0x7f800000
	v_cndmask_b32_e32 v74, v59, v58, vcc
	v_add_f32_e32 v57, 1.0, v74
	v_add_f32_e32 v58, -1.0, v57
	v_sub_f32_e32 v59, v58, v57
	v_add_f32_e32 v59, 1.0, v59
	v_sub_f32_e32 v58, v74, v58
	v_add_f32_e32 v60, v58, v59
	v_frexp_mant_f32_e32 v61, v57
	v_cvt_f64_f32_e32 v[58:59], v57
	v_frexp_exp_i32_f64_e32 v58, v[58:59]
	v_cmp_gt_f32_e32 vcc, s6, v61
	s_mov_b32 s6, 0x3f317218
	s_nop 0
	v_subbrev_co_u32_e32 v66, vcc, 0, v58, vcc
	v_sub_u32_e32 v58, 0, v66
	v_ldexp_f32 v57, v57, v58
	v_ldexp_f32 v58, v60, v58
	v_add_f32_e32 v60, -1.0, v57
	v_add_f32_e32 v59, 1.0, v60
	v_sub_f32_e32 v59, v57, v59
	v_add_f32_e32 v61, v58, v59
	v_add_f32_e32 v59, 1.0, v57
	v_add_f32_e32 v62, -1.0, v59
	v_sub_f32_e32 v57, v57, v62
	v_add_f32_e32 v57, v58, v57
	v_add_f32_e32 v67, v59, v57
	v_rcp_f32_e32 v68, v67
	v_sub_f32_e32 v58, v59, v67
	v_add_f32_e32 v59, v60, v61
	v_add_f32_e32 v57, v57, v58
	v_mul_f32_e32 v70, v59, v68
	v_sub_f32_e32 v58, v60, v59
	v_mul_f32_e32 v60, v67, v70
	v_fma_f32 v62, v70, v67, -v60
	v_fmac_f32_e32 v62, v70, v57
	v_add_f32_e32 v69, v61, v58
	v_add_f32_e32 v58, v60, v62
	v_sub_f32_e32 v61, v59, v58
	v_pk_add_f32 v[64:65], v[58:59], v[60:61] neg_lo:[0,1] neg_hi:[0,1]
	v_mov_b32_e32 v63, v58
	v_pk_add_f32 v[58:59], v[64:65], v[62:63] neg_lo:[0,1] neg_hi:[0,1]
	v_cmp_eq_f32_e32 vcc, s7, v74
	v_add_f32_e32 v59, v69, v59
	v_add_f32_e32 v58, v58, v59
	;; [unrolled: 1-line block ×3, first 2 shown]
	v_mul_f32_e32 v69, v68, v59
	v_mul_f32_e32 v60, v67, v69
	v_fma_f32 v62, v69, v67, -v60
	v_fmac_f32_e32 v62, v69, v57
	v_sub_f32_e32 v57, v61, v59
	v_add_f32_e32 v57, v58, v57
	v_add_f32_e32 v58, v60, v62
	v_sub_f32_e32 v61, v59, v58
	v_pk_add_f32 v[64:65], v[58:59], v[60:61] neg_lo:[0,1] neg_hi:[0,1]
	v_mov_b32_e32 v63, v58
	v_pk_add_f32 v[58:59], v[64:65], v[62:63] neg_lo:[0,1] neg_hi:[0,1]
	v_cvt_f32_i32_e32 v60, v66
	v_add_f32_e32 v57, v57, v59
	v_add_f32_e32 v57, v58, v57
	v_add_f32_e32 v58, v70, v69
	v_add_f32_e32 v57, v61, v57
	v_sub_f32_e32 v59, v58, v70
	v_mul_f32_e32 v57, v68, v57
	v_sub_f32_e32 v59, v69, v59
	v_add_f32_e32 v57, v59, v57
	v_add_f32_e32 v61, v58, v57
	v_mul_f32_e32 v62, v61, v61
	v_mov_b32_e32 v59, 0x3ecc95a3
	v_fmac_f32_e32 v59, 0x3e9b6dac, v62
	v_sub_f32_e32 v58, v61, v58
	v_fmaak_f32 v59, v62, v59, 0x3f2aaada
	v_sub_f32_e32 v57, v57, v58
	v_ldexp_f32 v63, v61, 1
	v_mul_f32_e32 v61, v61, v62
	v_mov_b32_e32 v58, 0x3f317218
	v_pk_mul_f32 v[58:59], v[60:61], v[58:59]
	v_ldexp_f32 v57, v57, 1
	v_fma_f32 v61, v60, s6, -v58
	v_fmamk_f32 v62, v60, 0xb102e308, v61
	v_pk_add_f32 v[60:61], v[58:59], v[62:63]
	v_mov_b32_e32 v64, v58
	v_sub_f32_e32 v63, v61, v63
	v_sub_f32_e32 v63, v59, v63
	v_add_f32_e32 v65, v57, v63
	v_pk_add_f32 v[58:59], v[60:61], v[58:59] neg_lo:[0,1] neg_hi:[0,1]
	v_pk_add_f32 v[66:67], v[60:61], v[64:65]
	v_mov_b32_e32 v63, v60
	v_mov_b32_e32 v59, v67
	v_pk_add_f32 v[68:69], v[62:63], v[58:59] neg_lo:[0,1] neg_hi:[0,1]
	v_pk_add_f32 v[58:59], v[62:63], v[58:59]
	v_mov_b32_e32 v64, v65
	v_mov_b32_e32 v62, v59
	v_pk_add_f32 v[70:71], v[62:63], v[60:61] neg_lo:[0,1] neg_hi:[0,1]
	v_mov_b32_e32 v58, v67
	v_mov_b32_e32 v57, v70
	v_pk_add_f32 v[72:73], v[66:67], v[56:57] neg_lo:[0,1] neg_hi:[0,1]
	v_mov_b32_e32 v66, v61
	v_mov_b32_e32 v67, v70
	;; [unrolled: 1-line block ×3, first 2 shown]
	v_pk_add_f32 v[58:59], v[58:59], v[66:67] neg_lo:[0,1] neg_hi:[0,1]
	v_mov_b32_e32 v65, v60
	v_pk_add_f32 v[58:59], v[64:65], v[58:59] neg_lo:[0,1] neg_hi:[0,1]
	v_mov_b32_e32 v72, v68
	v_pk_add_f32 v[60:61], v[72:73], v[58:59]
	s_mov_b32 s6, 0x33800000
	v_mov_b32_e32 v64, v61
	v_pk_add_f32 v[64:65], v[60:61], v[64:65]
	v_cmp_lt_f32_e64 s[6:7], |v74|, s6
	v_pk_add_f32 v[62:63], v[62:63], v[64:65]
	v_mov_b32_e32 v59, v64
	v_mov_b32_e32 v61, v62
	v_pk_add_f32 v[66:67], v[60:61], v[68:69] neg_lo:[0,1] neg_hi:[0,1]
	s_or_b64 vcc, vcc, s[6:7]
	v_sub_f32_e32 v57, v60, v66
	v_pk_add_f32 v[58:59], v[58:59], v[66:67] neg_lo:[0,1] neg_hi:[0,1]
	v_sub_f32_e32 v57, v68, v57
	v_add_f32_e32 v57, v58, v57
	v_add_f32_e32 v57, v57, v59
	;; [unrolled: 1-line block ×3, first 2 shown]
	v_cndmask_b32_e32 v57, v57, v74, vcc
	v_add_f32_e32 v58, v29, v57
.LBB131_101:
	s_or_b64 exec, exec, s[4:5]
	v_mbcnt_lo_u32_b32 v29, -1, 0
	v_mbcnt_hi_u32_b32 v29, -1, v29
	v_and_b32_e32 v57, 15, v29
	v_mov_b32_dpp v59, v58 row_shr:1 row_mask:0xf bank_mask:0xf
	v_cmp_ne_u32_e32 vcc, 0, v57
	s_and_saveexec_b64 s[4:5], vcc
	s_xor_b64 s[4:5], exec, s[4:5]
	s_cbranch_execz .LBB131_105
; %bb.102:
	v_max_f32_e32 v61, v58, v58
	v_max_f32_e32 v62, v59, v59
	v_min_f32_e32 v60, v62, v61
	v_cmp_u_f32_e64 s[48:49], v59, v59
	v_max_f32_e32 v61, v62, v61
	v_cmp_u_f32_e32 vcc, v58, v58
	v_cndmask_b32_e64 v60, v60, v59, s[48:49]
	v_cndmask_b32_e64 v61, v61, v59, s[48:49]
	v_cndmask_b32_e32 v60, v60, v58, vcc
	v_cndmask_b32_e32 v58, v61, v58, vcc
	s_movk_i32 s6, 0x1f8
	v_cmp_neq_f32_e32 vcc, v60, v58
	v_cmp_class_f32_e64 s[48:49], v60, s6
	s_or_b64 vcc, vcc, s[48:49]
	s_and_saveexec_b64 s[48:49], vcc
	s_cbranch_execz .LBB131_104
; %bb.103:
	v_sub_f32_e32 v59, v60, v58
	s_mov_b32 s6, 0x3fb8aa3b
	v_mul_f32_e32 v60, 0x3fb8aa3b, v59
	v_fma_f32 v61, v59, s6, -v60
	v_rndne_f32_e32 v62, v60
	v_fmamk_f32 v61, v59, 0x32a5705f, v61
	v_sub_f32_e32 v60, v60, v62
	v_add_f32_e32 v60, v60, v61
	v_exp_f32_e32 v60, v60
	v_cvt_i32_f32_e32 v61, v62
	s_mov_b32 s6, 0xc2ce8ed0
	v_cmp_ngt_f32_e32 vcc, s6, v59
	s_mov_b32 s6, 0x42b17218
	v_ldexp_f32 v60, v60, v61
	v_cndmask_b32_e32 v60, 0, v60, vcc
	v_mov_b32_e32 v61, 0x7f800000
	v_cmp_nlt_f32_e32 vcc, s6, v59
	s_mov_b32 s6, 0x3f2aaaab
	s_mov_b32 s7, 0x7f800000
	v_cndmask_b32_e32 v76, v61, v60, vcc
	v_add_f32_e32 v59, 1.0, v76
	v_add_f32_e32 v60, -1.0, v59
	v_sub_f32_e32 v61, v60, v59
	v_add_f32_e32 v61, 1.0, v61
	v_sub_f32_e32 v60, v76, v60
	v_add_f32_e32 v62, v60, v61
	v_frexp_mant_f32_e32 v63, v59
	v_cvt_f64_f32_e32 v[60:61], v59
	v_frexp_exp_i32_f64_e32 v60, v[60:61]
	v_cmp_gt_f32_e32 vcc, s6, v63
	s_mov_b32 s6, 0x3f317218
	s_nop 0
	v_subbrev_co_u32_e32 v68, vcc, 0, v60, vcc
	v_sub_u32_e32 v60, 0, v68
	v_ldexp_f32 v59, v59, v60
	v_ldexp_f32 v60, v62, v60
	v_add_f32_e32 v62, -1.0, v59
	v_add_f32_e32 v61, 1.0, v62
	v_sub_f32_e32 v61, v59, v61
	v_add_f32_e32 v63, v60, v61
	v_add_f32_e32 v61, 1.0, v59
	v_add_f32_e32 v64, -1.0, v61
	v_sub_f32_e32 v59, v59, v64
	v_add_f32_e32 v59, v60, v59
	v_add_f32_e32 v69, v61, v59
	v_rcp_f32_e32 v70, v69
	v_sub_f32_e32 v60, v61, v69
	v_add_f32_e32 v61, v62, v63
	v_add_f32_e32 v59, v59, v60
	v_mul_f32_e32 v72, v61, v70
	v_sub_f32_e32 v60, v62, v61
	v_mul_f32_e32 v62, v69, v72
	v_fma_f32 v64, v72, v69, -v62
	v_fmac_f32_e32 v64, v72, v59
	v_add_f32_e32 v71, v63, v60
	v_add_f32_e32 v60, v62, v64
	v_sub_f32_e32 v63, v61, v60
	v_pk_add_f32 v[66:67], v[60:61], v[62:63] neg_lo:[0,1] neg_hi:[0,1]
	v_mov_b32_e32 v65, v60
	v_pk_add_f32 v[60:61], v[66:67], v[64:65] neg_lo:[0,1] neg_hi:[0,1]
	v_cmp_eq_f32_e32 vcc, s7, v76
	v_add_f32_e32 v61, v71, v61
	v_add_f32_e32 v60, v60, v61
	;; [unrolled: 1-line block ×3, first 2 shown]
	v_mul_f32_e32 v71, v70, v61
	v_mul_f32_e32 v62, v69, v71
	v_fma_f32 v64, v71, v69, -v62
	v_fmac_f32_e32 v64, v71, v59
	v_sub_f32_e32 v59, v63, v61
	v_add_f32_e32 v59, v60, v59
	v_add_f32_e32 v60, v62, v64
	v_sub_f32_e32 v63, v61, v60
	v_pk_add_f32 v[66:67], v[60:61], v[62:63] neg_lo:[0,1] neg_hi:[0,1]
	v_mov_b32_e32 v65, v60
	v_pk_add_f32 v[60:61], v[66:67], v[64:65] neg_lo:[0,1] neg_hi:[0,1]
	v_cvt_f32_i32_e32 v62, v68
	v_add_f32_e32 v59, v59, v61
	v_add_f32_e32 v59, v60, v59
	;; [unrolled: 1-line block ×4, first 2 shown]
	v_sub_f32_e32 v61, v60, v72
	v_mul_f32_e32 v59, v70, v59
	v_sub_f32_e32 v61, v71, v61
	v_add_f32_e32 v59, v61, v59
	v_add_f32_e32 v63, v60, v59
	v_mul_f32_e32 v64, v63, v63
	v_mov_b32_e32 v61, 0x3ecc95a3
	v_fmac_f32_e32 v61, 0x3e9b6dac, v64
	v_sub_f32_e32 v60, v63, v60
	v_fmaak_f32 v61, v64, v61, 0x3f2aaada
	v_sub_f32_e32 v59, v59, v60
	v_ldexp_f32 v65, v63, 1
	v_mul_f32_e32 v63, v63, v64
	v_mov_b32_e32 v60, 0x3f317218
	v_pk_mul_f32 v[60:61], v[62:63], v[60:61]
	v_ldexp_f32 v59, v59, 1
	v_fma_f32 v63, v62, s6, -v60
	v_fmamk_f32 v64, v62, 0xb102e308, v63
	v_pk_add_f32 v[62:63], v[60:61], v[64:65]
	v_mov_b32_e32 v66, v60
	v_sub_f32_e32 v65, v63, v65
	v_sub_f32_e32 v65, v61, v65
	v_add_f32_e32 v67, v59, v65
	v_pk_add_f32 v[60:61], v[62:63], v[60:61] neg_lo:[0,1] neg_hi:[0,1]
	v_pk_add_f32 v[68:69], v[62:63], v[66:67]
	v_mov_b32_e32 v65, v62
	v_mov_b32_e32 v61, v69
	v_pk_add_f32 v[70:71], v[64:65], v[60:61] neg_lo:[0,1] neg_hi:[0,1]
	v_pk_add_f32 v[60:61], v[64:65], v[60:61]
	v_mov_b32_e32 v66, v67
	v_mov_b32_e32 v64, v61
	v_pk_add_f32 v[72:73], v[64:65], v[62:63] neg_lo:[0,1] neg_hi:[0,1]
	v_mov_b32_e32 v60, v69
	v_mov_b32_e32 v59, v72
	v_pk_add_f32 v[74:75], v[68:69], v[58:59] neg_lo:[0,1] neg_hi:[0,1]
	v_mov_b32_e32 v68, v63
	v_mov_b32_e32 v69, v72
	;; [unrolled: 1-line block ×3, first 2 shown]
	v_pk_add_f32 v[60:61], v[60:61], v[68:69] neg_lo:[0,1] neg_hi:[0,1]
	v_mov_b32_e32 v67, v62
	v_pk_add_f32 v[60:61], v[66:67], v[60:61] neg_lo:[0,1] neg_hi:[0,1]
	v_mov_b32_e32 v74, v70
	v_pk_add_f32 v[62:63], v[74:75], v[60:61]
	s_mov_b32 s6, 0x33800000
	v_mov_b32_e32 v66, v63
	v_pk_add_f32 v[66:67], v[62:63], v[66:67]
	v_cmp_lt_f32_e64 s[6:7], |v76|, s6
	v_pk_add_f32 v[64:65], v[64:65], v[66:67]
	v_mov_b32_e32 v61, v66
	v_mov_b32_e32 v63, v64
	v_pk_add_f32 v[68:69], v[62:63], v[70:71] neg_lo:[0,1] neg_hi:[0,1]
	s_or_b64 vcc, vcc, s[6:7]
	v_sub_f32_e32 v59, v62, v68
	v_pk_add_f32 v[60:61], v[60:61], v[68:69] neg_lo:[0,1] neg_hi:[0,1]
	v_sub_f32_e32 v59, v70, v59
	v_add_f32_e32 v59, v60, v59
	v_add_f32_e32 v59, v59, v61
	;; [unrolled: 1-line block ×3, first 2 shown]
	v_cndmask_b32_e32 v59, v59, v76, vcc
	v_add_f32_e32 v59, v58, v59
.LBB131_104:
	s_or_b64 exec, exec, s[48:49]
	v_mov_b32_e32 v58, v59
.LBB131_105:
	s_or_b64 exec, exec, s[4:5]
	s_nop 0
	v_mov_b32_dpp v59, v58 row_shr:2 row_mask:0xf bank_mask:0xf
	v_cmp_lt_u32_e32 vcc, 1, v57
	s_and_saveexec_b64 s[4:5], vcc
	s_cbranch_execz .LBB131_109
; %bb.106:
	v_max_f32_e32 v61, v58, v58
	v_max_f32_e32 v62, v59, v59
	v_min_f32_e32 v60, v62, v61
	v_cmp_u_f32_e32 vcc, v59, v59
	v_max_f32_e32 v61, v62, v61
	v_cmp_u_f32_e64 s[48:49], v58, v58
	v_cndmask_b32_e32 v60, v60, v59, vcc
	v_cndmask_b32_e32 v61, v61, v59, vcc
	v_cndmask_b32_e64 v60, v60, v58, s[48:49]
	v_cndmask_b32_e64 v58, v61, v58, s[48:49]
	s_movk_i32 s6, 0x1f8
	v_cmp_neq_f32_e32 vcc, v60, v58
	v_cmp_class_f32_e64 s[6:7], v60, s6
	s_or_b64 s[6:7], vcc, s[6:7]
	s_and_saveexec_b64 s[48:49], s[6:7]
	s_cbranch_execz .LBB131_108
; %bb.107:
	v_sub_f32_e32 v59, v60, v58
	s_mov_b32 s6, 0x3fb8aa3b
	v_mul_f32_e32 v60, 0x3fb8aa3b, v59
	v_fma_f32 v61, v59, s6, -v60
	v_rndne_f32_e32 v62, v60
	v_fmamk_f32 v61, v59, 0x32a5705f, v61
	v_sub_f32_e32 v60, v60, v62
	v_add_f32_e32 v60, v60, v61
	v_exp_f32_e32 v60, v60
	v_cvt_i32_f32_e32 v61, v62
	s_mov_b32 s6, 0xc2ce8ed0
	v_cmp_ngt_f32_e32 vcc, s6, v59
	s_mov_b32 s6, 0x42b17218
	v_ldexp_f32 v60, v60, v61
	v_cndmask_b32_e32 v60, 0, v60, vcc
	v_mov_b32_e32 v61, 0x7f800000
	v_cmp_nlt_f32_e32 vcc, s6, v59
	s_mov_b32 s6, 0x3f2aaaab
	s_mov_b32 s7, 0x7f800000
	v_cndmask_b32_e32 v76, v61, v60, vcc
	v_add_f32_e32 v59, 1.0, v76
	v_add_f32_e32 v60, -1.0, v59
	v_sub_f32_e32 v61, v60, v59
	v_add_f32_e32 v61, 1.0, v61
	v_sub_f32_e32 v60, v76, v60
	v_add_f32_e32 v62, v60, v61
	v_frexp_mant_f32_e32 v63, v59
	v_cvt_f64_f32_e32 v[60:61], v59
	v_frexp_exp_i32_f64_e32 v60, v[60:61]
	v_cmp_gt_f32_e32 vcc, s6, v63
	s_mov_b32 s6, 0x3f317218
	s_nop 0
	v_subbrev_co_u32_e32 v68, vcc, 0, v60, vcc
	v_sub_u32_e32 v60, 0, v68
	v_ldexp_f32 v59, v59, v60
	v_ldexp_f32 v60, v62, v60
	v_add_f32_e32 v62, -1.0, v59
	v_add_f32_e32 v61, 1.0, v62
	v_sub_f32_e32 v61, v59, v61
	v_add_f32_e32 v63, v60, v61
	v_add_f32_e32 v61, 1.0, v59
	v_add_f32_e32 v64, -1.0, v61
	v_sub_f32_e32 v59, v59, v64
	v_add_f32_e32 v59, v60, v59
	v_add_f32_e32 v69, v61, v59
	v_rcp_f32_e32 v70, v69
	v_sub_f32_e32 v60, v61, v69
	v_add_f32_e32 v61, v62, v63
	v_add_f32_e32 v59, v59, v60
	v_mul_f32_e32 v72, v61, v70
	v_sub_f32_e32 v60, v62, v61
	v_mul_f32_e32 v62, v69, v72
	v_fma_f32 v64, v72, v69, -v62
	v_fmac_f32_e32 v64, v72, v59
	v_add_f32_e32 v71, v63, v60
	v_add_f32_e32 v60, v62, v64
	v_sub_f32_e32 v63, v61, v60
	v_pk_add_f32 v[66:67], v[60:61], v[62:63] neg_lo:[0,1] neg_hi:[0,1]
	v_mov_b32_e32 v65, v60
	v_pk_add_f32 v[60:61], v[66:67], v[64:65] neg_lo:[0,1] neg_hi:[0,1]
	v_cmp_eq_f32_e32 vcc, s7, v76
	v_add_f32_e32 v61, v71, v61
	v_add_f32_e32 v60, v60, v61
	;; [unrolled: 1-line block ×3, first 2 shown]
	v_mul_f32_e32 v71, v70, v61
	v_mul_f32_e32 v62, v69, v71
	v_fma_f32 v64, v71, v69, -v62
	v_fmac_f32_e32 v64, v71, v59
	v_sub_f32_e32 v59, v63, v61
	v_add_f32_e32 v59, v60, v59
	v_add_f32_e32 v60, v62, v64
	v_sub_f32_e32 v63, v61, v60
	v_pk_add_f32 v[66:67], v[60:61], v[62:63] neg_lo:[0,1] neg_hi:[0,1]
	v_mov_b32_e32 v65, v60
	v_pk_add_f32 v[60:61], v[66:67], v[64:65] neg_lo:[0,1] neg_hi:[0,1]
	v_cvt_f32_i32_e32 v62, v68
	v_add_f32_e32 v59, v59, v61
	v_add_f32_e32 v59, v60, v59
	v_add_f32_e32 v60, v72, v71
	v_add_f32_e32 v59, v63, v59
	v_sub_f32_e32 v61, v60, v72
	v_mul_f32_e32 v59, v70, v59
	v_sub_f32_e32 v61, v71, v61
	v_add_f32_e32 v59, v61, v59
	v_add_f32_e32 v63, v60, v59
	v_mul_f32_e32 v64, v63, v63
	v_mov_b32_e32 v61, 0x3ecc95a3
	v_fmac_f32_e32 v61, 0x3e9b6dac, v64
	v_sub_f32_e32 v60, v63, v60
	v_fmaak_f32 v61, v64, v61, 0x3f2aaada
	v_sub_f32_e32 v59, v59, v60
	v_ldexp_f32 v65, v63, 1
	v_mul_f32_e32 v63, v63, v64
	v_mov_b32_e32 v60, 0x3f317218
	v_pk_mul_f32 v[60:61], v[62:63], v[60:61]
	v_ldexp_f32 v59, v59, 1
	v_fma_f32 v63, v62, s6, -v60
	v_fmamk_f32 v64, v62, 0xb102e308, v63
	v_pk_add_f32 v[62:63], v[60:61], v[64:65]
	v_mov_b32_e32 v66, v60
	v_sub_f32_e32 v65, v63, v65
	v_sub_f32_e32 v65, v61, v65
	v_add_f32_e32 v67, v59, v65
	v_pk_add_f32 v[60:61], v[62:63], v[60:61] neg_lo:[0,1] neg_hi:[0,1]
	v_pk_add_f32 v[68:69], v[62:63], v[66:67]
	v_mov_b32_e32 v65, v62
	v_mov_b32_e32 v61, v69
	v_pk_add_f32 v[70:71], v[64:65], v[60:61] neg_lo:[0,1] neg_hi:[0,1]
	v_pk_add_f32 v[60:61], v[64:65], v[60:61]
	v_mov_b32_e32 v66, v67
	v_mov_b32_e32 v64, v61
	v_pk_add_f32 v[72:73], v[64:65], v[62:63] neg_lo:[0,1] neg_hi:[0,1]
	v_mov_b32_e32 v60, v69
	v_mov_b32_e32 v59, v72
	v_pk_add_f32 v[74:75], v[68:69], v[58:59] neg_lo:[0,1] neg_hi:[0,1]
	v_mov_b32_e32 v68, v63
	v_mov_b32_e32 v69, v72
	;; [unrolled: 1-line block ×3, first 2 shown]
	v_pk_add_f32 v[60:61], v[60:61], v[68:69] neg_lo:[0,1] neg_hi:[0,1]
	v_mov_b32_e32 v67, v62
	v_pk_add_f32 v[60:61], v[66:67], v[60:61] neg_lo:[0,1] neg_hi:[0,1]
	v_mov_b32_e32 v74, v70
	v_pk_add_f32 v[62:63], v[74:75], v[60:61]
	s_mov_b32 s6, 0x33800000
	v_mov_b32_e32 v66, v63
	v_pk_add_f32 v[66:67], v[62:63], v[66:67]
	v_cmp_lt_f32_e64 s[6:7], |v76|, s6
	v_pk_add_f32 v[64:65], v[64:65], v[66:67]
	v_mov_b32_e32 v61, v66
	v_mov_b32_e32 v63, v64
	v_pk_add_f32 v[68:69], v[62:63], v[70:71] neg_lo:[0,1] neg_hi:[0,1]
	s_or_b64 vcc, vcc, s[6:7]
	v_sub_f32_e32 v59, v62, v68
	v_pk_add_f32 v[60:61], v[60:61], v[68:69] neg_lo:[0,1] neg_hi:[0,1]
	v_sub_f32_e32 v59, v70, v59
	v_add_f32_e32 v59, v60, v59
	v_add_f32_e32 v59, v59, v61
	;; [unrolled: 1-line block ×3, first 2 shown]
	v_cndmask_b32_e32 v59, v59, v76, vcc
	v_add_f32_e32 v59, v58, v59
.LBB131_108:
	s_or_b64 exec, exec, s[48:49]
	v_mov_b32_e32 v58, v59
.LBB131_109:
	s_or_b64 exec, exec, s[4:5]
	s_nop 0
	v_mov_b32_dpp v59, v58 row_shr:4 row_mask:0xf bank_mask:0xf
	v_cmp_lt_u32_e32 vcc, 3, v57
	s_and_saveexec_b64 s[4:5], vcc
	s_cbranch_execz .LBB131_113
; %bb.110:
	v_max_f32_e32 v61, v58, v58
	v_max_f32_e32 v62, v59, v59
	v_min_f32_e32 v60, v62, v61
	v_cmp_u_f32_e32 vcc, v59, v59
	v_max_f32_e32 v61, v62, v61
	v_cmp_u_f32_e64 s[48:49], v58, v58
	v_cndmask_b32_e32 v60, v60, v59, vcc
	v_cndmask_b32_e32 v61, v61, v59, vcc
	v_cndmask_b32_e64 v60, v60, v58, s[48:49]
	v_cndmask_b32_e64 v58, v61, v58, s[48:49]
	s_movk_i32 s6, 0x1f8
	v_cmp_neq_f32_e32 vcc, v60, v58
	v_cmp_class_f32_e64 s[6:7], v60, s6
	s_or_b64 s[6:7], vcc, s[6:7]
	s_and_saveexec_b64 s[48:49], s[6:7]
	s_cbranch_execz .LBB131_112
; %bb.111:
	v_sub_f32_e32 v59, v60, v58
	s_mov_b32 s6, 0x3fb8aa3b
	v_mul_f32_e32 v60, 0x3fb8aa3b, v59
	v_fma_f32 v61, v59, s6, -v60
	v_rndne_f32_e32 v62, v60
	v_fmamk_f32 v61, v59, 0x32a5705f, v61
	v_sub_f32_e32 v60, v60, v62
	v_add_f32_e32 v60, v60, v61
	v_exp_f32_e32 v60, v60
	v_cvt_i32_f32_e32 v61, v62
	s_mov_b32 s6, 0xc2ce8ed0
	v_cmp_ngt_f32_e32 vcc, s6, v59
	s_mov_b32 s6, 0x42b17218
	v_ldexp_f32 v60, v60, v61
	v_cndmask_b32_e32 v60, 0, v60, vcc
	v_mov_b32_e32 v61, 0x7f800000
	v_cmp_nlt_f32_e32 vcc, s6, v59
	s_mov_b32 s6, 0x3f2aaaab
	s_mov_b32 s7, 0x7f800000
	v_cndmask_b32_e32 v76, v61, v60, vcc
	v_add_f32_e32 v59, 1.0, v76
	v_add_f32_e32 v60, -1.0, v59
	v_sub_f32_e32 v61, v60, v59
	v_add_f32_e32 v61, 1.0, v61
	v_sub_f32_e32 v60, v76, v60
	v_add_f32_e32 v62, v60, v61
	v_frexp_mant_f32_e32 v63, v59
	v_cvt_f64_f32_e32 v[60:61], v59
	v_frexp_exp_i32_f64_e32 v60, v[60:61]
	v_cmp_gt_f32_e32 vcc, s6, v63
	s_mov_b32 s6, 0x3f317218
	s_nop 0
	v_subbrev_co_u32_e32 v68, vcc, 0, v60, vcc
	v_sub_u32_e32 v60, 0, v68
	v_ldexp_f32 v59, v59, v60
	v_ldexp_f32 v60, v62, v60
	v_add_f32_e32 v62, -1.0, v59
	v_add_f32_e32 v61, 1.0, v62
	v_sub_f32_e32 v61, v59, v61
	v_add_f32_e32 v63, v60, v61
	v_add_f32_e32 v61, 1.0, v59
	v_add_f32_e32 v64, -1.0, v61
	v_sub_f32_e32 v59, v59, v64
	v_add_f32_e32 v59, v60, v59
	v_add_f32_e32 v69, v61, v59
	v_rcp_f32_e32 v70, v69
	v_sub_f32_e32 v60, v61, v69
	v_add_f32_e32 v61, v62, v63
	v_add_f32_e32 v59, v59, v60
	v_mul_f32_e32 v72, v61, v70
	v_sub_f32_e32 v60, v62, v61
	v_mul_f32_e32 v62, v69, v72
	v_fma_f32 v64, v72, v69, -v62
	v_fmac_f32_e32 v64, v72, v59
	v_add_f32_e32 v71, v63, v60
	v_add_f32_e32 v60, v62, v64
	v_sub_f32_e32 v63, v61, v60
	v_pk_add_f32 v[66:67], v[60:61], v[62:63] neg_lo:[0,1] neg_hi:[0,1]
	v_mov_b32_e32 v65, v60
	v_pk_add_f32 v[60:61], v[66:67], v[64:65] neg_lo:[0,1] neg_hi:[0,1]
	v_cmp_eq_f32_e32 vcc, s7, v76
	v_add_f32_e32 v61, v71, v61
	v_add_f32_e32 v60, v60, v61
	;; [unrolled: 1-line block ×3, first 2 shown]
	v_mul_f32_e32 v71, v70, v61
	v_mul_f32_e32 v62, v69, v71
	v_fma_f32 v64, v71, v69, -v62
	v_fmac_f32_e32 v64, v71, v59
	v_sub_f32_e32 v59, v63, v61
	v_add_f32_e32 v59, v60, v59
	v_add_f32_e32 v60, v62, v64
	v_sub_f32_e32 v63, v61, v60
	v_pk_add_f32 v[66:67], v[60:61], v[62:63] neg_lo:[0,1] neg_hi:[0,1]
	v_mov_b32_e32 v65, v60
	v_pk_add_f32 v[60:61], v[66:67], v[64:65] neg_lo:[0,1] neg_hi:[0,1]
	v_cvt_f32_i32_e32 v62, v68
	v_add_f32_e32 v59, v59, v61
	v_add_f32_e32 v59, v60, v59
	;; [unrolled: 1-line block ×4, first 2 shown]
	v_sub_f32_e32 v61, v60, v72
	v_mul_f32_e32 v59, v70, v59
	v_sub_f32_e32 v61, v71, v61
	v_add_f32_e32 v59, v61, v59
	v_add_f32_e32 v63, v60, v59
	v_mul_f32_e32 v64, v63, v63
	v_mov_b32_e32 v61, 0x3ecc95a3
	v_fmac_f32_e32 v61, 0x3e9b6dac, v64
	v_sub_f32_e32 v60, v63, v60
	v_fmaak_f32 v61, v64, v61, 0x3f2aaada
	v_sub_f32_e32 v59, v59, v60
	v_ldexp_f32 v65, v63, 1
	v_mul_f32_e32 v63, v63, v64
	v_mov_b32_e32 v60, 0x3f317218
	v_pk_mul_f32 v[60:61], v[62:63], v[60:61]
	v_ldexp_f32 v59, v59, 1
	v_fma_f32 v63, v62, s6, -v60
	v_fmamk_f32 v64, v62, 0xb102e308, v63
	v_pk_add_f32 v[62:63], v[60:61], v[64:65]
	v_mov_b32_e32 v66, v60
	v_sub_f32_e32 v65, v63, v65
	v_sub_f32_e32 v65, v61, v65
	v_add_f32_e32 v67, v59, v65
	v_pk_add_f32 v[60:61], v[62:63], v[60:61] neg_lo:[0,1] neg_hi:[0,1]
	v_pk_add_f32 v[68:69], v[62:63], v[66:67]
	v_mov_b32_e32 v65, v62
	v_mov_b32_e32 v61, v69
	v_pk_add_f32 v[70:71], v[64:65], v[60:61] neg_lo:[0,1] neg_hi:[0,1]
	v_pk_add_f32 v[60:61], v[64:65], v[60:61]
	v_mov_b32_e32 v66, v67
	v_mov_b32_e32 v64, v61
	v_pk_add_f32 v[72:73], v[64:65], v[62:63] neg_lo:[0,1] neg_hi:[0,1]
	v_mov_b32_e32 v60, v69
	v_mov_b32_e32 v59, v72
	v_pk_add_f32 v[74:75], v[68:69], v[58:59] neg_lo:[0,1] neg_hi:[0,1]
	v_mov_b32_e32 v68, v63
	v_mov_b32_e32 v69, v72
	;; [unrolled: 1-line block ×3, first 2 shown]
	v_pk_add_f32 v[60:61], v[60:61], v[68:69] neg_lo:[0,1] neg_hi:[0,1]
	v_mov_b32_e32 v67, v62
	v_pk_add_f32 v[60:61], v[66:67], v[60:61] neg_lo:[0,1] neg_hi:[0,1]
	v_mov_b32_e32 v74, v70
	v_pk_add_f32 v[62:63], v[74:75], v[60:61]
	s_mov_b32 s6, 0x33800000
	v_mov_b32_e32 v66, v63
	v_pk_add_f32 v[66:67], v[62:63], v[66:67]
	v_cmp_lt_f32_e64 s[6:7], |v76|, s6
	v_pk_add_f32 v[64:65], v[64:65], v[66:67]
	v_mov_b32_e32 v61, v66
	v_mov_b32_e32 v63, v64
	v_pk_add_f32 v[68:69], v[62:63], v[70:71] neg_lo:[0,1] neg_hi:[0,1]
	s_or_b64 vcc, vcc, s[6:7]
	v_sub_f32_e32 v59, v62, v68
	v_pk_add_f32 v[60:61], v[60:61], v[68:69] neg_lo:[0,1] neg_hi:[0,1]
	v_sub_f32_e32 v59, v70, v59
	v_add_f32_e32 v59, v60, v59
	v_add_f32_e32 v59, v59, v61
	;; [unrolled: 1-line block ×3, first 2 shown]
	v_cndmask_b32_e32 v59, v59, v76, vcc
	v_add_f32_e32 v59, v58, v59
.LBB131_112:
	s_or_b64 exec, exec, s[48:49]
	v_mov_b32_e32 v58, v59
.LBB131_113:
	s_or_b64 exec, exec, s[4:5]
	s_nop 0
	v_mov_b32_dpp v59, v58 row_shr:8 row_mask:0xf bank_mask:0xf
	v_cmp_lt_u32_e32 vcc, 7, v57
	s_and_saveexec_b64 s[4:5], vcc
	s_cbranch_execz .LBB131_117
; %bb.114:
	v_max_f32_e32 v57, v58, v58
	v_max_f32_e32 v61, v59, v59
	v_min_f32_e32 v60, v61, v57
	v_cmp_u_f32_e32 vcc, v59, v59
	v_max_f32_e32 v57, v61, v57
	v_cmp_u_f32_e64 s[48:49], v58, v58
	v_cndmask_b32_e32 v60, v60, v59, vcc
	v_cndmask_b32_e32 v57, v57, v59, vcc
	v_cndmask_b32_e64 v60, v60, v58, s[48:49]
	v_cndmask_b32_e64 v57, v57, v58, s[48:49]
	s_movk_i32 s6, 0x1f8
	v_cmp_neq_f32_e32 vcc, v60, v57
	v_cmp_class_f32_e64 s[6:7], v60, s6
	s_or_b64 s[6:7], vcc, s[6:7]
	s_and_saveexec_b64 s[48:49], s[6:7]
	s_cbranch_execz .LBB131_116
; %bb.115:
	v_sub_f32_e32 v58, v60, v57
	s_mov_b32 s6, 0x3fb8aa3b
	v_mul_f32_e32 v59, 0x3fb8aa3b, v58
	v_fma_f32 v60, v58, s6, -v59
	v_rndne_f32_e32 v61, v59
	v_fmamk_f32 v60, v58, 0x32a5705f, v60
	v_sub_f32_e32 v59, v59, v61
	v_add_f32_e32 v59, v59, v60
	v_exp_f32_e32 v59, v59
	v_cvt_i32_f32_e32 v60, v61
	s_mov_b32 s6, 0xc2ce8ed0
	v_cmp_ngt_f32_e32 vcc, s6, v58
	s_mov_b32 s6, 0x42b17218
	v_ldexp_f32 v59, v59, v60
	v_cndmask_b32_e32 v59, 0, v59, vcc
	v_mov_b32_e32 v60, 0x7f800000
	v_cmp_nlt_f32_e32 vcc, s6, v58
	s_mov_b32 s6, 0x3f2aaaab
	s_mov_b32 s7, 0x7f800000
	v_cndmask_b32_e32 v74, v60, v59, vcc
	v_add_f32_e32 v60, 1.0, v74
	v_add_f32_e32 v58, -1.0, v60
	v_sub_f32_e32 v59, v58, v60
	v_add_f32_e32 v59, 1.0, v59
	v_sub_f32_e32 v58, v74, v58
	v_add_f32_e32 v61, v58, v59
	v_frexp_mant_f32_e32 v62, v60
	v_cvt_f64_f32_e32 v[58:59], v60
	v_frexp_exp_i32_f64_e32 v58, v[58:59]
	v_cmp_gt_f32_e32 vcc, s6, v62
	s_mov_b32 s6, 0x3f317218
	s_nop 0
	v_subbrev_co_u32_e32 v66, vcc, 0, v58, vcc
	v_sub_u32_e32 v58, 0, v66
	v_ldexp_f32 v59, v60, v58
	v_add_f32_e32 v60, -1.0, v59
	v_add_f32_e32 v62, 1.0, v59
	v_ldexp_f32 v58, v61, v58
	v_add_f32_e32 v61, 1.0, v60
	v_add_f32_e32 v63, -1.0, v62
	v_sub_f32_e32 v61, v59, v61
	v_sub_f32_e32 v59, v59, v63
	v_add_f32_e32 v61, v58, v61
	v_add_f32_e32 v58, v58, v59
	;; [unrolled: 1-line block ×3, first 2 shown]
	v_rcp_f32_e32 v69, v67
	v_sub_f32_e32 v59, v62, v67
	v_add_f32_e32 v68, v58, v59
	v_add_f32_e32 v59, v60, v61
	v_mul_f32_e32 v71, v59, v69
	v_sub_f32_e32 v58, v60, v59
	v_mul_f32_e32 v60, v67, v71
	v_fma_f32 v62, v71, v67, -v60
	v_fmac_f32_e32 v62, v71, v68
	v_add_f32_e32 v70, v61, v58
	v_add_f32_e32 v58, v60, v62
	v_sub_f32_e32 v61, v59, v58
	v_pk_add_f32 v[64:65], v[58:59], v[60:61] neg_lo:[0,1] neg_hi:[0,1]
	v_mov_b32_e32 v63, v58
	v_pk_add_f32 v[58:59], v[64:65], v[62:63] neg_lo:[0,1] neg_hi:[0,1]
	v_cmp_eq_f32_e32 vcc, s7, v74
	v_add_f32_e32 v59, v70, v59
	v_add_f32_e32 v58, v58, v59
	;; [unrolled: 1-line block ×3, first 2 shown]
	v_mul_f32_e32 v70, v69, v59
	v_mul_f32_e32 v60, v67, v70
	v_fma_f32 v62, v70, v67, -v60
	v_fmac_f32_e32 v62, v70, v68
	v_sub_f32_e32 v61, v61, v59
	v_add_f32_e32 v67, v58, v61
	v_add_f32_e32 v58, v60, v62
	v_sub_f32_e32 v61, v59, v58
	v_pk_add_f32 v[64:65], v[58:59], v[60:61] neg_lo:[0,1] neg_hi:[0,1]
	v_mov_b32_e32 v63, v58
	v_pk_add_f32 v[58:59], v[64:65], v[62:63] neg_lo:[0,1] neg_hi:[0,1]
	v_cvt_f32_i32_e32 v60, v66
	v_add_f32_e32 v59, v67, v59
	v_add_f32_e32 v58, v58, v59
	v_add_f32_e32 v58, v61, v58
	v_add_f32_e32 v61, v71, v70
	v_sub_f32_e32 v59, v61, v71
	v_mul_f32_e32 v58, v69, v58
	v_sub_f32_e32 v59, v70, v59
	v_add_f32_e32 v58, v59, v58
	v_add_f32_e32 v62, v61, v58
	v_mul_f32_e32 v64, v62, v62
	v_mov_b32_e32 v59, 0x3ecc95a3
	v_sub_f32_e32 v61, v62, v61
	v_fmac_f32_e32 v59, 0x3e9b6dac, v64
	v_sub_f32_e32 v58, v58, v61
	v_fmaak_f32 v59, v64, v59, 0x3f2aaada
	v_ldexp_f32 v65, v58, 1
	v_mul_f32_e32 v61, v62, v64
	v_mov_b32_e32 v58, 0x3f317218
	v_pk_mul_f32 v[58:59], v[60:61], v[58:59]
	v_ldexp_f32 v63, v62, 1
	v_fma_f32 v61, v60, s6, -v58
	v_fmamk_f32 v62, v60, 0xb102e308, v61
	v_pk_add_f32 v[60:61], v[58:59], v[62:63]
	v_mov_b32_e32 v64, v58
	v_sub_f32_e32 v63, v61, v63
	v_sub_f32_e32 v63, v59, v63
	v_add_f32_e32 v65, v65, v63
	v_pk_add_f32 v[58:59], v[60:61], v[58:59] neg_lo:[0,1] neg_hi:[0,1]
	v_pk_add_f32 v[66:67], v[60:61], v[64:65]
	v_mov_b32_e32 v63, v60
	v_mov_b32_e32 v59, v67
	v_pk_add_f32 v[68:69], v[62:63], v[58:59] neg_lo:[0,1] neg_hi:[0,1]
	v_pk_add_f32 v[58:59], v[62:63], v[58:59]
	v_mov_b32_e32 v64, v65
	v_mov_b32_e32 v62, v59
	v_pk_add_f32 v[70:71], v[62:63], v[60:61] neg_lo:[0,1] neg_hi:[0,1]
	v_mov_b32_e32 v58, v67
	v_mov_b32_e32 v63, v70
	v_pk_add_f32 v[72:73], v[66:67], v[62:63] neg_lo:[0,1] neg_hi:[0,1]
	v_mov_b32_e32 v66, v61
	v_mov_b32_e32 v67, v70
	;; [unrolled: 1-line block ×3, first 2 shown]
	v_pk_add_f32 v[58:59], v[58:59], v[66:67] neg_lo:[0,1] neg_hi:[0,1]
	v_mov_b32_e32 v65, v60
	v_pk_add_f32 v[58:59], v[64:65], v[58:59] neg_lo:[0,1] neg_hi:[0,1]
	v_mov_b32_e32 v72, v68
	v_pk_add_f32 v[60:61], v[72:73], v[58:59]
	s_mov_b32 s6, 0x33800000
	v_mov_b32_e32 v64, v61
	v_pk_add_f32 v[64:65], v[60:61], v[64:65]
	v_cmp_lt_f32_e64 s[6:7], |v74|, s6
	v_pk_add_f32 v[62:63], v[62:63], v[64:65]
	v_mov_b32_e32 v59, v64
	v_mov_b32_e32 v61, v62
	v_pk_add_f32 v[66:67], v[60:61], v[68:69] neg_lo:[0,1] neg_hi:[0,1]
	s_or_b64 vcc, vcc, s[6:7]
	v_sub_f32_e32 v60, v60, v66
	v_pk_add_f32 v[58:59], v[58:59], v[66:67] neg_lo:[0,1] neg_hi:[0,1]
	v_sub_f32_e32 v60, v68, v60
	v_add_f32_e32 v58, v58, v60
	v_add_f32_e32 v58, v58, v59
	;; [unrolled: 1-line block ×3, first 2 shown]
	v_cndmask_b32_e32 v58, v58, v74, vcc
	v_add_f32_e32 v59, v57, v58
.LBB131_116:
	s_or_b64 exec, exec, s[48:49]
	v_mov_b32_e32 v58, v59
.LBB131_117:
	s_or_b64 exec, exec, s[4:5]
	v_and_b32_e32 v57, 16, v29
	v_mov_b32_dpp v59, v58 row_bcast:15 row_mask:0xf bank_mask:0xf
	v_cmp_ne_u32_e32 vcc, 0, v57
	s_and_saveexec_b64 s[4:5], vcc
	s_cbranch_execz .LBB131_121
; %bb.118:
	v_max_f32_e32 v57, v58, v58
	v_max_f32_e32 v61, v59, v59
	v_min_f32_e32 v60, v61, v57
	v_cmp_u_f32_e32 vcc, v59, v59
	v_max_f32_e32 v57, v61, v57
	v_cmp_u_f32_e64 s[48:49], v58, v58
	v_cndmask_b32_e32 v60, v60, v59, vcc
	v_cndmask_b32_e32 v57, v57, v59, vcc
	v_cndmask_b32_e64 v60, v60, v58, s[48:49]
	v_cndmask_b32_e64 v57, v57, v58, s[48:49]
	s_movk_i32 s6, 0x1f8
	v_cmp_neq_f32_e32 vcc, v60, v57
	v_cmp_class_f32_e64 s[6:7], v60, s6
	s_or_b64 s[6:7], vcc, s[6:7]
	s_and_saveexec_b64 s[48:49], s[6:7]
	s_cbranch_execz .LBB131_120
; %bb.119:
	v_sub_f32_e32 v58, v60, v57
	s_mov_b32 s6, 0x3fb8aa3b
	v_mul_f32_e32 v59, 0x3fb8aa3b, v58
	v_fma_f32 v60, v58, s6, -v59
	v_rndne_f32_e32 v61, v59
	v_fmamk_f32 v60, v58, 0x32a5705f, v60
	v_sub_f32_e32 v59, v59, v61
	v_add_f32_e32 v59, v59, v60
	v_exp_f32_e32 v59, v59
	v_cvt_i32_f32_e32 v60, v61
	s_mov_b32 s6, 0xc2ce8ed0
	v_cmp_ngt_f32_e32 vcc, s6, v58
	s_mov_b32 s6, 0x42b17218
	v_ldexp_f32 v59, v59, v60
	v_cndmask_b32_e32 v59, 0, v59, vcc
	v_mov_b32_e32 v60, 0x7f800000
	v_cmp_nlt_f32_e32 vcc, s6, v58
	s_mov_b32 s6, 0x3f2aaaab
	s_mov_b32 s7, 0x7f800000
	v_cndmask_b32_e32 v74, v60, v59, vcc
	v_add_f32_e32 v60, 1.0, v74
	v_add_f32_e32 v58, -1.0, v60
	v_sub_f32_e32 v59, v58, v60
	v_add_f32_e32 v59, 1.0, v59
	v_sub_f32_e32 v58, v74, v58
	v_add_f32_e32 v61, v58, v59
	v_frexp_mant_f32_e32 v62, v60
	v_cvt_f64_f32_e32 v[58:59], v60
	v_frexp_exp_i32_f64_e32 v58, v[58:59]
	v_cmp_gt_f32_e32 vcc, s6, v62
	s_mov_b32 s6, 0x3f317218
	s_nop 0
	v_subbrev_co_u32_e32 v66, vcc, 0, v58, vcc
	v_sub_u32_e32 v58, 0, v66
	v_ldexp_f32 v59, v60, v58
	v_add_f32_e32 v60, -1.0, v59
	v_add_f32_e32 v62, 1.0, v59
	v_ldexp_f32 v58, v61, v58
	v_add_f32_e32 v61, 1.0, v60
	v_add_f32_e32 v63, -1.0, v62
	v_sub_f32_e32 v61, v59, v61
	v_sub_f32_e32 v59, v59, v63
	v_add_f32_e32 v61, v58, v61
	v_add_f32_e32 v58, v58, v59
	;; [unrolled: 1-line block ×3, first 2 shown]
	v_rcp_f32_e32 v69, v67
	v_sub_f32_e32 v59, v62, v67
	v_add_f32_e32 v68, v58, v59
	v_add_f32_e32 v59, v60, v61
	v_mul_f32_e32 v71, v59, v69
	v_sub_f32_e32 v58, v60, v59
	v_mul_f32_e32 v60, v67, v71
	v_fma_f32 v62, v71, v67, -v60
	v_fmac_f32_e32 v62, v71, v68
	v_add_f32_e32 v70, v61, v58
	v_add_f32_e32 v58, v60, v62
	v_sub_f32_e32 v61, v59, v58
	v_pk_add_f32 v[64:65], v[58:59], v[60:61] neg_lo:[0,1] neg_hi:[0,1]
	v_mov_b32_e32 v63, v58
	v_pk_add_f32 v[58:59], v[64:65], v[62:63] neg_lo:[0,1] neg_hi:[0,1]
	v_cmp_eq_f32_e32 vcc, s7, v74
	v_add_f32_e32 v59, v70, v59
	v_add_f32_e32 v58, v58, v59
	v_add_f32_e32 v59, v61, v58
	v_mul_f32_e32 v70, v69, v59
	v_mul_f32_e32 v60, v67, v70
	v_fma_f32 v62, v70, v67, -v60
	v_fmac_f32_e32 v62, v70, v68
	v_sub_f32_e32 v61, v61, v59
	v_add_f32_e32 v67, v58, v61
	v_add_f32_e32 v58, v60, v62
	v_sub_f32_e32 v61, v59, v58
	v_pk_add_f32 v[64:65], v[58:59], v[60:61] neg_lo:[0,1] neg_hi:[0,1]
	v_mov_b32_e32 v63, v58
	v_pk_add_f32 v[58:59], v[64:65], v[62:63] neg_lo:[0,1] neg_hi:[0,1]
	v_cvt_f32_i32_e32 v60, v66
	v_add_f32_e32 v59, v67, v59
	v_add_f32_e32 v58, v58, v59
	v_add_f32_e32 v58, v61, v58
	v_add_f32_e32 v61, v71, v70
	v_sub_f32_e32 v59, v61, v71
	v_mul_f32_e32 v58, v69, v58
	v_sub_f32_e32 v59, v70, v59
	v_add_f32_e32 v58, v59, v58
	v_add_f32_e32 v62, v61, v58
	v_mul_f32_e32 v64, v62, v62
	v_mov_b32_e32 v59, 0x3ecc95a3
	v_sub_f32_e32 v61, v62, v61
	v_fmac_f32_e32 v59, 0x3e9b6dac, v64
	v_sub_f32_e32 v58, v58, v61
	v_fmaak_f32 v59, v64, v59, 0x3f2aaada
	v_ldexp_f32 v65, v58, 1
	v_mul_f32_e32 v61, v62, v64
	v_mov_b32_e32 v58, 0x3f317218
	v_pk_mul_f32 v[58:59], v[60:61], v[58:59]
	v_ldexp_f32 v63, v62, 1
	v_fma_f32 v61, v60, s6, -v58
	v_fmamk_f32 v62, v60, 0xb102e308, v61
	v_pk_add_f32 v[60:61], v[58:59], v[62:63]
	v_mov_b32_e32 v64, v58
	v_sub_f32_e32 v63, v61, v63
	v_sub_f32_e32 v63, v59, v63
	v_add_f32_e32 v65, v65, v63
	v_pk_add_f32 v[58:59], v[60:61], v[58:59] neg_lo:[0,1] neg_hi:[0,1]
	v_pk_add_f32 v[66:67], v[60:61], v[64:65]
	v_mov_b32_e32 v63, v60
	v_mov_b32_e32 v59, v67
	v_pk_add_f32 v[68:69], v[62:63], v[58:59] neg_lo:[0,1] neg_hi:[0,1]
	v_pk_add_f32 v[58:59], v[62:63], v[58:59]
	v_mov_b32_e32 v64, v65
	v_mov_b32_e32 v62, v59
	v_pk_add_f32 v[70:71], v[62:63], v[60:61] neg_lo:[0,1] neg_hi:[0,1]
	v_mov_b32_e32 v58, v67
	v_mov_b32_e32 v63, v70
	v_pk_add_f32 v[72:73], v[66:67], v[62:63] neg_lo:[0,1] neg_hi:[0,1]
	v_mov_b32_e32 v66, v61
	v_mov_b32_e32 v67, v70
	;; [unrolled: 1-line block ×3, first 2 shown]
	v_pk_add_f32 v[58:59], v[58:59], v[66:67] neg_lo:[0,1] neg_hi:[0,1]
	v_mov_b32_e32 v65, v60
	v_pk_add_f32 v[58:59], v[64:65], v[58:59] neg_lo:[0,1] neg_hi:[0,1]
	v_mov_b32_e32 v72, v68
	v_pk_add_f32 v[60:61], v[72:73], v[58:59]
	s_mov_b32 s6, 0x33800000
	v_mov_b32_e32 v64, v61
	v_pk_add_f32 v[64:65], v[60:61], v[64:65]
	v_cmp_lt_f32_e64 s[6:7], |v74|, s6
	v_pk_add_f32 v[62:63], v[62:63], v[64:65]
	v_mov_b32_e32 v59, v64
	v_mov_b32_e32 v61, v62
	v_pk_add_f32 v[66:67], v[60:61], v[68:69] neg_lo:[0,1] neg_hi:[0,1]
	s_or_b64 vcc, vcc, s[6:7]
	v_sub_f32_e32 v60, v60, v66
	v_pk_add_f32 v[58:59], v[58:59], v[66:67] neg_lo:[0,1] neg_hi:[0,1]
	v_sub_f32_e32 v60, v68, v60
	v_add_f32_e32 v58, v58, v60
	v_add_f32_e32 v58, v58, v59
	;; [unrolled: 1-line block ×3, first 2 shown]
	v_cndmask_b32_e32 v58, v58, v74, vcc
	v_add_f32_e32 v59, v57, v58
.LBB131_120:
	s_or_b64 exec, exec, s[48:49]
	v_mov_b32_e32 v58, v59
.LBB131_121:
	s_or_b64 exec, exec, s[4:5]
	s_nop 0
	v_mov_b32_dpp v59, v58 row_bcast:31 row_mask:0xf bank_mask:0xf
	v_cmp_lt_u32_e32 vcc, 31, v29
	s_and_saveexec_b64 s[4:5], vcc
	s_cbranch_execz .LBB131_125
; %bb.122:
	v_max_f32_e32 v57, v58, v58
	v_max_f32_e32 v61, v59, v59
	v_min_f32_e32 v60, v61, v57
	v_cmp_u_f32_e32 vcc, v59, v59
	v_max_f32_e32 v57, v61, v57
	v_cmp_u_f32_e64 s[48:49], v58, v58
	v_cndmask_b32_e32 v60, v60, v59, vcc
	v_cndmask_b32_e32 v57, v57, v59, vcc
	v_cndmask_b32_e64 v60, v60, v58, s[48:49]
	v_cndmask_b32_e64 v57, v57, v58, s[48:49]
	s_movk_i32 s6, 0x1f8
	v_cmp_neq_f32_e32 vcc, v60, v57
	v_cmp_class_f32_e64 s[6:7], v60, s6
	s_or_b64 s[6:7], vcc, s[6:7]
	s_and_saveexec_b64 s[48:49], s[6:7]
	s_cbranch_execz .LBB131_124
; %bb.123:
	v_sub_f32_e32 v58, v60, v57
	s_mov_b32 s6, 0x3fb8aa3b
	v_mul_f32_e32 v59, 0x3fb8aa3b, v58
	v_fma_f32 v60, v58, s6, -v59
	v_rndne_f32_e32 v61, v59
	v_fmamk_f32 v60, v58, 0x32a5705f, v60
	v_sub_f32_e32 v59, v59, v61
	v_add_f32_e32 v59, v59, v60
	v_exp_f32_e32 v59, v59
	v_cvt_i32_f32_e32 v60, v61
	s_mov_b32 s6, 0xc2ce8ed0
	v_cmp_ngt_f32_e32 vcc, s6, v58
	s_mov_b32 s6, 0x42b17218
	v_ldexp_f32 v59, v59, v60
	v_cndmask_b32_e32 v59, 0, v59, vcc
	v_mov_b32_e32 v60, 0x7f800000
	v_cmp_nlt_f32_e32 vcc, s6, v58
	s_mov_b32 s6, 0x3f2aaaab
	s_mov_b32 s7, 0x7f800000
	v_cndmask_b32_e32 v74, v60, v59, vcc
	v_add_f32_e32 v60, 1.0, v74
	v_add_f32_e32 v58, -1.0, v60
	v_sub_f32_e32 v59, v58, v60
	v_add_f32_e32 v59, 1.0, v59
	v_sub_f32_e32 v58, v74, v58
	v_add_f32_e32 v61, v58, v59
	v_frexp_mant_f32_e32 v62, v60
	v_cvt_f64_f32_e32 v[58:59], v60
	v_frexp_exp_i32_f64_e32 v58, v[58:59]
	v_cmp_gt_f32_e32 vcc, s6, v62
	s_mov_b32 s6, 0x3f317218
	s_nop 0
	v_subbrev_co_u32_e32 v66, vcc, 0, v58, vcc
	v_sub_u32_e32 v58, 0, v66
	v_ldexp_f32 v59, v60, v58
	v_add_f32_e32 v60, -1.0, v59
	v_add_f32_e32 v62, 1.0, v59
	v_ldexp_f32 v58, v61, v58
	v_add_f32_e32 v61, 1.0, v60
	v_add_f32_e32 v63, -1.0, v62
	v_sub_f32_e32 v61, v59, v61
	v_sub_f32_e32 v59, v59, v63
	v_add_f32_e32 v61, v58, v61
	v_add_f32_e32 v58, v58, v59
	;; [unrolled: 1-line block ×3, first 2 shown]
	v_rcp_f32_e32 v69, v67
	v_sub_f32_e32 v59, v62, v67
	v_add_f32_e32 v68, v58, v59
	v_add_f32_e32 v59, v60, v61
	v_mul_f32_e32 v71, v59, v69
	v_sub_f32_e32 v58, v60, v59
	v_mul_f32_e32 v60, v67, v71
	v_fma_f32 v62, v71, v67, -v60
	v_fmac_f32_e32 v62, v71, v68
	v_add_f32_e32 v70, v61, v58
	v_add_f32_e32 v58, v60, v62
	v_sub_f32_e32 v61, v59, v58
	v_pk_add_f32 v[64:65], v[58:59], v[60:61] neg_lo:[0,1] neg_hi:[0,1]
	v_mov_b32_e32 v63, v58
	v_pk_add_f32 v[58:59], v[64:65], v[62:63] neg_lo:[0,1] neg_hi:[0,1]
	v_cmp_eq_f32_e32 vcc, s7, v74
	v_add_f32_e32 v59, v70, v59
	v_add_f32_e32 v58, v58, v59
	;; [unrolled: 1-line block ×3, first 2 shown]
	v_mul_f32_e32 v70, v69, v59
	v_mul_f32_e32 v60, v67, v70
	v_fma_f32 v62, v70, v67, -v60
	v_fmac_f32_e32 v62, v70, v68
	v_sub_f32_e32 v61, v61, v59
	v_add_f32_e32 v67, v58, v61
	v_add_f32_e32 v58, v60, v62
	v_sub_f32_e32 v61, v59, v58
	v_pk_add_f32 v[64:65], v[58:59], v[60:61] neg_lo:[0,1] neg_hi:[0,1]
	v_mov_b32_e32 v63, v58
	v_pk_add_f32 v[58:59], v[64:65], v[62:63] neg_lo:[0,1] neg_hi:[0,1]
	v_cvt_f32_i32_e32 v60, v66
	v_add_f32_e32 v59, v67, v59
	v_add_f32_e32 v58, v58, v59
	;; [unrolled: 1-line block ×4, first 2 shown]
	v_sub_f32_e32 v59, v61, v71
	v_mul_f32_e32 v58, v69, v58
	v_sub_f32_e32 v59, v70, v59
	v_add_f32_e32 v58, v59, v58
	v_add_f32_e32 v62, v61, v58
	v_mul_f32_e32 v64, v62, v62
	v_mov_b32_e32 v59, 0x3ecc95a3
	v_sub_f32_e32 v61, v62, v61
	v_fmac_f32_e32 v59, 0x3e9b6dac, v64
	v_sub_f32_e32 v58, v58, v61
	v_fmaak_f32 v59, v64, v59, 0x3f2aaada
	v_ldexp_f32 v65, v58, 1
	v_mul_f32_e32 v61, v62, v64
	v_mov_b32_e32 v58, 0x3f317218
	v_pk_mul_f32 v[58:59], v[60:61], v[58:59]
	v_ldexp_f32 v63, v62, 1
	v_fma_f32 v61, v60, s6, -v58
	v_fmamk_f32 v62, v60, 0xb102e308, v61
	v_pk_add_f32 v[60:61], v[58:59], v[62:63]
	v_mov_b32_e32 v64, v58
	v_sub_f32_e32 v63, v61, v63
	v_sub_f32_e32 v63, v59, v63
	v_add_f32_e32 v65, v65, v63
	v_pk_add_f32 v[58:59], v[60:61], v[58:59] neg_lo:[0,1] neg_hi:[0,1]
	v_pk_add_f32 v[66:67], v[60:61], v[64:65]
	v_mov_b32_e32 v63, v60
	v_mov_b32_e32 v59, v67
	v_pk_add_f32 v[68:69], v[62:63], v[58:59] neg_lo:[0,1] neg_hi:[0,1]
	v_pk_add_f32 v[58:59], v[62:63], v[58:59]
	v_mov_b32_e32 v64, v65
	v_mov_b32_e32 v62, v59
	v_pk_add_f32 v[70:71], v[62:63], v[60:61] neg_lo:[0,1] neg_hi:[0,1]
	v_mov_b32_e32 v58, v67
	v_mov_b32_e32 v63, v70
	v_pk_add_f32 v[72:73], v[66:67], v[62:63] neg_lo:[0,1] neg_hi:[0,1]
	v_mov_b32_e32 v66, v61
	v_mov_b32_e32 v67, v70
	;; [unrolled: 1-line block ×3, first 2 shown]
	v_pk_add_f32 v[58:59], v[58:59], v[66:67] neg_lo:[0,1] neg_hi:[0,1]
	v_mov_b32_e32 v65, v60
	v_pk_add_f32 v[58:59], v[64:65], v[58:59] neg_lo:[0,1] neg_hi:[0,1]
	v_mov_b32_e32 v72, v68
	v_pk_add_f32 v[60:61], v[72:73], v[58:59]
	s_mov_b32 s6, 0x33800000
	v_mov_b32_e32 v64, v61
	v_pk_add_f32 v[64:65], v[60:61], v[64:65]
	v_cmp_lt_f32_e64 s[6:7], |v74|, s6
	v_pk_add_f32 v[62:63], v[62:63], v[64:65]
	v_mov_b32_e32 v59, v64
	v_mov_b32_e32 v61, v62
	v_pk_add_f32 v[66:67], v[60:61], v[68:69] neg_lo:[0,1] neg_hi:[0,1]
	s_or_b64 vcc, vcc, s[6:7]
	v_sub_f32_e32 v60, v60, v66
	v_pk_add_f32 v[58:59], v[58:59], v[66:67] neg_lo:[0,1] neg_hi:[0,1]
	v_sub_f32_e32 v60, v68, v60
	v_add_f32_e32 v58, v58, v60
	v_add_f32_e32 v58, v58, v59
	;; [unrolled: 1-line block ×3, first 2 shown]
	v_cndmask_b32_e32 v58, v58, v74, vcc
	v_add_f32_e32 v59, v57, v58
.LBB131_124:
	s_or_b64 exec, exec, s[48:49]
	v_mov_b32_e32 v58, v59
.LBB131_125:
	s_or_b64 exec, exec, s[4:5]
	v_add_u32_e32 v57, -1, v29
	v_and_b32_e32 v59, 64, v29
	v_cmp_lt_i32_e32 vcc, v57, v59
	s_nop 1
	v_cndmask_b32_e32 v29, v57, v29, vcc
	v_lshlrev_b32_e32 v29, 2, v29
	ds_bpermute_b32 v29, v29, v58
	s_waitcnt lgkmcnt(0)
	v_max_f32_e32 v57, v29, v29
	v_cmp_u_f32_e32 vcc, v29, v29
	v_min_f32_e32 v58, v57, v56
	v_max_f32_e32 v56, v57, v56
	v_cndmask_b32_e32 v57, v58, v29, vcc
	v_cndmask_b32_e32 v58, v56, v29, vcc
	v_cndmask_b32_e64 v56, v57, v28, s[98:99]
	v_cndmask_b32_e64 v28, v58, v28, s[98:99]
	v_cmp_neq_f32_e32 vcc, v56, v28
	v_cmp_class_f32_e64 s[4:5], v56, s33
	s_or_b64 s[6:7], vcc, s[4:5]
	s_and_saveexec_b64 s[4:5], s[6:7]
	s_cbranch_execz .LBB131_127
; %bb.126:
	v_sub_f32_e32 v29, v56, v28
	s_mov_b32 s6, 0x3fb8aa3b
	v_mul_f32_e32 v56, 0x3fb8aa3b, v29
	v_fma_f32 v57, v29, s6, -v56
	v_rndne_f32_e32 v58, v56
	v_fmamk_f32 v57, v29, 0x32a5705f, v57
	v_sub_f32_e32 v56, v56, v58
	v_add_f32_e32 v56, v56, v57
	v_exp_f32_e32 v56, v56
	v_cvt_i32_f32_e32 v57, v58
	s_mov_b32 s6, 0xc2ce8ed0
	v_cmp_ngt_f32_e32 vcc, s6, v29
	s_mov_b32 s6, 0x42b17218
	v_ldexp_f32 v56, v56, v57
	v_cndmask_b32_e32 v56, 0, v56, vcc
	v_mov_b32_e32 v57, 0x7f800000
	v_cmp_nlt_f32_e32 vcc, s6, v29
	s_mov_b32 s6, 0x3f2aaaab
	s_mov_b32 s7, 0x7f800000
	v_cndmask_b32_e32 v72, v57, v56, vcc
	v_add_f32_e32 v29, 1.0, v72
	v_add_f32_e32 v56, -1.0, v29
	v_sub_f32_e32 v57, v56, v29
	v_add_f32_e32 v57, 1.0, v57
	v_sub_f32_e32 v56, v72, v56
	v_add_f32_e32 v58, v56, v57
	v_frexp_mant_f32_e32 v59, v29
	v_cvt_f64_f32_e32 v[56:57], v29
	v_frexp_exp_i32_f64_e32 v56, v[56:57]
	v_cmp_gt_f32_e32 vcc, s6, v59
	s_mov_b32 s6, 0x3f317218
	s_nop 0
	v_subbrev_co_u32_e32 v64, vcc, 0, v56, vcc
	v_sub_u32_e32 v56, 0, v64
	v_ldexp_f32 v29, v29, v56
	v_ldexp_f32 v56, v58, v56
	v_add_f32_e32 v58, -1.0, v29
	v_add_f32_e32 v57, 1.0, v58
	v_sub_f32_e32 v57, v29, v57
	v_add_f32_e32 v59, v56, v57
	v_add_f32_e32 v57, 1.0, v29
	v_add_f32_e32 v60, -1.0, v57
	v_sub_f32_e32 v29, v29, v60
	v_add_f32_e32 v29, v56, v29
	v_add_f32_e32 v65, v57, v29
	v_rcp_f32_e32 v66, v65
	v_sub_f32_e32 v56, v57, v65
	v_add_f32_e32 v57, v58, v59
	v_add_f32_e32 v29, v29, v56
	v_mul_f32_e32 v68, v57, v66
	v_sub_f32_e32 v56, v58, v57
	v_mul_f32_e32 v58, v65, v68
	v_fma_f32 v60, v68, v65, -v58
	v_fmac_f32_e32 v60, v68, v29
	v_add_f32_e32 v67, v59, v56
	v_add_f32_e32 v56, v58, v60
	v_sub_f32_e32 v59, v57, v56
	v_pk_add_f32 v[62:63], v[56:57], v[58:59] neg_lo:[0,1] neg_hi:[0,1]
	v_mov_b32_e32 v61, v56
	v_pk_add_f32 v[56:57], v[62:63], v[60:61] neg_lo:[0,1] neg_hi:[0,1]
	v_cmp_eq_f32_e32 vcc, s7, v72
	v_add_f32_e32 v57, v67, v57
	v_add_f32_e32 v56, v56, v57
	;; [unrolled: 1-line block ×3, first 2 shown]
	v_mul_f32_e32 v67, v66, v57
	v_mul_f32_e32 v58, v65, v67
	v_fma_f32 v60, v67, v65, -v58
	v_fmac_f32_e32 v60, v67, v29
	v_sub_f32_e32 v29, v59, v57
	v_add_f32_e32 v29, v56, v29
	v_add_f32_e32 v56, v58, v60
	v_sub_f32_e32 v59, v57, v56
	v_pk_add_f32 v[62:63], v[56:57], v[58:59] neg_lo:[0,1] neg_hi:[0,1]
	v_mov_b32_e32 v61, v56
	v_pk_add_f32 v[56:57], v[62:63], v[60:61] neg_lo:[0,1] neg_hi:[0,1]
	v_cvt_f32_i32_e32 v58, v64
	v_add_f32_e32 v29, v29, v57
	v_add_f32_e32 v29, v56, v29
	;; [unrolled: 1-line block ×4, first 2 shown]
	v_sub_f32_e32 v57, v56, v68
	v_mul_f32_e32 v29, v66, v29
	v_sub_f32_e32 v57, v67, v57
	v_add_f32_e32 v29, v57, v29
	v_add_f32_e32 v59, v56, v29
	v_mul_f32_e32 v60, v59, v59
	v_mov_b32_e32 v57, 0x3ecc95a3
	v_fmac_f32_e32 v57, 0x3e9b6dac, v60
	v_sub_f32_e32 v56, v59, v56
	v_fmaak_f32 v57, v60, v57, 0x3f2aaada
	v_sub_f32_e32 v29, v29, v56
	v_ldexp_f32 v61, v59, 1
	v_mul_f32_e32 v59, v59, v60
	v_mov_b32_e32 v56, 0x3f317218
	v_pk_mul_f32 v[56:57], v[58:59], v[56:57]
	v_ldexp_f32 v29, v29, 1
	v_fma_f32 v59, v58, s6, -v56
	v_fmamk_f32 v60, v58, 0xb102e308, v59
	v_pk_add_f32 v[58:59], v[56:57], v[60:61]
	v_mov_b32_e32 v62, v56
	v_sub_f32_e32 v61, v59, v61
	v_sub_f32_e32 v61, v57, v61
	v_add_f32_e32 v63, v29, v61
	v_pk_add_f32 v[56:57], v[58:59], v[56:57] neg_lo:[0,1] neg_hi:[0,1]
	v_pk_add_f32 v[64:65], v[58:59], v[62:63]
	v_mov_b32_e32 v61, v58
	v_mov_b32_e32 v57, v65
	v_pk_add_f32 v[66:67], v[60:61], v[56:57] neg_lo:[0,1] neg_hi:[0,1]
	v_pk_add_f32 v[56:57], v[60:61], v[56:57]
	v_mov_b32_e32 v62, v63
	v_mov_b32_e32 v60, v57
	v_pk_add_f32 v[68:69], v[60:61], v[58:59] neg_lo:[0,1] neg_hi:[0,1]
	v_mov_b32_e32 v56, v65
	v_mov_b32_e32 v29, v68
	v_pk_add_f32 v[70:71], v[64:65], v[28:29] neg_lo:[0,1] neg_hi:[0,1]
	v_mov_b32_e32 v64, v59
	v_mov_b32_e32 v65, v68
	;; [unrolled: 1-line block ×3, first 2 shown]
	v_pk_add_f32 v[56:57], v[56:57], v[64:65] neg_lo:[0,1] neg_hi:[0,1]
	v_mov_b32_e32 v63, v58
	v_pk_add_f32 v[56:57], v[62:63], v[56:57] neg_lo:[0,1] neg_hi:[0,1]
	v_mov_b32_e32 v70, v66
	v_pk_add_f32 v[58:59], v[70:71], v[56:57]
	s_mov_b32 s6, 0x33800000
	v_mov_b32_e32 v62, v59
	v_pk_add_f32 v[62:63], v[58:59], v[62:63]
	v_cmp_lt_f32_e64 s[6:7], |v72|, s6
	v_pk_add_f32 v[60:61], v[60:61], v[62:63]
	v_mov_b32_e32 v57, v62
	v_mov_b32_e32 v59, v60
	v_pk_add_f32 v[64:65], v[58:59], v[66:67] neg_lo:[0,1] neg_hi:[0,1]
	s_or_b64 vcc, vcc, s[6:7]
	v_sub_f32_e32 v29, v58, v64
	v_pk_add_f32 v[56:57], v[56:57], v[64:65] neg_lo:[0,1] neg_hi:[0,1]
	v_sub_f32_e32 v29, v66, v29
	v_add_f32_e32 v29, v56, v29
	v_add_f32_e32 v29, v29, v57
	;; [unrolled: 1-line block ×3, first 2 shown]
	v_cndmask_b32_e32 v29, v29, v72, vcc
	v_add_f32_e32 v29, v28, v29
.LBB131_127:
	s_or_b64 exec, exec, s[4:5]
	v_cmp_eq_u32_e32 vcc, 0, v0
	; wave barrier
	s_nop 1
	v_cndmask_b32_e32 v29, v29, v54, vcc
	ds_write_b32 v55, v29
	; wave barrier
	ds_read_b32 v28, v55 offset:4
	v_max_f32_e32 v57, v29, v29
	v_cmp_u_f32_e32 vcc, v29, v29
	s_waitcnt lgkmcnt(0)
	v_max_f32_e32 v58, v28, v28
	v_min_f32_e32 v56, v57, v58
	v_max_f32_e32 v57, v57, v58
	v_cndmask_b32_e32 v56, v56, v29, vcc
	v_cmp_u_f32_e64 s[48:49], v28, v28
	v_cndmask_b32_e32 v57, v57, v29, vcc
	s_nop 0
	v_cndmask_b32_e64 v56, v56, v28, s[48:49]
	v_cndmask_b32_e64 v28, v57, v28, s[48:49]
	v_cmp_neq_f32_e32 vcc, v56, v28
	v_cmp_class_f32_e64 s[4:5], v56, s33
	s_or_b64 s[6:7], vcc, s[4:5]
	s_and_saveexec_b64 s[4:5], s[6:7]
	s_cbranch_execz .LBB131_129
; %bb.128:
	v_sub_f32_e32 v29, v56, v28
	s_mov_b32 s6, 0x3fb8aa3b
	v_mul_f32_e32 v56, 0x3fb8aa3b, v29
	v_fma_f32 v57, v29, s6, -v56
	v_rndne_f32_e32 v58, v56
	v_fmamk_f32 v57, v29, 0x32a5705f, v57
	v_sub_f32_e32 v56, v56, v58
	v_add_f32_e32 v56, v56, v57
	v_exp_f32_e32 v56, v56
	v_cvt_i32_f32_e32 v57, v58
	s_mov_b32 s6, 0xc2ce8ed0
	v_cmp_ngt_f32_e32 vcc, s6, v29
	s_mov_b32 s6, 0x42b17218
	v_ldexp_f32 v56, v56, v57
	v_cndmask_b32_e32 v56, 0, v56, vcc
	v_mov_b32_e32 v57, 0x7f800000
	v_cmp_nlt_f32_e32 vcc, s6, v29
	s_mov_b32 s6, 0x3f2aaaab
	s_mov_b32 s7, 0x7f800000
	v_cndmask_b32_e32 v72, v57, v56, vcc
	v_add_f32_e32 v29, 1.0, v72
	v_add_f32_e32 v56, -1.0, v29
	v_sub_f32_e32 v57, v56, v29
	v_add_f32_e32 v57, 1.0, v57
	v_sub_f32_e32 v56, v72, v56
	v_add_f32_e32 v58, v56, v57
	v_frexp_mant_f32_e32 v59, v29
	v_cvt_f64_f32_e32 v[56:57], v29
	v_frexp_exp_i32_f64_e32 v56, v[56:57]
	v_cmp_gt_f32_e32 vcc, s6, v59
	s_mov_b32 s6, 0x3f317218
	s_nop 0
	v_subbrev_co_u32_e32 v64, vcc, 0, v56, vcc
	v_sub_u32_e32 v56, 0, v64
	v_ldexp_f32 v29, v29, v56
	v_ldexp_f32 v56, v58, v56
	v_add_f32_e32 v58, -1.0, v29
	v_add_f32_e32 v57, 1.0, v58
	v_sub_f32_e32 v57, v29, v57
	v_add_f32_e32 v59, v56, v57
	v_add_f32_e32 v57, 1.0, v29
	v_add_f32_e32 v60, -1.0, v57
	v_sub_f32_e32 v29, v29, v60
	v_add_f32_e32 v29, v56, v29
	v_add_f32_e32 v65, v57, v29
	v_rcp_f32_e32 v66, v65
	v_sub_f32_e32 v56, v57, v65
	v_add_f32_e32 v57, v58, v59
	v_add_f32_e32 v29, v29, v56
	v_mul_f32_e32 v68, v57, v66
	v_sub_f32_e32 v56, v58, v57
	v_mul_f32_e32 v58, v65, v68
	v_fma_f32 v60, v68, v65, -v58
	v_fmac_f32_e32 v60, v68, v29
	v_add_f32_e32 v67, v59, v56
	v_add_f32_e32 v56, v58, v60
	v_sub_f32_e32 v59, v57, v56
	v_pk_add_f32 v[62:63], v[56:57], v[58:59] neg_lo:[0,1] neg_hi:[0,1]
	v_mov_b32_e32 v61, v56
	v_pk_add_f32 v[56:57], v[62:63], v[60:61] neg_lo:[0,1] neg_hi:[0,1]
	v_cmp_eq_f32_e32 vcc, s7, v72
	v_add_f32_e32 v57, v67, v57
	v_add_f32_e32 v56, v56, v57
	;; [unrolled: 1-line block ×3, first 2 shown]
	v_mul_f32_e32 v67, v66, v57
	v_mul_f32_e32 v58, v65, v67
	v_fma_f32 v60, v67, v65, -v58
	v_fmac_f32_e32 v60, v67, v29
	v_sub_f32_e32 v29, v59, v57
	v_add_f32_e32 v29, v56, v29
	v_add_f32_e32 v56, v58, v60
	v_sub_f32_e32 v59, v57, v56
	v_pk_add_f32 v[62:63], v[56:57], v[58:59] neg_lo:[0,1] neg_hi:[0,1]
	v_mov_b32_e32 v61, v56
	v_pk_add_f32 v[56:57], v[62:63], v[60:61] neg_lo:[0,1] neg_hi:[0,1]
	v_cvt_f32_i32_e32 v58, v64
	v_add_f32_e32 v29, v29, v57
	v_add_f32_e32 v29, v56, v29
	;; [unrolled: 1-line block ×4, first 2 shown]
	v_sub_f32_e32 v57, v56, v68
	v_mul_f32_e32 v29, v66, v29
	v_sub_f32_e32 v57, v67, v57
	v_add_f32_e32 v29, v57, v29
	v_add_f32_e32 v59, v56, v29
	v_mul_f32_e32 v60, v59, v59
	v_mov_b32_e32 v57, 0x3ecc95a3
	v_fmac_f32_e32 v57, 0x3e9b6dac, v60
	v_sub_f32_e32 v56, v59, v56
	v_fmaak_f32 v57, v60, v57, 0x3f2aaada
	v_sub_f32_e32 v29, v29, v56
	v_ldexp_f32 v61, v59, 1
	v_mul_f32_e32 v59, v59, v60
	v_mov_b32_e32 v56, 0x3f317218
	v_pk_mul_f32 v[56:57], v[58:59], v[56:57]
	v_ldexp_f32 v29, v29, 1
	v_fma_f32 v59, v58, s6, -v56
	v_fmamk_f32 v60, v58, 0xb102e308, v59
	v_pk_add_f32 v[58:59], v[56:57], v[60:61]
	v_mov_b32_e32 v62, v56
	v_sub_f32_e32 v61, v59, v61
	v_sub_f32_e32 v61, v57, v61
	v_add_f32_e32 v63, v29, v61
	v_pk_add_f32 v[56:57], v[58:59], v[56:57] neg_lo:[0,1] neg_hi:[0,1]
	v_pk_add_f32 v[64:65], v[58:59], v[62:63]
	v_mov_b32_e32 v61, v58
	v_mov_b32_e32 v57, v65
	v_pk_add_f32 v[66:67], v[60:61], v[56:57] neg_lo:[0,1] neg_hi:[0,1]
	v_pk_add_f32 v[56:57], v[60:61], v[56:57]
	v_mov_b32_e32 v62, v63
	v_mov_b32_e32 v60, v57
	v_pk_add_f32 v[68:69], v[60:61], v[58:59] neg_lo:[0,1] neg_hi:[0,1]
	v_mov_b32_e32 v56, v65
	v_mov_b32_e32 v29, v68
	v_pk_add_f32 v[70:71], v[64:65], v[28:29] neg_lo:[0,1] neg_hi:[0,1]
	v_mov_b32_e32 v64, v59
	v_mov_b32_e32 v65, v68
	;; [unrolled: 1-line block ×3, first 2 shown]
	v_pk_add_f32 v[56:57], v[56:57], v[64:65] neg_lo:[0,1] neg_hi:[0,1]
	v_mov_b32_e32 v63, v58
	v_pk_add_f32 v[56:57], v[62:63], v[56:57] neg_lo:[0,1] neg_hi:[0,1]
	v_mov_b32_e32 v70, v66
	v_pk_add_f32 v[58:59], v[70:71], v[56:57]
	s_mov_b32 s6, 0x33800000
	v_mov_b32_e32 v62, v59
	v_pk_add_f32 v[62:63], v[58:59], v[62:63]
	v_cmp_lt_f32_e64 s[6:7], |v72|, s6
	v_pk_add_f32 v[60:61], v[60:61], v[62:63]
	v_mov_b32_e32 v57, v62
	v_mov_b32_e32 v59, v60
	v_pk_add_f32 v[64:65], v[58:59], v[66:67] neg_lo:[0,1] neg_hi:[0,1]
	s_or_b64 vcc, vcc, s[6:7]
	v_sub_f32_e32 v29, v58, v64
	v_pk_add_f32 v[56:57], v[56:57], v[64:65] neg_lo:[0,1] neg_hi:[0,1]
	v_sub_f32_e32 v29, v66, v29
	v_add_f32_e32 v29, v56, v29
	v_add_f32_e32 v29, v29, v57
	;; [unrolled: 1-line block ×3, first 2 shown]
	v_cndmask_b32_e32 v29, v29, v72, vcc
	v_add_f32_e32 v29, v28, v29
.LBB131_129:
	s_or_b64 exec, exec, s[4:5]
	ds_read_b32 v28, v55 offset:8
	v_max_f32_e32 v57, v29, v29
	v_cmp_u_f32_e32 vcc, v29, v29
	ds_write_b32 v55, v29 offset:4
	s_waitcnt lgkmcnt(1)
	v_max_f32_e32 v58, v28, v28
	v_min_f32_e32 v56, v57, v58
	v_max_f32_e32 v57, v57, v58
	v_cmp_u_f32_e64 s[48:49], v28, v28
	v_cndmask_b32_e32 v56, v56, v29, vcc
	v_cndmask_b32_e32 v57, v57, v29, vcc
	v_cndmask_b32_e64 v56, v56, v28, s[48:49]
	v_cndmask_b32_e64 v28, v57, v28, s[48:49]
	v_cmp_neq_f32_e32 vcc, v56, v28
	v_cmp_class_f32_e64 s[4:5], v56, s33
	s_or_b64 s[6:7], vcc, s[4:5]
	s_and_saveexec_b64 s[4:5], s[6:7]
	s_cbranch_execz .LBB131_131
; %bb.130:
	v_sub_f32_e32 v29, v56, v28
	s_mov_b32 s6, 0x3fb8aa3b
	v_mul_f32_e32 v56, 0x3fb8aa3b, v29
	v_fma_f32 v57, v29, s6, -v56
	v_rndne_f32_e32 v58, v56
	v_fmamk_f32 v57, v29, 0x32a5705f, v57
	v_sub_f32_e32 v56, v56, v58
	v_add_f32_e32 v56, v56, v57
	v_exp_f32_e32 v56, v56
	v_cvt_i32_f32_e32 v57, v58
	s_mov_b32 s6, 0xc2ce8ed0
	v_cmp_ngt_f32_e32 vcc, s6, v29
	s_mov_b32 s6, 0x42b17218
	v_ldexp_f32 v56, v56, v57
	v_cndmask_b32_e32 v56, 0, v56, vcc
	v_mov_b32_e32 v57, 0x7f800000
	v_cmp_nlt_f32_e32 vcc, s6, v29
	s_mov_b32 s6, 0x3f2aaaab
	s_mov_b32 s7, 0x7f800000
	v_cndmask_b32_e32 v72, v57, v56, vcc
	v_add_f32_e32 v29, 1.0, v72
	v_add_f32_e32 v56, -1.0, v29
	v_sub_f32_e32 v57, v56, v29
	v_add_f32_e32 v57, 1.0, v57
	v_sub_f32_e32 v56, v72, v56
	v_add_f32_e32 v58, v56, v57
	v_frexp_mant_f32_e32 v59, v29
	v_cvt_f64_f32_e32 v[56:57], v29
	v_frexp_exp_i32_f64_e32 v56, v[56:57]
	v_cmp_gt_f32_e32 vcc, s6, v59
	s_mov_b32 s6, 0x3f317218
	s_nop 0
	v_subbrev_co_u32_e32 v64, vcc, 0, v56, vcc
	v_sub_u32_e32 v56, 0, v64
	v_ldexp_f32 v29, v29, v56
	v_ldexp_f32 v56, v58, v56
	v_add_f32_e32 v58, -1.0, v29
	v_add_f32_e32 v57, 1.0, v58
	v_sub_f32_e32 v57, v29, v57
	v_add_f32_e32 v59, v56, v57
	v_add_f32_e32 v57, 1.0, v29
	v_add_f32_e32 v60, -1.0, v57
	v_sub_f32_e32 v29, v29, v60
	v_add_f32_e32 v29, v56, v29
	v_add_f32_e32 v65, v57, v29
	v_rcp_f32_e32 v66, v65
	v_sub_f32_e32 v56, v57, v65
	v_add_f32_e32 v57, v58, v59
	v_add_f32_e32 v29, v29, v56
	v_mul_f32_e32 v68, v57, v66
	v_sub_f32_e32 v56, v58, v57
	v_mul_f32_e32 v58, v65, v68
	v_fma_f32 v60, v68, v65, -v58
	v_fmac_f32_e32 v60, v68, v29
	v_add_f32_e32 v67, v59, v56
	v_add_f32_e32 v56, v58, v60
	v_sub_f32_e32 v59, v57, v56
	v_pk_add_f32 v[62:63], v[56:57], v[58:59] neg_lo:[0,1] neg_hi:[0,1]
	v_mov_b32_e32 v61, v56
	v_pk_add_f32 v[56:57], v[62:63], v[60:61] neg_lo:[0,1] neg_hi:[0,1]
	v_cmp_eq_f32_e32 vcc, s7, v72
	v_add_f32_e32 v57, v67, v57
	v_add_f32_e32 v56, v56, v57
	;; [unrolled: 1-line block ×3, first 2 shown]
	v_mul_f32_e32 v67, v66, v57
	v_mul_f32_e32 v58, v65, v67
	v_fma_f32 v60, v67, v65, -v58
	v_fmac_f32_e32 v60, v67, v29
	v_sub_f32_e32 v29, v59, v57
	v_add_f32_e32 v29, v56, v29
	v_add_f32_e32 v56, v58, v60
	v_sub_f32_e32 v59, v57, v56
	v_pk_add_f32 v[62:63], v[56:57], v[58:59] neg_lo:[0,1] neg_hi:[0,1]
	v_mov_b32_e32 v61, v56
	v_pk_add_f32 v[56:57], v[62:63], v[60:61] neg_lo:[0,1] neg_hi:[0,1]
	v_cvt_f32_i32_e32 v58, v64
	v_add_f32_e32 v29, v29, v57
	v_add_f32_e32 v29, v56, v29
	;; [unrolled: 1-line block ×4, first 2 shown]
	v_sub_f32_e32 v57, v56, v68
	v_mul_f32_e32 v29, v66, v29
	v_sub_f32_e32 v57, v67, v57
	v_add_f32_e32 v29, v57, v29
	v_add_f32_e32 v59, v56, v29
	v_mul_f32_e32 v60, v59, v59
	v_mov_b32_e32 v57, 0x3ecc95a3
	v_fmac_f32_e32 v57, 0x3e9b6dac, v60
	v_sub_f32_e32 v56, v59, v56
	v_fmaak_f32 v57, v60, v57, 0x3f2aaada
	v_sub_f32_e32 v29, v29, v56
	v_ldexp_f32 v61, v59, 1
	v_mul_f32_e32 v59, v59, v60
	v_mov_b32_e32 v56, 0x3f317218
	v_pk_mul_f32 v[56:57], v[58:59], v[56:57]
	v_ldexp_f32 v29, v29, 1
	v_fma_f32 v59, v58, s6, -v56
	v_fmamk_f32 v60, v58, 0xb102e308, v59
	v_pk_add_f32 v[58:59], v[56:57], v[60:61]
	v_mov_b32_e32 v62, v56
	v_sub_f32_e32 v61, v59, v61
	v_sub_f32_e32 v61, v57, v61
	v_add_f32_e32 v63, v29, v61
	v_pk_add_f32 v[56:57], v[58:59], v[56:57] neg_lo:[0,1] neg_hi:[0,1]
	v_pk_add_f32 v[64:65], v[58:59], v[62:63]
	v_mov_b32_e32 v61, v58
	v_mov_b32_e32 v57, v65
	v_pk_add_f32 v[66:67], v[60:61], v[56:57] neg_lo:[0,1] neg_hi:[0,1]
	v_pk_add_f32 v[56:57], v[60:61], v[56:57]
	v_mov_b32_e32 v62, v63
	v_mov_b32_e32 v60, v57
	v_pk_add_f32 v[68:69], v[60:61], v[58:59] neg_lo:[0,1] neg_hi:[0,1]
	v_mov_b32_e32 v56, v65
	v_mov_b32_e32 v29, v68
	v_pk_add_f32 v[70:71], v[64:65], v[28:29] neg_lo:[0,1] neg_hi:[0,1]
	v_mov_b32_e32 v64, v59
	v_mov_b32_e32 v65, v68
	;; [unrolled: 1-line block ×3, first 2 shown]
	v_pk_add_f32 v[56:57], v[56:57], v[64:65] neg_lo:[0,1] neg_hi:[0,1]
	v_mov_b32_e32 v63, v58
	v_pk_add_f32 v[56:57], v[62:63], v[56:57] neg_lo:[0,1] neg_hi:[0,1]
	v_mov_b32_e32 v70, v66
	v_pk_add_f32 v[58:59], v[70:71], v[56:57]
	s_mov_b32 s6, 0x33800000
	v_mov_b32_e32 v62, v59
	v_pk_add_f32 v[62:63], v[58:59], v[62:63]
	v_cmp_lt_f32_e64 s[6:7], |v72|, s6
	v_pk_add_f32 v[60:61], v[60:61], v[62:63]
	v_mov_b32_e32 v57, v62
	v_mov_b32_e32 v59, v60
	v_pk_add_f32 v[64:65], v[58:59], v[66:67] neg_lo:[0,1] neg_hi:[0,1]
	s_or_b64 vcc, vcc, s[6:7]
	v_sub_f32_e32 v29, v58, v64
	v_pk_add_f32 v[56:57], v[56:57], v[64:65] neg_lo:[0,1] neg_hi:[0,1]
	v_sub_f32_e32 v29, v66, v29
	v_add_f32_e32 v29, v56, v29
	v_add_f32_e32 v29, v29, v57
	;; [unrolled: 1-line block ×3, first 2 shown]
	v_cndmask_b32_e32 v29, v29, v72, vcc
	v_add_f32_e32 v29, v28, v29
.LBB131_131:
	s_or_b64 exec, exec, s[4:5]
	ds_read_b32 v28, v55 offset:12
	v_max_f32_e32 v57, v29, v29
	v_cmp_u_f32_e32 vcc, v29, v29
	ds_write_b32 v55, v29 offset:8
	s_waitcnt lgkmcnt(1)
	v_max_f32_e32 v58, v28, v28
	v_min_f32_e32 v56, v57, v58
	v_max_f32_e32 v57, v57, v58
	v_cmp_u_f32_e64 s[48:49], v28, v28
	v_cndmask_b32_e32 v56, v56, v29, vcc
	v_cndmask_b32_e32 v57, v57, v29, vcc
	v_cndmask_b32_e64 v56, v56, v28, s[48:49]
	v_cndmask_b32_e64 v28, v57, v28, s[48:49]
	v_cmp_neq_f32_e32 vcc, v56, v28
	v_cmp_class_f32_e64 s[4:5], v56, s33
	s_or_b64 s[6:7], vcc, s[4:5]
	s_and_saveexec_b64 s[4:5], s[6:7]
	s_cbranch_execz .LBB131_133
; %bb.132:
	v_sub_f32_e32 v29, v56, v28
	s_mov_b32 s6, 0x3fb8aa3b
	v_mul_f32_e32 v56, 0x3fb8aa3b, v29
	v_fma_f32 v57, v29, s6, -v56
	v_rndne_f32_e32 v58, v56
	v_fmamk_f32 v57, v29, 0x32a5705f, v57
	v_sub_f32_e32 v56, v56, v58
	v_add_f32_e32 v56, v56, v57
	v_exp_f32_e32 v56, v56
	v_cvt_i32_f32_e32 v57, v58
	s_mov_b32 s6, 0xc2ce8ed0
	v_cmp_ngt_f32_e32 vcc, s6, v29
	s_mov_b32 s6, 0x42b17218
	v_ldexp_f32 v56, v56, v57
	v_cndmask_b32_e32 v56, 0, v56, vcc
	v_mov_b32_e32 v57, 0x7f800000
	v_cmp_nlt_f32_e32 vcc, s6, v29
	s_mov_b32 s6, 0x3f2aaaab
	s_mov_b32 s7, 0x7f800000
	v_cndmask_b32_e32 v72, v57, v56, vcc
	v_add_f32_e32 v29, 1.0, v72
	v_add_f32_e32 v56, -1.0, v29
	v_sub_f32_e32 v57, v56, v29
	v_add_f32_e32 v57, 1.0, v57
	v_sub_f32_e32 v56, v72, v56
	v_add_f32_e32 v58, v56, v57
	v_frexp_mant_f32_e32 v59, v29
	v_cvt_f64_f32_e32 v[56:57], v29
	v_frexp_exp_i32_f64_e32 v56, v[56:57]
	v_cmp_gt_f32_e32 vcc, s6, v59
	s_mov_b32 s6, 0x3f317218
	s_nop 0
	v_subbrev_co_u32_e32 v64, vcc, 0, v56, vcc
	v_sub_u32_e32 v56, 0, v64
	v_ldexp_f32 v29, v29, v56
	v_ldexp_f32 v56, v58, v56
	v_add_f32_e32 v58, -1.0, v29
	v_add_f32_e32 v57, 1.0, v58
	v_sub_f32_e32 v57, v29, v57
	v_add_f32_e32 v59, v56, v57
	v_add_f32_e32 v57, 1.0, v29
	v_add_f32_e32 v60, -1.0, v57
	v_sub_f32_e32 v29, v29, v60
	v_add_f32_e32 v29, v56, v29
	v_add_f32_e32 v65, v57, v29
	v_rcp_f32_e32 v66, v65
	v_sub_f32_e32 v56, v57, v65
	v_add_f32_e32 v57, v58, v59
	v_add_f32_e32 v29, v29, v56
	v_mul_f32_e32 v68, v57, v66
	v_sub_f32_e32 v56, v58, v57
	v_mul_f32_e32 v58, v65, v68
	v_fma_f32 v60, v68, v65, -v58
	v_fmac_f32_e32 v60, v68, v29
	v_add_f32_e32 v67, v59, v56
	v_add_f32_e32 v56, v58, v60
	v_sub_f32_e32 v59, v57, v56
	v_pk_add_f32 v[62:63], v[56:57], v[58:59] neg_lo:[0,1] neg_hi:[0,1]
	v_mov_b32_e32 v61, v56
	v_pk_add_f32 v[56:57], v[62:63], v[60:61] neg_lo:[0,1] neg_hi:[0,1]
	v_cmp_eq_f32_e32 vcc, s7, v72
	v_add_f32_e32 v57, v67, v57
	v_add_f32_e32 v56, v56, v57
	;; [unrolled: 1-line block ×3, first 2 shown]
	v_mul_f32_e32 v67, v66, v57
	v_mul_f32_e32 v58, v65, v67
	v_fma_f32 v60, v67, v65, -v58
	v_fmac_f32_e32 v60, v67, v29
	v_sub_f32_e32 v29, v59, v57
	v_add_f32_e32 v29, v56, v29
	v_add_f32_e32 v56, v58, v60
	v_sub_f32_e32 v59, v57, v56
	v_pk_add_f32 v[62:63], v[56:57], v[58:59] neg_lo:[0,1] neg_hi:[0,1]
	v_mov_b32_e32 v61, v56
	v_pk_add_f32 v[56:57], v[62:63], v[60:61] neg_lo:[0,1] neg_hi:[0,1]
	v_cvt_f32_i32_e32 v58, v64
	v_add_f32_e32 v29, v29, v57
	v_add_f32_e32 v29, v56, v29
	;; [unrolled: 1-line block ×4, first 2 shown]
	v_sub_f32_e32 v57, v56, v68
	v_mul_f32_e32 v29, v66, v29
	v_sub_f32_e32 v57, v67, v57
	v_add_f32_e32 v29, v57, v29
	v_add_f32_e32 v59, v56, v29
	v_mul_f32_e32 v60, v59, v59
	v_mov_b32_e32 v57, 0x3ecc95a3
	v_fmac_f32_e32 v57, 0x3e9b6dac, v60
	v_sub_f32_e32 v56, v59, v56
	v_fmaak_f32 v57, v60, v57, 0x3f2aaada
	v_sub_f32_e32 v29, v29, v56
	v_ldexp_f32 v61, v59, 1
	v_mul_f32_e32 v59, v59, v60
	v_mov_b32_e32 v56, 0x3f317218
	v_pk_mul_f32 v[56:57], v[58:59], v[56:57]
	v_ldexp_f32 v29, v29, 1
	v_fma_f32 v59, v58, s6, -v56
	v_fmamk_f32 v60, v58, 0xb102e308, v59
	v_pk_add_f32 v[58:59], v[56:57], v[60:61]
	v_mov_b32_e32 v62, v56
	v_sub_f32_e32 v61, v59, v61
	v_sub_f32_e32 v61, v57, v61
	v_add_f32_e32 v63, v29, v61
	v_pk_add_f32 v[56:57], v[58:59], v[56:57] neg_lo:[0,1] neg_hi:[0,1]
	v_pk_add_f32 v[64:65], v[58:59], v[62:63]
	v_mov_b32_e32 v61, v58
	v_mov_b32_e32 v57, v65
	v_pk_add_f32 v[66:67], v[60:61], v[56:57] neg_lo:[0,1] neg_hi:[0,1]
	v_pk_add_f32 v[56:57], v[60:61], v[56:57]
	v_mov_b32_e32 v62, v63
	v_mov_b32_e32 v60, v57
	v_pk_add_f32 v[68:69], v[60:61], v[58:59] neg_lo:[0,1] neg_hi:[0,1]
	v_mov_b32_e32 v56, v65
	v_mov_b32_e32 v29, v68
	v_pk_add_f32 v[70:71], v[64:65], v[28:29] neg_lo:[0,1] neg_hi:[0,1]
	v_mov_b32_e32 v64, v59
	v_mov_b32_e32 v65, v68
	v_mov_b32_e32 v67, v57
	v_pk_add_f32 v[56:57], v[56:57], v[64:65] neg_lo:[0,1] neg_hi:[0,1]
	v_mov_b32_e32 v63, v58
	v_pk_add_f32 v[56:57], v[62:63], v[56:57] neg_lo:[0,1] neg_hi:[0,1]
	v_mov_b32_e32 v70, v66
	v_pk_add_f32 v[58:59], v[70:71], v[56:57]
	s_mov_b32 s6, 0x33800000
	v_mov_b32_e32 v62, v59
	v_pk_add_f32 v[62:63], v[58:59], v[62:63]
	v_cmp_lt_f32_e64 s[6:7], |v72|, s6
	v_pk_add_f32 v[60:61], v[60:61], v[62:63]
	v_mov_b32_e32 v57, v62
	v_mov_b32_e32 v59, v60
	v_pk_add_f32 v[64:65], v[58:59], v[66:67] neg_lo:[0,1] neg_hi:[0,1]
	s_or_b64 vcc, vcc, s[6:7]
	v_sub_f32_e32 v29, v58, v64
	v_pk_add_f32 v[56:57], v[56:57], v[64:65] neg_lo:[0,1] neg_hi:[0,1]
	v_sub_f32_e32 v29, v66, v29
	v_add_f32_e32 v29, v56, v29
	v_add_f32_e32 v29, v29, v57
	;; [unrolled: 1-line block ×3, first 2 shown]
	v_cndmask_b32_e32 v29, v29, v72, vcc
	v_add_f32_e32 v29, v28, v29
.LBB131_133:
	s_or_b64 exec, exec, s[4:5]
	ds_write_b32 v55, v29 offset:12
.LBB131_134:
	s_or_b64 exec, exec, s[2:3]
	s_load_dwordx2 s[48:49], s[0:1], 0x18
	v_mul_u32_u24_e32 v28, 0x5c, v0
	v_cmp_ne_u32_e64 s[0:1], 0, v0
	s_waitcnt lgkmcnt(0)
	s_barrier
	s_and_saveexec_b64 s[2:3], s[0:1]
	s_cbranch_execz .LBB131_136
; %bb.135:
	v_add_u32_e32 v0, -1, v0
	v_lshrrev_b32_e32 v29, 5, v0
	v_add_lshl_u32 v0, v29, v0, 2
	ds_read_b32 v54, v0
.LBB131_136:
	s_or_b64 exec, exec, s[2:3]
	s_and_saveexec_b64 s[2:3], s[0:1]
	s_cbranch_execz .LBB131_140
; %bb.137:
	s_waitcnt lgkmcnt(0)
	v_max_f32_e32 v0, v54, v54
	v_min_f32_e32 v29, v0, v53
	v_cmp_u_f32_e32 vcc, v54, v54
	v_max_f32_e32 v0, v0, v53
	s_movk_i32 s0, 0x1f8
	v_cndmask_b32_e32 v29, v29, v54, vcc
	v_cndmask_b32_e32 v0, v0, v54, vcc
	v_cndmask_b32_e64 v29, v29, v2, s[96:97]
	v_cndmask_b32_e64 v0, v0, v2, s[96:97]
	v_cmp_neq_f32_e32 vcc, v29, v0
	v_cmp_class_f32_e64 s[0:1], v29, s0
	s_or_b64 s[4:5], vcc, s[0:1]
	s_and_saveexec_b64 s[0:1], s[4:5]
	s_cbranch_execz .LBB131_139
; %bb.138:
	v_sub_f32_e32 v2, v29, v0
	s_mov_b32 s4, 0x3fb8aa3b
	v_mul_f32_e32 v29, 0x3fb8aa3b, v2
	v_fma_f32 v51, v2, s4, -v29
	v_rndne_f32_e32 v52, v29
	v_fmamk_f32 v51, v2, 0x32a5705f, v51
	v_sub_f32_e32 v29, v29, v52
	v_add_f32_e32 v29, v29, v51
	v_exp_f32_e32 v29, v29
	v_cvt_i32_f32_e32 v51, v52
	s_mov_b32 s4, 0xc2ce8ed0
	v_cmp_ngt_f32_e32 vcc, s4, v2
	s_mov_b32 s4, 0x42b17218
	v_ldexp_f32 v29, v29, v51
	v_cndmask_b32_e32 v29, 0, v29, vcc
	v_mov_b32_e32 v51, 0x7f800000
	v_cmp_nlt_f32_e32 vcc, s4, v2
	s_mov_b32 s4, 0x3f2aaaab
	s_mov_b32 s5, 0x7f800000
	v_cndmask_b32_e32 v51, v51, v29, vcc
	v_add_f32_e32 v2, 1.0, v51
	v_add_f32_e32 v29, -1.0, v2
	v_sub_f32_e32 v52, v29, v2
	v_add_f32_e32 v52, 1.0, v52
	v_sub_f32_e32 v29, v51, v29
	v_add_f32_e32 v29, v29, v52
	v_frexp_mant_f32_e32 v54, v2
	v_cvt_f64_f32_e32 v[52:53], v2
	v_frexp_exp_i32_f64_e32 v52, v[52:53]
	v_cmp_gt_f32_e32 vcc, s4, v54
	s_mov_b32 s4, 0x3f317218
	s_nop 0
	v_subbrev_co_u32_e32 v60, vcc, 0, v52, vcc
	v_sub_u32_e32 v52, 0, v60
	v_ldexp_f32 v2, v2, v52
	v_ldexp_f32 v29, v29, v52
	v_add_f32_e32 v52, -1.0, v2
	v_add_f32_e32 v53, 1.0, v52
	v_sub_f32_e32 v53, v2, v53
	v_add_f32_e32 v54, v29, v53
	v_add_f32_e32 v53, 1.0, v2
	v_add_f32_e32 v55, -1.0, v53
	v_sub_f32_e32 v2, v2, v55
	v_add_f32_e32 v2, v29, v2
	v_add_f32_e32 v29, v53, v2
	v_rcp_f32_e32 v61, v29
	v_sub_f32_e32 v53, v53, v29
	v_add_f32_e32 v2, v2, v53
	v_add_f32_e32 v53, v52, v54
	v_sub_f32_e32 v52, v52, v53
	v_mul_f32_e32 v63, v53, v61
	v_add_f32_e32 v62, v54, v52
	v_mul_f32_e32 v54, v29, v63
	v_fma_f32 v56, v63, v29, -v54
	v_fmac_f32_e32 v56, v63, v2
	v_add_f32_e32 v52, v54, v56
	v_sub_f32_e32 v55, v53, v52
	v_pk_add_f32 v[58:59], v[52:53], v[54:55] neg_lo:[0,1] neg_hi:[0,1]
	v_mov_b32_e32 v57, v52
	v_pk_add_f32 v[52:53], v[58:59], v[56:57] neg_lo:[0,1] neg_hi:[0,1]
	v_cmp_eq_f32_e32 vcc, s5, v51
	v_add_f32_e32 v53, v62, v53
	v_add_f32_e32 v52, v52, v53
	;; [unrolled: 1-line block ×3, first 2 shown]
	v_mul_f32_e32 v62, v61, v53
	v_mul_f32_e32 v54, v29, v62
	v_fma_f32 v56, v62, v29, -v54
	v_fmac_f32_e32 v56, v62, v2
	v_sub_f32_e32 v2, v55, v53
	v_add_f32_e32 v2, v52, v2
	v_add_f32_e32 v52, v54, v56
	v_sub_f32_e32 v55, v53, v52
	v_pk_add_f32 v[58:59], v[52:53], v[54:55] neg_lo:[0,1] neg_hi:[0,1]
	v_mov_b32_e32 v57, v52
	v_pk_add_f32 v[52:53], v[58:59], v[56:57] neg_lo:[0,1] neg_hi:[0,1]
	v_add_f32_e32 v29, v63, v62
	v_add_f32_e32 v2, v2, v53
	v_add_f32_e32 v2, v52, v2
	v_add_f32_e32 v2, v55, v2
	v_sub_f32_e32 v52, v29, v63
	v_mul_f32_e32 v2, v61, v2
	v_sub_f32_e32 v52, v62, v52
	v_add_f32_e32 v2, v52, v2
	v_add_f32_e32 v52, v29, v2
	v_cvt_f32_i32_e32 v54, v60
	v_mul_f32_e32 v55, v52, v52
	v_mov_b32_e32 v53, 0x3ecc95a3
	v_fmac_f32_e32 v53, 0x3e9b6dac, v55
	v_fmaak_f32 v53, v55, v53, 0x3f2aaada
	v_sub_f32_e32 v29, v52, v29
	v_ldexp_f32 v57, v52, 1
	v_mul_f32_e32 v55, v52, v55
	v_mov_b32_e32 v52, 0x3f317218
	v_pk_mul_f32 v[52:53], v[54:55], v[52:53]
	v_sub_f32_e32 v2, v2, v29
	v_fma_f32 v29, v54, s4, -v52
	v_fmamk_f32 v56, v54, 0xb102e308, v29
	v_pk_add_f32 v[54:55], v[52:53], v[56:57]
	v_ldexp_f32 v2, v2, 1
	v_sub_f32_e32 v29, v55, v57
	v_sub_f32_e32 v29, v53, v29
	v_add_f32_e32 v59, v2, v29
	v_mov_b32_e32 v58, v52
	v_pk_add_f32 v[52:53], v[54:55], v[52:53] neg_lo:[0,1] neg_hi:[0,1]
	v_pk_add_f32 v[60:61], v[54:55], v[58:59]
	v_mov_b32_e32 v57, v54
	v_mov_b32_e32 v53, v61
	v_pk_add_f32 v[62:63], v[56:57], v[52:53] neg_lo:[0,1] neg_hi:[0,1]
	v_pk_add_f32 v[52:53], v[56:57], v[52:53]
	s_mov_b32 s4, 0x33800000
	v_mov_b32_e32 v2, v53
	v_pk_add_f32 v[56:57], v[2:3], v[54:55] neg_lo:[0,1] neg_hi:[0,1]
	v_mov_b32_e32 v52, v61
	v_mov_b32_e32 v29, v56
	v_pk_add_f32 v[64:65], v[60:61], v[28:29] neg_lo:[0,1] neg_hi:[0,1]
	v_mov_b32_e32 v60, v55
	v_mov_b32_e32 v61, v56
	;; [unrolled: 1-line block ×3, first 2 shown]
	v_pk_add_f32 v[52:53], v[52:53], v[60:61] neg_lo:[0,1] neg_hi:[0,1]
	v_mov_b32_e32 v56, v59
	v_mov_b32_e32 v57, v54
	v_pk_add_f32 v[52:53], v[56:57], v[52:53] neg_lo:[0,1] neg_hi:[0,1]
	v_mov_b32_e32 v64, v62
	v_pk_add_f32 v[54:55], v[64:65], v[52:53]
	v_cmp_lt_f32_e64 s[4:5], |v51|, s4
	v_mov_b32_e32 v56, v55
	v_pk_add_f32 v[56:57], v[54:55], v[56:57]
	s_or_b64 vcc, vcc, s[4:5]
	v_pk_add_f32 v[58:59], v[2:3], v[56:57]
	v_mov_b32_e32 v53, v56
	v_mov_b32_e32 v55, v58
	v_pk_add_f32 v[60:61], v[54:55], v[62:63] neg_lo:[0,1] neg_hi:[0,1]
	s_nop 0
	v_sub_f32_e32 v2, v54, v60
	v_pk_add_f32 v[52:53], v[52:53], v[60:61] neg_lo:[0,1] neg_hi:[0,1]
	v_sub_f32_e32 v2, v62, v2
	v_add_f32_e32 v2, v52, v2
	v_add_f32_e32 v2, v2, v53
	;; [unrolled: 1-line block ×3, first 2 shown]
	v_cndmask_b32_e32 v2, v2, v51, vcc
	v_add_f32_e32 v54, v0, v2
.LBB131_139:
	s_or_b64 exec, exec, s[0:1]
	v_max_f32_e32 v0, v54, v54
	v_min_f32_e32 v51, v0, v34
	v_max_f32_e32 v52, v0, v34
	v_mov_b32_e32 v2, v54
	;;#ASMSTART
	;;#ASMEND
.LBB131_140:
	s_or_b64 exec, exec, s[2:3]
	v_cmp_u_f32_e32 vcc, v2, v2
	s_movk_i32 s2, 0x1f8
	s_nop 0
	v_cndmask_b32_e32 v0, v51, v2, vcc
	v_cndmask_b32_e64 v29, v0, v3, s[50:51]
	v_cndmask_b32_e32 v0, v52, v2, vcc
	v_cndmask_b32_e64 v0, v0, v3, s[50:51]
	v_cmp_neq_f32_e32 vcc, v29, v0
	v_cmp_class_f32_e64 s[0:1], v29, s2
	s_or_b64 s[4:5], vcc, s[0:1]
	v_mov_b32_e32 v3, v2
	s_and_saveexec_b64 s[0:1], s[4:5]
	s_cbranch_execz .LBB131_142
; %bb.141:
	v_sub_f32_e32 v3, v29, v0
	s_mov_b32 s3, 0x3fb8aa3b
	v_mul_f32_e32 v29, 0x3fb8aa3b, v3
	v_fma_f32 v34, v3, s3, -v29
	v_rndne_f32_e32 v51, v29
	v_fmamk_f32 v34, v3, 0x32a5705f, v34
	v_sub_f32_e32 v29, v29, v51
	v_add_f32_e32 v29, v29, v34
	v_exp_f32_e32 v29, v29
	v_cvt_i32_f32_e32 v34, v51
	s_mov_b32 s3, 0xc2ce8ed0
	v_cmp_ngt_f32_e32 vcc, s3, v3
	s_mov_b32 s3, 0x42b17218
	v_ldexp_f32 v29, v29, v34
	v_cndmask_b32_e32 v29, 0, v29, vcc
	v_mov_b32_e32 v34, 0x7f800000
	v_cmp_nlt_f32_e32 vcc, s3, v3
	s_mov_b32 s3, 0x3f2aaaab
	s_mov_b32 s4, 0x7f800000
	v_cndmask_b32_e32 v29, v34, v29, vcc
	v_add_f32_e32 v3, 1.0, v29
	v_add_f32_e32 v34, -1.0, v3
	v_sub_f32_e32 v51, v34, v3
	v_add_f32_e32 v51, 1.0, v51
	v_sub_f32_e32 v34, v29, v34
	v_add_f32_e32 v34, v34, v51
	v_frexp_mant_f32_e32 v51, v3
	v_cvt_f64_f32_e32 v[52:53], v3
	v_frexp_exp_i32_f64_e32 v52, v[52:53]
	v_cmp_gt_f32_e32 vcc, s3, v51
	s_mov_b32 s3, 0x3f317218
	s_nop 0
	v_subbrev_co_u32_e32 v51, vcc, 0, v52, vcc
	v_sub_u32_e32 v52, 0, v51
	v_ldexp_f32 v3, v3, v52
	v_ldexp_f32 v34, v34, v52
	v_add_f32_e32 v52, -1.0, v3
	v_add_f32_e32 v53, 1.0, v52
	v_sub_f32_e32 v53, v3, v53
	s_waitcnt lgkmcnt(0)
	v_add_f32_e32 v54, v34, v53
	v_add_f32_e32 v53, 1.0, v3
	v_add_f32_e32 v55, -1.0, v53
	v_sub_f32_e32 v3, v3, v55
	v_add_f32_e32 v3, v34, v3
	v_add_f32_e32 v34, v53, v3
	v_rcp_f32_e32 v60, v34
	v_sub_f32_e32 v53, v53, v34
	v_add_f32_e32 v3, v3, v53
	v_add_f32_e32 v53, v52, v54
	v_sub_f32_e32 v52, v52, v53
	v_mul_f32_e32 v62, v53, v60
	v_add_f32_e32 v61, v54, v52
	v_mul_f32_e32 v54, v34, v62
	v_fma_f32 v56, v62, v34, -v54
	v_fmac_f32_e32 v56, v62, v3
	v_add_f32_e32 v52, v54, v56
	v_sub_f32_e32 v55, v53, v52
	v_pk_add_f32 v[58:59], v[52:53], v[54:55] neg_lo:[0,1] neg_hi:[0,1]
	v_mov_b32_e32 v57, v52
	v_pk_add_f32 v[52:53], v[58:59], v[56:57] neg_lo:[0,1] neg_hi:[0,1]
	v_cmp_eq_f32_e32 vcc, s4, v29
	v_add_f32_e32 v53, v61, v53
	v_add_f32_e32 v52, v52, v53
	;; [unrolled: 1-line block ×3, first 2 shown]
	v_mul_f32_e32 v61, v60, v53
	v_mul_f32_e32 v54, v34, v61
	v_fma_f32 v56, v61, v34, -v54
	v_fmac_f32_e32 v56, v61, v3
	v_sub_f32_e32 v3, v55, v53
	v_add_f32_e32 v3, v52, v3
	v_add_f32_e32 v52, v54, v56
	v_sub_f32_e32 v55, v53, v52
	v_pk_add_f32 v[58:59], v[52:53], v[54:55] neg_lo:[0,1] neg_hi:[0,1]
	v_mov_b32_e32 v57, v52
	v_pk_add_f32 v[52:53], v[58:59], v[56:57] neg_lo:[0,1] neg_hi:[0,1]
	v_add_f32_e32 v34, v62, v61
	v_add_f32_e32 v3, v3, v53
	;; [unrolled: 1-line block ×4, first 2 shown]
	v_sub_f32_e32 v52, v34, v62
	v_mul_f32_e32 v3, v60, v3
	v_sub_f32_e32 v52, v61, v52
	v_add_f32_e32 v3, v52, v3
	v_add_f32_e32 v52, v34, v3
	v_cvt_f32_i32_e32 v54, v51
	v_mul_f32_e32 v55, v52, v52
	v_mov_b32_e32 v53, 0x3ecc95a3
	v_fmac_f32_e32 v53, 0x3e9b6dac, v55
	v_fmaak_f32 v53, v55, v53, 0x3f2aaada
	v_sub_f32_e32 v34, v52, v34
	v_ldexp_f32 v57, v52, 1
	v_mul_f32_e32 v55, v52, v55
	v_mov_b32_e32 v52, 0x3f317218
	v_pk_mul_f32 v[52:53], v[54:55], v[52:53]
	v_sub_f32_e32 v3, v3, v34
	v_fma_f32 v34, v54, s3, -v52
	v_fmamk_f32 v56, v54, 0xb102e308, v34
	v_pk_add_f32 v[54:55], v[52:53], v[56:57]
	v_ldexp_f32 v3, v3, 1
	v_sub_f32_e32 v34, v55, v57
	v_sub_f32_e32 v34, v53, v34
	v_add_f32_e32 v59, v3, v34
	v_mov_b32_e32 v58, v52
	v_pk_add_f32 v[52:53], v[54:55], v[52:53] neg_lo:[0,1] neg_hi:[0,1]
	v_pk_add_f32 v[60:61], v[54:55], v[58:59]
	v_mov_b32_e32 v57, v54
	v_mov_b32_e32 v53, v61
	v_pk_add_f32 v[62:63], v[56:57], v[52:53] neg_lo:[0,1] neg_hi:[0,1]
	v_pk_add_f32 v[52:53], v[56:57], v[52:53]
	s_mov_b32 s3, 0x33800000
	v_mov_b32_e32 v34, v53
	v_pk_add_f32 v[56:57], v[34:35], v[54:55] neg_lo:[0,1] neg_hi:[0,1]
	v_mov_b32_e32 v52, v61
	v_mov_b32_e32 v3, v56
	v_pk_add_f32 v[64:65], v[60:61], v[2:3] neg_lo:[0,1] neg_hi:[0,1]
	v_mov_b32_e32 v60, v55
	v_mov_b32_e32 v61, v56
	;; [unrolled: 1-line block ×3, first 2 shown]
	v_pk_add_f32 v[52:53], v[52:53], v[60:61] neg_lo:[0,1] neg_hi:[0,1]
	v_mov_b32_e32 v56, v59
	v_mov_b32_e32 v57, v54
	v_pk_add_f32 v[52:53], v[56:57], v[52:53] neg_lo:[0,1] neg_hi:[0,1]
	v_mov_b32_e32 v64, v62
	v_pk_add_f32 v[54:55], v[64:65], v[52:53]
	v_cmp_lt_f32_e64 s[4:5], |v29|, s3
	v_mov_b32_e32 v56, v55
	v_pk_add_f32 v[56:57], v[54:55], v[56:57]
	s_or_b64 vcc, vcc, s[4:5]
	v_pk_add_f32 v[58:59], v[34:35], v[56:57]
	v_mov_b32_e32 v53, v56
	v_mov_b32_e32 v55, v58
	v_pk_add_f32 v[60:61], v[54:55], v[62:63] neg_lo:[0,1] neg_hi:[0,1]
	s_nop 0
	v_sub_f32_e32 v3, v54, v60
	v_pk_add_f32 v[52:53], v[52:53], v[60:61] neg_lo:[0,1] neg_hi:[0,1]
	v_sub_f32_e32 v3, v62, v3
	v_add_f32_e32 v3, v52, v3
	v_add_f32_e32 v3, v3, v53
	;; [unrolled: 1-line block ×3, first 2 shown]
	v_cndmask_b32_e32 v3, v3, v29, vcc
	v_add_f32_e32 v3, v0, v3
.LBB131_142:
	s_or_b64 exec, exec, s[0:1]
	v_max_f32_e32 v0, v3, v3
	v_min_f32_e32 v29, v0, v1
	v_cmp_u_f32_e32 vcc, v3, v3
	v_max_f32_e32 v0, v0, v1
	s_nop 0
	v_cndmask_b32_e32 v29, v29, v3, vcc
	v_cndmask_b32_e32 v0, v0, v3, vcc
	v_cndmask_b32_e64 v29, v29, v4, s[52:53]
	v_cndmask_b32_e64 v0, v0, v4, s[52:53]
	v_cmp_neq_f32_e32 vcc, v29, v0
	v_cmp_class_f32_e64 s[0:1], v29, s2
	s_or_b64 s[2:3], vcc, s[0:1]
	v_mov_b32_e32 v4, v3
	s_and_saveexec_b64 s[0:1], s[2:3]
	s_cbranch_execz .LBB131_144
; %bb.143:
	v_sub_f32_e32 v1, v29, v0
	s_mov_b32 s2, 0x3fb8aa3b
	v_mul_f32_e32 v4, 0x3fb8aa3b, v1
	v_fma_f32 v29, v1, s2, -v4
	v_rndne_f32_e32 v34, v4
	v_fmamk_f32 v29, v1, 0x32a5705f, v29
	v_sub_f32_e32 v4, v4, v34
	v_add_f32_e32 v4, v4, v29
	v_exp_f32_e32 v4, v4
	v_cvt_i32_f32_e32 v29, v34
	s_mov_b32 s2, 0xc2ce8ed0
	v_cmp_ngt_f32_e32 vcc, s2, v1
	s_mov_b32 s2, 0x42b17218
	v_ldexp_f32 v4, v4, v29
	v_cndmask_b32_e32 v4, 0, v4, vcc
	v_mov_b32_e32 v29, 0x7f800000
	v_cmp_nlt_f32_e32 vcc, s2, v1
	s_mov_b32 s2, 0x3f2aaaab
	s_mov_b32 s3, 0x7f800000
	v_cndmask_b32_e32 v29, v29, v4, vcc
	v_add_f32_e32 v1, 1.0, v29
	v_add_f32_e32 v4, -1.0, v1
	v_sub_f32_e32 v34, v4, v1
	v_add_f32_e32 v34, 1.0, v34
	v_sub_f32_e32 v4, v29, v4
	v_add_f32_e32 v4, v4, v34
	v_frexp_mant_f32_e32 v34, v1
	v_cvt_f64_f32_e32 v[52:53], v1
	v_frexp_exp_i32_f64_e32 v51, v[52:53]
	v_cmp_gt_f32_e32 vcc, s2, v34
	s_mov_b32 s2, 0x3f317218
	s_nop 0
	v_subbrev_co_u32_e32 v34, vcc, 0, v51, vcc
	v_sub_u32_e32 v51, 0, v34
	v_ldexp_f32 v1, v1, v51
	v_ldexp_f32 v4, v4, v51
	v_add_f32_e32 v51, -1.0, v1
	v_add_f32_e32 v53, 1.0, v1
	v_add_f32_e32 v52, 1.0, v51
	s_waitcnt lgkmcnt(0)
	v_add_f32_e32 v54, -1.0, v53
	v_sub_f32_e32 v52, v1, v52
	v_sub_f32_e32 v1, v1, v54
	v_add_f32_e32 v1, v4, v1
	v_add_f32_e32 v52, v4, v52
	;; [unrolled: 1-line block ×3, first 2 shown]
	v_rcp_f32_e32 v60, v4
	v_sub_f32_e32 v53, v53, v4
	v_add_f32_e32 v1, v1, v53
	v_add_f32_e32 v53, v51, v52
	v_mul_f32_e32 v61, v53, v60
	v_mul_f32_e32 v54, v4, v61
	v_fma_f32 v56, v61, v4, -v54
	v_sub_f32_e32 v51, v51, v53
	v_fmac_f32_e32 v56, v61, v1
	v_add_f32_e32 v51, v52, v51
	v_add_f32_e32 v52, v54, v56
	v_sub_f32_e32 v55, v53, v52
	v_pk_add_f32 v[58:59], v[52:53], v[54:55] neg_lo:[0,1] neg_hi:[0,1]
	v_mov_b32_e32 v57, v52
	v_pk_add_f32 v[52:53], v[58:59], v[56:57] neg_lo:[0,1] neg_hi:[0,1]
	v_cmp_eq_f32_e32 vcc, s3, v29
	v_add_f32_e32 v51, v51, v53
	v_add_f32_e32 v51, v52, v51
	;; [unrolled: 1-line block ×3, first 2 shown]
	v_mul_f32_e32 v62, v60, v53
	v_mul_f32_e32 v54, v4, v62
	v_fma_f32 v56, v62, v4, -v54
	v_fmac_f32_e32 v56, v62, v1
	v_add_f32_e32 v52, v54, v56
	v_sub_f32_e32 v1, v55, v53
	v_sub_f32_e32 v55, v53, v52
	v_pk_add_f32 v[58:59], v[52:53], v[54:55] neg_lo:[0,1] neg_hi:[0,1]
	v_mov_b32_e32 v57, v52
	v_add_f32_e32 v1, v51, v1
	v_pk_add_f32 v[52:53], v[58:59], v[56:57] neg_lo:[0,1] neg_hi:[0,1]
	v_add_f32_e32 v4, v61, v62
	v_add_f32_e32 v1, v1, v53
	;; [unrolled: 1-line block ×4, first 2 shown]
	v_sub_f32_e32 v51, v4, v61
	v_mul_f32_e32 v1, v60, v1
	v_sub_f32_e32 v51, v62, v51
	v_add_f32_e32 v1, v51, v1
	v_add_f32_e32 v51, v4, v1
	v_cvt_f32_i32_e32 v54, v34
	v_mul_f32_e32 v52, v51, v51
	v_mov_b32_e32 v53, 0x3ecc95a3
	v_fmac_f32_e32 v53, 0x3e9b6dac, v52
	v_fmaak_f32 v53, v52, v53, 0x3f2aaada
	v_mul_f32_e32 v55, v51, v52
	v_mov_b32_e32 v52, 0x3f317218
	v_sub_f32_e32 v4, v51, v4
	v_pk_mul_f32 v[52:53], v[54:55], v[52:53]
	v_sub_f32_e32 v1, v1, v4
	v_fma_f32 v4, v54, s2, -v52
	v_ldexp_f32 v57, v51, 1
	v_fmamk_f32 v56, v54, 0xb102e308, v4
	v_pk_add_f32 v[54:55], v[52:53], v[56:57]
	v_ldexp_f32 v1, v1, 1
	v_sub_f32_e32 v4, v55, v57
	v_sub_f32_e32 v4, v53, v4
	v_add_f32_e32 v59, v1, v4
	v_mov_b32_e32 v58, v52
	v_pk_add_f32 v[52:53], v[54:55], v[52:53] neg_lo:[0,1] neg_hi:[0,1]
	v_pk_add_f32 v[60:61], v[54:55], v[58:59]
	v_mov_b32_e32 v57, v54
	v_mov_b32_e32 v53, v61
	v_pk_add_f32 v[62:63], v[56:57], v[52:53] neg_lo:[0,1] neg_hi:[0,1]
	v_pk_add_f32 v[52:53], v[56:57], v[52:53]
	s_mov_b32 s2, 0x33800000
	v_mov_b32_e32 v4, v53
	v_pk_add_f32 v[56:57], v[4:5], v[54:55] neg_lo:[0,1] neg_hi:[0,1]
	v_mov_b32_e32 v52, v61
	v_mov_b32_e32 v1, v56
	v_pk_add_f32 v[64:65], v[60:61], v[0:1] neg_lo:[0,1] neg_hi:[0,1]
	v_mov_b32_e32 v60, v55
	v_mov_b32_e32 v61, v56
	;; [unrolled: 1-line block ×3, first 2 shown]
	v_pk_add_f32 v[52:53], v[52:53], v[60:61] neg_lo:[0,1] neg_hi:[0,1]
	v_mov_b32_e32 v56, v59
	v_mov_b32_e32 v57, v54
	v_pk_add_f32 v[52:53], v[56:57], v[52:53] neg_lo:[0,1] neg_hi:[0,1]
	v_mov_b32_e32 v64, v62
	v_pk_add_f32 v[54:55], v[64:65], v[52:53]
	v_cmp_lt_f32_e64 s[2:3], |v29|, s2
	v_mov_b32_e32 v34, v55
	v_pk_add_f32 v[56:57], v[54:55], v[34:35]
	s_or_b64 vcc, vcc, s[2:3]
	v_pk_add_f32 v[58:59], v[4:5], v[56:57]
	v_mov_b32_e32 v53, v56
	v_mov_b32_e32 v55, v58
	v_pk_add_f32 v[60:61], v[54:55], v[62:63] neg_lo:[0,1] neg_hi:[0,1]
	s_nop 0
	v_sub_f32_e32 v1, v54, v60
	v_pk_add_f32 v[52:53], v[52:53], v[60:61] neg_lo:[0,1] neg_hi:[0,1]
	v_sub_f32_e32 v1, v62, v1
	v_add_f32_e32 v1, v52, v1
	v_add_f32_e32 v1, v1, v53
	;; [unrolled: 1-line block ×3, first 2 shown]
	v_cndmask_b32_e32 v1, v1, v29, vcc
	v_add_f32_e32 v4, v0, v1
.LBB131_144:
	s_or_b64 exec, exec, s[0:1]
	v_max_f32_e32 v0, v4, v4
	v_min_f32_e32 v1, v0, v27
	v_cmp_u_f32_e32 vcc, v4, v4
	v_max_f32_e32 v0, v0, v27
	s_movk_i32 s2, 0x1f8
	v_cndmask_b32_e32 v1, v1, v4, vcc
	v_cndmask_b32_e32 v0, v0, v4, vcc
	v_cndmask_b32_e64 v1, v1, v5, s[54:55]
	v_cndmask_b32_e64 v0, v0, v5, s[54:55]
	v_cmp_neq_f32_e32 vcc, v1, v0
	v_cmp_class_f32_e64 s[0:1], v1, s2
	s_or_b64 s[4:5], vcc, s[0:1]
	v_mov_b32_e32 v5, v4
	s_and_saveexec_b64 s[0:1], s[4:5]
	s_cbranch_execz .LBB131_146
; %bb.145:
	v_sub_f32_e32 v1, v1, v0
	s_mov_b32 s3, 0x3fb8aa3b
	v_mul_f32_e32 v5, 0x3fb8aa3b, v1
	v_fma_f32 v27, v1, s3, -v5
	v_rndne_f32_e32 v29, v5
	v_fmamk_f32 v27, v1, 0x32a5705f, v27
	v_sub_f32_e32 v5, v5, v29
	v_add_f32_e32 v5, v5, v27
	v_exp_f32_e32 v5, v5
	v_cvt_i32_f32_e32 v27, v29
	s_mov_b32 s3, 0xc2ce8ed0
	v_cmp_ngt_f32_e32 vcc, s3, v1
	s_mov_b32 s3, 0x42b17218
	v_ldexp_f32 v5, v5, v27
	v_cndmask_b32_e32 v5, 0, v5, vcc
	v_mov_b32_e32 v27, 0x7f800000
	v_cmp_nlt_f32_e32 vcc, s3, v1
	s_mov_b32 s3, 0x3f2aaaab
	s_mov_b32 s4, 0x7f800000
	v_cndmask_b32_e32 v5, v27, v5, vcc
	v_add_f32_e32 v1, 1.0, v5
	v_add_f32_e32 v27, -1.0, v1
	v_sub_f32_e32 v29, v27, v1
	v_add_f32_e32 v29, 1.0, v29
	v_sub_f32_e32 v27, v5, v27
	v_add_f32_e32 v27, v27, v29
	v_frexp_mant_f32_e32 v29, v1
	v_cvt_f64_f32_e32 v[52:53], v1
	v_frexp_exp_i32_f64_e32 v34, v[52:53]
	v_cmp_gt_f32_e32 vcc, s3, v29
	s_mov_b32 s3, 0x3f317218
	s_nop 0
	v_subbrev_co_u32_e32 v29, vcc, 0, v34, vcc
	v_sub_u32_e32 v34, 0, v29
	v_ldexp_f32 v1, v1, v34
	v_ldexp_f32 v27, v27, v34
	v_add_f32_e32 v34, -1.0, v1
	v_add_f32_e32 v52, 1.0, v1
	v_add_f32_e32 v51, 1.0, v34
	v_add_f32_e32 v53, -1.0, v52
	v_sub_f32_e32 v51, v1, v51
	v_sub_f32_e32 v1, v1, v53
	v_add_f32_e32 v1, v27, v1
	v_add_f32_e32 v51, v27, v51
	;; [unrolled: 1-line block ×3, first 2 shown]
	v_rcp_f32_e32 v60, v27
	v_add_f32_e32 v53, v34, v51
	v_sub_f32_e32 v34, v34, v53
	v_add_f32_e32 v34, v51, v34
	v_mul_f32_e32 v51, v53, v60
	v_sub_f32_e32 v52, v52, v27
	s_waitcnt lgkmcnt(0)
	v_mul_f32_e32 v54, v27, v51
	v_add_f32_e32 v1, v1, v52
	v_fma_f32 v56, v51, v27, -v54
	v_fmac_f32_e32 v56, v51, v1
	v_add_f32_e32 v52, v54, v56
	v_sub_f32_e32 v55, v53, v52
	v_pk_add_f32 v[58:59], v[52:53], v[54:55] neg_lo:[0,1] neg_hi:[0,1]
	v_mov_b32_e32 v57, v52
	v_pk_add_f32 v[52:53], v[58:59], v[56:57] neg_lo:[0,1] neg_hi:[0,1]
	v_cmp_eq_f32_e32 vcc, s4, v5
	v_add_f32_e32 v34, v34, v53
	v_add_f32_e32 v34, v52, v34
	;; [unrolled: 1-line block ×3, first 2 shown]
	v_mul_f32_e32 v61, v60, v53
	v_mul_f32_e32 v54, v27, v61
	v_fma_f32 v56, v61, v27, -v54
	v_fmac_f32_e32 v56, v61, v1
	v_add_f32_e32 v52, v54, v56
	v_sub_f32_e32 v1, v55, v53
	v_sub_f32_e32 v55, v53, v52
	v_pk_add_f32 v[58:59], v[52:53], v[54:55] neg_lo:[0,1] neg_hi:[0,1]
	v_mov_b32_e32 v57, v52
	v_add_f32_e32 v1, v34, v1
	v_pk_add_f32 v[52:53], v[58:59], v[56:57] neg_lo:[0,1] neg_hi:[0,1]
	v_add_f32_e32 v27, v51, v61
	v_add_f32_e32 v1, v1, v53
	;; [unrolled: 1-line block ×4, first 2 shown]
	v_sub_f32_e32 v34, v27, v51
	v_mul_f32_e32 v1, v60, v1
	v_sub_f32_e32 v34, v61, v34
	v_add_f32_e32 v1, v34, v1
	v_add_f32_e32 v34, v27, v1
	v_cvt_f32_i32_e32 v54, v29
	v_mul_f32_e32 v51, v34, v34
	v_mov_b32_e32 v52, 0x3ecc95a3
	v_fmac_f32_e32 v52, 0x3e9b6dac, v51
	v_fmaak_f32 v53, v51, v52, 0x3f2aaada
	v_mul_f32_e32 v55, v34, v51
	v_mov_b32_e32 v52, 0x3f317218
	v_sub_f32_e32 v27, v34, v27
	v_pk_mul_f32 v[52:53], v[54:55], v[52:53]
	v_sub_f32_e32 v1, v1, v27
	v_fma_f32 v27, v54, s3, -v52
	v_ldexp_f32 v57, v34, 1
	v_fmamk_f32 v56, v54, 0xb102e308, v27
	v_pk_add_f32 v[54:55], v[52:53], v[56:57]
	v_ldexp_f32 v1, v1, 1
	v_sub_f32_e32 v27, v55, v57
	v_sub_f32_e32 v27, v53, v27
	v_add_f32_e32 v59, v1, v27
	v_mov_b32_e32 v58, v52
	v_pk_add_f32 v[52:53], v[54:55], v[52:53] neg_lo:[0,1] neg_hi:[0,1]
	v_pk_add_f32 v[60:61], v[54:55], v[58:59]
	v_mov_b32_e32 v57, v54
	v_mov_b32_e32 v53, v61
	v_pk_add_f32 v[62:63], v[56:57], v[52:53] neg_lo:[0,1] neg_hi:[0,1]
	v_pk_add_f32 v[52:53], v[56:57], v[52:53]
	s_mov_b32 s3, 0x33800000
	v_mov_b32_e32 v34, v53
	v_pk_add_f32 v[56:57], v[34:35], v[54:55] neg_lo:[0,1] neg_hi:[0,1]
	v_mov_b32_e32 v52, v61
	v_mov_b32_e32 v1, v56
	v_pk_add_f32 v[64:65], v[60:61], v[0:1] neg_lo:[0,1] neg_hi:[0,1]
	v_mov_b32_e32 v60, v55
	v_mov_b32_e32 v61, v56
	;; [unrolled: 1-line block ×3, first 2 shown]
	v_pk_add_f32 v[52:53], v[52:53], v[60:61] neg_lo:[0,1] neg_hi:[0,1]
	v_mov_b32_e32 v56, v59
	v_mov_b32_e32 v57, v54
	v_pk_add_f32 v[52:53], v[56:57], v[52:53] neg_lo:[0,1] neg_hi:[0,1]
	v_mov_b32_e32 v64, v62
	v_pk_add_f32 v[54:55], v[64:65], v[52:53]
	v_cmp_lt_f32_e64 s[4:5], |v5|, s3
	v_mov_b32_e32 v56, v55
	v_pk_add_f32 v[56:57], v[54:55], v[56:57]
	s_or_b64 vcc, vcc, s[4:5]
	v_pk_add_f32 v[58:59], v[34:35], v[56:57]
	v_mov_b32_e32 v53, v56
	v_mov_b32_e32 v55, v58
	v_pk_add_f32 v[60:61], v[54:55], v[62:63] neg_lo:[0,1] neg_hi:[0,1]
	s_nop 0
	v_sub_f32_e32 v1, v54, v60
	v_pk_add_f32 v[52:53], v[52:53], v[60:61] neg_lo:[0,1] neg_hi:[0,1]
	v_sub_f32_e32 v1, v62, v1
	v_add_f32_e32 v1, v52, v1
	v_add_f32_e32 v1, v1, v53
	;; [unrolled: 1-line block ×3, first 2 shown]
	v_cndmask_b32_e32 v1, v1, v5, vcc
	v_add_f32_e32 v5, v0, v1
.LBB131_146:
	s_or_b64 exec, exec, s[0:1]
	v_max_f32_e32 v0, v5, v5
	v_min_f32_e32 v1, v0, v30
	v_cmp_u_f32_e32 vcc, v5, v5
	v_max_f32_e32 v0, v0, v30
	s_nop 0
	v_cndmask_b32_e32 v1, v1, v5, vcc
	v_cndmask_b32_e32 v0, v0, v5, vcc
	v_cndmask_b32_e64 v1, v1, v22, s[56:57]
	v_cndmask_b32_e64 v0, v0, v22, s[56:57]
	v_cmp_neq_f32_e32 vcc, v1, v0
	v_cmp_class_f32_e64 s[0:1], v1, s2
	s_or_b64 s[2:3], vcc, s[0:1]
	v_mov_b32_e32 v22, v5
	s_and_saveexec_b64 s[0:1], s[2:3]
	s_cbranch_execz .LBB131_148
; %bb.147:
	v_sub_f32_e32 v1, v1, v0
	s_mov_b32 s2, 0x3fb8aa3b
	v_mul_f32_e32 v22, 0x3fb8aa3b, v1
	v_fma_f32 v27, v1, s2, -v22
	v_rndne_f32_e32 v29, v22
	v_fmamk_f32 v27, v1, 0x32a5705f, v27
	v_sub_f32_e32 v22, v22, v29
	v_add_f32_e32 v22, v22, v27
	v_exp_f32_e32 v22, v22
	v_cvt_i32_f32_e32 v27, v29
	s_mov_b32 s2, 0xc2ce8ed0
	v_cmp_ngt_f32_e32 vcc, s2, v1
	s_mov_b32 s2, 0x42b17218
	v_ldexp_f32 v22, v22, v27
	v_cndmask_b32_e32 v22, 0, v22, vcc
	v_mov_b32_e32 v27, 0x7f800000
	v_cmp_nlt_f32_e32 vcc, s2, v1
	s_mov_b32 s2, 0x3f2aaaab
	s_mov_b32 s3, 0x7f800000
	v_cndmask_b32_e32 v27, v27, v22, vcc
	v_add_f32_e32 v1, 1.0, v27
	v_add_f32_e32 v22, -1.0, v1
	v_sub_f32_e32 v29, v22, v1
	v_add_f32_e32 v29, 1.0, v29
	v_sub_f32_e32 v22, v27, v22
	v_add_f32_e32 v22, v22, v29
	v_frexp_mant_f32_e32 v29, v1
	v_cvt_f64_f32_e32 v[52:53], v1
	v_frexp_exp_i32_f64_e32 v30, v[52:53]
	v_cmp_gt_f32_e32 vcc, s2, v29
	s_mov_b32 s2, 0x3f317218
	s_nop 0
	v_subbrev_co_u32_e32 v29, vcc, 0, v30, vcc
	v_sub_u32_e32 v30, 0, v29
	v_ldexp_f32 v1, v1, v30
	v_ldexp_f32 v22, v22, v30
	v_add_f32_e32 v30, -1.0, v1
	v_add_f32_e32 v51, 1.0, v1
	v_add_f32_e32 v34, 1.0, v30
	v_add_f32_e32 v52, -1.0, v51
	v_sub_f32_e32 v34, v1, v34
	v_sub_f32_e32 v1, v1, v52
	v_add_f32_e32 v1, v22, v1
	v_add_f32_e32 v34, v22, v34
	;; [unrolled: 1-line block ×3, first 2 shown]
	v_sub_f32_e32 v51, v51, v22
	v_add_f32_e32 v1, v1, v51
	v_rcp_f32_e32 v51, v22
	v_add_f32_e32 v53, v30, v34
	v_sub_f32_e32 v30, v30, v53
	v_add_f32_e32 v30, v34, v30
	v_mul_f32_e32 v34, v53, v51
	s_waitcnt lgkmcnt(0)
	v_mul_f32_e32 v54, v22, v34
	v_fma_f32 v56, v34, v22, -v54
	v_fmac_f32_e32 v56, v34, v1
	v_add_f32_e32 v52, v54, v56
	v_sub_f32_e32 v55, v53, v52
	v_pk_add_f32 v[58:59], v[52:53], v[54:55] neg_lo:[0,1] neg_hi:[0,1]
	v_mov_b32_e32 v57, v52
	v_pk_add_f32 v[52:53], v[58:59], v[56:57] neg_lo:[0,1] neg_hi:[0,1]
	v_cmp_eq_f32_e32 vcc, s3, v27
	v_add_f32_e32 v30, v30, v53
	v_add_f32_e32 v30, v52, v30
	;; [unrolled: 1-line block ×3, first 2 shown]
	v_mul_f32_e32 v60, v51, v53
	v_mul_f32_e32 v54, v22, v60
	v_fma_f32 v56, v60, v22, -v54
	v_fmac_f32_e32 v56, v60, v1
	v_add_f32_e32 v52, v54, v56
	v_sub_f32_e32 v1, v55, v53
	v_sub_f32_e32 v55, v53, v52
	v_pk_add_f32 v[58:59], v[52:53], v[54:55] neg_lo:[0,1] neg_hi:[0,1]
	v_mov_b32_e32 v57, v52
	v_add_f32_e32 v1, v30, v1
	v_pk_add_f32 v[52:53], v[58:59], v[56:57] neg_lo:[0,1] neg_hi:[0,1]
	v_add_f32_e32 v22, v34, v60
	v_add_f32_e32 v1, v1, v53
	;; [unrolled: 1-line block ×4, first 2 shown]
	v_sub_f32_e32 v30, v22, v34
	v_mul_f32_e32 v1, v51, v1
	v_sub_f32_e32 v30, v60, v30
	v_add_f32_e32 v1, v30, v1
	v_add_f32_e32 v30, v22, v1
	v_cvt_f32_i32_e32 v54, v29
	v_mul_f32_e32 v34, v30, v30
	v_mov_b32_e32 v51, 0x3ecc95a3
	v_fmac_f32_e32 v51, 0x3e9b6dac, v34
	v_fmaak_f32 v53, v34, v51, 0x3f2aaada
	v_mul_f32_e32 v55, v30, v34
	v_mov_b32_e32 v52, 0x3f317218
	v_sub_f32_e32 v22, v30, v22
	v_pk_mul_f32 v[52:53], v[54:55], v[52:53]
	v_sub_f32_e32 v1, v1, v22
	v_fma_f32 v22, v54, s2, -v52
	v_ldexp_f32 v57, v30, 1
	v_fmamk_f32 v56, v54, 0xb102e308, v22
	v_pk_add_f32 v[54:55], v[52:53], v[56:57]
	v_ldexp_f32 v1, v1, 1
	v_sub_f32_e32 v22, v55, v57
	v_sub_f32_e32 v22, v53, v22
	v_add_f32_e32 v59, v1, v22
	v_mov_b32_e32 v58, v52
	v_pk_add_f32 v[52:53], v[54:55], v[52:53] neg_lo:[0,1] neg_hi:[0,1]
	v_pk_add_f32 v[60:61], v[54:55], v[58:59]
	v_mov_b32_e32 v57, v54
	v_mov_b32_e32 v53, v61
	v_pk_add_f32 v[62:63], v[56:57], v[52:53] neg_lo:[0,1] neg_hi:[0,1]
	v_pk_add_f32 v[52:53], v[56:57], v[52:53]
	s_mov_b32 s2, 0x33800000
	v_mov_b32_e32 v22, v53
	v_pk_add_f32 v[56:57], v[22:23], v[54:55] neg_lo:[0,1] neg_hi:[0,1]
	v_mov_b32_e32 v52, v61
	v_mov_b32_e32 v1, v56
	v_pk_add_f32 v[64:65], v[60:61], v[0:1] neg_lo:[0,1] neg_hi:[0,1]
	v_mov_b32_e32 v60, v55
	v_mov_b32_e32 v61, v56
	v_mov_b32_e32 v63, v53
	v_pk_add_f32 v[52:53], v[52:53], v[60:61] neg_lo:[0,1] neg_hi:[0,1]
	v_mov_b32_e32 v56, v59
	v_mov_b32_e32 v57, v54
	v_pk_add_f32 v[52:53], v[56:57], v[52:53] neg_lo:[0,1] neg_hi:[0,1]
	v_mov_b32_e32 v64, v62
	v_pk_add_f32 v[54:55], v[64:65], v[52:53]
	v_cmp_lt_f32_e64 s[2:3], |v27|, s2
	v_mov_b32_e32 v30, v55
	v_pk_add_f32 v[56:57], v[54:55], v[30:31]
	s_or_b64 vcc, vcc, s[2:3]
	v_pk_add_f32 v[58:59], v[22:23], v[56:57]
	v_mov_b32_e32 v53, v56
	v_mov_b32_e32 v55, v58
	v_pk_add_f32 v[60:61], v[54:55], v[62:63] neg_lo:[0,1] neg_hi:[0,1]
	s_nop 0
	v_sub_f32_e32 v1, v54, v60
	v_pk_add_f32 v[52:53], v[52:53], v[60:61] neg_lo:[0,1] neg_hi:[0,1]
	v_sub_f32_e32 v1, v62, v1
	v_add_f32_e32 v1, v52, v1
	v_add_f32_e32 v1, v1, v53
	;; [unrolled: 1-line block ×3, first 2 shown]
	v_cndmask_b32_e32 v1, v1, v27, vcc
	v_add_f32_e32 v22, v0, v1
.LBB131_148:
	s_or_b64 exec, exec, s[0:1]
	v_max_f32_e32 v0, v22, v22
	v_min_f32_e32 v1, v0, v31
	v_cmp_u_f32_e32 vcc, v22, v22
	v_max_f32_e32 v0, v0, v31
	s_movk_i32 s2, 0x1f8
	v_cndmask_b32_e32 v1, v1, v22, vcc
	v_cndmask_b32_e32 v0, v0, v22, vcc
	v_cndmask_b32_e64 v1, v1, v23, s[58:59]
	v_cndmask_b32_e64 v0, v0, v23, s[58:59]
	v_cmp_neq_f32_e32 vcc, v1, v0
	v_cmp_class_f32_e64 s[0:1], v1, s2
	s_or_b64 s[4:5], vcc, s[0:1]
	v_mov_b32_e32 v23, v22
	s_and_saveexec_b64 s[0:1], s[4:5]
	s_cbranch_execz .LBB131_150
; %bb.149:
	v_sub_f32_e32 v1, v1, v0
	s_mov_b32 s3, 0x3fb8aa3b
	v_mul_f32_e32 v23, 0x3fb8aa3b, v1
	v_fma_f32 v27, v1, s3, -v23
	v_rndne_f32_e32 v29, v23
	v_fmamk_f32 v27, v1, 0x32a5705f, v27
	v_sub_f32_e32 v23, v23, v29
	v_add_f32_e32 v23, v23, v27
	v_exp_f32_e32 v23, v23
	v_cvt_i32_f32_e32 v27, v29
	s_mov_b32 s3, 0xc2ce8ed0
	v_cmp_ngt_f32_e32 vcc, s3, v1
	s_mov_b32 s3, 0x42b17218
	v_ldexp_f32 v23, v23, v27
	v_cndmask_b32_e32 v23, 0, v23, vcc
	v_mov_b32_e32 v27, 0x7f800000
	v_cmp_nlt_f32_e32 vcc, s3, v1
	s_mov_b32 s3, 0x3f2aaaab
	s_mov_b32 s4, 0x7f800000
	v_cndmask_b32_e32 v23, v27, v23, vcc
	v_add_f32_e32 v1, 1.0, v23
	v_add_f32_e32 v27, -1.0, v1
	v_sub_f32_e32 v29, v27, v1
	v_add_f32_e32 v29, 1.0, v29
	v_sub_f32_e32 v27, v23, v27
	v_add_f32_e32 v27, v27, v29
	v_frexp_mant_f32_e32 v29, v1
	v_cvt_f64_f32_e32 v[30:31], v1
	v_frexp_exp_i32_f64_e32 v30, v[30:31]
	v_cmp_gt_f32_e32 vcc, s3, v29
	s_mov_b32 s3, 0x3f317218
	s_nop 0
	v_subbrev_co_u32_e32 v29, vcc, 0, v30, vcc
	v_sub_u32_e32 v30, 0, v29
	v_ldexp_f32 v1, v1, v30
	v_ldexp_f32 v27, v27, v30
	v_add_f32_e32 v30, -1.0, v1
	v_add_f32_e32 v31, 1.0, v30
	v_sub_f32_e32 v31, v1, v31
	v_add_f32_e32 v34, v27, v31
	v_add_f32_e32 v31, 1.0, v1
	v_add_f32_e32 v51, -1.0, v31
	v_sub_f32_e32 v1, v1, v51
	v_add_f32_e32 v1, v27, v1
	v_add_f32_e32 v27, v31, v1
	v_rcp_f32_e32 v51, v27
	v_sub_f32_e32 v31, v31, v27
	v_add_f32_e32 v1, v1, v31
	v_add_f32_e32 v31, v30, v34
	v_mul_f32_e32 v58, v31, v51
	v_mul_f32_e32 v52, v27, v58
	s_waitcnt lgkmcnt(0)
	v_fma_f32 v54, v58, v27, -v52
	v_sub_f32_e32 v30, v30, v31
	v_fmac_f32_e32 v54, v58, v1
	v_add_f32_e32 v34, v34, v30
	v_add_f32_e32 v30, v52, v54
	v_sub_f32_e32 v53, v31, v30
	v_pk_add_f32 v[56:57], v[30:31], v[52:53] neg_lo:[0,1] neg_hi:[0,1]
	v_mov_b32_e32 v55, v30
	v_pk_add_f32 v[30:31], v[56:57], v[54:55] neg_lo:[0,1] neg_hi:[0,1]
	v_cmp_eq_f32_e32 vcc, s4, v23
	v_add_f32_e32 v31, v34, v31
	v_add_f32_e32 v30, v30, v31
	;; [unrolled: 1-line block ×3, first 2 shown]
	v_mul_f32_e32 v34, v51, v31
	v_mul_f32_e32 v52, v27, v34
	v_fma_f32 v54, v34, v27, -v52
	v_fmac_f32_e32 v54, v34, v1
	v_sub_f32_e32 v1, v53, v31
	v_add_f32_e32 v1, v30, v1
	v_add_f32_e32 v30, v52, v54
	v_sub_f32_e32 v53, v31, v30
	v_pk_add_f32 v[56:57], v[30:31], v[52:53] neg_lo:[0,1] neg_hi:[0,1]
	v_mov_b32_e32 v55, v30
	v_pk_add_f32 v[30:31], v[56:57], v[54:55] neg_lo:[0,1] neg_hi:[0,1]
	v_add_f32_e32 v27, v58, v34
	v_add_f32_e32 v1, v1, v31
	;; [unrolled: 1-line block ×4, first 2 shown]
	v_sub_f32_e32 v30, v27, v58
	v_mul_f32_e32 v1, v51, v1
	v_sub_f32_e32 v30, v34, v30
	v_add_f32_e32 v1, v30, v1
	v_add_f32_e32 v30, v27, v1
	v_cvt_f32_i32_e32 v52, v29
	v_mul_f32_e32 v34, v30, v30
	v_mov_b32_e32 v31, 0x3ecc95a3
	v_fmac_f32_e32 v31, 0x3e9b6dac, v34
	v_fmaak_f32 v31, v34, v31, 0x3f2aaada
	v_sub_f32_e32 v27, v30, v27
	v_ldexp_f32 v55, v30, 1
	v_mul_f32_e32 v53, v30, v34
	v_mov_b32_e32 v30, 0x3f317218
	v_pk_mul_f32 v[30:31], v[52:53], v[30:31]
	v_sub_f32_e32 v1, v1, v27
	v_fma_f32 v27, v52, s3, -v30
	v_fmamk_f32 v54, v52, 0xb102e308, v27
	v_pk_add_f32 v[52:53], v[30:31], v[54:55]
	v_ldexp_f32 v1, v1, 1
	v_sub_f32_e32 v27, v53, v55
	v_sub_f32_e32 v27, v31, v27
	v_add_f32_e32 v57, v1, v27
	v_mov_b32_e32 v56, v30
	v_pk_add_f32 v[30:31], v[52:53], v[30:31] neg_lo:[0,1] neg_hi:[0,1]
	v_pk_add_f32 v[58:59], v[52:53], v[56:57]
	v_mov_b32_e32 v55, v52
	v_mov_b32_e32 v31, v59
	v_pk_add_f32 v[60:61], v[54:55], v[30:31] neg_lo:[0,1] neg_hi:[0,1]
	v_pk_add_f32 v[30:31], v[54:55], v[30:31]
	s_mov_b32 s3, 0x33800000
	v_mov_b32_e32 v34, v31
	v_pk_add_f32 v[54:55], v[34:35], v[52:53] neg_lo:[0,1] neg_hi:[0,1]
	v_mov_b32_e32 v30, v59
	v_mov_b32_e32 v1, v54
	v_pk_add_f32 v[62:63], v[58:59], v[0:1] neg_lo:[0,1] neg_hi:[0,1]
	v_mov_b32_e32 v58, v53
	v_mov_b32_e32 v59, v54
	;; [unrolled: 1-line block ×3, first 2 shown]
	v_pk_add_f32 v[30:31], v[30:31], v[58:59] neg_lo:[0,1] neg_hi:[0,1]
	v_mov_b32_e32 v54, v57
	v_mov_b32_e32 v55, v52
	v_pk_add_f32 v[30:31], v[54:55], v[30:31] neg_lo:[0,1] neg_hi:[0,1]
	v_mov_b32_e32 v62, v60
	v_pk_add_f32 v[52:53], v[62:63], v[30:31]
	v_cmp_lt_f32_e64 s[4:5], |v23|, s3
	v_mov_b32_e32 v54, v53
	v_pk_add_f32 v[54:55], v[52:53], v[54:55]
	s_or_b64 vcc, vcc, s[4:5]
	v_pk_add_f32 v[56:57], v[34:35], v[54:55]
	v_mov_b32_e32 v31, v54
	v_mov_b32_e32 v53, v56
	v_pk_add_f32 v[58:59], v[52:53], v[60:61] neg_lo:[0,1] neg_hi:[0,1]
	s_nop 0
	v_sub_f32_e32 v1, v52, v58
	v_pk_add_f32 v[30:31], v[30:31], v[58:59] neg_lo:[0,1] neg_hi:[0,1]
	v_sub_f32_e32 v1, v60, v1
	v_add_f32_e32 v1, v30, v1
	v_add_f32_e32 v1, v1, v31
	;; [unrolled: 1-line block ×3, first 2 shown]
	v_cndmask_b32_e32 v1, v1, v23, vcc
	v_add_f32_e32 v23, v0, v1
.LBB131_150:
	s_or_b64 exec, exec, s[0:1]
	v_max_f32_e32 v0, v23, v23
	v_min_f32_e32 v1, v0, v32
	v_cmp_u_f32_e32 vcc, v23, v23
	v_max_f32_e32 v0, v0, v32
	s_nop 0
	v_cndmask_b32_e32 v1, v1, v23, vcc
	v_cndmask_b32_e32 v0, v0, v23, vcc
	v_cndmask_b32_e64 v1, v1, v24, s[60:61]
	v_cndmask_b32_e64 v0, v0, v24, s[60:61]
	v_cmp_neq_f32_e32 vcc, v1, v0
	v_cmp_class_f32_e64 s[0:1], v1, s2
	s_or_b64 s[2:3], vcc, s[0:1]
	v_mov_b32_e32 v24, v23
	s_and_saveexec_b64 s[0:1], s[2:3]
	s_cbranch_execz .LBB131_152
; %bb.151:
	v_sub_f32_e32 v1, v1, v0
	s_mov_b32 s2, 0x3fb8aa3b
	v_mul_f32_e32 v24, 0x3fb8aa3b, v1
	v_fma_f32 v27, v1, s2, -v24
	v_rndne_f32_e32 v29, v24
	v_fmamk_f32 v27, v1, 0x32a5705f, v27
	v_sub_f32_e32 v24, v24, v29
	v_add_f32_e32 v24, v24, v27
	v_exp_f32_e32 v24, v24
	v_cvt_i32_f32_e32 v27, v29
	s_mov_b32 s2, 0xc2ce8ed0
	v_cmp_ngt_f32_e32 vcc, s2, v1
	s_mov_b32 s2, 0x42b17218
	v_ldexp_f32 v24, v24, v27
	v_cndmask_b32_e32 v24, 0, v24, vcc
	v_mov_b32_e32 v27, 0x7f800000
	v_cmp_nlt_f32_e32 vcc, s2, v1
	s_mov_b32 s2, 0x3f2aaaab
	s_mov_b32 s3, 0x7f800000
	v_cndmask_b32_e32 v27, v27, v24, vcc
	v_add_f32_e32 v1, 1.0, v27
	v_add_f32_e32 v24, -1.0, v1
	v_sub_f32_e32 v29, v24, v1
	v_add_f32_e32 v29, 1.0, v29
	v_sub_f32_e32 v24, v27, v24
	v_add_f32_e32 v24, v24, v29
	v_frexp_mant_f32_e32 v29, v1
	v_cvt_f64_f32_e32 v[30:31], v1
	v_frexp_exp_i32_f64_e32 v30, v[30:31]
	v_cmp_gt_f32_e32 vcc, s2, v29
	s_mov_b32 s2, 0x3f317218
	s_nop 0
	v_subbrev_co_u32_e32 v29, vcc, 0, v30, vcc
	v_sub_u32_e32 v30, 0, v29
	v_ldexp_f32 v1, v1, v30
	v_ldexp_f32 v24, v24, v30
	v_add_f32_e32 v30, -1.0, v1
	v_add_f32_e32 v31, 1.0, v30
	v_sub_f32_e32 v31, v1, v31
	v_add_f32_e32 v32, v24, v31
	v_add_f32_e32 v31, 1.0, v1
	v_add_f32_e32 v34, -1.0, v31
	v_sub_f32_e32 v1, v1, v34
	v_add_f32_e32 v1, v24, v1
	v_add_f32_e32 v24, v31, v1
	v_rcp_f32_e32 v34, v24
	v_sub_f32_e32 v31, v31, v24
	v_add_f32_e32 v1, v1, v31
	v_add_f32_e32 v31, v30, v32
	v_mul_f32_e32 v51, v31, v34
	v_mul_f32_e32 v52, v24, v51
	s_waitcnt lgkmcnt(0)
	v_fma_f32 v54, v51, v24, -v52
	v_sub_f32_e32 v30, v30, v31
	v_fmac_f32_e32 v54, v51, v1
	v_add_f32_e32 v32, v32, v30
	v_add_f32_e32 v30, v52, v54
	v_sub_f32_e32 v53, v31, v30
	v_pk_add_f32 v[56:57], v[30:31], v[52:53] neg_lo:[0,1] neg_hi:[0,1]
	v_mov_b32_e32 v55, v30
	v_pk_add_f32 v[30:31], v[56:57], v[54:55] neg_lo:[0,1] neg_hi:[0,1]
	v_cmp_eq_f32_e32 vcc, s3, v27
	v_add_f32_e32 v31, v32, v31
	v_add_f32_e32 v30, v30, v31
	;; [unrolled: 1-line block ×3, first 2 shown]
	v_mul_f32_e32 v32, v34, v31
	v_mul_f32_e32 v52, v24, v32
	v_fma_f32 v54, v32, v24, -v52
	v_fmac_f32_e32 v54, v32, v1
	v_sub_f32_e32 v1, v53, v31
	v_add_f32_e32 v1, v30, v1
	v_add_f32_e32 v30, v52, v54
	v_sub_f32_e32 v53, v31, v30
	v_pk_add_f32 v[56:57], v[30:31], v[52:53] neg_lo:[0,1] neg_hi:[0,1]
	v_mov_b32_e32 v55, v30
	v_pk_add_f32 v[30:31], v[56:57], v[54:55] neg_lo:[0,1] neg_hi:[0,1]
	v_add_f32_e32 v24, v51, v32
	v_add_f32_e32 v1, v1, v31
	;; [unrolled: 1-line block ×4, first 2 shown]
	v_sub_f32_e32 v30, v24, v51
	v_mul_f32_e32 v1, v34, v1
	v_sub_f32_e32 v30, v32, v30
	v_add_f32_e32 v1, v30, v1
	v_add_f32_e32 v30, v24, v1
	v_cvt_f32_i32_e32 v52, v29
	v_mul_f32_e32 v32, v30, v30
	v_mov_b32_e32 v31, 0x3ecc95a3
	v_fmac_f32_e32 v31, 0x3e9b6dac, v32
	v_fmaak_f32 v31, v32, v31, 0x3f2aaada
	v_sub_f32_e32 v24, v30, v24
	v_ldexp_f32 v55, v30, 1
	v_mul_f32_e32 v53, v30, v32
	v_mov_b32_e32 v30, 0x3f317218
	v_pk_mul_f32 v[30:31], v[52:53], v[30:31]
	v_sub_f32_e32 v1, v1, v24
	v_fma_f32 v24, v52, s2, -v30
	v_fmamk_f32 v54, v52, 0xb102e308, v24
	v_pk_add_f32 v[52:53], v[30:31], v[54:55]
	v_ldexp_f32 v1, v1, 1
	v_sub_f32_e32 v24, v53, v55
	v_sub_f32_e32 v24, v31, v24
	v_add_f32_e32 v57, v1, v24
	v_mov_b32_e32 v56, v30
	v_pk_add_f32 v[30:31], v[52:53], v[30:31] neg_lo:[0,1] neg_hi:[0,1]
	v_pk_add_f32 v[58:59], v[52:53], v[56:57]
	v_mov_b32_e32 v55, v52
	v_mov_b32_e32 v31, v59
	v_pk_add_f32 v[60:61], v[54:55], v[30:31] neg_lo:[0,1] neg_hi:[0,1]
	v_pk_add_f32 v[30:31], v[54:55], v[30:31]
	s_mov_b32 s2, 0x33800000
	v_mov_b32_e32 v24, v31
	v_pk_add_f32 v[54:55], v[24:25], v[52:53] neg_lo:[0,1] neg_hi:[0,1]
	v_mov_b32_e32 v30, v59
	v_mov_b32_e32 v1, v54
	v_pk_add_f32 v[62:63], v[58:59], v[0:1] neg_lo:[0,1] neg_hi:[0,1]
	v_mov_b32_e32 v58, v53
	v_mov_b32_e32 v59, v54
	;; [unrolled: 1-line block ×3, first 2 shown]
	v_pk_add_f32 v[30:31], v[30:31], v[58:59] neg_lo:[0,1] neg_hi:[0,1]
	v_mov_b32_e32 v54, v57
	v_mov_b32_e32 v55, v52
	v_pk_add_f32 v[30:31], v[54:55], v[30:31] neg_lo:[0,1] neg_hi:[0,1]
	v_mov_b32_e32 v62, v60
	v_pk_add_f32 v[52:53], v[62:63], v[30:31]
	v_cmp_lt_f32_e64 s[2:3], |v27|, s2
	v_mov_b32_e32 v32, v53
	v_pk_add_f32 v[54:55], v[52:53], v[32:33]
	s_or_b64 vcc, vcc, s[2:3]
	v_pk_add_f32 v[56:57], v[24:25], v[54:55]
	v_mov_b32_e32 v31, v54
	v_mov_b32_e32 v53, v56
	v_pk_add_f32 v[58:59], v[52:53], v[60:61] neg_lo:[0,1] neg_hi:[0,1]
	s_nop 0
	v_sub_f32_e32 v1, v52, v58
	v_pk_add_f32 v[30:31], v[30:31], v[58:59] neg_lo:[0,1] neg_hi:[0,1]
	v_sub_f32_e32 v1, v60, v1
	v_add_f32_e32 v1, v30, v1
	v_add_f32_e32 v1, v1, v31
	v_add_f32_e32 v1, v56, v1
	v_cndmask_b32_e32 v1, v1, v27, vcc
	v_add_f32_e32 v24, v0, v1
.LBB131_152:
	s_or_b64 exec, exec, s[0:1]
	v_max_f32_e32 v0, v24, v24
	v_min_f32_e32 v1, v0, v33
	v_cmp_u_f32_e32 vcc, v24, v24
	v_max_f32_e32 v0, v0, v33
	s_movk_i32 s2, 0x1f8
	v_cndmask_b32_e32 v1, v1, v24, vcc
	v_cndmask_b32_e32 v0, v0, v24, vcc
	v_cndmask_b32_e64 v1, v1, v25, s[62:63]
	v_cndmask_b32_e64 v0, v0, v25, s[62:63]
	v_cmp_neq_f32_e32 vcc, v1, v0
	v_cmp_class_f32_e64 s[0:1], v1, s2
	s_or_b64 s[4:5], vcc, s[0:1]
	v_mov_b32_e32 v25, v24
	s_and_saveexec_b64 s[0:1], s[4:5]
	s_cbranch_execz .LBB131_154
; %bb.153:
	v_sub_f32_e32 v1, v1, v0
	s_mov_b32 s3, 0x3fb8aa3b
	v_mul_f32_e32 v25, 0x3fb8aa3b, v1
	v_fma_f32 v27, v1, s3, -v25
	v_rndne_f32_e32 v29, v25
	v_fmamk_f32 v27, v1, 0x32a5705f, v27
	v_sub_f32_e32 v25, v25, v29
	v_add_f32_e32 v25, v25, v27
	v_exp_f32_e32 v25, v25
	v_cvt_i32_f32_e32 v27, v29
	s_mov_b32 s3, 0xc2ce8ed0
	v_cmp_ngt_f32_e32 vcc, s3, v1
	s_mov_b32 s3, 0x42b17218
	v_ldexp_f32 v25, v25, v27
	v_cndmask_b32_e32 v25, 0, v25, vcc
	v_mov_b32_e32 v27, 0x7f800000
	v_cmp_nlt_f32_e32 vcc, s3, v1
	s_mov_b32 s3, 0x3f2aaaab
	s_mov_b32 s4, 0x7f800000
	v_cndmask_b32_e32 v25, v27, v25, vcc
	v_add_f32_e32 v1, 1.0, v25
	v_add_f32_e32 v27, -1.0, v1
	v_sub_f32_e32 v29, v27, v1
	v_add_f32_e32 v29, 1.0, v29
	v_sub_f32_e32 v27, v25, v27
	v_add_f32_e32 v27, v27, v29
	v_frexp_mant_f32_e32 v29, v1
	v_cvt_f64_f32_e32 v[30:31], v1
	v_frexp_exp_i32_f64_e32 v30, v[30:31]
	v_cmp_gt_f32_e32 vcc, s3, v29
	s_mov_b32 s3, 0x3f317218
	s_nop 0
	v_subbrev_co_u32_e32 v29, vcc, 0, v30, vcc
	v_sub_u32_e32 v30, 0, v29
	v_ldexp_f32 v1, v1, v30
	v_ldexp_f32 v27, v27, v30
	v_add_f32_e32 v30, -1.0, v1
	v_add_f32_e32 v31, 1.0, v30
	v_sub_f32_e32 v31, v1, v31
	v_add_f32_e32 v32, v27, v31
	v_add_f32_e32 v31, 1.0, v1
	v_add_f32_e32 v33, -1.0, v31
	v_sub_f32_e32 v1, v1, v33
	v_add_f32_e32 v1, v27, v1
	v_add_f32_e32 v27, v31, v1
	v_rcp_f32_e32 v34, v27
	v_sub_f32_e32 v31, v31, v27
	v_add_f32_e32 v1, v1, v31
	v_add_f32_e32 v31, v30, v32
	v_sub_f32_e32 v30, v30, v31
	v_mul_f32_e32 v56, v31, v34
	v_add_f32_e32 v51, v32, v30
	v_mul_f32_e32 v32, v27, v56
	v_fma_f32 v52, v56, v27, -v32
	v_fmac_f32_e32 v52, v56, v1
	v_add_f32_e32 v30, v32, v52
	v_sub_f32_e32 v33, v31, v30
	s_waitcnt lgkmcnt(0)
	v_pk_add_f32 v[54:55], v[30:31], v[32:33] neg_lo:[0,1] neg_hi:[0,1]
	v_mov_b32_e32 v53, v30
	v_pk_add_f32 v[30:31], v[54:55], v[52:53] neg_lo:[0,1] neg_hi:[0,1]
	v_cmp_eq_f32_e32 vcc, s4, v25
	v_add_f32_e32 v31, v51, v31
	v_add_f32_e32 v30, v30, v31
	;; [unrolled: 1-line block ×3, first 2 shown]
	v_mul_f32_e32 v51, v34, v31
	v_mul_f32_e32 v32, v27, v51
	v_fma_f32 v52, v51, v27, -v32
	v_fmac_f32_e32 v52, v51, v1
	v_sub_f32_e32 v1, v33, v31
	v_add_f32_e32 v1, v30, v1
	v_add_f32_e32 v30, v32, v52
	v_sub_f32_e32 v33, v31, v30
	v_pk_add_f32 v[54:55], v[30:31], v[32:33] neg_lo:[0,1] neg_hi:[0,1]
	v_mov_b32_e32 v53, v30
	v_pk_add_f32 v[30:31], v[54:55], v[52:53] neg_lo:[0,1] neg_hi:[0,1]
	v_add_f32_e32 v27, v56, v51
	v_add_f32_e32 v1, v1, v31
	;; [unrolled: 1-line block ×4, first 2 shown]
	v_sub_f32_e32 v30, v27, v56
	v_mul_f32_e32 v1, v34, v1
	v_sub_f32_e32 v30, v51, v30
	v_add_f32_e32 v1, v30, v1
	v_add_f32_e32 v30, v27, v1
	v_cvt_f32_i32_e32 v32, v29
	v_mul_f32_e32 v33, v30, v30
	v_mov_b32_e32 v31, 0x3ecc95a3
	v_fmac_f32_e32 v31, 0x3e9b6dac, v33
	v_fmaak_f32 v31, v33, v31, 0x3f2aaada
	v_sub_f32_e32 v27, v30, v27
	v_ldexp_f32 v53, v30, 1
	v_mul_f32_e32 v33, v30, v33
	v_mov_b32_e32 v30, 0x3f317218
	v_pk_mul_f32 v[30:31], v[32:33], v[30:31]
	v_sub_f32_e32 v1, v1, v27
	v_fma_f32 v27, v32, s3, -v30
	v_fmamk_f32 v52, v32, 0xb102e308, v27
	v_pk_add_f32 v[32:33], v[30:31], v[52:53]
	v_ldexp_f32 v1, v1, 1
	v_sub_f32_e32 v27, v33, v53
	v_sub_f32_e32 v27, v31, v27
	v_add_f32_e32 v55, v1, v27
	v_mov_b32_e32 v54, v30
	v_pk_add_f32 v[30:31], v[32:33], v[30:31] neg_lo:[0,1] neg_hi:[0,1]
	v_pk_add_f32 v[56:57], v[32:33], v[54:55]
	v_mov_b32_e32 v53, v32
	v_mov_b32_e32 v31, v57
	v_pk_add_f32 v[58:59], v[52:53], v[30:31] neg_lo:[0,1] neg_hi:[0,1]
	v_pk_add_f32 v[30:31], v[52:53], v[30:31]
	s_mov_b32 s3, 0x33800000
	v_mov_b32_e32 v34, v31
	v_pk_add_f32 v[52:53], v[34:35], v[32:33] neg_lo:[0,1] neg_hi:[0,1]
	v_mov_b32_e32 v30, v57
	v_mov_b32_e32 v1, v52
	v_pk_add_f32 v[60:61], v[56:57], v[0:1] neg_lo:[0,1] neg_hi:[0,1]
	v_mov_b32_e32 v56, v33
	v_mov_b32_e32 v57, v52
	;; [unrolled: 1-line block ×3, first 2 shown]
	v_pk_add_f32 v[30:31], v[30:31], v[56:57] neg_lo:[0,1] neg_hi:[0,1]
	v_mov_b32_e32 v52, v55
	v_mov_b32_e32 v53, v32
	v_pk_add_f32 v[30:31], v[52:53], v[30:31] neg_lo:[0,1] neg_hi:[0,1]
	v_mov_b32_e32 v60, v58
	v_pk_add_f32 v[32:33], v[60:61], v[30:31]
	v_cmp_lt_f32_e64 s[4:5], |v25|, s3
	v_mov_b32_e32 v52, v33
	v_pk_add_f32 v[52:53], v[32:33], v[52:53]
	s_or_b64 vcc, vcc, s[4:5]
	v_pk_add_f32 v[54:55], v[34:35], v[52:53]
	v_mov_b32_e32 v31, v52
	v_mov_b32_e32 v33, v54
	v_pk_add_f32 v[56:57], v[32:33], v[58:59] neg_lo:[0,1] neg_hi:[0,1]
	s_nop 0
	v_sub_f32_e32 v1, v32, v56
	v_pk_add_f32 v[30:31], v[30:31], v[56:57] neg_lo:[0,1] neg_hi:[0,1]
	v_sub_f32_e32 v1, v58, v1
	v_add_f32_e32 v1, v30, v1
	v_add_f32_e32 v1, v1, v31
	;; [unrolled: 1-line block ×3, first 2 shown]
	v_cndmask_b32_e32 v1, v1, v25, vcc
	v_add_f32_e32 v25, v0, v1
.LBB131_154:
	s_or_b64 exec, exec, s[0:1]
	v_max_f32_e32 v0, v25, v25
	v_min_f32_e32 v1, v0, v35
	v_cmp_u_f32_e32 vcc, v25, v25
	v_max_f32_e32 v0, v0, v35
	s_nop 0
	v_cndmask_b32_e32 v1, v1, v25, vcc
	v_cndmask_b32_e32 v0, v0, v25, vcc
	v_cndmask_b32_e64 v1, v1, v18, s[64:65]
	v_cndmask_b32_e64 v0, v0, v18, s[64:65]
	v_cmp_neq_f32_e32 vcc, v1, v0
	v_cmp_class_f32_e64 s[0:1], v1, s2
	s_or_b64 s[2:3], vcc, s[0:1]
	v_mov_b32_e32 v18, v25
	s_and_saveexec_b64 s[0:1], s[2:3]
	s_cbranch_execz .LBB131_156
; %bb.155:
	v_sub_f32_e32 v1, v1, v0
	s_mov_b32 s2, 0x3fb8aa3b
	v_mul_f32_e32 v18, 0x3fb8aa3b, v1
	v_fma_f32 v27, v1, s2, -v18
	v_rndne_f32_e32 v29, v18
	v_fmamk_f32 v27, v1, 0x32a5705f, v27
	v_sub_f32_e32 v18, v18, v29
	v_add_f32_e32 v18, v18, v27
	v_exp_f32_e32 v18, v18
	v_cvt_i32_f32_e32 v27, v29
	s_mov_b32 s2, 0xc2ce8ed0
	v_cmp_ngt_f32_e32 vcc, s2, v1
	s_mov_b32 s2, 0x42b17218
	v_ldexp_f32 v18, v18, v27
	v_cndmask_b32_e32 v18, 0, v18, vcc
	v_mov_b32_e32 v27, 0x7f800000
	v_cmp_nlt_f32_e32 vcc, s2, v1
	s_mov_b32 s2, 0x3f2aaaab
	s_mov_b32 s3, 0x7f800000
	v_cndmask_b32_e32 v27, v27, v18, vcc
	v_add_f32_e32 v1, 1.0, v27
	v_add_f32_e32 v18, -1.0, v1
	v_sub_f32_e32 v29, v18, v1
	v_add_f32_e32 v29, 1.0, v29
	v_sub_f32_e32 v18, v27, v18
	v_add_f32_e32 v18, v18, v29
	v_frexp_mant_f32_e32 v29, v1
	v_cvt_f64_f32_e32 v[30:31], v1
	v_frexp_exp_i32_f64_e32 v30, v[30:31]
	v_cmp_gt_f32_e32 vcc, s2, v29
	s_mov_b32 s2, 0x3f317218
	s_nop 0
	v_subbrev_co_u32_e32 v29, vcc, 0, v30, vcc
	v_sub_u32_e32 v30, 0, v29
	v_ldexp_f32 v1, v1, v30
	v_ldexp_f32 v18, v18, v30
	v_add_f32_e32 v30, -1.0, v1
	v_add_f32_e32 v31, 1.0, v30
	v_sub_f32_e32 v31, v1, v31
	v_add_f32_e32 v32, v18, v31
	v_add_f32_e32 v31, 1.0, v1
	v_add_f32_e32 v33, -1.0, v31
	v_sub_f32_e32 v1, v1, v33
	v_add_f32_e32 v1, v18, v1
	v_add_f32_e32 v18, v31, v1
	v_rcp_f32_e32 v51, v18
	v_sub_f32_e32 v31, v31, v18
	v_add_f32_e32 v1, v1, v31
	v_add_f32_e32 v31, v30, v32
	v_sub_f32_e32 v30, v30, v31
	v_mul_f32_e32 v55, v31, v51
	s_waitcnt lgkmcnt(0)
	v_add_f32_e32 v54, v32, v30
	v_mul_f32_e32 v32, v18, v55
	v_fma_f32 v34, v55, v18, -v32
	v_fmac_f32_e32 v34, v55, v1
	v_add_f32_e32 v30, v32, v34
	v_sub_f32_e32 v33, v31, v30
	v_pk_add_f32 v[52:53], v[30:31], v[32:33] neg_lo:[0,1] neg_hi:[0,1]
	v_mov_b32_e32 v35, v30
	v_pk_add_f32 v[30:31], v[52:53], v[34:35] neg_lo:[0,1] neg_hi:[0,1]
	v_cmp_eq_f32_e32 vcc, s3, v27
	v_add_f32_e32 v31, v54, v31
	v_add_f32_e32 v30, v30, v31
	;; [unrolled: 1-line block ×3, first 2 shown]
	v_mul_f32_e32 v54, v51, v31
	v_mul_f32_e32 v32, v18, v54
	v_fma_f32 v34, v54, v18, -v32
	v_fmac_f32_e32 v34, v54, v1
	v_sub_f32_e32 v1, v33, v31
	v_add_f32_e32 v1, v30, v1
	v_add_f32_e32 v30, v32, v34
	v_sub_f32_e32 v33, v31, v30
	v_pk_add_f32 v[52:53], v[30:31], v[32:33] neg_lo:[0,1] neg_hi:[0,1]
	v_mov_b32_e32 v35, v30
	v_pk_add_f32 v[30:31], v[52:53], v[34:35] neg_lo:[0,1] neg_hi:[0,1]
	v_add_f32_e32 v18, v55, v54
	v_add_f32_e32 v1, v1, v31
	;; [unrolled: 1-line block ×4, first 2 shown]
	v_sub_f32_e32 v30, v18, v55
	v_mul_f32_e32 v1, v51, v1
	v_sub_f32_e32 v30, v54, v30
	v_add_f32_e32 v1, v30, v1
	v_add_f32_e32 v30, v18, v1
	v_cvt_f32_i32_e32 v32, v29
	v_mul_f32_e32 v33, v30, v30
	v_mov_b32_e32 v31, 0x3ecc95a3
	v_fmac_f32_e32 v31, 0x3e9b6dac, v33
	v_fmaak_f32 v31, v33, v31, 0x3f2aaada
	v_sub_f32_e32 v18, v30, v18
	v_ldexp_f32 v35, v30, 1
	v_mul_f32_e32 v33, v30, v33
	v_mov_b32_e32 v30, 0x3f317218
	v_pk_mul_f32 v[30:31], v[32:33], v[30:31]
	v_sub_f32_e32 v1, v1, v18
	v_fma_f32 v18, v32, s2, -v30
	v_fmamk_f32 v34, v32, 0xb102e308, v18
	v_pk_add_f32 v[32:33], v[30:31], v[34:35]
	v_ldexp_f32 v1, v1, 1
	v_sub_f32_e32 v18, v33, v35
	v_sub_f32_e32 v18, v31, v18
	v_add_f32_e32 v53, v1, v18
	v_mov_b32_e32 v52, v30
	v_pk_add_f32 v[30:31], v[32:33], v[30:31] neg_lo:[0,1] neg_hi:[0,1]
	v_pk_add_f32 v[54:55], v[32:33], v[52:53]
	v_mov_b32_e32 v35, v32
	v_mov_b32_e32 v31, v55
	v_pk_add_f32 v[56:57], v[34:35], v[30:31] neg_lo:[0,1] neg_hi:[0,1]
	v_pk_add_f32 v[30:31], v[34:35], v[30:31]
	s_mov_b32 s2, 0x33800000
	v_mov_b32_e32 v18, v31
	v_pk_add_f32 v[34:35], v[18:19], v[32:33] neg_lo:[0,1] neg_hi:[0,1]
	v_mov_b32_e32 v30, v55
	v_mov_b32_e32 v1, v34
	v_pk_add_f32 v[58:59], v[54:55], v[0:1] neg_lo:[0,1] neg_hi:[0,1]
	v_mov_b32_e32 v54, v33
	v_mov_b32_e32 v55, v34
	;; [unrolled: 1-line block ×3, first 2 shown]
	v_pk_add_f32 v[30:31], v[30:31], v[54:55] neg_lo:[0,1] neg_hi:[0,1]
	v_mov_b32_e32 v34, v53
	v_mov_b32_e32 v35, v32
	v_pk_add_f32 v[30:31], v[34:35], v[30:31] neg_lo:[0,1] neg_hi:[0,1]
	v_mov_b32_e32 v58, v56
	v_pk_add_f32 v[32:33], v[58:59], v[30:31]
	v_cmp_lt_f32_e64 s[2:3], |v27|, s2
	v_mov_b32_e32 v34, v33
	v_pk_add_f32 v[34:35], v[32:33], v[34:35]
	s_or_b64 vcc, vcc, s[2:3]
	v_pk_add_f32 v[52:53], v[18:19], v[34:35]
	v_mov_b32_e32 v31, v34
	v_mov_b32_e32 v33, v52
	v_pk_add_f32 v[54:55], v[32:33], v[56:57] neg_lo:[0,1] neg_hi:[0,1]
	s_nop 0
	v_sub_f32_e32 v1, v32, v54
	v_pk_add_f32 v[30:31], v[30:31], v[54:55] neg_lo:[0,1] neg_hi:[0,1]
	v_sub_f32_e32 v1, v56, v1
	v_add_f32_e32 v1, v30, v1
	v_add_f32_e32 v1, v1, v31
	;; [unrolled: 1-line block ×3, first 2 shown]
	v_cndmask_b32_e32 v1, v1, v27, vcc
	v_add_f32_e32 v18, v0, v1
.LBB131_156:
	s_or_b64 exec, exec, s[0:1]
	v_max_f32_e32 v0, v18, v18
	v_min_f32_e32 v1, v0, v36
	v_cmp_u_f32_e32 vcc, v18, v18
	v_max_f32_e32 v0, v0, v36
	s_movk_i32 s2, 0x1f8
	v_cndmask_b32_e32 v1, v1, v18, vcc
	v_cndmask_b32_e32 v0, v0, v18, vcc
	v_cndmask_b32_e64 v1, v1, v19, s[66:67]
	v_cndmask_b32_e64 v0, v0, v19, s[66:67]
	v_cmp_neq_f32_e32 vcc, v1, v0
	v_cmp_class_f32_e64 s[0:1], v1, s2
	s_or_b64 s[4:5], vcc, s[0:1]
	v_mov_b32_e32 v19, v18
	s_and_saveexec_b64 s[0:1], s[4:5]
	s_cbranch_execz .LBB131_158
; %bb.157:
	v_sub_f32_e32 v1, v1, v0
	s_mov_b32 s3, 0x3fb8aa3b
	v_mul_f32_e32 v19, 0x3fb8aa3b, v1
	v_fma_f32 v27, v1, s3, -v19
	v_rndne_f32_e32 v29, v19
	v_fmamk_f32 v27, v1, 0x32a5705f, v27
	v_sub_f32_e32 v19, v19, v29
	v_add_f32_e32 v19, v19, v27
	v_exp_f32_e32 v19, v19
	v_cvt_i32_f32_e32 v27, v29
	s_mov_b32 s3, 0xc2ce8ed0
	v_cmp_ngt_f32_e32 vcc, s3, v1
	s_mov_b32 s3, 0x42b17218
	v_ldexp_f32 v19, v19, v27
	v_cndmask_b32_e32 v19, 0, v19, vcc
	v_mov_b32_e32 v27, 0x7f800000
	v_cmp_nlt_f32_e32 vcc, s3, v1
	s_mov_b32 s3, 0x3f2aaaab
	s_mov_b32 s4, 0x7f800000
	v_cndmask_b32_e32 v19, v27, v19, vcc
	v_add_f32_e32 v1, 1.0, v19
	v_add_f32_e32 v27, -1.0, v1
	v_sub_f32_e32 v29, v27, v1
	v_add_f32_e32 v29, 1.0, v29
	v_sub_f32_e32 v27, v19, v27
	v_add_f32_e32 v27, v27, v29
	v_frexp_mant_f32_e32 v29, v1
	v_cvt_f64_f32_e32 v[30:31], v1
	v_frexp_exp_i32_f64_e32 v30, v[30:31]
	v_cmp_gt_f32_e32 vcc, s3, v29
	s_mov_b32 s3, 0x3f317218
	s_nop 0
	v_subbrev_co_u32_e32 v29, vcc, 0, v30, vcc
	v_sub_u32_e32 v30, 0, v29
	v_ldexp_f32 v1, v1, v30
	v_ldexp_f32 v27, v27, v30
	v_add_f32_e32 v30, -1.0, v1
	v_add_f32_e32 v31, 1.0, v30
	v_sub_f32_e32 v31, v1, v31
	v_add_f32_e32 v32, v27, v31
	v_add_f32_e32 v31, 1.0, v1
	v_add_f32_e32 v33, -1.0, v31
	v_sub_f32_e32 v1, v1, v33
	v_add_f32_e32 v1, v27, v1
	v_add_f32_e32 v27, v31, v1
	v_rcp_f32_e32 v36, v27
	v_sub_f32_e32 v31, v31, v27
	v_add_f32_e32 v1, v1, v31
	v_add_f32_e32 v31, v30, v32
	v_sub_f32_e32 v30, v30, v31
	s_waitcnt lgkmcnt(0)
	v_mul_f32_e32 v54, v31, v36
	v_add_f32_e32 v51, v32, v30
	v_mul_f32_e32 v32, v27, v54
	v_fma_f32 v34, v54, v27, -v32
	v_fmac_f32_e32 v34, v54, v1
	v_add_f32_e32 v30, v32, v34
	v_sub_f32_e32 v33, v31, v30
	v_pk_add_f32 v[52:53], v[30:31], v[32:33] neg_lo:[0,1] neg_hi:[0,1]
	v_mov_b32_e32 v35, v30
	v_pk_add_f32 v[30:31], v[52:53], v[34:35] neg_lo:[0,1] neg_hi:[0,1]
	v_cmp_eq_f32_e32 vcc, s4, v19
	v_add_f32_e32 v31, v51, v31
	v_add_f32_e32 v30, v30, v31
	;; [unrolled: 1-line block ×3, first 2 shown]
	v_mul_f32_e32 v51, v36, v31
	v_mul_f32_e32 v32, v27, v51
	v_fma_f32 v34, v51, v27, -v32
	v_fmac_f32_e32 v34, v51, v1
	v_sub_f32_e32 v1, v33, v31
	v_add_f32_e32 v1, v30, v1
	v_add_f32_e32 v30, v32, v34
	v_sub_f32_e32 v33, v31, v30
	v_pk_add_f32 v[52:53], v[30:31], v[32:33] neg_lo:[0,1] neg_hi:[0,1]
	v_mov_b32_e32 v35, v30
	v_pk_add_f32 v[30:31], v[52:53], v[34:35] neg_lo:[0,1] neg_hi:[0,1]
	v_add_f32_e32 v27, v54, v51
	v_add_f32_e32 v1, v1, v31
	;; [unrolled: 1-line block ×4, first 2 shown]
	v_sub_f32_e32 v30, v27, v54
	v_mul_f32_e32 v1, v36, v1
	v_sub_f32_e32 v30, v51, v30
	v_add_f32_e32 v1, v30, v1
	v_add_f32_e32 v30, v27, v1
	v_cvt_f32_i32_e32 v32, v29
	v_mul_f32_e32 v33, v30, v30
	v_mov_b32_e32 v31, 0x3ecc95a3
	v_fmac_f32_e32 v31, 0x3e9b6dac, v33
	v_fmaak_f32 v31, v33, v31, 0x3f2aaada
	v_sub_f32_e32 v27, v30, v27
	v_ldexp_f32 v35, v30, 1
	v_mul_f32_e32 v33, v30, v33
	v_mov_b32_e32 v30, 0x3f317218
	v_pk_mul_f32 v[30:31], v[32:33], v[30:31]
	v_sub_f32_e32 v1, v1, v27
	v_fma_f32 v27, v32, s3, -v30
	v_fmamk_f32 v34, v32, 0xb102e308, v27
	v_pk_add_f32 v[32:33], v[30:31], v[34:35]
	v_ldexp_f32 v1, v1, 1
	v_sub_f32_e32 v27, v33, v35
	v_sub_f32_e32 v27, v31, v27
	v_add_f32_e32 v53, v1, v27
	v_mov_b32_e32 v52, v30
	v_pk_add_f32 v[30:31], v[32:33], v[30:31] neg_lo:[0,1] neg_hi:[0,1]
	v_pk_add_f32 v[54:55], v[32:33], v[52:53]
	v_mov_b32_e32 v35, v32
	v_mov_b32_e32 v31, v55
	v_pk_add_f32 v[56:57], v[34:35], v[30:31] neg_lo:[0,1] neg_hi:[0,1]
	v_pk_add_f32 v[30:31], v[34:35], v[30:31]
	v_mov_b32_e32 v52, v53
	v_mov_b32_e32 v34, v31
	v_pk_add_f32 v[58:59], v[34:35], v[32:33] neg_lo:[0,1] neg_hi:[0,1]
	v_mov_b32_e32 v30, v55
	v_mov_b32_e32 v1, v58
	v_pk_add_f32 v[60:61], v[54:55], v[0:1] neg_lo:[0,1] neg_hi:[0,1]
	v_mov_b32_e32 v54, v33
	v_mov_b32_e32 v55, v58
	;; [unrolled: 1-line block ×3, first 2 shown]
	v_pk_add_f32 v[30:31], v[30:31], v[54:55] neg_lo:[0,1] neg_hi:[0,1]
	v_mov_b32_e32 v53, v32
	v_pk_add_f32 v[30:31], v[52:53], v[30:31] neg_lo:[0,1] neg_hi:[0,1]
	v_mov_b32_e32 v60, v56
	v_pk_add_f32 v[32:33], v[60:61], v[30:31]
	s_mov_b32 s3, 0x33800000
	v_mov_b32_e32 v36, v33
	v_pk_add_f32 v[52:53], v[32:33], v[36:37]
	v_cmp_lt_f32_e64 s[4:5], |v19|, s3
	v_pk_add_f32 v[34:35], v[34:35], v[52:53]
	v_mov_b32_e32 v31, v52
	v_mov_b32_e32 v33, v34
	v_pk_add_f32 v[54:55], v[32:33], v[56:57] neg_lo:[0,1] neg_hi:[0,1]
	s_or_b64 vcc, vcc, s[4:5]
	v_sub_f32_e32 v1, v32, v54
	v_pk_add_f32 v[30:31], v[30:31], v[54:55] neg_lo:[0,1] neg_hi:[0,1]
	v_sub_f32_e32 v1, v56, v1
	v_add_f32_e32 v1, v30, v1
	v_add_f32_e32 v1, v1, v31
	;; [unrolled: 1-line block ×3, first 2 shown]
	v_cndmask_b32_e32 v1, v1, v19, vcc
	v_add_f32_e32 v19, v0, v1
.LBB131_158:
	s_or_b64 exec, exec, s[0:1]
	v_max_f32_e32 v0, v19, v19
	v_min_f32_e32 v1, v0, v37
	v_cmp_u_f32_e32 vcc, v19, v19
	v_max_f32_e32 v0, v0, v37
	s_nop 0
	v_cndmask_b32_e32 v1, v1, v19, vcc
	v_cndmask_b32_e32 v0, v0, v19, vcc
	v_cndmask_b32_e64 v1, v1, v20, s[68:69]
	v_cndmask_b32_e64 v0, v0, v20, s[68:69]
	v_cmp_neq_f32_e32 vcc, v1, v0
	v_cmp_class_f32_e64 s[0:1], v1, s2
	s_or_b64 s[2:3], vcc, s[0:1]
	v_mov_b32_e32 v20, v19
	s_and_saveexec_b64 s[0:1], s[2:3]
	s_cbranch_execz .LBB131_160
; %bb.159:
	v_sub_f32_e32 v1, v1, v0
	s_mov_b32 s2, 0x3fb8aa3b
	v_mul_f32_e32 v20, 0x3fb8aa3b, v1
	v_fma_f32 v27, v1, s2, -v20
	v_rndne_f32_e32 v29, v20
	v_fmamk_f32 v27, v1, 0x32a5705f, v27
	v_sub_f32_e32 v20, v20, v29
	v_add_f32_e32 v20, v20, v27
	v_exp_f32_e32 v20, v20
	v_cvt_i32_f32_e32 v27, v29
	s_mov_b32 s2, 0xc2ce8ed0
	v_cmp_ngt_f32_e32 vcc, s2, v1
	s_mov_b32 s2, 0x42b17218
	v_ldexp_f32 v20, v20, v27
	v_cndmask_b32_e32 v20, 0, v20, vcc
	v_mov_b32_e32 v27, 0x7f800000
	v_cmp_nlt_f32_e32 vcc, s2, v1
	s_mov_b32 s2, 0x3f2aaaab
	s_mov_b32 s3, 0x7f800000
	v_cndmask_b32_e32 v27, v27, v20, vcc
	v_add_f32_e32 v1, 1.0, v27
	v_add_f32_e32 v20, -1.0, v1
	v_sub_f32_e32 v29, v20, v1
	v_add_f32_e32 v29, 1.0, v29
	v_sub_f32_e32 v20, v27, v20
	v_add_f32_e32 v20, v20, v29
	v_frexp_mant_f32_e32 v29, v1
	v_cvt_f64_f32_e32 v[30:31], v1
	v_frexp_exp_i32_f64_e32 v30, v[30:31]
	v_cmp_gt_f32_e32 vcc, s2, v29
	s_mov_b32 s2, 0x3f317218
	s_nop 0
	v_subbrev_co_u32_e32 v29, vcc, 0, v30, vcc
	v_sub_u32_e32 v30, 0, v29
	v_ldexp_f32 v1, v1, v30
	v_ldexp_f32 v20, v20, v30
	v_add_f32_e32 v30, -1.0, v1
	v_add_f32_e32 v31, 1.0, v30
	v_sub_f32_e32 v31, v1, v31
	v_add_f32_e32 v32, v20, v31
	v_add_f32_e32 v31, 1.0, v1
	v_add_f32_e32 v33, -1.0, v31
	v_sub_f32_e32 v1, v1, v33
	v_add_f32_e32 v1, v20, v1
	v_add_f32_e32 v20, v31, v1
	v_rcp_f32_e32 v51, v20
	v_sub_f32_e32 v31, v31, v20
	v_add_f32_e32 v1, v1, v31
	v_add_f32_e32 v31, v30, v32
	v_sub_f32_e32 v30, v30, v31
	v_mul_f32_e32 v53, v31, v51
	v_add_f32_e32 v52, v32, v30
	v_mul_f32_e32 v32, v20, v53
	v_fma_f32 v34, v53, v20, -v32
	v_fmac_f32_e32 v34, v53, v1
	v_add_f32_e32 v30, v32, v34
	v_sub_f32_e32 v33, v31, v30
	v_pk_add_f32 v[36:37], v[30:31], v[32:33] neg_lo:[0,1] neg_hi:[0,1]
	v_mov_b32_e32 v35, v30
	v_pk_add_f32 v[30:31], v[36:37], v[34:35] neg_lo:[0,1] neg_hi:[0,1]
	v_cmp_eq_f32_e32 vcc, s3, v27
	v_add_f32_e32 v31, v52, v31
	v_add_f32_e32 v30, v30, v31
	;; [unrolled: 1-line block ×3, first 2 shown]
	v_mul_f32_e32 v52, v51, v31
	v_mul_f32_e32 v32, v20, v52
	v_fma_f32 v34, v52, v20, -v32
	v_fmac_f32_e32 v34, v52, v1
	v_sub_f32_e32 v1, v33, v31
	v_add_f32_e32 v1, v30, v1
	v_add_f32_e32 v30, v32, v34
	v_sub_f32_e32 v33, v31, v30
	v_pk_add_f32 v[36:37], v[30:31], v[32:33] neg_lo:[0,1] neg_hi:[0,1]
	v_mov_b32_e32 v35, v30
	v_pk_add_f32 v[30:31], v[36:37], v[34:35] neg_lo:[0,1] neg_hi:[0,1]
	v_add_f32_e32 v20, v53, v52
	v_add_f32_e32 v1, v1, v31
	;; [unrolled: 1-line block ×4, first 2 shown]
	v_sub_f32_e32 v30, v20, v53
	v_mul_f32_e32 v1, v51, v1
	v_sub_f32_e32 v30, v52, v30
	v_add_f32_e32 v1, v30, v1
	v_add_f32_e32 v30, v20, v1
	v_cvt_f32_i32_e32 v32, v29
	v_mul_f32_e32 v33, v30, v30
	v_mov_b32_e32 v31, 0x3ecc95a3
	v_fmac_f32_e32 v31, 0x3e9b6dac, v33
	v_fmaak_f32 v31, v33, v31, 0x3f2aaada
	v_sub_f32_e32 v20, v30, v20
	v_ldexp_f32 v35, v30, 1
	v_mul_f32_e32 v33, v30, v33
	v_mov_b32_e32 v30, 0x3f317218
	v_pk_mul_f32 v[30:31], v[32:33], v[30:31]
	v_sub_f32_e32 v1, v1, v20
	v_fma_f32 v20, v32, s2, -v30
	v_fmamk_f32 v34, v32, 0xb102e308, v20
	v_pk_add_f32 v[32:33], v[30:31], v[34:35]
	v_ldexp_f32 v1, v1, 1
	v_sub_f32_e32 v20, v33, v35
	v_sub_f32_e32 v20, v31, v20
	v_add_f32_e32 v37, v1, v20
	v_mov_b32_e32 v36, v30
	v_pk_add_f32 v[30:31], v[32:33], v[30:31] neg_lo:[0,1] neg_hi:[0,1]
	v_pk_add_f32 v[52:53], v[32:33], v[36:37]
	v_mov_b32_e32 v35, v32
	v_mov_b32_e32 v31, v53
	s_waitcnt lgkmcnt(0)
	v_pk_add_f32 v[54:55], v[34:35], v[30:31] neg_lo:[0,1] neg_hi:[0,1]
	v_pk_add_f32 v[30:31], v[34:35], v[30:31]
	s_mov_b32 s2, 0x33800000
	v_mov_b32_e32 v20, v31
	v_pk_add_f32 v[34:35], v[20:21], v[32:33] neg_lo:[0,1] neg_hi:[0,1]
	v_mov_b32_e32 v30, v53
	v_mov_b32_e32 v1, v34
	v_pk_add_f32 v[56:57], v[52:53], v[0:1] neg_lo:[0,1] neg_hi:[0,1]
	v_mov_b32_e32 v52, v33
	v_mov_b32_e32 v53, v34
	v_mov_b32_e32 v55, v31
	v_pk_add_f32 v[30:31], v[30:31], v[52:53] neg_lo:[0,1] neg_hi:[0,1]
	v_mov_b32_e32 v34, v37
	v_mov_b32_e32 v35, v32
	v_pk_add_f32 v[30:31], v[34:35], v[30:31] neg_lo:[0,1] neg_hi:[0,1]
	v_mov_b32_e32 v56, v54
	v_pk_add_f32 v[32:33], v[56:57], v[30:31]
	v_cmp_lt_f32_e64 s[2:3], |v27|, s2
	v_mov_b32_e32 v34, v33
	v_pk_add_f32 v[34:35], v[32:33], v[34:35]
	s_or_b64 vcc, vcc, s[2:3]
	v_pk_add_f32 v[36:37], v[20:21], v[34:35]
	v_mov_b32_e32 v31, v34
	v_mov_b32_e32 v33, v36
	v_pk_add_f32 v[52:53], v[32:33], v[54:55] neg_lo:[0,1] neg_hi:[0,1]
	s_nop 0
	v_sub_f32_e32 v1, v32, v52
	v_pk_add_f32 v[30:31], v[30:31], v[52:53] neg_lo:[0,1] neg_hi:[0,1]
	v_sub_f32_e32 v1, v54, v1
	v_add_f32_e32 v1, v30, v1
	v_add_f32_e32 v1, v1, v31
	v_add_f32_e32 v1, v36, v1
	v_cndmask_b32_e32 v1, v1, v27, vcc
	v_add_f32_e32 v20, v0, v1
.LBB131_160:
	s_or_b64 exec, exec, s[0:1]
	v_max_f32_e32 v0, v20, v20
	v_min_f32_e32 v1, v0, v38
	v_cmp_u_f32_e32 vcc, v20, v20
	v_max_f32_e32 v0, v0, v38
	s_movk_i32 s2, 0x1f8
	v_cndmask_b32_e32 v1, v1, v20, vcc
	v_cndmask_b32_e32 v0, v0, v20, vcc
	v_cndmask_b32_e64 v1, v1, v21, s[70:71]
	v_cndmask_b32_e64 v0, v0, v21, s[70:71]
	v_cmp_neq_f32_e32 vcc, v1, v0
	v_cmp_class_f32_e64 s[0:1], v1, s2
	s_or_b64 s[4:5], vcc, s[0:1]
	v_mov_b32_e32 v21, v20
	s_and_saveexec_b64 s[0:1], s[4:5]
	s_cbranch_execz .LBB131_162
; %bb.161:
	v_sub_f32_e32 v1, v1, v0
	s_mov_b32 s3, 0x3fb8aa3b
	v_mul_f32_e32 v21, 0x3fb8aa3b, v1
	v_fma_f32 v27, v1, s3, -v21
	v_rndne_f32_e32 v29, v21
	v_fmamk_f32 v27, v1, 0x32a5705f, v27
	v_sub_f32_e32 v21, v21, v29
	v_add_f32_e32 v21, v21, v27
	v_exp_f32_e32 v21, v21
	v_cvt_i32_f32_e32 v27, v29
	s_mov_b32 s3, 0xc2ce8ed0
	v_cmp_ngt_f32_e32 vcc, s3, v1
	s_mov_b32 s3, 0x42b17218
	v_ldexp_f32 v21, v21, v27
	v_cndmask_b32_e32 v21, 0, v21, vcc
	v_mov_b32_e32 v27, 0x7f800000
	v_cmp_nlt_f32_e32 vcc, s3, v1
	s_mov_b32 s3, 0x3f2aaaab
	s_mov_b32 s4, 0x7f800000
	v_cndmask_b32_e32 v21, v27, v21, vcc
	v_add_f32_e32 v1, 1.0, v21
	v_add_f32_e32 v27, -1.0, v1
	v_sub_f32_e32 v29, v27, v1
	v_add_f32_e32 v29, 1.0, v29
	v_sub_f32_e32 v27, v21, v27
	v_add_f32_e32 v27, v27, v29
	v_frexp_mant_f32_e32 v29, v1
	v_cvt_f64_f32_e32 v[30:31], v1
	v_frexp_exp_i32_f64_e32 v30, v[30:31]
	v_cmp_gt_f32_e32 vcc, s3, v29
	s_mov_b32 s3, 0x3f317218
	s_nop 0
	v_subbrev_co_u32_e32 v29, vcc, 0, v30, vcc
	v_sub_u32_e32 v30, 0, v29
	v_ldexp_f32 v1, v1, v30
	v_ldexp_f32 v27, v27, v30
	v_add_f32_e32 v30, -1.0, v1
	v_add_f32_e32 v31, 1.0, v30
	v_sub_f32_e32 v31, v1, v31
	v_add_f32_e32 v32, v27, v31
	v_add_f32_e32 v31, 1.0, v1
	v_add_f32_e32 v33, -1.0, v31
	v_sub_f32_e32 v1, v1, v33
	v_add_f32_e32 v1, v27, v1
	v_add_f32_e32 v27, v31, v1
	v_rcp_f32_e32 v38, v27
	v_sub_f32_e32 v31, v31, v27
	v_add_f32_e32 v1, v1, v31
	v_add_f32_e32 v31, v30, v32
	v_sub_f32_e32 v30, v30, v31
	v_mul_f32_e32 v52, v31, v38
	v_add_f32_e32 v51, v32, v30
	v_mul_f32_e32 v32, v27, v52
	v_fma_f32 v34, v52, v27, -v32
	v_fmac_f32_e32 v34, v52, v1
	v_add_f32_e32 v30, v32, v34
	v_sub_f32_e32 v33, v31, v30
	v_pk_add_f32 v[36:37], v[30:31], v[32:33] neg_lo:[0,1] neg_hi:[0,1]
	v_mov_b32_e32 v35, v30
	v_pk_add_f32 v[30:31], v[36:37], v[34:35] neg_lo:[0,1] neg_hi:[0,1]
	v_cmp_eq_f32_e32 vcc, s4, v21
	v_add_f32_e32 v31, v51, v31
	v_add_f32_e32 v30, v30, v31
	v_add_f32_e32 v31, v33, v30
	v_mul_f32_e32 v51, v38, v31
	v_mul_f32_e32 v32, v27, v51
	v_fma_f32 v34, v51, v27, -v32
	v_fmac_f32_e32 v34, v51, v1
	v_sub_f32_e32 v1, v33, v31
	v_add_f32_e32 v1, v30, v1
	v_add_f32_e32 v30, v32, v34
	v_sub_f32_e32 v33, v31, v30
	v_pk_add_f32 v[36:37], v[30:31], v[32:33] neg_lo:[0,1] neg_hi:[0,1]
	v_mov_b32_e32 v35, v30
	v_pk_add_f32 v[30:31], v[36:37], v[34:35] neg_lo:[0,1] neg_hi:[0,1]
	v_add_f32_e32 v27, v52, v51
	v_add_f32_e32 v1, v1, v31
	v_add_f32_e32 v1, v30, v1
	v_add_f32_e32 v1, v33, v1
	v_sub_f32_e32 v30, v27, v52
	v_mul_f32_e32 v1, v38, v1
	v_sub_f32_e32 v30, v51, v30
	v_add_f32_e32 v1, v30, v1
	v_add_f32_e32 v30, v27, v1
	v_cvt_f32_i32_e32 v32, v29
	v_mul_f32_e32 v33, v30, v30
	v_mov_b32_e32 v31, 0x3ecc95a3
	v_fmac_f32_e32 v31, 0x3e9b6dac, v33
	v_fmaak_f32 v31, v33, v31, 0x3f2aaada
	v_sub_f32_e32 v27, v30, v27
	v_ldexp_f32 v35, v30, 1
	v_mul_f32_e32 v33, v30, v33
	v_mov_b32_e32 v30, 0x3f317218
	v_pk_mul_f32 v[30:31], v[32:33], v[30:31]
	v_sub_f32_e32 v1, v1, v27
	v_fma_f32 v27, v32, s3, -v30
	v_fmamk_f32 v34, v32, 0xb102e308, v27
	v_pk_add_f32 v[32:33], v[30:31], v[34:35]
	v_ldexp_f32 v1, v1, 1
	v_sub_f32_e32 v27, v33, v35
	v_sub_f32_e32 v27, v31, v27
	v_add_f32_e32 v37, v1, v27
	v_mov_b32_e32 v36, v30
	v_pk_add_f32 v[30:31], v[32:33], v[30:31] neg_lo:[0,1] neg_hi:[0,1]
	v_pk_add_f32 v[52:53], v[32:33], v[36:37]
	v_mov_b32_e32 v35, v32
	v_mov_b32_e32 v31, v53
	s_waitcnt lgkmcnt(0)
	v_pk_add_f32 v[54:55], v[34:35], v[30:31] neg_lo:[0,1] neg_hi:[0,1]
	v_pk_add_f32 v[30:31], v[34:35], v[30:31]
	v_mov_b32_e32 v36, v37
	v_mov_b32_e32 v34, v31
	v_pk_add_f32 v[56:57], v[34:35], v[32:33] neg_lo:[0,1] neg_hi:[0,1]
	v_mov_b32_e32 v30, v53
	v_mov_b32_e32 v1, v56
	v_pk_add_f32 v[58:59], v[52:53], v[0:1] neg_lo:[0,1] neg_hi:[0,1]
	v_mov_b32_e32 v52, v33
	v_mov_b32_e32 v53, v56
	;; [unrolled: 1-line block ×3, first 2 shown]
	v_pk_add_f32 v[30:31], v[30:31], v[52:53] neg_lo:[0,1] neg_hi:[0,1]
	v_mov_b32_e32 v37, v32
	v_pk_add_f32 v[30:31], v[36:37], v[30:31] neg_lo:[0,1] neg_hi:[0,1]
	v_mov_b32_e32 v58, v54
	v_pk_add_f32 v[32:33], v[58:59], v[30:31]
	s_mov_b32 s3, 0x33800000
	v_mov_b32_e32 v36, v33
	v_pk_add_f32 v[36:37], v[32:33], v[36:37]
	v_cmp_lt_f32_e64 s[4:5], |v21|, s3
	v_pk_add_f32 v[34:35], v[34:35], v[36:37]
	v_mov_b32_e32 v31, v36
	v_mov_b32_e32 v33, v34
	v_pk_add_f32 v[52:53], v[32:33], v[54:55] neg_lo:[0,1] neg_hi:[0,1]
	s_or_b64 vcc, vcc, s[4:5]
	v_sub_f32_e32 v1, v32, v52
	v_pk_add_f32 v[30:31], v[30:31], v[52:53] neg_lo:[0,1] neg_hi:[0,1]
	v_sub_f32_e32 v1, v54, v1
	v_add_f32_e32 v1, v30, v1
	v_add_f32_e32 v1, v1, v31
	;; [unrolled: 1-line block ×3, first 2 shown]
	v_cndmask_b32_e32 v1, v1, v21, vcc
	v_add_f32_e32 v21, v0, v1
.LBB131_162:
	s_or_b64 exec, exec, s[0:1]
	v_max_f32_e32 v0, v21, v21
	v_min_f32_e32 v1, v0, v39
	v_cmp_u_f32_e32 vcc, v21, v21
	v_max_f32_e32 v0, v0, v39
	s_nop 0
	v_cndmask_b32_e32 v1, v1, v21, vcc
	v_cndmask_b32_e32 v0, v0, v21, vcc
	v_cndmask_b32_e64 v1, v1, v14, s[72:73]
	v_cndmask_b32_e64 v0, v0, v14, s[72:73]
	v_cmp_neq_f32_e32 vcc, v1, v0
	v_cmp_class_f32_e64 s[0:1], v1, s2
	s_or_b64 s[2:3], vcc, s[0:1]
	v_mov_b32_e32 v14, v21
	s_and_saveexec_b64 s[0:1], s[2:3]
	s_cbranch_execz .LBB131_164
; %bb.163:
	v_sub_f32_e32 v1, v1, v0
	s_mov_b32 s2, 0x3fb8aa3b
	v_mul_f32_e32 v14, 0x3fb8aa3b, v1
	v_fma_f32 v27, v1, s2, -v14
	v_rndne_f32_e32 v29, v14
	v_fmamk_f32 v27, v1, 0x32a5705f, v27
	v_sub_f32_e32 v14, v14, v29
	v_add_f32_e32 v14, v14, v27
	v_exp_f32_e32 v14, v14
	v_cvt_i32_f32_e32 v27, v29
	s_mov_b32 s2, 0xc2ce8ed0
	v_cmp_ngt_f32_e32 vcc, s2, v1
	s_mov_b32 s2, 0x42b17218
	v_ldexp_f32 v14, v14, v27
	v_cndmask_b32_e32 v14, 0, v14, vcc
	v_mov_b32_e32 v27, 0x7f800000
	v_cmp_nlt_f32_e32 vcc, s2, v1
	s_mov_b32 s2, 0x3f2aaaab
	s_mov_b32 s3, 0x7f800000
	v_cndmask_b32_e32 v27, v27, v14, vcc
	v_add_f32_e32 v1, 1.0, v27
	v_add_f32_e32 v14, -1.0, v1
	v_sub_f32_e32 v29, v14, v1
	v_add_f32_e32 v29, 1.0, v29
	v_sub_f32_e32 v14, v27, v14
	v_add_f32_e32 v14, v14, v29
	v_frexp_mant_f32_e32 v29, v1
	v_cvt_f64_f32_e32 v[30:31], v1
	v_frexp_exp_i32_f64_e32 v30, v[30:31]
	v_cmp_gt_f32_e32 vcc, s2, v29
	s_mov_b32 s2, 0x3f317218
	s_nop 0
	v_subbrev_co_u32_e32 v29, vcc, 0, v30, vcc
	v_sub_u32_e32 v30, 0, v29
	v_ldexp_f32 v1, v1, v30
	v_ldexp_f32 v14, v14, v30
	v_add_f32_e32 v30, -1.0, v1
	v_add_f32_e32 v31, 1.0, v30
	v_sub_f32_e32 v31, v1, v31
	v_add_f32_e32 v32, v14, v31
	v_add_f32_e32 v31, 1.0, v1
	v_add_f32_e32 v33, -1.0, v31
	v_sub_f32_e32 v1, v1, v33
	v_add_f32_e32 v1, v14, v1
	v_add_f32_e32 v14, v31, v1
	v_rcp_f32_e32 v38, v14
	v_sub_f32_e32 v31, v31, v14
	v_add_f32_e32 v1, v1, v31
	v_add_f32_e32 v31, v30, v32
	v_sub_f32_e32 v30, v30, v31
	v_mul_f32_e32 v51, v31, v38
	v_add_f32_e32 v39, v32, v30
	v_mul_f32_e32 v32, v14, v51
	v_fma_f32 v34, v51, v14, -v32
	v_fmac_f32_e32 v34, v51, v1
	v_add_f32_e32 v30, v32, v34
	v_sub_f32_e32 v33, v31, v30
	v_pk_add_f32 v[36:37], v[30:31], v[32:33] neg_lo:[0,1] neg_hi:[0,1]
	v_mov_b32_e32 v35, v30
	v_pk_add_f32 v[30:31], v[36:37], v[34:35] neg_lo:[0,1] neg_hi:[0,1]
	v_cmp_eq_f32_e32 vcc, s3, v27
	v_add_f32_e32 v31, v39, v31
	v_add_f32_e32 v30, v30, v31
	;; [unrolled: 1-line block ×3, first 2 shown]
	v_mul_f32_e32 v39, v38, v31
	v_mul_f32_e32 v32, v14, v39
	v_fma_f32 v34, v39, v14, -v32
	v_fmac_f32_e32 v34, v39, v1
	v_sub_f32_e32 v1, v33, v31
	v_add_f32_e32 v1, v30, v1
	v_add_f32_e32 v30, v32, v34
	v_sub_f32_e32 v33, v31, v30
	v_pk_add_f32 v[36:37], v[30:31], v[32:33] neg_lo:[0,1] neg_hi:[0,1]
	v_mov_b32_e32 v35, v30
	v_pk_add_f32 v[30:31], v[36:37], v[34:35] neg_lo:[0,1] neg_hi:[0,1]
	v_add_f32_e32 v14, v51, v39
	v_add_f32_e32 v1, v1, v31
	;; [unrolled: 1-line block ×4, first 2 shown]
	v_sub_f32_e32 v30, v14, v51
	v_mul_f32_e32 v1, v38, v1
	v_sub_f32_e32 v30, v39, v30
	v_add_f32_e32 v1, v30, v1
	v_add_f32_e32 v30, v14, v1
	v_cvt_f32_i32_e32 v32, v29
	v_mul_f32_e32 v33, v30, v30
	v_mov_b32_e32 v31, 0x3ecc95a3
	v_fmac_f32_e32 v31, 0x3e9b6dac, v33
	v_fmaak_f32 v31, v33, v31, 0x3f2aaada
	v_sub_f32_e32 v14, v30, v14
	v_ldexp_f32 v35, v30, 1
	v_mul_f32_e32 v33, v30, v33
	v_mov_b32_e32 v30, 0x3f317218
	v_pk_mul_f32 v[30:31], v[32:33], v[30:31]
	v_sub_f32_e32 v1, v1, v14
	v_fma_f32 v14, v32, s2, -v30
	v_fmamk_f32 v34, v32, 0xb102e308, v14
	v_pk_add_f32 v[32:33], v[30:31], v[34:35]
	v_ldexp_f32 v1, v1, 1
	v_sub_f32_e32 v14, v33, v35
	v_sub_f32_e32 v14, v31, v14
	v_add_f32_e32 v37, v1, v14
	v_mov_b32_e32 v36, v30
	v_pk_add_f32 v[30:31], v[32:33], v[30:31] neg_lo:[0,1] neg_hi:[0,1]
	v_pk_add_f32 v[38:39], v[32:33], v[36:37]
	v_mov_b32_e32 v35, v32
	v_mov_b32_e32 v31, v39
	v_pk_add_f32 v[52:53], v[34:35], v[30:31] neg_lo:[0,1] neg_hi:[0,1]
	v_pk_add_f32 v[30:31], v[34:35], v[30:31]
	s_mov_b32 s2, 0x33800000
	v_mov_b32_e32 v14, v31
	v_pk_add_f32 v[34:35], v[14:15], v[32:33] neg_lo:[0,1] neg_hi:[0,1]
	v_mov_b32_e32 v30, v39
	v_mov_b32_e32 v1, v34
	s_waitcnt lgkmcnt(0)
	v_pk_add_f32 v[54:55], v[38:39], v[0:1] neg_lo:[0,1] neg_hi:[0,1]
	v_mov_b32_e32 v38, v33
	v_mov_b32_e32 v39, v34
	;; [unrolled: 1-line block ×3, first 2 shown]
	v_pk_add_f32 v[30:31], v[30:31], v[38:39] neg_lo:[0,1] neg_hi:[0,1]
	v_mov_b32_e32 v34, v37
	v_mov_b32_e32 v35, v32
	v_pk_add_f32 v[30:31], v[34:35], v[30:31] neg_lo:[0,1] neg_hi:[0,1]
	v_mov_b32_e32 v54, v52
	v_pk_add_f32 v[32:33], v[54:55], v[30:31]
	v_cmp_lt_f32_e64 s[2:3], |v27|, s2
	v_mov_b32_e32 v34, v33
	v_pk_add_f32 v[34:35], v[32:33], v[34:35]
	s_or_b64 vcc, vcc, s[2:3]
	v_pk_add_f32 v[36:37], v[14:15], v[34:35]
	v_mov_b32_e32 v31, v34
	v_mov_b32_e32 v33, v36
	v_pk_add_f32 v[38:39], v[32:33], v[52:53] neg_lo:[0,1] neg_hi:[0,1]
	s_nop 0
	v_sub_f32_e32 v1, v32, v38
	v_pk_add_f32 v[30:31], v[30:31], v[38:39] neg_lo:[0,1] neg_hi:[0,1]
	v_sub_f32_e32 v1, v52, v1
	v_add_f32_e32 v1, v30, v1
	v_add_f32_e32 v1, v1, v31
	;; [unrolled: 1-line block ×3, first 2 shown]
	v_cndmask_b32_e32 v1, v1, v27, vcc
	v_add_f32_e32 v14, v0, v1
.LBB131_164:
	s_or_b64 exec, exec, s[0:1]
	v_max_f32_e32 v0, v14, v14
	v_min_f32_e32 v1, v0, v40
	v_cmp_u_f32_e32 vcc, v14, v14
	v_max_f32_e32 v0, v0, v40
	s_movk_i32 s2, 0x1f8
	v_cndmask_b32_e32 v1, v1, v14, vcc
	v_cndmask_b32_e32 v0, v0, v14, vcc
	v_cndmask_b32_e64 v1, v1, v15, s[74:75]
	v_cndmask_b32_e64 v0, v0, v15, s[74:75]
	v_cmp_neq_f32_e32 vcc, v1, v0
	v_cmp_class_f32_e64 s[0:1], v1, s2
	s_or_b64 s[4:5], vcc, s[0:1]
	v_mov_b32_e32 v15, v14
	s_and_saveexec_b64 s[0:1], s[4:5]
	s_cbranch_execz .LBB131_166
; %bb.165:
	v_sub_f32_e32 v1, v1, v0
	s_mov_b32 s3, 0x3fb8aa3b
	v_mul_f32_e32 v15, 0x3fb8aa3b, v1
	v_fma_f32 v27, v1, s3, -v15
	v_rndne_f32_e32 v29, v15
	v_fmamk_f32 v27, v1, 0x32a5705f, v27
	v_sub_f32_e32 v15, v15, v29
	v_add_f32_e32 v15, v15, v27
	v_exp_f32_e32 v15, v15
	v_cvt_i32_f32_e32 v27, v29
	s_mov_b32 s3, 0xc2ce8ed0
	v_cmp_ngt_f32_e32 vcc, s3, v1
	s_mov_b32 s3, 0x42b17218
	v_ldexp_f32 v15, v15, v27
	v_cndmask_b32_e32 v15, 0, v15, vcc
	v_mov_b32_e32 v27, 0x7f800000
	v_cmp_nlt_f32_e32 vcc, s3, v1
	s_mov_b32 s3, 0x3f2aaaab
	s_mov_b32 s4, 0x7f800000
	v_cndmask_b32_e32 v15, v27, v15, vcc
	v_add_f32_e32 v1, 1.0, v15
	v_add_f32_e32 v27, -1.0, v1
	v_sub_f32_e32 v29, v27, v1
	v_add_f32_e32 v29, 1.0, v29
	v_sub_f32_e32 v27, v15, v27
	v_add_f32_e32 v27, v27, v29
	v_frexp_mant_f32_e32 v29, v1
	v_cvt_f64_f32_e32 v[30:31], v1
	v_frexp_exp_i32_f64_e32 v30, v[30:31]
	v_cmp_gt_f32_e32 vcc, s3, v29
	s_mov_b32 s3, 0x3f317218
	s_nop 0
	v_subbrev_co_u32_e32 v29, vcc, 0, v30, vcc
	v_sub_u32_e32 v30, 0, v29
	v_ldexp_f32 v1, v1, v30
	v_ldexp_f32 v27, v27, v30
	v_add_f32_e32 v30, -1.0, v1
	v_add_f32_e32 v31, 1.0, v30
	v_sub_f32_e32 v31, v1, v31
	v_add_f32_e32 v32, v27, v31
	v_add_f32_e32 v31, 1.0, v1
	v_add_f32_e32 v33, -1.0, v31
	v_sub_f32_e32 v1, v1, v33
	v_add_f32_e32 v1, v27, v1
	v_add_f32_e32 v27, v31, v1
	v_rcp_f32_e32 v38, v27
	v_sub_f32_e32 v31, v31, v27
	v_add_f32_e32 v1, v1, v31
	v_add_f32_e32 v31, v30, v32
	v_sub_f32_e32 v30, v30, v31
	v_mul_f32_e32 v40, v31, v38
	v_add_f32_e32 v39, v32, v30
	v_mul_f32_e32 v32, v27, v40
	v_fma_f32 v34, v40, v27, -v32
	v_fmac_f32_e32 v34, v40, v1
	v_add_f32_e32 v30, v32, v34
	v_sub_f32_e32 v33, v31, v30
	v_pk_add_f32 v[36:37], v[30:31], v[32:33] neg_lo:[0,1] neg_hi:[0,1]
	v_mov_b32_e32 v35, v30
	v_pk_add_f32 v[30:31], v[36:37], v[34:35] neg_lo:[0,1] neg_hi:[0,1]
	v_cmp_eq_f32_e32 vcc, s4, v15
	v_add_f32_e32 v31, v39, v31
	v_add_f32_e32 v30, v30, v31
	;; [unrolled: 1-line block ×3, first 2 shown]
	v_mul_f32_e32 v39, v38, v31
	v_mul_f32_e32 v32, v27, v39
	v_fma_f32 v34, v39, v27, -v32
	v_fmac_f32_e32 v34, v39, v1
	v_sub_f32_e32 v1, v33, v31
	v_add_f32_e32 v1, v30, v1
	v_add_f32_e32 v30, v32, v34
	v_sub_f32_e32 v33, v31, v30
	v_pk_add_f32 v[36:37], v[30:31], v[32:33] neg_lo:[0,1] neg_hi:[0,1]
	v_mov_b32_e32 v35, v30
	v_pk_add_f32 v[30:31], v[36:37], v[34:35] neg_lo:[0,1] neg_hi:[0,1]
	v_add_f32_e32 v27, v40, v39
	v_add_f32_e32 v1, v1, v31
	;; [unrolled: 1-line block ×4, first 2 shown]
	v_sub_f32_e32 v30, v27, v40
	v_mul_f32_e32 v1, v38, v1
	v_sub_f32_e32 v30, v39, v30
	v_add_f32_e32 v1, v30, v1
	v_add_f32_e32 v30, v27, v1
	v_cvt_f32_i32_e32 v32, v29
	v_mul_f32_e32 v33, v30, v30
	v_mov_b32_e32 v31, 0x3ecc95a3
	v_fmac_f32_e32 v31, 0x3e9b6dac, v33
	v_fmaak_f32 v31, v33, v31, 0x3f2aaada
	v_sub_f32_e32 v27, v30, v27
	v_ldexp_f32 v35, v30, 1
	v_mul_f32_e32 v33, v30, v33
	v_mov_b32_e32 v30, 0x3f317218
	v_pk_mul_f32 v[30:31], v[32:33], v[30:31]
	v_sub_f32_e32 v1, v1, v27
	v_fma_f32 v27, v32, s3, -v30
	v_fmamk_f32 v34, v32, 0xb102e308, v27
	v_pk_add_f32 v[32:33], v[30:31], v[34:35]
	v_ldexp_f32 v1, v1, 1
	v_sub_f32_e32 v27, v33, v35
	v_sub_f32_e32 v27, v31, v27
	v_add_f32_e32 v37, v1, v27
	v_mov_b32_e32 v36, v30
	v_pk_add_f32 v[30:31], v[32:33], v[30:31] neg_lo:[0,1] neg_hi:[0,1]
	v_pk_add_f32 v[38:39], v[32:33], v[36:37]
	v_mov_b32_e32 v35, v32
	v_mov_b32_e32 v31, v39
	v_pk_add_f32 v[52:53], v[34:35], v[30:31] neg_lo:[0,1] neg_hi:[0,1]
	v_pk_add_f32 v[30:31], v[34:35], v[30:31]
	v_mov_b32_e32 v36, v37
	v_mov_b32_e32 v34, v31
	s_waitcnt lgkmcnt(0)
	v_pk_add_f32 v[54:55], v[34:35], v[32:33] neg_lo:[0,1] neg_hi:[0,1]
	v_mov_b32_e32 v30, v39
	v_mov_b32_e32 v1, v54
	v_pk_add_f32 v[56:57], v[38:39], v[0:1] neg_lo:[0,1] neg_hi:[0,1]
	v_mov_b32_e32 v38, v33
	v_mov_b32_e32 v39, v54
	;; [unrolled: 1-line block ×3, first 2 shown]
	v_pk_add_f32 v[30:31], v[30:31], v[38:39] neg_lo:[0,1] neg_hi:[0,1]
	v_mov_b32_e32 v37, v32
	v_pk_add_f32 v[30:31], v[36:37], v[30:31] neg_lo:[0,1] neg_hi:[0,1]
	v_mov_b32_e32 v56, v52
	v_pk_add_f32 v[32:33], v[56:57], v[30:31]
	s_mov_b32 s3, 0x33800000
	v_mov_b32_e32 v36, v33
	v_pk_add_f32 v[36:37], v[32:33], v[36:37]
	v_cmp_lt_f32_e64 s[4:5], |v15|, s3
	v_pk_add_f32 v[34:35], v[34:35], v[36:37]
	v_mov_b32_e32 v31, v36
	v_mov_b32_e32 v33, v34
	v_pk_add_f32 v[38:39], v[32:33], v[52:53] neg_lo:[0,1] neg_hi:[0,1]
	s_or_b64 vcc, vcc, s[4:5]
	v_sub_f32_e32 v1, v32, v38
	v_pk_add_f32 v[30:31], v[30:31], v[38:39] neg_lo:[0,1] neg_hi:[0,1]
	v_sub_f32_e32 v1, v52, v1
	v_add_f32_e32 v1, v30, v1
	v_add_f32_e32 v1, v1, v31
	;; [unrolled: 1-line block ×3, first 2 shown]
	v_cndmask_b32_e32 v1, v1, v15, vcc
	v_add_f32_e32 v15, v0, v1
.LBB131_166:
	s_or_b64 exec, exec, s[0:1]
	v_max_f32_e32 v0, v15, v15
	v_min_f32_e32 v1, v0, v41
	v_cmp_u_f32_e32 vcc, v15, v15
	v_max_f32_e32 v0, v0, v41
	s_nop 0
	v_cndmask_b32_e32 v1, v1, v15, vcc
	v_cndmask_b32_e32 v0, v0, v15, vcc
	v_cndmask_b32_e64 v1, v1, v16, s[76:77]
	v_cndmask_b32_e64 v0, v0, v16, s[76:77]
	v_cmp_neq_f32_e32 vcc, v1, v0
	v_cmp_class_f32_e64 s[0:1], v1, s2
	s_or_b64 s[2:3], vcc, s[0:1]
	v_mov_b32_e32 v16, v15
	s_and_saveexec_b64 s[0:1], s[2:3]
	s_cbranch_execz .LBB131_168
; %bb.167:
	v_sub_f32_e32 v1, v1, v0
	s_mov_b32 s2, 0x3fb8aa3b
	v_mul_f32_e32 v16, 0x3fb8aa3b, v1
	v_fma_f32 v27, v1, s2, -v16
	v_rndne_f32_e32 v29, v16
	v_fmamk_f32 v27, v1, 0x32a5705f, v27
	v_sub_f32_e32 v16, v16, v29
	v_add_f32_e32 v16, v16, v27
	v_exp_f32_e32 v16, v16
	v_cvt_i32_f32_e32 v27, v29
	s_mov_b32 s2, 0xc2ce8ed0
	v_cmp_ngt_f32_e32 vcc, s2, v1
	s_mov_b32 s2, 0x42b17218
	v_ldexp_f32 v16, v16, v27
	v_cndmask_b32_e32 v16, 0, v16, vcc
	v_mov_b32_e32 v27, 0x7f800000
	v_cmp_nlt_f32_e32 vcc, s2, v1
	s_mov_b32 s2, 0x3f2aaaab
	s_mov_b32 s3, 0x7f800000
	v_cndmask_b32_e32 v27, v27, v16, vcc
	v_add_f32_e32 v1, 1.0, v27
	v_add_f32_e32 v16, -1.0, v1
	v_sub_f32_e32 v29, v16, v1
	v_add_f32_e32 v29, 1.0, v29
	v_sub_f32_e32 v16, v27, v16
	v_add_f32_e32 v16, v16, v29
	v_frexp_mant_f32_e32 v29, v1
	v_cvt_f64_f32_e32 v[30:31], v1
	v_frexp_exp_i32_f64_e32 v30, v[30:31]
	v_cmp_gt_f32_e32 vcc, s2, v29
	s_mov_b32 s2, 0x3f317218
	s_nop 0
	v_subbrev_co_u32_e32 v29, vcc, 0, v30, vcc
	v_sub_u32_e32 v30, 0, v29
	v_ldexp_f32 v1, v1, v30
	v_ldexp_f32 v16, v16, v30
	v_add_f32_e32 v30, -1.0, v1
	v_add_f32_e32 v31, 1.0, v30
	v_sub_f32_e32 v31, v1, v31
	v_add_f32_e32 v32, v16, v31
	v_add_f32_e32 v31, 1.0, v1
	v_add_f32_e32 v33, -1.0, v31
	v_sub_f32_e32 v1, v1, v33
	v_add_f32_e32 v1, v16, v1
	v_add_f32_e32 v16, v31, v1
	v_rcp_f32_e32 v38, v16
	v_sub_f32_e32 v31, v31, v16
	v_add_f32_e32 v1, v1, v31
	v_add_f32_e32 v31, v30, v32
	v_sub_f32_e32 v30, v30, v31
	v_mul_f32_e32 v40, v31, v38
	v_add_f32_e32 v39, v32, v30
	v_mul_f32_e32 v32, v16, v40
	v_fma_f32 v34, v40, v16, -v32
	v_fmac_f32_e32 v34, v40, v1
	v_add_f32_e32 v30, v32, v34
	v_sub_f32_e32 v33, v31, v30
	v_pk_add_f32 v[36:37], v[30:31], v[32:33] neg_lo:[0,1] neg_hi:[0,1]
	v_mov_b32_e32 v35, v30
	v_pk_add_f32 v[30:31], v[36:37], v[34:35] neg_lo:[0,1] neg_hi:[0,1]
	v_cmp_eq_f32_e32 vcc, s3, v27
	v_add_f32_e32 v31, v39, v31
	v_add_f32_e32 v30, v30, v31
	;; [unrolled: 1-line block ×3, first 2 shown]
	v_mul_f32_e32 v39, v38, v31
	v_mul_f32_e32 v32, v16, v39
	v_fma_f32 v34, v39, v16, -v32
	v_fmac_f32_e32 v34, v39, v1
	v_sub_f32_e32 v1, v33, v31
	v_add_f32_e32 v1, v30, v1
	v_add_f32_e32 v30, v32, v34
	v_sub_f32_e32 v33, v31, v30
	v_pk_add_f32 v[36:37], v[30:31], v[32:33] neg_lo:[0,1] neg_hi:[0,1]
	v_mov_b32_e32 v35, v30
	v_pk_add_f32 v[30:31], v[36:37], v[34:35] neg_lo:[0,1] neg_hi:[0,1]
	v_add_f32_e32 v16, v40, v39
	v_add_f32_e32 v1, v1, v31
	;; [unrolled: 1-line block ×4, first 2 shown]
	v_sub_f32_e32 v30, v16, v40
	v_mul_f32_e32 v1, v38, v1
	v_sub_f32_e32 v30, v39, v30
	v_add_f32_e32 v1, v30, v1
	v_add_f32_e32 v30, v16, v1
	v_cvt_f32_i32_e32 v32, v29
	v_mul_f32_e32 v33, v30, v30
	v_mov_b32_e32 v31, 0x3ecc95a3
	v_fmac_f32_e32 v31, 0x3e9b6dac, v33
	v_fmaak_f32 v31, v33, v31, 0x3f2aaada
	v_sub_f32_e32 v16, v30, v16
	v_ldexp_f32 v35, v30, 1
	v_mul_f32_e32 v33, v30, v33
	v_mov_b32_e32 v30, 0x3f317218
	v_pk_mul_f32 v[30:31], v[32:33], v[30:31]
	v_sub_f32_e32 v1, v1, v16
	v_fma_f32 v16, v32, s2, -v30
	v_fmamk_f32 v34, v32, 0xb102e308, v16
	v_pk_add_f32 v[32:33], v[30:31], v[34:35]
	v_ldexp_f32 v1, v1, 1
	v_sub_f32_e32 v16, v33, v35
	v_sub_f32_e32 v16, v31, v16
	v_add_f32_e32 v37, v1, v16
	v_mov_b32_e32 v36, v30
	v_pk_add_f32 v[30:31], v[32:33], v[30:31] neg_lo:[0,1] neg_hi:[0,1]
	v_pk_add_f32 v[38:39], v[32:33], v[36:37]
	v_mov_b32_e32 v35, v32
	v_mov_b32_e32 v31, v39
	v_pk_add_f32 v[40:41], v[34:35], v[30:31] neg_lo:[0,1] neg_hi:[0,1]
	v_pk_add_f32 v[30:31], v[34:35], v[30:31]
	s_mov_b32 s2, 0x33800000
	v_mov_b32_e32 v16, v31
	v_pk_add_f32 v[34:35], v[16:17], v[32:33] neg_lo:[0,1] neg_hi:[0,1]
	v_mov_b32_e32 v30, v39
	v_mov_b32_e32 v1, v34
	v_pk_add_f32 v[52:53], v[38:39], v[0:1] neg_lo:[0,1] neg_hi:[0,1]
	v_mov_b32_e32 v38, v33
	v_mov_b32_e32 v39, v34
	;; [unrolled: 1-line block ×3, first 2 shown]
	v_pk_add_f32 v[30:31], v[30:31], v[38:39] neg_lo:[0,1] neg_hi:[0,1]
	v_mov_b32_e32 v34, v37
	v_mov_b32_e32 v35, v32
	v_pk_add_f32 v[30:31], v[34:35], v[30:31] neg_lo:[0,1] neg_hi:[0,1]
	v_mov_b32_e32 v52, v40
	v_pk_add_f32 v[32:33], v[52:53], v[30:31]
	v_cmp_lt_f32_e64 s[2:3], |v27|, s2
	v_mov_b32_e32 v34, v33
	v_pk_add_f32 v[34:35], v[32:33], v[34:35]
	s_or_b64 vcc, vcc, s[2:3]
	v_pk_add_f32 v[36:37], v[16:17], v[34:35]
	v_mov_b32_e32 v31, v34
	v_mov_b32_e32 v33, v36
	v_pk_add_f32 v[38:39], v[32:33], v[40:41] neg_lo:[0,1] neg_hi:[0,1]
	s_nop 0
	v_sub_f32_e32 v1, v32, v38
	v_pk_add_f32 v[30:31], v[30:31], v[38:39] neg_lo:[0,1] neg_hi:[0,1]
	v_sub_f32_e32 v1, v40, v1
	v_add_f32_e32 v1, v30, v1
	v_add_f32_e32 v1, v1, v31
	v_add_f32_e32 v1, v36, v1
	v_cndmask_b32_e32 v1, v1, v27, vcc
	v_add_f32_e32 v16, v0, v1
.LBB131_168:
	s_or_b64 exec, exec, s[0:1]
	v_max_f32_e32 v0, v16, v16
	v_min_f32_e32 v1, v0, v42
	v_cmp_u_f32_e32 vcc, v16, v16
	v_max_f32_e32 v0, v0, v42
	s_movk_i32 s2, 0x1f8
	v_cndmask_b32_e32 v1, v1, v16, vcc
	v_cndmask_b32_e32 v0, v0, v16, vcc
	v_cndmask_b32_e64 v1, v1, v17, s[78:79]
	v_cndmask_b32_e64 v0, v0, v17, s[78:79]
	v_cmp_neq_f32_e32 vcc, v1, v0
	v_cmp_class_f32_e64 s[0:1], v1, s2
	s_or_b64 s[4:5], vcc, s[0:1]
	v_mov_b32_e32 v17, v16
	s_and_saveexec_b64 s[0:1], s[4:5]
	s_cbranch_execz .LBB131_170
; %bb.169:
	v_sub_f32_e32 v1, v1, v0
	s_mov_b32 s3, 0x3fb8aa3b
	v_mul_f32_e32 v17, 0x3fb8aa3b, v1
	v_fma_f32 v27, v1, s3, -v17
	v_rndne_f32_e32 v29, v17
	v_fmamk_f32 v27, v1, 0x32a5705f, v27
	v_sub_f32_e32 v17, v17, v29
	v_add_f32_e32 v17, v17, v27
	v_exp_f32_e32 v17, v17
	v_cvt_i32_f32_e32 v27, v29
	s_mov_b32 s3, 0xc2ce8ed0
	v_cmp_ngt_f32_e32 vcc, s3, v1
	s_mov_b32 s3, 0x42b17218
	v_ldexp_f32 v17, v17, v27
	v_cndmask_b32_e32 v17, 0, v17, vcc
	v_mov_b32_e32 v27, 0x7f800000
	v_cmp_nlt_f32_e32 vcc, s3, v1
	s_mov_b32 s3, 0x3f2aaaab
	s_mov_b32 s4, 0x7f800000
	v_cndmask_b32_e32 v17, v27, v17, vcc
	v_add_f32_e32 v1, 1.0, v17
	v_add_f32_e32 v27, -1.0, v1
	v_sub_f32_e32 v29, v27, v1
	v_add_f32_e32 v29, 1.0, v29
	v_sub_f32_e32 v27, v17, v27
	v_add_f32_e32 v27, v27, v29
	v_frexp_mant_f32_e32 v29, v1
	v_cvt_f64_f32_e32 v[30:31], v1
	v_frexp_exp_i32_f64_e32 v30, v[30:31]
	v_cmp_gt_f32_e32 vcc, s3, v29
	s_mov_b32 s3, 0x3f317218
	s_nop 0
	v_subbrev_co_u32_e32 v29, vcc, 0, v30, vcc
	v_sub_u32_e32 v30, 0, v29
	v_ldexp_f32 v1, v1, v30
	v_ldexp_f32 v27, v27, v30
	v_add_f32_e32 v30, -1.0, v1
	v_add_f32_e32 v31, 1.0, v30
	v_sub_f32_e32 v31, v1, v31
	v_add_f32_e32 v32, v27, v31
	v_add_f32_e32 v31, 1.0, v1
	v_add_f32_e32 v33, -1.0, v31
	v_sub_f32_e32 v1, v1, v33
	v_add_f32_e32 v1, v27, v1
	v_add_f32_e32 v27, v31, v1
	v_rcp_f32_e32 v38, v27
	v_sub_f32_e32 v31, v31, v27
	v_add_f32_e32 v1, v1, v31
	v_add_f32_e32 v31, v30, v32
	v_sub_f32_e32 v30, v30, v31
	v_mul_f32_e32 v40, v31, v38
	v_add_f32_e32 v39, v32, v30
	v_mul_f32_e32 v32, v27, v40
	v_fma_f32 v34, v40, v27, -v32
	v_fmac_f32_e32 v34, v40, v1
	v_add_f32_e32 v30, v32, v34
	v_sub_f32_e32 v33, v31, v30
	v_pk_add_f32 v[36:37], v[30:31], v[32:33] neg_lo:[0,1] neg_hi:[0,1]
	v_mov_b32_e32 v35, v30
	v_pk_add_f32 v[30:31], v[36:37], v[34:35] neg_lo:[0,1] neg_hi:[0,1]
	v_cmp_eq_f32_e32 vcc, s4, v17
	v_add_f32_e32 v31, v39, v31
	v_add_f32_e32 v30, v30, v31
	;; [unrolled: 1-line block ×3, first 2 shown]
	v_mul_f32_e32 v39, v38, v31
	v_mul_f32_e32 v32, v27, v39
	v_fma_f32 v34, v39, v27, -v32
	v_fmac_f32_e32 v34, v39, v1
	v_sub_f32_e32 v1, v33, v31
	v_add_f32_e32 v1, v30, v1
	v_add_f32_e32 v30, v32, v34
	v_sub_f32_e32 v33, v31, v30
	v_pk_add_f32 v[36:37], v[30:31], v[32:33] neg_lo:[0,1] neg_hi:[0,1]
	v_mov_b32_e32 v35, v30
	v_pk_add_f32 v[30:31], v[36:37], v[34:35] neg_lo:[0,1] neg_hi:[0,1]
	v_add_f32_e32 v27, v40, v39
	v_add_f32_e32 v1, v1, v31
	;; [unrolled: 1-line block ×4, first 2 shown]
	v_sub_f32_e32 v30, v27, v40
	v_mul_f32_e32 v1, v38, v1
	v_sub_f32_e32 v30, v39, v30
	v_add_f32_e32 v1, v30, v1
	v_add_f32_e32 v30, v27, v1
	v_cvt_f32_i32_e32 v32, v29
	v_mul_f32_e32 v33, v30, v30
	v_mov_b32_e32 v31, 0x3ecc95a3
	v_fmac_f32_e32 v31, 0x3e9b6dac, v33
	v_fmaak_f32 v31, v33, v31, 0x3f2aaada
	v_sub_f32_e32 v27, v30, v27
	v_ldexp_f32 v35, v30, 1
	v_mul_f32_e32 v33, v30, v33
	v_mov_b32_e32 v30, 0x3f317218
	v_pk_mul_f32 v[30:31], v[32:33], v[30:31]
	v_sub_f32_e32 v1, v1, v27
	v_fma_f32 v27, v32, s3, -v30
	v_fmamk_f32 v34, v32, 0xb102e308, v27
	v_pk_add_f32 v[32:33], v[30:31], v[34:35]
	v_ldexp_f32 v1, v1, 1
	v_sub_f32_e32 v27, v33, v35
	v_sub_f32_e32 v27, v31, v27
	v_add_f32_e32 v37, v1, v27
	v_mov_b32_e32 v36, v30
	v_pk_add_f32 v[30:31], v[32:33], v[30:31] neg_lo:[0,1] neg_hi:[0,1]
	v_pk_add_f32 v[38:39], v[32:33], v[36:37]
	v_mov_b32_e32 v35, v32
	v_mov_b32_e32 v31, v39
	v_pk_add_f32 v[40:41], v[34:35], v[30:31] neg_lo:[0,1] neg_hi:[0,1]
	v_pk_add_f32 v[30:31], v[34:35], v[30:31]
	v_mov_b32_e32 v36, v37
	v_mov_b32_e32 v34, v31
	v_pk_add_f32 v[52:53], v[34:35], v[32:33] neg_lo:[0,1] neg_hi:[0,1]
	v_mov_b32_e32 v30, v39
	v_mov_b32_e32 v1, v52
	s_waitcnt lgkmcnt(0)
	v_pk_add_f32 v[54:55], v[38:39], v[0:1] neg_lo:[0,1] neg_hi:[0,1]
	v_mov_b32_e32 v38, v33
	v_mov_b32_e32 v39, v52
	;; [unrolled: 1-line block ×3, first 2 shown]
	v_pk_add_f32 v[30:31], v[30:31], v[38:39] neg_lo:[0,1] neg_hi:[0,1]
	v_mov_b32_e32 v37, v32
	v_pk_add_f32 v[30:31], v[36:37], v[30:31] neg_lo:[0,1] neg_hi:[0,1]
	v_mov_b32_e32 v54, v40
	v_pk_add_f32 v[32:33], v[54:55], v[30:31]
	s_mov_b32 s3, 0x33800000
	v_mov_b32_e32 v36, v33
	v_pk_add_f32 v[36:37], v[32:33], v[36:37]
	v_cmp_lt_f32_e64 s[4:5], |v17|, s3
	v_pk_add_f32 v[34:35], v[34:35], v[36:37]
	v_mov_b32_e32 v31, v36
	v_mov_b32_e32 v33, v34
	v_pk_add_f32 v[38:39], v[32:33], v[40:41] neg_lo:[0,1] neg_hi:[0,1]
	s_or_b64 vcc, vcc, s[4:5]
	v_sub_f32_e32 v1, v32, v38
	v_pk_add_f32 v[30:31], v[30:31], v[38:39] neg_lo:[0,1] neg_hi:[0,1]
	v_sub_f32_e32 v1, v40, v1
	v_add_f32_e32 v1, v30, v1
	v_add_f32_e32 v1, v1, v31
	;; [unrolled: 1-line block ×3, first 2 shown]
	v_cndmask_b32_e32 v1, v1, v17, vcc
	v_add_f32_e32 v17, v0, v1
.LBB131_170:
	s_or_b64 exec, exec, s[0:1]
	v_max_f32_e32 v0, v17, v17
	v_min_f32_e32 v1, v0, v43
	v_cmp_u_f32_e32 vcc, v17, v17
	v_max_f32_e32 v0, v0, v43
	s_nop 0
	v_cndmask_b32_e32 v1, v1, v17, vcc
	v_cndmask_b32_e32 v0, v0, v17, vcc
	v_cndmask_b32_e64 v1, v1, v10, s[80:81]
	v_cndmask_b32_e64 v0, v0, v10, s[80:81]
	v_cmp_neq_f32_e32 vcc, v1, v0
	v_cmp_class_f32_e64 s[0:1], v1, s2
	s_or_b64 s[2:3], vcc, s[0:1]
	v_mov_b32_e32 v10, v17
	s_and_saveexec_b64 s[0:1], s[2:3]
	s_cbranch_execz .LBB131_172
; %bb.171:
	v_sub_f32_e32 v1, v1, v0
	s_mov_b32 s2, 0x3fb8aa3b
	v_mul_f32_e32 v10, 0x3fb8aa3b, v1
	v_fma_f32 v27, v1, s2, -v10
	v_rndne_f32_e32 v29, v10
	v_fmamk_f32 v27, v1, 0x32a5705f, v27
	v_sub_f32_e32 v10, v10, v29
	v_add_f32_e32 v10, v10, v27
	v_exp_f32_e32 v10, v10
	v_cvt_i32_f32_e32 v27, v29
	s_mov_b32 s2, 0xc2ce8ed0
	v_cmp_ngt_f32_e32 vcc, s2, v1
	s_mov_b32 s2, 0x42b17218
	v_ldexp_f32 v10, v10, v27
	v_cndmask_b32_e32 v10, 0, v10, vcc
	v_mov_b32_e32 v27, 0x7f800000
	v_cmp_nlt_f32_e32 vcc, s2, v1
	s_mov_b32 s2, 0x3f2aaaab
	s_mov_b32 s3, 0x7f800000
	v_cndmask_b32_e32 v27, v27, v10, vcc
	v_add_f32_e32 v1, 1.0, v27
	v_add_f32_e32 v10, -1.0, v1
	v_sub_f32_e32 v29, v10, v1
	v_add_f32_e32 v29, 1.0, v29
	v_sub_f32_e32 v10, v27, v10
	v_add_f32_e32 v10, v10, v29
	v_frexp_mant_f32_e32 v29, v1
	v_cvt_f64_f32_e32 v[30:31], v1
	v_frexp_exp_i32_f64_e32 v30, v[30:31]
	v_cmp_gt_f32_e32 vcc, s2, v29
	s_mov_b32 s2, 0x3f317218
	s_nop 0
	v_subbrev_co_u32_e32 v29, vcc, 0, v30, vcc
	v_sub_u32_e32 v30, 0, v29
	v_ldexp_f32 v1, v1, v30
	v_ldexp_f32 v10, v10, v30
	v_add_f32_e32 v30, -1.0, v1
	v_add_f32_e32 v31, 1.0, v30
	v_sub_f32_e32 v31, v1, v31
	v_add_f32_e32 v32, v10, v31
	v_add_f32_e32 v31, 1.0, v1
	v_add_f32_e32 v33, -1.0, v31
	v_sub_f32_e32 v1, v1, v33
	v_add_f32_e32 v1, v10, v1
	v_add_f32_e32 v10, v31, v1
	v_rcp_f32_e32 v38, v10
	v_sub_f32_e32 v31, v31, v10
	v_add_f32_e32 v1, v1, v31
	v_add_f32_e32 v31, v30, v32
	v_sub_f32_e32 v30, v30, v31
	v_mul_f32_e32 v40, v31, v38
	v_add_f32_e32 v39, v32, v30
	v_mul_f32_e32 v32, v10, v40
	v_fma_f32 v34, v40, v10, -v32
	v_fmac_f32_e32 v34, v40, v1
	v_add_f32_e32 v30, v32, v34
	v_sub_f32_e32 v33, v31, v30
	v_pk_add_f32 v[36:37], v[30:31], v[32:33] neg_lo:[0,1] neg_hi:[0,1]
	v_mov_b32_e32 v35, v30
	v_pk_add_f32 v[30:31], v[36:37], v[34:35] neg_lo:[0,1] neg_hi:[0,1]
	v_cmp_eq_f32_e32 vcc, s3, v27
	v_add_f32_e32 v31, v39, v31
	v_add_f32_e32 v30, v30, v31
	;; [unrolled: 1-line block ×3, first 2 shown]
	v_mul_f32_e32 v39, v38, v31
	v_mul_f32_e32 v32, v10, v39
	v_fma_f32 v34, v39, v10, -v32
	v_fmac_f32_e32 v34, v39, v1
	v_sub_f32_e32 v1, v33, v31
	v_add_f32_e32 v1, v30, v1
	v_add_f32_e32 v30, v32, v34
	v_sub_f32_e32 v33, v31, v30
	v_pk_add_f32 v[36:37], v[30:31], v[32:33] neg_lo:[0,1] neg_hi:[0,1]
	v_mov_b32_e32 v35, v30
	v_pk_add_f32 v[30:31], v[36:37], v[34:35] neg_lo:[0,1] neg_hi:[0,1]
	v_add_f32_e32 v10, v40, v39
	v_add_f32_e32 v1, v1, v31
	;; [unrolled: 1-line block ×4, first 2 shown]
	v_sub_f32_e32 v30, v10, v40
	v_mul_f32_e32 v1, v38, v1
	v_sub_f32_e32 v30, v39, v30
	v_add_f32_e32 v1, v30, v1
	v_add_f32_e32 v30, v10, v1
	v_cvt_f32_i32_e32 v32, v29
	v_mul_f32_e32 v33, v30, v30
	v_mov_b32_e32 v31, 0x3ecc95a3
	v_fmac_f32_e32 v31, 0x3e9b6dac, v33
	v_fmaak_f32 v31, v33, v31, 0x3f2aaada
	v_sub_f32_e32 v10, v30, v10
	v_ldexp_f32 v35, v30, 1
	v_mul_f32_e32 v33, v30, v33
	v_mov_b32_e32 v30, 0x3f317218
	v_pk_mul_f32 v[30:31], v[32:33], v[30:31]
	v_sub_f32_e32 v1, v1, v10
	v_fma_f32 v10, v32, s2, -v30
	v_fmamk_f32 v34, v32, 0xb102e308, v10
	v_pk_add_f32 v[32:33], v[30:31], v[34:35]
	v_ldexp_f32 v1, v1, 1
	v_sub_f32_e32 v10, v33, v35
	v_sub_f32_e32 v10, v31, v10
	v_add_f32_e32 v37, v1, v10
	v_mov_b32_e32 v36, v30
	v_pk_add_f32 v[30:31], v[32:33], v[30:31] neg_lo:[0,1] neg_hi:[0,1]
	v_pk_add_f32 v[38:39], v[32:33], v[36:37]
	v_mov_b32_e32 v35, v32
	v_mov_b32_e32 v31, v39
	v_pk_add_f32 v[40:41], v[34:35], v[30:31] neg_lo:[0,1] neg_hi:[0,1]
	v_pk_add_f32 v[30:31], v[34:35], v[30:31]
	s_mov_b32 s2, 0x33800000
	v_mov_b32_e32 v10, v31
	v_pk_add_f32 v[34:35], v[10:11], v[32:33] neg_lo:[0,1] neg_hi:[0,1]
	v_mov_b32_e32 v30, v39
	v_mov_b32_e32 v1, v34
	v_pk_add_f32 v[42:43], v[38:39], v[0:1] neg_lo:[0,1] neg_hi:[0,1]
	v_mov_b32_e32 v38, v33
	v_mov_b32_e32 v39, v34
	;; [unrolled: 1-line block ×3, first 2 shown]
	v_pk_add_f32 v[30:31], v[30:31], v[38:39] neg_lo:[0,1] neg_hi:[0,1]
	v_mov_b32_e32 v34, v37
	v_mov_b32_e32 v35, v32
	v_pk_add_f32 v[30:31], v[34:35], v[30:31] neg_lo:[0,1] neg_hi:[0,1]
	v_mov_b32_e32 v42, v40
	v_pk_add_f32 v[32:33], v[42:43], v[30:31]
	v_cmp_lt_f32_e64 s[2:3], |v27|, s2
	v_mov_b32_e32 v34, v33
	v_pk_add_f32 v[34:35], v[32:33], v[34:35]
	s_or_b64 vcc, vcc, s[2:3]
	v_pk_add_f32 v[36:37], v[10:11], v[34:35]
	v_mov_b32_e32 v31, v34
	v_mov_b32_e32 v33, v36
	v_pk_add_f32 v[38:39], v[32:33], v[40:41] neg_lo:[0,1] neg_hi:[0,1]
	s_nop 0
	v_sub_f32_e32 v1, v32, v38
	v_pk_add_f32 v[30:31], v[30:31], v[38:39] neg_lo:[0,1] neg_hi:[0,1]
	v_sub_f32_e32 v1, v40, v1
	v_add_f32_e32 v1, v30, v1
	v_add_f32_e32 v1, v1, v31
	v_add_f32_e32 v1, v36, v1
	v_cndmask_b32_e32 v1, v1, v27, vcc
	v_add_f32_e32 v10, v0, v1
.LBB131_172:
	s_or_b64 exec, exec, s[0:1]
	v_max_f32_e32 v0, v10, v10
	v_min_f32_e32 v1, v0, v44
	v_cmp_u_f32_e32 vcc, v10, v10
	v_max_f32_e32 v0, v0, v44
	s_movk_i32 s2, 0x1f8
	v_cndmask_b32_e32 v1, v1, v10, vcc
	v_cndmask_b32_e32 v0, v0, v10, vcc
	v_cndmask_b32_e64 v1, v1, v11, s[82:83]
	v_cndmask_b32_e64 v0, v0, v11, s[82:83]
	v_cmp_neq_f32_e32 vcc, v1, v0
	v_cmp_class_f32_e64 s[0:1], v1, s2
	s_or_b64 s[4:5], vcc, s[0:1]
	v_mov_b32_e32 v11, v10
	s_and_saveexec_b64 s[0:1], s[4:5]
	s_cbranch_execz .LBB131_174
; %bb.173:
	v_sub_f32_e32 v1, v1, v0
	s_mov_b32 s3, 0x3fb8aa3b
	v_mul_f32_e32 v11, 0x3fb8aa3b, v1
	v_fma_f32 v27, v1, s3, -v11
	v_rndne_f32_e32 v29, v11
	v_fmamk_f32 v27, v1, 0x32a5705f, v27
	v_sub_f32_e32 v11, v11, v29
	v_add_f32_e32 v11, v11, v27
	v_exp_f32_e32 v11, v11
	v_cvt_i32_f32_e32 v27, v29
	s_mov_b32 s3, 0xc2ce8ed0
	v_cmp_ngt_f32_e32 vcc, s3, v1
	s_mov_b32 s3, 0x42b17218
	v_ldexp_f32 v11, v11, v27
	v_cndmask_b32_e32 v11, 0, v11, vcc
	v_mov_b32_e32 v27, 0x7f800000
	v_cmp_nlt_f32_e32 vcc, s3, v1
	s_mov_b32 s3, 0x3f2aaaab
	s_mov_b32 s4, 0x7f800000
	v_cndmask_b32_e32 v11, v27, v11, vcc
	v_add_f32_e32 v1, 1.0, v11
	v_add_f32_e32 v27, -1.0, v1
	v_sub_f32_e32 v29, v27, v1
	v_add_f32_e32 v29, 1.0, v29
	v_sub_f32_e32 v27, v11, v27
	v_add_f32_e32 v27, v27, v29
	v_frexp_mant_f32_e32 v29, v1
	v_cvt_f64_f32_e32 v[30:31], v1
	v_frexp_exp_i32_f64_e32 v30, v[30:31]
	v_cmp_gt_f32_e32 vcc, s3, v29
	s_mov_b32 s3, 0x3f317218
	s_nop 0
	v_subbrev_co_u32_e32 v29, vcc, 0, v30, vcc
	v_sub_u32_e32 v30, 0, v29
	v_ldexp_f32 v1, v1, v30
	v_ldexp_f32 v27, v27, v30
	v_add_f32_e32 v30, -1.0, v1
	v_add_f32_e32 v31, 1.0, v30
	v_sub_f32_e32 v31, v1, v31
	v_add_f32_e32 v32, v27, v31
	v_add_f32_e32 v31, 1.0, v1
	v_add_f32_e32 v33, -1.0, v31
	v_sub_f32_e32 v1, v1, v33
	v_add_f32_e32 v1, v27, v1
	v_add_f32_e32 v27, v31, v1
	v_rcp_f32_e32 v38, v27
	v_sub_f32_e32 v31, v31, v27
	v_add_f32_e32 v1, v1, v31
	v_add_f32_e32 v31, v30, v32
	v_sub_f32_e32 v30, v30, v31
	v_mul_f32_e32 v40, v31, v38
	v_add_f32_e32 v39, v32, v30
	v_mul_f32_e32 v32, v27, v40
	v_fma_f32 v34, v40, v27, -v32
	v_fmac_f32_e32 v34, v40, v1
	v_add_f32_e32 v30, v32, v34
	v_sub_f32_e32 v33, v31, v30
	v_pk_add_f32 v[36:37], v[30:31], v[32:33] neg_lo:[0,1] neg_hi:[0,1]
	v_mov_b32_e32 v35, v30
	v_pk_add_f32 v[30:31], v[36:37], v[34:35] neg_lo:[0,1] neg_hi:[0,1]
	v_cmp_eq_f32_e32 vcc, s4, v11
	v_add_f32_e32 v31, v39, v31
	v_add_f32_e32 v30, v30, v31
	;; [unrolled: 1-line block ×3, first 2 shown]
	v_mul_f32_e32 v39, v38, v31
	v_mul_f32_e32 v32, v27, v39
	v_fma_f32 v34, v39, v27, -v32
	v_fmac_f32_e32 v34, v39, v1
	v_sub_f32_e32 v1, v33, v31
	v_add_f32_e32 v1, v30, v1
	v_add_f32_e32 v30, v32, v34
	v_sub_f32_e32 v33, v31, v30
	v_pk_add_f32 v[36:37], v[30:31], v[32:33] neg_lo:[0,1] neg_hi:[0,1]
	v_mov_b32_e32 v35, v30
	v_pk_add_f32 v[30:31], v[36:37], v[34:35] neg_lo:[0,1] neg_hi:[0,1]
	v_add_f32_e32 v27, v40, v39
	v_add_f32_e32 v1, v1, v31
	;; [unrolled: 1-line block ×4, first 2 shown]
	v_sub_f32_e32 v30, v27, v40
	v_mul_f32_e32 v1, v38, v1
	v_sub_f32_e32 v30, v39, v30
	v_add_f32_e32 v1, v30, v1
	v_add_f32_e32 v30, v27, v1
	v_cvt_f32_i32_e32 v32, v29
	v_mul_f32_e32 v33, v30, v30
	v_mov_b32_e32 v31, 0x3ecc95a3
	v_fmac_f32_e32 v31, 0x3e9b6dac, v33
	v_fmaak_f32 v31, v33, v31, 0x3f2aaada
	v_sub_f32_e32 v27, v30, v27
	v_ldexp_f32 v35, v30, 1
	v_mul_f32_e32 v33, v30, v33
	v_mov_b32_e32 v30, 0x3f317218
	v_pk_mul_f32 v[30:31], v[32:33], v[30:31]
	v_sub_f32_e32 v1, v1, v27
	v_fma_f32 v27, v32, s3, -v30
	v_fmamk_f32 v34, v32, 0xb102e308, v27
	v_pk_add_f32 v[32:33], v[30:31], v[34:35]
	v_ldexp_f32 v1, v1, 1
	v_sub_f32_e32 v27, v33, v35
	v_sub_f32_e32 v27, v31, v27
	v_add_f32_e32 v37, v1, v27
	v_mov_b32_e32 v36, v30
	v_pk_add_f32 v[30:31], v[32:33], v[30:31] neg_lo:[0,1] neg_hi:[0,1]
	v_pk_add_f32 v[38:39], v[32:33], v[36:37]
	v_mov_b32_e32 v35, v32
	v_mov_b32_e32 v31, v39
	v_pk_add_f32 v[40:41], v[34:35], v[30:31] neg_lo:[0,1] neg_hi:[0,1]
	v_pk_add_f32 v[30:31], v[34:35], v[30:31]
	v_mov_b32_e32 v36, v37
	v_mov_b32_e32 v34, v31
	v_pk_add_f32 v[42:43], v[34:35], v[32:33] neg_lo:[0,1] neg_hi:[0,1]
	v_mov_b32_e32 v30, v39
	v_mov_b32_e32 v1, v42
	v_pk_add_f32 v[52:53], v[38:39], v[0:1] neg_lo:[0,1] neg_hi:[0,1]
	v_mov_b32_e32 v38, v33
	v_mov_b32_e32 v39, v42
	;; [unrolled: 1-line block ×3, first 2 shown]
	v_pk_add_f32 v[30:31], v[30:31], v[38:39] neg_lo:[0,1] neg_hi:[0,1]
	v_mov_b32_e32 v37, v32
	v_pk_add_f32 v[30:31], v[36:37], v[30:31] neg_lo:[0,1] neg_hi:[0,1]
	v_mov_b32_e32 v52, v40
	v_pk_add_f32 v[32:33], v[52:53], v[30:31]
	s_mov_b32 s3, 0x33800000
	v_mov_b32_e32 v36, v33
	v_pk_add_f32 v[36:37], v[32:33], v[36:37]
	v_cmp_lt_f32_e64 s[4:5], |v11|, s3
	v_pk_add_f32 v[34:35], v[34:35], v[36:37]
	v_mov_b32_e32 v31, v36
	v_mov_b32_e32 v33, v34
	v_pk_add_f32 v[38:39], v[32:33], v[40:41] neg_lo:[0,1] neg_hi:[0,1]
	s_or_b64 vcc, vcc, s[4:5]
	v_sub_f32_e32 v1, v32, v38
	v_pk_add_f32 v[30:31], v[30:31], v[38:39] neg_lo:[0,1] neg_hi:[0,1]
	v_sub_f32_e32 v1, v40, v1
	v_add_f32_e32 v1, v30, v1
	v_add_f32_e32 v1, v1, v31
	;; [unrolled: 1-line block ×3, first 2 shown]
	v_cndmask_b32_e32 v1, v1, v11, vcc
	v_add_f32_e32 v11, v0, v1
.LBB131_174:
	s_or_b64 exec, exec, s[0:1]
	v_max_f32_e32 v0, v11, v11
	v_min_f32_e32 v1, v0, v45
	v_cmp_u_f32_e32 vcc, v11, v11
	v_max_f32_e32 v0, v0, v45
	s_nop 0
	v_cndmask_b32_e32 v1, v1, v11, vcc
	v_cndmask_b32_e32 v0, v0, v11, vcc
	v_cndmask_b32_e64 v1, v1, v12, s[84:85]
	v_cndmask_b32_e64 v0, v0, v12, s[84:85]
	v_cmp_neq_f32_e32 vcc, v1, v0
	v_cmp_class_f32_e64 s[0:1], v1, s2
	s_or_b64 s[2:3], vcc, s[0:1]
	v_mov_b32_e32 v12, v11
	s_and_saveexec_b64 s[0:1], s[2:3]
	s_cbranch_execz .LBB131_176
; %bb.175:
	v_sub_f32_e32 v1, v1, v0
	s_mov_b32 s2, 0x3fb8aa3b
	v_mul_f32_e32 v12, 0x3fb8aa3b, v1
	v_fma_f32 v27, v1, s2, -v12
	v_rndne_f32_e32 v29, v12
	v_fmamk_f32 v27, v1, 0x32a5705f, v27
	v_sub_f32_e32 v12, v12, v29
	v_add_f32_e32 v12, v12, v27
	v_exp_f32_e32 v12, v12
	v_cvt_i32_f32_e32 v27, v29
	s_mov_b32 s2, 0xc2ce8ed0
	v_cmp_ngt_f32_e32 vcc, s2, v1
	s_mov_b32 s2, 0x42b17218
	v_ldexp_f32 v12, v12, v27
	v_cndmask_b32_e32 v12, 0, v12, vcc
	v_mov_b32_e32 v27, 0x7f800000
	v_cmp_nlt_f32_e32 vcc, s2, v1
	s_mov_b32 s2, 0x3f2aaaab
	s_mov_b32 s3, 0x7f800000
	v_cndmask_b32_e32 v27, v27, v12, vcc
	v_add_f32_e32 v1, 1.0, v27
	v_add_f32_e32 v12, -1.0, v1
	v_sub_f32_e32 v29, v12, v1
	v_add_f32_e32 v29, 1.0, v29
	v_sub_f32_e32 v12, v27, v12
	v_add_f32_e32 v12, v12, v29
	v_frexp_mant_f32_e32 v29, v1
	v_cvt_f64_f32_e32 v[30:31], v1
	v_frexp_exp_i32_f64_e32 v30, v[30:31]
	v_cmp_gt_f32_e32 vcc, s2, v29
	s_mov_b32 s2, 0x3f317218
	s_nop 0
	v_subbrev_co_u32_e32 v29, vcc, 0, v30, vcc
	v_sub_u32_e32 v30, 0, v29
	v_ldexp_f32 v1, v1, v30
	v_ldexp_f32 v12, v12, v30
	v_add_f32_e32 v30, -1.0, v1
	v_add_f32_e32 v31, 1.0, v30
	v_sub_f32_e32 v31, v1, v31
	v_add_f32_e32 v32, v12, v31
	v_add_f32_e32 v31, 1.0, v1
	v_add_f32_e32 v33, -1.0, v31
	v_sub_f32_e32 v1, v1, v33
	v_add_f32_e32 v1, v12, v1
	v_add_f32_e32 v12, v31, v1
	v_rcp_f32_e32 v38, v12
	v_sub_f32_e32 v31, v31, v12
	v_add_f32_e32 v1, v1, v31
	v_add_f32_e32 v31, v30, v32
	v_sub_f32_e32 v30, v30, v31
	v_mul_f32_e32 v40, v31, v38
	v_add_f32_e32 v39, v32, v30
	v_mul_f32_e32 v32, v12, v40
	v_fma_f32 v34, v40, v12, -v32
	v_fmac_f32_e32 v34, v40, v1
	v_add_f32_e32 v30, v32, v34
	v_sub_f32_e32 v33, v31, v30
	v_pk_add_f32 v[36:37], v[30:31], v[32:33] neg_lo:[0,1] neg_hi:[0,1]
	v_mov_b32_e32 v35, v30
	v_pk_add_f32 v[30:31], v[36:37], v[34:35] neg_lo:[0,1] neg_hi:[0,1]
	v_cmp_eq_f32_e32 vcc, s3, v27
	v_add_f32_e32 v31, v39, v31
	v_add_f32_e32 v30, v30, v31
	;; [unrolled: 1-line block ×3, first 2 shown]
	v_mul_f32_e32 v39, v38, v31
	v_mul_f32_e32 v32, v12, v39
	v_fma_f32 v34, v39, v12, -v32
	v_fmac_f32_e32 v34, v39, v1
	v_sub_f32_e32 v1, v33, v31
	v_add_f32_e32 v1, v30, v1
	v_add_f32_e32 v30, v32, v34
	v_sub_f32_e32 v33, v31, v30
	v_pk_add_f32 v[36:37], v[30:31], v[32:33] neg_lo:[0,1] neg_hi:[0,1]
	v_mov_b32_e32 v35, v30
	v_pk_add_f32 v[30:31], v[36:37], v[34:35] neg_lo:[0,1] neg_hi:[0,1]
	v_add_f32_e32 v12, v40, v39
	v_add_f32_e32 v1, v1, v31
	;; [unrolled: 1-line block ×4, first 2 shown]
	v_sub_f32_e32 v30, v12, v40
	v_mul_f32_e32 v1, v38, v1
	v_sub_f32_e32 v30, v39, v30
	v_add_f32_e32 v1, v30, v1
	v_add_f32_e32 v30, v12, v1
	v_cvt_f32_i32_e32 v32, v29
	v_mul_f32_e32 v33, v30, v30
	v_mov_b32_e32 v31, 0x3ecc95a3
	v_fmac_f32_e32 v31, 0x3e9b6dac, v33
	v_fmaak_f32 v31, v33, v31, 0x3f2aaada
	v_sub_f32_e32 v12, v30, v12
	v_ldexp_f32 v35, v30, 1
	v_mul_f32_e32 v33, v30, v33
	v_mov_b32_e32 v30, 0x3f317218
	v_pk_mul_f32 v[30:31], v[32:33], v[30:31]
	v_sub_f32_e32 v1, v1, v12
	v_fma_f32 v12, v32, s2, -v30
	v_fmamk_f32 v34, v32, 0xb102e308, v12
	v_pk_add_f32 v[32:33], v[30:31], v[34:35]
	v_ldexp_f32 v1, v1, 1
	v_sub_f32_e32 v12, v33, v35
	v_sub_f32_e32 v12, v31, v12
	v_add_f32_e32 v37, v1, v12
	v_mov_b32_e32 v36, v30
	v_pk_add_f32 v[30:31], v[32:33], v[30:31] neg_lo:[0,1] neg_hi:[0,1]
	v_pk_add_f32 v[38:39], v[32:33], v[36:37]
	v_mov_b32_e32 v35, v32
	v_mov_b32_e32 v31, v39
	v_pk_add_f32 v[40:41], v[34:35], v[30:31] neg_lo:[0,1] neg_hi:[0,1]
	v_pk_add_f32 v[30:31], v[34:35], v[30:31]
	s_mov_b32 s2, 0x33800000
	v_mov_b32_e32 v12, v31
	v_pk_add_f32 v[34:35], v[12:13], v[32:33] neg_lo:[0,1] neg_hi:[0,1]
	v_mov_b32_e32 v30, v39
	v_mov_b32_e32 v1, v34
	v_pk_add_f32 v[42:43], v[38:39], v[0:1] neg_lo:[0,1] neg_hi:[0,1]
	v_mov_b32_e32 v38, v33
	v_mov_b32_e32 v39, v34
	;; [unrolled: 1-line block ×3, first 2 shown]
	v_pk_add_f32 v[30:31], v[30:31], v[38:39] neg_lo:[0,1] neg_hi:[0,1]
	v_mov_b32_e32 v34, v37
	v_mov_b32_e32 v35, v32
	v_pk_add_f32 v[30:31], v[34:35], v[30:31] neg_lo:[0,1] neg_hi:[0,1]
	v_mov_b32_e32 v42, v40
	v_pk_add_f32 v[32:33], v[42:43], v[30:31]
	v_cmp_lt_f32_e64 s[2:3], |v27|, s2
	v_mov_b32_e32 v34, v33
	v_pk_add_f32 v[34:35], v[32:33], v[34:35]
	s_or_b64 vcc, vcc, s[2:3]
	v_pk_add_f32 v[36:37], v[12:13], v[34:35]
	v_mov_b32_e32 v31, v34
	v_mov_b32_e32 v33, v36
	v_pk_add_f32 v[38:39], v[32:33], v[40:41] neg_lo:[0,1] neg_hi:[0,1]
	s_nop 0
	v_sub_f32_e32 v1, v32, v38
	v_pk_add_f32 v[30:31], v[30:31], v[38:39] neg_lo:[0,1] neg_hi:[0,1]
	v_sub_f32_e32 v1, v40, v1
	v_add_f32_e32 v1, v30, v1
	v_add_f32_e32 v1, v1, v31
	;; [unrolled: 1-line block ×3, first 2 shown]
	v_cndmask_b32_e32 v1, v1, v27, vcc
	v_add_f32_e32 v12, v0, v1
.LBB131_176:
	s_or_b64 exec, exec, s[0:1]
	v_max_f32_e32 v0, v12, v12
	v_min_f32_e32 v1, v0, v46
	v_cmp_u_f32_e32 vcc, v12, v12
	v_max_f32_e32 v0, v0, v46
	s_movk_i32 s2, 0x1f8
	v_cndmask_b32_e32 v1, v1, v12, vcc
	v_cndmask_b32_e32 v0, v0, v12, vcc
	v_cndmask_b32_e64 v1, v1, v13, s[86:87]
	v_cndmask_b32_e64 v0, v0, v13, s[86:87]
	v_cmp_neq_f32_e32 vcc, v1, v0
	v_cmp_class_f32_e64 s[0:1], v1, s2
	s_or_b64 s[4:5], vcc, s[0:1]
	v_mov_b32_e32 v13, v12
	s_and_saveexec_b64 s[0:1], s[4:5]
	s_cbranch_execz .LBB131_178
; %bb.177:
	v_sub_f32_e32 v1, v1, v0
	s_mov_b32 s3, 0x3fb8aa3b
	v_mul_f32_e32 v13, 0x3fb8aa3b, v1
	v_fma_f32 v27, v1, s3, -v13
	v_rndne_f32_e32 v29, v13
	v_fmamk_f32 v27, v1, 0x32a5705f, v27
	v_sub_f32_e32 v13, v13, v29
	v_add_f32_e32 v13, v13, v27
	v_exp_f32_e32 v13, v13
	v_cvt_i32_f32_e32 v27, v29
	s_mov_b32 s3, 0xc2ce8ed0
	v_cmp_ngt_f32_e32 vcc, s3, v1
	s_mov_b32 s3, 0x42b17218
	v_ldexp_f32 v13, v13, v27
	v_cndmask_b32_e32 v13, 0, v13, vcc
	v_mov_b32_e32 v27, 0x7f800000
	v_cmp_nlt_f32_e32 vcc, s3, v1
	s_mov_b32 s3, 0x3f2aaaab
	s_mov_b32 s4, 0x7f800000
	v_cndmask_b32_e32 v13, v27, v13, vcc
	v_add_f32_e32 v1, 1.0, v13
	v_add_f32_e32 v27, -1.0, v1
	v_sub_f32_e32 v29, v27, v1
	v_add_f32_e32 v29, 1.0, v29
	v_sub_f32_e32 v27, v13, v27
	v_add_f32_e32 v27, v27, v29
	v_frexp_mant_f32_e32 v29, v1
	v_cvt_f64_f32_e32 v[30:31], v1
	v_frexp_exp_i32_f64_e32 v30, v[30:31]
	v_cmp_gt_f32_e32 vcc, s3, v29
	s_mov_b32 s3, 0x3f317218
	s_nop 0
	v_subbrev_co_u32_e32 v29, vcc, 0, v30, vcc
	v_sub_u32_e32 v30, 0, v29
	v_ldexp_f32 v1, v1, v30
	v_ldexp_f32 v27, v27, v30
	v_add_f32_e32 v30, -1.0, v1
	v_add_f32_e32 v31, 1.0, v30
	v_sub_f32_e32 v31, v1, v31
	v_add_f32_e32 v32, v27, v31
	v_add_f32_e32 v31, 1.0, v1
	v_add_f32_e32 v33, -1.0, v31
	v_sub_f32_e32 v1, v1, v33
	v_add_f32_e32 v1, v27, v1
	v_add_f32_e32 v27, v31, v1
	v_rcp_f32_e32 v38, v27
	v_sub_f32_e32 v31, v31, v27
	v_add_f32_e32 v1, v1, v31
	v_add_f32_e32 v31, v30, v32
	v_sub_f32_e32 v30, v30, v31
	v_mul_f32_e32 v40, v31, v38
	v_add_f32_e32 v39, v32, v30
	v_mul_f32_e32 v32, v27, v40
	v_fma_f32 v34, v40, v27, -v32
	v_fmac_f32_e32 v34, v40, v1
	v_add_f32_e32 v30, v32, v34
	v_sub_f32_e32 v33, v31, v30
	v_pk_add_f32 v[36:37], v[30:31], v[32:33] neg_lo:[0,1] neg_hi:[0,1]
	v_mov_b32_e32 v35, v30
	v_pk_add_f32 v[30:31], v[36:37], v[34:35] neg_lo:[0,1] neg_hi:[0,1]
	v_cmp_eq_f32_e32 vcc, s4, v13
	v_add_f32_e32 v31, v39, v31
	v_add_f32_e32 v30, v30, v31
	;; [unrolled: 1-line block ×3, first 2 shown]
	v_mul_f32_e32 v39, v38, v31
	v_mul_f32_e32 v32, v27, v39
	v_fma_f32 v34, v39, v27, -v32
	v_fmac_f32_e32 v34, v39, v1
	v_sub_f32_e32 v1, v33, v31
	v_add_f32_e32 v1, v30, v1
	v_add_f32_e32 v30, v32, v34
	v_sub_f32_e32 v33, v31, v30
	v_pk_add_f32 v[36:37], v[30:31], v[32:33] neg_lo:[0,1] neg_hi:[0,1]
	v_mov_b32_e32 v35, v30
	v_pk_add_f32 v[30:31], v[36:37], v[34:35] neg_lo:[0,1] neg_hi:[0,1]
	v_add_f32_e32 v27, v40, v39
	v_add_f32_e32 v1, v1, v31
	;; [unrolled: 1-line block ×4, first 2 shown]
	v_sub_f32_e32 v30, v27, v40
	v_mul_f32_e32 v1, v38, v1
	v_sub_f32_e32 v30, v39, v30
	v_add_f32_e32 v1, v30, v1
	v_add_f32_e32 v30, v27, v1
	v_cvt_f32_i32_e32 v32, v29
	v_mul_f32_e32 v33, v30, v30
	v_mov_b32_e32 v31, 0x3ecc95a3
	v_fmac_f32_e32 v31, 0x3e9b6dac, v33
	v_fmaak_f32 v31, v33, v31, 0x3f2aaada
	v_sub_f32_e32 v27, v30, v27
	v_ldexp_f32 v35, v30, 1
	v_mul_f32_e32 v33, v30, v33
	v_mov_b32_e32 v30, 0x3f317218
	v_pk_mul_f32 v[30:31], v[32:33], v[30:31]
	v_sub_f32_e32 v1, v1, v27
	v_fma_f32 v27, v32, s3, -v30
	v_fmamk_f32 v34, v32, 0xb102e308, v27
	v_pk_add_f32 v[32:33], v[30:31], v[34:35]
	v_ldexp_f32 v1, v1, 1
	v_sub_f32_e32 v27, v33, v35
	v_sub_f32_e32 v27, v31, v27
	v_add_f32_e32 v37, v1, v27
	v_mov_b32_e32 v36, v30
	v_pk_add_f32 v[30:31], v[32:33], v[30:31] neg_lo:[0,1] neg_hi:[0,1]
	v_pk_add_f32 v[38:39], v[32:33], v[36:37]
	v_mov_b32_e32 v35, v32
	v_mov_b32_e32 v31, v39
	v_pk_add_f32 v[40:41], v[34:35], v[30:31] neg_lo:[0,1] neg_hi:[0,1]
	v_pk_add_f32 v[30:31], v[34:35], v[30:31]
	v_mov_b32_e32 v36, v37
	v_mov_b32_e32 v34, v31
	v_pk_add_f32 v[42:43], v[34:35], v[32:33] neg_lo:[0,1] neg_hi:[0,1]
	v_mov_b32_e32 v30, v39
	v_mov_b32_e32 v1, v42
	v_pk_add_f32 v[44:45], v[38:39], v[0:1] neg_lo:[0,1] neg_hi:[0,1]
	v_mov_b32_e32 v38, v33
	v_mov_b32_e32 v39, v42
	;; [unrolled: 1-line block ×3, first 2 shown]
	v_pk_add_f32 v[30:31], v[30:31], v[38:39] neg_lo:[0,1] neg_hi:[0,1]
	v_mov_b32_e32 v37, v32
	v_pk_add_f32 v[30:31], v[36:37], v[30:31] neg_lo:[0,1] neg_hi:[0,1]
	v_mov_b32_e32 v44, v40
	v_pk_add_f32 v[32:33], v[44:45], v[30:31]
	s_mov_b32 s3, 0x33800000
	v_mov_b32_e32 v36, v33
	v_pk_add_f32 v[36:37], v[32:33], v[36:37]
	v_cmp_lt_f32_e64 s[4:5], |v13|, s3
	v_pk_add_f32 v[34:35], v[34:35], v[36:37]
	v_mov_b32_e32 v31, v36
	v_mov_b32_e32 v33, v34
	v_pk_add_f32 v[38:39], v[32:33], v[40:41] neg_lo:[0,1] neg_hi:[0,1]
	s_or_b64 vcc, vcc, s[4:5]
	v_sub_f32_e32 v1, v32, v38
	v_pk_add_f32 v[30:31], v[30:31], v[38:39] neg_lo:[0,1] neg_hi:[0,1]
	v_sub_f32_e32 v1, v40, v1
	v_add_f32_e32 v1, v30, v1
	v_add_f32_e32 v1, v1, v31
	;; [unrolled: 1-line block ×3, first 2 shown]
	v_cndmask_b32_e32 v1, v1, v13, vcc
	v_add_f32_e32 v13, v0, v1
.LBB131_178:
	s_or_b64 exec, exec, s[0:1]
	v_max_f32_e32 v0, v13, v13
	v_min_f32_e32 v1, v0, v47
	v_cmp_u_f32_e32 vcc, v13, v13
	v_max_f32_e32 v0, v0, v47
	s_nop 0
	v_cndmask_b32_e32 v1, v1, v13, vcc
	v_cndmask_b32_e32 v0, v0, v13, vcc
	v_cndmask_b32_e64 v1, v1, v6, s[88:89]
	v_cndmask_b32_e64 v0, v0, v6, s[88:89]
	v_cmp_neq_f32_e32 vcc, v1, v0
	v_cmp_class_f32_e64 s[0:1], v1, s2
	s_or_b64 s[2:3], vcc, s[0:1]
	v_mov_b32_e32 v6, v13
	s_and_saveexec_b64 s[0:1], s[2:3]
	s_cbranch_execz .LBB131_180
; %bb.179:
	v_sub_f32_e32 v1, v1, v0
	s_mov_b32 s2, 0x3fb8aa3b
	v_mul_f32_e32 v6, 0x3fb8aa3b, v1
	v_fma_f32 v27, v1, s2, -v6
	v_rndne_f32_e32 v29, v6
	v_fmamk_f32 v27, v1, 0x32a5705f, v27
	v_sub_f32_e32 v6, v6, v29
	v_add_f32_e32 v6, v6, v27
	v_exp_f32_e32 v6, v6
	v_cvt_i32_f32_e32 v27, v29
	s_mov_b32 s2, 0xc2ce8ed0
	v_cmp_ngt_f32_e32 vcc, s2, v1
	s_mov_b32 s2, 0x42b17218
	v_ldexp_f32 v6, v6, v27
	v_cndmask_b32_e32 v6, 0, v6, vcc
	v_mov_b32_e32 v27, 0x7f800000
	v_cmp_nlt_f32_e32 vcc, s2, v1
	s_mov_b32 s2, 0x3f2aaaab
	s_mov_b32 s3, 0x7f800000
	v_cndmask_b32_e32 v27, v27, v6, vcc
	v_add_f32_e32 v1, 1.0, v27
	v_add_f32_e32 v6, -1.0, v1
	v_sub_f32_e32 v29, v6, v1
	v_add_f32_e32 v29, 1.0, v29
	v_sub_f32_e32 v6, v27, v6
	v_add_f32_e32 v6, v6, v29
	v_frexp_mant_f32_e32 v29, v1
	v_cvt_f64_f32_e32 v[30:31], v1
	v_frexp_exp_i32_f64_e32 v30, v[30:31]
	v_cmp_gt_f32_e32 vcc, s2, v29
	s_mov_b32 s2, 0x3f317218
	s_nop 0
	v_subbrev_co_u32_e32 v29, vcc, 0, v30, vcc
	v_sub_u32_e32 v30, 0, v29
	v_ldexp_f32 v1, v1, v30
	v_ldexp_f32 v6, v6, v30
	v_add_f32_e32 v30, -1.0, v1
	v_add_f32_e32 v31, 1.0, v30
	v_sub_f32_e32 v31, v1, v31
	v_add_f32_e32 v32, v6, v31
	v_add_f32_e32 v31, 1.0, v1
	v_add_f32_e32 v33, -1.0, v31
	v_sub_f32_e32 v1, v1, v33
	v_add_f32_e32 v1, v6, v1
	v_add_f32_e32 v6, v31, v1
	v_rcp_f32_e32 v38, v6
	v_sub_f32_e32 v31, v31, v6
	v_add_f32_e32 v1, v1, v31
	v_add_f32_e32 v31, v30, v32
	v_sub_f32_e32 v30, v30, v31
	v_mul_f32_e32 v40, v31, v38
	v_add_f32_e32 v39, v32, v30
	v_mul_f32_e32 v32, v6, v40
	v_fma_f32 v34, v40, v6, -v32
	v_fmac_f32_e32 v34, v40, v1
	v_add_f32_e32 v30, v32, v34
	v_sub_f32_e32 v33, v31, v30
	v_pk_add_f32 v[36:37], v[30:31], v[32:33] neg_lo:[0,1] neg_hi:[0,1]
	v_mov_b32_e32 v35, v30
	v_pk_add_f32 v[30:31], v[36:37], v[34:35] neg_lo:[0,1] neg_hi:[0,1]
	v_cmp_eq_f32_e32 vcc, s3, v27
	v_add_f32_e32 v31, v39, v31
	v_add_f32_e32 v30, v30, v31
	v_add_f32_e32 v31, v33, v30
	v_mul_f32_e32 v39, v38, v31
	v_mul_f32_e32 v32, v6, v39
	v_fma_f32 v34, v39, v6, -v32
	v_fmac_f32_e32 v34, v39, v1
	v_sub_f32_e32 v1, v33, v31
	v_add_f32_e32 v1, v30, v1
	v_add_f32_e32 v30, v32, v34
	v_sub_f32_e32 v33, v31, v30
	v_pk_add_f32 v[36:37], v[30:31], v[32:33] neg_lo:[0,1] neg_hi:[0,1]
	v_mov_b32_e32 v35, v30
	v_pk_add_f32 v[30:31], v[36:37], v[34:35] neg_lo:[0,1] neg_hi:[0,1]
	v_add_f32_e32 v6, v40, v39
	v_add_f32_e32 v1, v1, v31
	;; [unrolled: 1-line block ×4, first 2 shown]
	v_sub_f32_e32 v30, v6, v40
	v_mul_f32_e32 v1, v38, v1
	v_sub_f32_e32 v30, v39, v30
	v_add_f32_e32 v1, v30, v1
	v_add_f32_e32 v30, v6, v1
	v_cvt_f32_i32_e32 v32, v29
	v_mul_f32_e32 v33, v30, v30
	v_mov_b32_e32 v31, 0x3ecc95a3
	v_fmac_f32_e32 v31, 0x3e9b6dac, v33
	v_fmaak_f32 v31, v33, v31, 0x3f2aaada
	v_sub_f32_e32 v6, v30, v6
	v_ldexp_f32 v35, v30, 1
	v_mul_f32_e32 v33, v30, v33
	v_mov_b32_e32 v30, 0x3f317218
	v_pk_mul_f32 v[30:31], v[32:33], v[30:31]
	v_sub_f32_e32 v1, v1, v6
	v_fma_f32 v6, v32, s2, -v30
	v_fmamk_f32 v34, v32, 0xb102e308, v6
	v_pk_add_f32 v[32:33], v[30:31], v[34:35]
	v_ldexp_f32 v1, v1, 1
	v_sub_f32_e32 v6, v33, v35
	v_sub_f32_e32 v6, v31, v6
	v_add_f32_e32 v37, v1, v6
	v_mov_b32_e32 v36, v30
	v_pk_add_f32 v[30:31], v[32:33], v[30:31] neg_lo:[0,1] neg_hi:[0,1]
	v_pk_add_f32 v[38:39], v[32:33], v[36:37]
	v_mov_b32_e32 v35, v32
	v_mov_b32_e32 v31, v39
	v_pk_add_f32 v[40:41], v[34:35], v[30:31] neg_lo:[0,1] neg_hi:[0,1]
	v_pk_add_f32 v[30:31], v[34:35], v[30:31]
	s_mov_b32 s2, 0x33800000
	v_mov_b32_e32 v6, v31
	v_pk_add_f32 v[34:35], v[6:7], v[32:33] neg_lo:[0,1] neg_hi:[0,1]
	v_mov_b32_e32 v30, v39
	v_mov_b32_e32 v1, v34
	v_pk_add_f32 v[42:43], v[38:39], v[0:1] neg_lo:[0,1] neg_hi:[0,1]
	v_mov_b32_e32 v38, v33
	v_mov_b32_e32 v39, v34
	v_mov_b32_e32 v41, v31
	v_pk_add_f32 v[30:31], v[30:31], v[38:39] neg_lo:[0,1] neg_hi:[0,1]
	v_mov_b32_e32 v34, v37
	v_mov_b32_e32 v35, v32
	v_pk_add_f32 v[30:31], v[34:35], v[30:31] neg_lo:[0,1] neg_hi:[0,1]
	v_mov_b32_e32 v42, v40
	v_pk_add_f32 v[32:33], v[42:43], v[30:31]
	v_cmp_lt_f32_e64 s[2:3], |v27|, s2
	v_mov_b32_e32 v34, v33
	v_pk_add_f32 v[34:35], v[32:33], v[34:35]
	s_or_b64 vcc, vcc, s[2:3]
	v_pk_add_f32 v[36:37], v[6:7], v[34:35]
	v_mov_b32_e32 v31, v34
	v_mov_b32_e32 v33, v36
	v_pk_add_f32 v[38:39], v[32:33], v[40:41] neg_lo:[0,1] neg_hi:[0,1]
	s_nop 0
	v_sub_f32_e32 v1, v32, v38
	v_pk_add_f32 v[30:31], v[30:31], v[38:39] neg_lo:[0,1] neg_hi:[0,1]
	v_sub_f32_e32 v1, v40, v1
	v_add_f32_e32 v1, v30, v1
	v_add_f32_e32 v1, v1, v31
	;; [unrolled: 1-line block ×3, first 2 shown]
	v_cndmask_b32_e32 v1, v1, v27, vcc
	v_add_f32_e32 v6, v0, v1
.LBB131_180:
	s_or_b64 exec, exec, s[0:1]
	v_max_f32_e32 v0, v6, v6
	v_min_f32_e32 v1, v0, v48
	v_cmp_u_f32_e32 vcc, v6, v6
	v_max_f32_e32 v0, v0, v48
	s_movk_i32 s2, 0x1f8
	v_cndmask_b32_e32 v1, v1, v6, vcc
	v_cndmask_b32_e32 v0, v0, v6, vcc
	v_cndmask_b32_e64 v1, v1, v7, s[90:91]
	v_cndmask_b32_e64 v0, v0, v7, s[90:91]
	v_cmp_neq_f32_e32 vcc, v1, v0
	v_cmp_class_f32_e64 s[0:1], v1, s2
	s_or_b64 s[4:5], vcc, s[0:1]
	v_mov_b32_e32 v7, v6
	s_and_saveexec_b64 s[0:1], s[4:5]
	s_cbranch_execz .LBB131_182
; %bb.181:
	v_sub_f32_e32 v1, v1, v0
	s_mov_b32 s3, 0x3fb8aa3b
	v_mul_f32_e32 v7, 0x3fb8aa3b, v1
	v_fma_f32 v27, v1, s3, -v7
	v_rndne_f32_e32 v29, v7
	v_fmamk_f32 v27, v1, 0x32a5705f, v27
	v_sub_f32_e32 v7, v7, v29
	v_add_f32_e32 v7, v7, v27
	v_exp_f32_e32 v7, v7
	v_cvt_i32_f32_e32 v27, v29
	s_mov_b32 s3, 0xc2ce8ed0
	v_cmp_ngt_f32_e32 vcc, s3, v1
	s_mov_b32 s3, 0x42b17218
	v_ldexp_f32 v7, v7, v27
	v_cndmask_b32_e32 v7, 0, v7, vcc
	v_mov_b32_e32 v27, 0x7f800000
	v_cmp_nlt_f32_e32 vcc, s3, v1
	s_mov_b32 s3, 0x3f2aaaab
	s_mov_b32 s4, 0x7f800000
	v_cndmask_b32_e32 v7, v27, v7, vcc
	v_add_f32_e32 v1, 1.0, v7
	v_add_f32_e32 v27, -1.0, v1
	v_sub_f32_e32 v29, v27, v1
	v_add_f32_e32 v29, 1.0, v29
	v_sub_f32_e32 v27, v7, v27
	v_add_f32_e32 v27, v27, v29
	v_frexp_mant_f32_e32 v29, v1
	v_cvt_f64_f32_e32 v[30:31], v1
	v_frexp_exp_i32_f64_e32 v30, v[30:31]
	v_cmp_gt_f32_e32 vcc, s3, v29
	s_mov_b32 s3, 0x3f317218
	s_nop 0
	v_subbrev_co_u32_e32 v29, vcc, 0, v30, vcc
	v_sub_u32_e32 v30, 0, v29
	v_ldexp_f32 v1, v1, v30
	v_ldexp_f32 v27, v27, v30
	v_add_f32_e32 v30, -1.0, v1
	v_add_f32_e32 v31, 1.0, v30
	v_sub_f32_e32 v31, v1, v31
	v_add_f32_e32 v32, v27, v31
	v_add_f32_e32 v31, 1.0, v1
	v_add_f32_e32 v33, -1.0, v31
	v_sub_f32_e32 v1, v1, v33
	v_add_f32_e32 v1, v27, v1
	v_add_f32_e32 v27, v31, v1
	v_rcp_f32_e32 v38, v27
	v_sub_f32_e32 v31, v31, v27
	v_add_f32_e32 v1, v1, v31
	v_add_f32_e32 v31, v30, v32
	v_sub_f32_e32 v30, v30, v31
	v_mul_f32_e32 v40, v31, v38
	v_add_f32_e32 v39, v32, v30
	v_mul_f32_e32 v32, v27, v40
	v_fma_f32 v34, v40, v27, -v32
	v_fmac_f32_e32 v34, v40, v1
	v_add_f32_e32 v30, v32, v34
	v_sub_f32_e32 v33, v31, v30
	v_pk_add_f32 v[36:37], v[30:31], v[32:33] neg_lo:[0,1] neg_hi:[0,1]
	v_mov_b32_e32 v35, v30
	v_pk_add_f32 v[30:31], v[36:37], v[34:35] neg_lo:[0,1] neg_hi:[0,1]
	v_cmp_eq_f32_e32 vcc, s4, v7
	v_add_f32_e32 v31, v39, v31
	v_add_f32_e32 v30, v30, v31
	;; [unrolled: 1-line block ×3, first 2 shown]
	v_mul_f32_e32 v39, v38, v31
	v_mul_f32_e32 v32, v27, v39
	v_fma_f32 v34, v39, v27, -v32
	v_fmac_f32_e32 v34, v39, v1
	v_sub_f32_e32 v1, v33, v31
	v_add_f32_e32 v1, v30, v1
	v_add_f32_e32 v30, v32, v34
	v_sub_f32_e32 v33, v31, v30
	v_pk_add_f32 v[36:37], v[30:31], v[32:33] neg_lo:[0,1] neg_hi:[0,1]
	v_mov_b32_e32 v35, v30
	v_pk_add_f32 v[30:31], v[36:37], v[34:35] neg_lo:[0,1] neg_hi:[0,1]
	v_add_f32_e32 v27, v40, v39
	v_add_f32_e32 v1, v1, v31
	;; [unrolled: 1-line block ×4, first 2 shown]
	v_sub_f32_e32 v30, v27, v40
	v_mul_f32_e32 v1, v38, v1
	v_sub_f32_e32 v30, v39, v30
	v_add_f32_e32 v1, v30, v1
	v_add_f32_e32 v30, v27, v1
	v_cvt_f32_i32_e32 v32, v29
	v_mul_f32_e32 v33, v30, v30
	v_mov_b32_e32 v31, 0x3ecc95a3
	v_fmac_f32_e32 v31, 0x3e9b6dac, v33
	v_fmaak_f32 v31, v33, v31, 0x3f2aaada
	v_sub_f32_e32 v27, v30, v27
	v_ldexp_f32 v35, v30, 1
	v_mul_f32_e32 v33, v30, v33
	v_mov_b32_e32 v30, 0x3f317218
	v_pk_mul_f32 v[30:31], v[32:33], v[30:31]
	v_sub_f32_e32 v1, v1, v27
	v_fma_f32 v27, v32, s3, -v30
	v_fmamk_f32 v34, v32, 0xb102e308, v27
	v_pk_add_f32 v[32:33], v[30:31], v[34:35]
	v_ldexp_f32 v1, v1, 1
	v_sub_f32_e32 v27, v33, v35
	v_sub_f32_e32 v27, v31, v27
	v_add_f32_e32 v37, v1, v27
	v_mov_b32_e32 v36, v30
	v_pk_add_f32 v[30:31], v[32:33], v[30:31] neg_lo:[0,1] neg_hi:[0,1]
	v_pk_add_f32 v[38:39], v[32:33], v[36:37]
	v_mov_b32_e32 v35, v32
	v_mov_b32_e32 v31, v39
	v_pk_add_f32 v[40:41], v[34:35], v[30:31] neg_lo:[0,1] neg_hi:[0,1]
	v_pk_add_f32 v[30:31], v[34:35], v[30:31]
	v_mov_b32_e32 v36, v37
	v_mov_b32_e32 v34, v31
	v_pk_add_f32 v[42:43], v[34:35], v[32:33] neg_lo:[0,1] neg_hi:[0,1]
	v_mov_b32_e32 v30, v39
	v_mov_b32_e32 v1, v42
	v_pk_add_f32 v[44:45], v[38:39], v[0:1] neg_lo:[0,1] neg_hi:[0,1]
	v_mov_b32_e32 v38, v33
	v_mov_b32_e32 v39, v42
	;; [unrolled: 1-line block ×3, first 2 shown]
	v_pk_add_f32 v[30:31], v[30:31], v[38:39] neg_lo:[0,1] neg_hi:[0,1]
	v_mov_b32_e32 v37, v32
	v_pk_add_f32 v[30:31], v[36:37], v[30:31] neg_lo:[0,1] neg_hi:[0,1]
	v_mov_b32_e32 v44, v40
	v_pk_add_f32 v[32:33], v[44:45], v[30:31]
	s_mov_b32 s3, 0x33800000
	v_mov_b32_e32 v36, v33
	v_pk_add_f32 v[36:37], v[32:33], v[36:37]
	v_cmp_lt_f32_e64 s[4:5], |v7|, s3
	v_pk_add_f32 v[34:35], v[34:35], v[36:37]
	v_mov_b32_e32 v31, v36
	v_mov_b32_e32 v33, v34
	v_pk_add_f32 v[38:39], v[32:33], v[40:41] neg_lo:[0,1] neg_hi:[0,1]
	s_or_b64 vcc, vcc, s[4:5]
	v_sub_f32_e32 v1, v32, v38
	v_pk_add_f32 v[30:31], v[30:31], v[38:39] neg_lo:[0,1] neg_hi:[0,1]
	v_sub_f32_e32 v1, v40, v1
	v_add_f32_e32 v1, v30, v1
	v_add_f32_e32 v1, v1, v31
	;; [unrolled: 1-line block ×3, first 2 shown]
	v_cndmask_b32_e32 v1, v1, v7, vcc
	v_add_f32_e32 v7, v0, v1
.LBB131_182:
	s_or_b64 exec, exec, s[0:1]
	v_max_f32_e32 v0, v7, v7
	v_min_f32_e32 v1, v0, v49
	v_cmp_u_f32_e32 vcc, v7, v7
	v_max_f32_e32 v0, v0, v49
	s_nop 0
	v_cndmask_b32_e32 v1, v1, v7, vcc
	v_cndmask_b32_e32 v0, v0, v7, vcc
	v_cndmask_b32_e64 v1, v1, v8, s[92:93]
	v_cndmask_b32_e64 v0, v0, v8, s[92:93]
	v_cmp_neq_f32_e32 vcc, v1, v0
	v_cmp_class_f32_e64 s[0:1], v1, s2
	s_or_b64 s[2:3], vcc, s[0:1]
	v_mov_b32_e32 v8, v7
	s_and_saveexec_b64 s[0:1], s[2:3]
	s_cbranch_execz .LBB131_184
; %bb.183:
	v_sub_f32_e32 v1, v1, v0
	s_mov_b32 s2, 0x3fb8aa3b
	v_mul_f32_e32 v8, 0x3fb8aa3b, v1
	v_fma_f32 v27, v1, s2, -v8
	v_rndne_f32_e32 v29, v8
	v_fmamk_f32 v27, v1, 0x32a5705f, v27
	v_sub_f32_e32 v8, v8, v29
	v_add_f32_e32 v8, v8, v27
	v_exp_f32_e32 v8, v8
	v_cvt_i32_f32_e32 v27, v29
	s_mov_b32 s2, 0xc2ce8ed0
	v_cmp_ngt_f32_e32 vcc, s2, v1
	s_mov_b32 s2, 0x42b17218
	v_ldexp_f32 v8, v8, v27
	v_cndmask_b32_e32 v8, 0, v8, vcc
	v_mov_b32_e32 v27, 0x7f800000
	v_cmp_nlt_f32_e32 vcc, s2, v1
	s_mov_b32 s2, 0x3f2aaaab
	s_mov_b32 s3, 0x7f800000
	v_cndmask_b32_e32 v27, v27, v8, vcc
	v_add_f32_e32 v1, 1.0, v27
	v_add_f32_e32 v8, -1.0, v1
	v_sub_f32_e32 v29, v8, v1
	v_add_f32_e32 v29, 1.0, v29
	v_sub_f32_e32 v8, v27, v8
	v_add_f32_e32 v8, v8, v29
	v_frexp_mant_f32_e32 v29, v1
	v_cvt_f64_f32_e32 v[30:31], v1
	v_frexp_exp_i32_f64_e32 v30, v[30:31]
	v_cmp_gt_f32_e32 vcc, s2, v29
	s_mov_b32 s2, 0x3f317218
	s_nop 0
	v_subbrev_co_u32_e32 v29, vcc, 0, v30, vcc
	v_sub_u32_e32 v30, 0, v29
	v_ldexp_f32 v1, v1, v30
	v_ldexp_f32 v8, v8, v30
	v_add_f32_e32 v30, -1.0, v1
	v_add_f32_e32 v31, 1.0, v30
	v_sub_f32_e32 v31, v1, v31
	v_add_f32_e32 v32, v8, v31
	v_add_f32_e32 v31, 1.0, v1
	v_add_f32_e32 v33, -1.0, v31
	v_sub_f32_e32 v1, v1, v33
	v_add_f32_e32 v1, v8, v1
	v_add_f32_e32 v8, v31, v1
	v_rcp_f32_e32 v38, v8
	v_sub_f32_e32 v31, v31, v8
	v_add_f32_e32 v1, v1, v31
	v_add_f32_e32 v31, v30, v32
	v_sub_f32_e32 v30, v30, v31
	v_mul_f32_e32 v40, v31, v38
	v_add_f32_e32 v39, v32, v30
	v_mul_f32_e32 v32, v8, v40
	v_fma_f32 v34, v40, v8, -v32
	v_fmac_f32_e32 v34, v40, v1
	v_add_f32_e32 v30, v32, v34
	v_sub_f32_e32 v33, v31, v30
	v_pk_add_f32 v[36:37], v[30:31], v[32:33] neg_lo:[0,1] neg_hi:[0,1]
	v_mov_b32_e32 v35, v30
	v_pk_add_f32 v[30:31], v[36:37], v[34:35] neg_lo:[0,1] neg_hi:[0,1]
	v_cmp_eq_f32_e32 vcc, s3, v27
	v_add_f32_e32 v31, v39, v31
	v_add_f32_e32 v30, v30, v31
	;; [unrolled: 1-line block ×3, first 2 shown]
	v_mul_f32_e32 v39, v38, v31
	v_mul_f32_e32 v32, v8, v39
	v_fma_f32 v34, v39, v8, -v32
	v_fmac_f32_e32 v34, v39, v1
	v_sub_f32_e32 v1, v33, v31
	v_add_f32_e32 v1, v30, v1
	v_add_f32_e32 v30, v32, v34
	v_sub_f32_e32 v33, v31, v30
	v_pk_add_f32 v[36:37], v[30:31], v[32:33] neg_lo:[0,1] neg_hi:[0,1]
	v_mov_b32_e32 v35, v30
	v_pk_add_f32 v[30:31], v[36:37], v[34:35] neg_lo:[0,1] neg_hi:[0,1]
	v_add_f32_e32 v8, v40, v39
	v_add_f32_e32 v1, v1, v31
	;; [unrolled: 1-line block ×4, first 2 shown]
	v_sub_f32_e32 v30, v8, v40
	v_mul_f32_e32 v1, v38, v1
	v_sub_f32_e32 v30, v39, v30
	v_add_f32_e32 v1, v30, v1
	v_add_f32_e32 v30, v8, v1
	v_cvt_f32_i32_e32 v32, v29
	v_mul_f32_e32 v33, v30, v30
	v_mov_b32_e32 v31, 0x3ecc95a3
	v_fmac_f32_e32 v31, 0x3e9b6dac, v33
	v_fmaak_f32 v31, v33, v31, 0x3f2aaada
	v_sub_f32_e32 v8, v30, v8
	v_ldexp_f32 v35, v30, 1
	v_mul_f32_e32 v33, v30, v33
	v_mov_b32_e32 v30, 0x3f317218
	v_pk_mul_f32 v[30:31], v[32:33], v[30:31]
	v_sub_f32_e32 v1, v1, v8
	v_fma_f32 v8, v32, s2, -v30
	v_fmamk_f32 v34, v32, 0xb102e308, v8
	v_pk_add_f32 v[32:33], v[30:31], v[34:35]
	v_ldexp_f32 v1, v1, 1
	v_sub_f32_e32 v8, v33, v35
	v_sub_f32_e32 v8, v31, v8
	v_add_f32_e32 v37, v1, v8
	v_mov_b32_e32 v36, v30
	v_pk_add_f32 v[30:31], v[32:33], v[30:31] neg_lo:[0,1] neg_hi:[0,1]
	v_pk_add_f32 v[38:39], v[32:33], v[36:37]
	v_mov_b32_e32 v35, v32
	v_mov_b32_e32 v31, v39
	v_pk_add_f32 v[40:41], v[34:35], v[30:31] neg_lo:[0,1] neg_hi:[0,1]
	v_pk_add_f32 v[30:31], v[34:35], v[30:31]
	s_mov_b32 s2, 0x33800000
	v_mov_b32_e32 v8, v31
	v_pk_add_f32 v[34:35], v[8:9], v[32:33] neg_lo:[0,1] neg_hi:[0,1]
	v_mov_b32_e32 v30, v39
	v_mov_b32_e32 v1, v34
	v_pk_add_f32 v[42:43], v[38:39], v[0:1] neg_lo:[0,1] neg_hi:[0,1]
	v_mov_b32_e32 v38, v33
	v_mov_b32_e32 v39, v34
	;; [unrolled: 1-line block ×3, first 2 shown]
	v_pk_add_f32 v[30:31], v[30:31], v[38:39] neg_lo:[0,1] neg_hi:[0,1]
	v_mov_b32_e32 v34, v37
	v_mov_b32_e32 v35, v32
	v_pk_add_f32 v[30:31], v[34:35], v[30:31] neg_lo:[0,1] neg_hi:[0,1]
	v_mov_b32_e32 v42, v40
	v_pk_add_f32 v[32:33], v[42:43], v[30:31]
	v_cmp_lt_f32_e64 s[2:3], |v27|, s2
	v_mov_b32_e32 v34, v33
	v_pk_add_f32 v[34:35], v[32:33], v[34:35]
	s_or_b64 vcc, vcc, s[2:3]
	v_pk_add_f32 v[36:37], v[8:9], v[34:35]
	v_mov_b32_e32 v31, v34
	v_mov_b32_e32 v33, v36
	v_pk_add_f32 v[38:39], v[32:33], v[40:41] neg_lo:[0,1] neg_hi:[0,1]
	s_nop 0
	v_sub_f32_e32 v1, v32, v38
	v_pk_add_f32 v[30:31], v[30:31], v[38:39] neg_lo:[0,1] neg_hi:[0,1]
	v_sub_f32_e32 v1, v40, v1
	v_add_f32_e32 v1, v30, v1
	v_add_f32_e32 v1, v1, v31
	v_add_f32_e32 v1, v36, v1
	v_cndmask_b32_e32 v1, v1, v27, vcc
	v_add_f32_e32 v8, v0, v1
.LBB131_184:
	s_or_b64 exec, exec, s[0:1]
	v_max_f32_e32 v0, v8, v8
	v_min_f32_e32 v1, v0, v50
	v_cmp_u_f32_e32 vcc, v8, v8
	v_max_f32_e32 v0, v0, v50
	s_movk_i32 s0, 0x1f8
	v_cndmask_b32_e32 v1, v1, v8, vcc
	v_cndmask_b32_e32 v0, v0, v8, vcc
	v_cndmask_b32_e64 v1, v1, v9, s[94:95]
	v_cndmask_b32_e64 v0, v0, v9, s[94:95]
	v_cmp_neq_f32_e32 vcc, v1, v0
	v_cmp_class_f32_e64 s[0:1], v1, s0
	s_or_b64 s[2:3], vcc, s[0:1]
	v_mov_b32_e32 v9, v8
	s_and_saveexec_b64 s[0:1], s[2:3]
	s_cbranch_execz .LBB131_186
; %bb.185:
	v_sub_f32_e32 v1, v1, v0
	s_mov_b32 s2, 0x3fb8aa3b
	v_mul_f32_e32 v9, 0x3fb8aa3b, v1
	v_fma_f32 v27, v1, s2, -v9
	v_rndne_f32_e32 v29, v9
	v_fmamk_f32 v27, v1, 0x32a5705f, v27
	v_sub_f32_e32 v9, v9, v29
	v_add_f32_e32 v9, v9, v27
	v_exp_f32_e32 v9, v9
	v_cvt_i32_f32_e32 v27, v29
	s_mov_b32 s2, 0xc2ce8ed0
	v_cmp_ngt_f32_e32 vcc, s2, v1
	s_mov_b32 s2, 0x42b17218
	v_ldexp_f32 v9, v9, v27
	v_cndmask_b32_e32 v9, 0, v9, vcc
	v_mov_b32_e32 v27, 0x7f800000
	v_cmp_nlt_f32_e32 vcc, s2, v1
	s_mov_b32 s2, 0x3f2aaaab
	s_mov_b32 s3, 0x7f800000
	v_cndmask_b32_e32 v9, v27, v9, vcc
	v_add_f32_e32 v1, 1.0, v9
	v_add_f32_e32 v27, -1.0, v1
	v_sub_f32_e32 v29, v27, v1
	v_add_f32_e32 v29, 1.0, v29
	v_sub_f32_e32 v27, v9, v27
	v_add_f32_e32 v27, v27, v29
	v_frexp_mant_f32_e32 v29, v1
	v_cvt_f64_f32_e32 v[30:31], v1
	v_frexp_exp_i32_f64_e32 v30, v[30:31]
	v_cmp_gt_f32_e32 vcc, s2, v29
	s_mov_b32 s2, 0x3f317218
	s_nop 0
	v_subbrev_co_u32_e32 v29, vcc, 0, v30, vcc
	v_sub_u32_e32 v30, 0, v29
	v_ldexp_f32 v1, v1, v30
	v_ldexp_f32 v27, v27, v30
	v_add_f32_e32 v30, -1.0, v1
	v_add_f32_e32 v31, 1.0, v30
	v_sub_f32_e32 v31, v1, v31
	v_add_f32_e32 v32, v27, v31
	v_add_f32_e32 v31, 1.0, v1
	v_add_f32_e32 v33, -1.0, v31
	v_sub_f32_e32 v1, v1, v33
	v_add_f32_e32 v1, v27, v1
	v_add_f32_e32 v27, v31, v1
	v_rcp_f32_e32 v38, v27
	v_sub_f32_e32 v31, v31, v27
	v_add_f32_e32 v1, v1, v31
	v_add_f32_e32 v31, v30, v32
	v_sub_f32_e32 v30, v30, v31
	v_mul_f32_e32 v40, v31, v38
	v_add_f32_e32 v39, v32, v30
	v_mul_f32_e32 v32, v27, v40
	v_fma_f32 v34, v40, v27, -v32
	v_fmac_f32_e32 v34, v40, v1
	v_add_f32_e32 v30, v32, v34
	v_sub_f32_e32 v33, v31, v30
	v_pk_add_f32 v[36:37], v[30:31], v[32:33] neg_lo:[0,1] neg_hi:[0,1]
	v_mov_b32_e32 v35, v30
	v_pk_add_f32 v[30:31], v[36:37], v[34:35] neg_lo:[0,1] neg_hi:[0,1]
	v_cmp_eq_f32_e32 vcc, s3, v9
	v_add_f32_e32 v31, v39, v31
	v_add_f32_e32 v30, v30, v31
	;; [unrolled: 1-line block ×3, first 2 shown]
	v_mul_f32_e32 v39, v38, v31
	v_mul_f32_e32 v32, v27, v39
	v_fma_f32 v34, v39, v27, -v32
	v_fmac_f32_e32 v34, v39, v1
	v_sub_f32_e32 v1, v33, v31
	v_add_f32_e32 v1, v30, v1
	v_add_f32_e32 v30, v32, v34
	v_sub_f32_e32 v33, v31, v30
	v_pk_add_f32 v[36:37], v[30:31], v[32:33] neg_lo:[0,1] neg_hi:[0,1]
	v_mov_b32_e32 v35, v30
	v_pk_add_f32 v[30:31], v[36:37], v[34:35] neg_lo:[0,1] neg_hi:[0,1]
	v_add_f32_e32 v27, v40, v39
	v_add_f32_e32 v1, v1, v31
	;; [unrolled: 1-line block ×4, first 2 shown]
	v_sub_f32_e32 v30, v27, v40
	v_mul_f32_e32 v1, v38, v1
	v_sub_f32_e32 v30, v39, v30
	v_add_f32_e32 v1, v30, v1
	v_add_f32_e32 v30, v27, v1
	v_cvt_f32_i32_e32 v32, v29
	v_mul_f32_e32 v33, v30, v30
	v_mov_b32_e32 v31, 0x3ecc95a3
	v_fmac_f32_e32 v31, 0x3e9b6dac, v33
	v_fmaak_f32 v31, v33, v31, 0x3f2aaada
	v_sub_f32_e32 v27, v30, v27
	v_ldexp_f32 v35, v30, 1
	v_mul_f32_e32 v33, v30, v33
	v_mov_b32_e32 v30, 0x3f317218
	v_pk_mul_f32 v[30:31], v[32:33], v[30:31]
	v_sub_f32_e32 v1, v1, v27
	v_fma_f32 v27, v32, s2, -v30
	v_fmamk_f32 v34, v32, 0xb102e308, v27
	v_pk_add_f32 v[32:33], v[30:31], v[34:35]
	v_ldexp_f32 v1, v1, 1
	v_sub_f32_e32 v27, v33, v35
	v_sub_f32_e32 v27, v31, v27
	v_add_f32_e32 v37, v1, v27
	v_mov_b32_e32 v36, v30
	v_pk_add_f32 v[30:31], v[32:33], v[30:31] neg_lo:[0,1] neg_hi:[0,1]
	v_pk_add_f32 v[38:39], v[32:33], v[36:37]
	v_mov_b32_e32 v35, v32
	v_mov_b32_e32 v31, v39
	v_pk_add_f32 v[40:41], v[34:35], v[30:31] neg_lo:[0,1] neg_hi:[0,1]
	v_pk_add_f32 v[30:31], v[34:35], v[30:31]
	v_mov_b32_e32 v36, v37
	v_mov_b32_e32 v34, v31
	v_pk_add_f32 v[42:43], v[34:35], v[32:33] neg_lo:[0,1] neg_hi:[0,1]
	v_mov_b32_e32 v30, v39
	v_mov_b32_e32 v1, v42
	v_pk_add_f32 v[44:45], v[38:39], v[0:1] neg_lo:[0,1] neg_hi:[0,1]
	v_mov_b32_e32 v38, v33
	v_mov_b32_e32 v39, v42
	;; [unrolled: 1-line block ×3, first 2 shown]
	v_pk_add_f32 v[30:31], v[30:31], v[38:39] neg_lo:[0,1] neg_hi:[0,1]
	v_mov_b32_e32 v37, v32
	v_pk_add_f32 v[30:31], v[36:37], v[30:31] neg_lo:[0,1] neg_hi:[0,1]
	v_mov_b32_e32 v44, v40
	v_pk_add_f32 v[32:33], v[44:45], v[30:31]
	s_mov_b32 s2, 0x33800000
	v_mov_b32_e32 v36, v33
	v_pk_add_f32 v[36:37], v[32:33], v[36:37]
	v_cmp_lt_f32_e64 s[2:3], |v9|, s2
	v_pk_add_f32 v[34:35], v[34:35], v[36:37]
	v_mov_b32_e32 v31, v36
	v_mov_b32_e32 v33, v34
	v_pk_add_f32 v[38:39], v[32:33], v[40:41] neg_lo:[0,1] neg_hi:[0,1]
	s_or_b64 vcc, vcc, s[2:3]
	v_sub_f32_e32 v1, v32, v38
	v_pk_add_f32 v[30:31], v[30:31], v[38:39] neg_lo:[0,1] neg_hi:[0,1]
	v_sub_f32_e32 v1, v40, v1
	v_add_f32_e32 v1, v30, v1
	v_add_f32_e32 v1, v1, v31
	;; [unrolled: 1-line block ×3, first 2 shown]
	v_cndmask_b32_e32 v1, v1, v9, vcc
	v_add_f32_e32 v9, v0, v1
.LBB131_186:
	s_or_b64 exec, exec, s[0:1]
	v_add_u32_e32 v0, v26, v28
	s_waitcnt lgkmcnt(0)
	s_barrier
	ds_write_b128 v0, v[2:5]
	ds_write_b128 v0, v[22:25] offset:16
	ds_write_b128 v0, v[18:21] offset:32
	ds_write_b128 v0, v[14:17] offset:48
	ds_write_b128 v0, v[10:13] offset:64
	ds_write_b128 v0, v[6:9] offset:80
	s_waitcnt lgkmcnt(0)
	s_barrier
	ds_read2st64_b32 v[22:23], v26 offset0:4 offset1:8
	ds_read2st64_b32 v[20:21], v26 offset0:12 offset1:16
	;; [unrolled: 1-line block ×11, first 2 shown]
	ds_read_b32 v24, v26 offset:23552
	v_mov_b32_e32 v27, 0
	v_lshl_add_u64 v[0:1], s[48:49], 0, v[26:27]
	s_mov_b64 s[0:1], exec
	v_readlane_b32 s2, v77, 0
	v_readlane_b32 s3, v77, 1
	s_and_b64 s[2:3], s[0:1], s[2:3]
	s_mov_b64 exec, s[2:3]
	s_cbranch_execz .LBB131_188
; %bb.187:
	ds_read_b32 v25, v26
	s_waitcnt lgkmcnt(0)
	global_store_dword v[0:1], v25, off
.LBB131_188:
	s_or_b64 exec, exec, s[0:1]
	s_mov_b64 s[0:1], exec
	v_readlane_b32 s2, v77, 2
	v_readlane_b32 s3, v77, 3
	s_and_b64 s[2:3], s[0:1], s[2:3]
	s_mov_b64 exec, s[2:3]
	s_cbranch_execz .LBB131_190
; %bb.189:
	s_waitcnt lgkmcnt(11)
	global_store_dword v[0:1], v22, off offset:1024
.LBB131_190:
	s_or_b64 exec, exec, s[0:1]
	s_mov_b64 s[0:1], exec
	v_readlane_b32 s2, v77, 4
	v_readlane_b32 s3, v77, 5
	s_and_b64 s[2:3], s[0:1], s[2:3]
	s_mov_b64 exec, s[2:3]
	s_cbranch_execz .LBB131_192
; %bb.191:
	s_waitcnt lgkmcnt(11)
	global_store_dword v[0:1], v23, off offset:2048
.LBB131_192:
	s_or_b64 exec, exec, s[0:1]
	s_mov_b64 s[0:1], exec
	v_readlane_b32 s2, v77, 6
	v_readlane_b32 s3, v77, 7
	s_and_b64 s[2:3], s[0:1], s[2:3]
	s_mov_b64 exec, s[2:3]
	s_cbranch_execz .LBB131_194
; %bb.193:
	s_waitcnt lgkmcnt(10)
	global_store_dword v[0:1], v20, off offset:3072
.LBB131_194:
	s_or_b64 exec, exec, s[0:1]
	s_mov_b64 s[0:1], exec
	v_readlane_b32 s2, v77, 8
	v_readlane_b32 s3, v77, 9
	s_and_b64 s[2:3], s[0:1], s[2:3]
	s_mov_b64 exec, s[2:3]
	s_cbranch_execnz .LBB131_215
; %bb.195:
	s_or_b64 exec, exec, s[0:1]
	s_and_saveexec_b64 s[0:1], s[8:9]
	s_cbranch_execnz .LBB131_216
.LBB131_196:
	s_or_b64 exec, exec, s[0:1]
	s_and_saveexec_b64 s[0:1], s[10:11]
	s_cbranch_execnz .LBB131_217
.LBB131_197:
	s_or_b64 exec, exec, s[0:1]
	s_and_saveexec_b64 s[0:1], s[12:13]
	s_cbranch_execnz .LBB131_218
.LBB131_198:
	s_or_b64 exec, exec, s[0:1]
	s_and_saveexec_b64 s[0:1], s[14:15]
	s_cbranch_execnz .LBB131_219
.LBB131_199:
	s_or_b64 exec, exec, s[0:1]
	s_and_saveexec_b64 s[0:1], s[16:17]
	s_cbranch_execnz .LBB131_220
.LBB131_200:
	s_or_b64 exec, exec, s[0:1]
	s_and_saveexec_b64 s[0:1], s[18:19]
	s_cbranch_execnz .LBB131_221
.LBB131_201:
	s_or_b64 exec, exec, s[0:1]
	s_and_saveexec_b64 s[0:1], s[20:21]
	s_cbranch_execnz .LBB131_222
.LBB131_202:
	s_or_b64 exec, exec, s[0:1]
	s_and_saveexec_b64 s[0:1], s[22:23]
	s_cbranch_execnz .LBB131_223
.LBB131_203:
	s_or_b64 exec, exec, s[0:1]
	s_and_saveexec_b64 s[0:1], s[24:25]
	s_cbranch_execnz .LBB131_224
.LBB131_204:
	s_or_b64 exec, exec, s[0:1]
	s_and_saveexec_b64 s[0:1], s[26:27]
	s_cbranch_execnz .LBB131_225
.LBB131_205:
	s_or_b64 exec, exec, s[0:1]
	s_and_saveexec_b64 s[0:1], s[28:29]
	s_cbranch_execnz .LBB131_226
.LBB131_206:
	s_or_b64 exec, exec, s[0:1]
	s_and_saveexec_b64 s[0:1], s[30:31]
	s_cbranch_execnz .LBB131_227
.LBB131_207:
	s_or_b64 exec, exec, s[0:1]
	s_and_saveexec_b64 s[0:1], s[34:35]
	s_cbranch_execnz .LBB131_228
.LBB131_208:
	s_or_b64 exec, exec, s[0:1]
	s_and_saveexec_b64 s[0:1], s[36:37]
	s_cbranch_execnz .LBB131_229
.LBB131_209:
	s_or_b64 exec, exec, s[0:1]
	s_and_saveexec_b64 s[0:1], s[38:39]
	s_cbranch_execnz .LBB131_230
.LBB131_210:
	s_or_b64 exec, exec, s[0:1]
	s_and_saveexec_b64 s[0:1], s[40:41]
	s_cbranch_execnz .LBB131_231
.LBB131_211:
	s_or_b64 exec, exec, s[0:1]
	s_and_saveexec_b64 s[0:1], s[42:43]
	s_cbranch_execnz .LBB131_232
.LBB131_212:
	s_or_b64 exec, exec, s[0:1]
	s_and_saveexec_b64 s[0:1], s[44:45]
	s_cbranch_execnz .LBB131_233
.LBB131_213:
	s_or_b64 exec, exec, s[0:1]
	s_and_saveexec_b64 s[0:1], s[46:47]
	s_cbranch_execnz .LBB131_234
.LBB131_214:
	s_endpgm
.LBB131_215:
	s_waitcnt lgkmcnt(11)
	v_add_co_u32_e32 v22, vcc, 0x1000, v0
	s_nop 1
	v_addc_co_u32_e32 v23, vcc, 0, v1, vcc
	s_waitcnt lgkmcnt(10)
	global_store_dword v[22:23], v21, off
	s_or_b64 exec, exec, s[0:1]
	s_and_saveexec_b64 s[0:1], s[8:9]
	s_cbranch_execz .LBB131_196
.LBB131_216:
	s_waitcnt lgkmcnt(10)
	v_add_co_u32_e32 v20, vcc, 0x1000, v0
	s_nop 1
	v_addc_co_u32_e32 v21, vcc, 0, v1, vcc
	s_waitcnt lgkmcnt(9)
	global_store_dword v[20:21], v18, off offset:1024
	s_or_b64 exec, exec, s[0:1]
	s_and_saveexec_b64 s[0:1], s[10:11]
	s_cbranch_execz .LBB131_197
.LBB131_217:
	s_waitcnt lgkmcnt(10)
	v_add_co_u32_e32 v20, vcc, 0x1000, v0
	s_nop 1
	v_addc_co_u32_e32 v21, vcc, 0, v1, vcc
	s_waitcnt lgkmcnt(9)
	global_store_dword v[20:21], v19, off offset:2048
	s_or_b64 exec, exec, s[0:1]
	s_and_saveexec_b64 s[0:1], s[12:13]
	s_cbranch_execz .LBB131_198
.LBB131_218:
	s_waitcnt lgkmcnt(9)
	v_add_co_u32_e32 v18, vcc, 0x1000, v0
	s_nop 1
	v_addc_co_u32_e32 v19, vcc, 0, v1, vcc
	s_waitcnt lgkmcnt(8)
	global_store_dword v[18:19], v16, off offset:3072
	s_or_b64 exec, exec, s[0:1]
	s_and_saveexec_b64 s[0:1], s[14:15]
	s_cbranch_execz .LBB131_199
.LBB131_219:
	s_waitcnt lgkmcnt(9)
	v_add_co_u32_e32 v18, vcc, 0x2000, v0
	s_nop 1
	v_addc_co_u32_e32 v19, vcc, 0, v1, vcc
	s_waitcnt lgkmcnt(8)
	global_store_dword v[18:19], v17, off
	s_or_b64 exec, exec, s[0:1]
	s_and_saveexec_b64 s[0:1], s[16:17]
	s_cbranch_execz .LBB131_200
.LBB131_220:
	s_waitcnt lgkmcnt(8)
	v_add_co_u32_e32 v16, vcc, 0x2000, v0
	s_nop 1
	v_addc_co_u32_e32 v17, vcc, 0, v1, vcc
	s_waitcnt lgkmcnt(7)
	global_store_dword v[16:17], v14, off offset:1024
	s_or_b64 exec, exec, s[0:1]
	s_and_saveexec_b64 s[0:1], s[18:19]
	s_cbranch_execz .LBB131_201
.LBB131_221:
	s_waitcnt lgkmcnt(8)
	v_add_co_u32_e32 v16, vcc, 0x2000, v0
	s_nop 1
	v_addc_co_u32_e32 v17, vcc, 0, v1, vcc
	s_waitcnt lgkmcnt(7)
	global_store_dword v[16:17], v15, off offset:2048
	s_or_b64 exec, exec, s[0:1]
	s_and_saveexec_b64 s[0:1], s[20:21]
	s_cbranch_execz .LBB131_202
.LBB131_222:
	s_waitcnt lgkmcnt(7)
	v_add_co_u32_e32 v14, vcc, 0x2000, v0
	s_nop 1
	v_addc_co_u32_e32 v15, vcc, 0, v1, vcc
	s_waitcnt lgkmcnt(6)
	global_store_dword v[14:15], v12, off offset:3072
	s_or_b64 exec, exec, s[0:1]
	s_and_saveexec_b64 s[0:1], s[22:23]
	s_cbranch_execz .LBB131_203
.LBB131_223:
	s_waitcnt lgkmcnt(7)
	v_add_co_u32_e32 v14, vcc, 0x3000, v0
	s_nop 1
	v_addc_co_u32_e32 v15, vcc, 0, v1, vcc
	s_waitcnt lgkmcnt(6)
	global_store_dword v[14:15], v13, off
	s_or_b64 exec, exec, s[0:1]
	s_and_saveexec_b64 s[0:1], s[24:25]
	s_cbranch_execz .LBB131_204
.LBB131_224:
	s_waitcnt lgkmcnt(6)
	v_add_co_u32_e32 v12, vcc, 0x3000, v0
	s_nop 1
	v_addc_co_u32_e32 v13, vcc, 0, v1, vcc
	s_waitcnt lgkmcnt(5)
	global_store_dword v[12:13], v10, off offset:1024
	s_or_b64 exec, exec, s[0:1]
	s_and_saveexec_b64 s[0:1], s[26:27]
	s_cbranch_execz .LBB131_205
.LBB131_225:
	s_waitcnt lgkmcnt(6)
	v_add_co_u32_e32 v12, vcc, 0x3000, v0
	s_nop 1
	v_addc_co_u32_e32 v13, vcc, 0, v1, vcc
	s_waitcnt lgkmcnt(5)
	global_store_dword v[12:13], v11, off offset:2048
	s_or_b64 exec, exec, s[0:1]
	s_and_saveexec_b64 s[0:1], s[28:29]
	s_cbranch_execz .LBB131_206
.LBB131_226:
	s_waitcnt lgkmcnt(5)
	v_add_co_u32_e32 v10, vcc, 0x3000, v0
	s_nop 1
	v_addc_co_u32_e32 v11, vcc, 0, v1, vcc
	s_waitcnt lgkmcnt(4)
	global_store_dword v[10:11], v8, off offset:3072
	s_or_b64 exec, exec, s[0:1]
	s_and_saveexec_b64 s[0:1], s[30:31]
	s_cbranch_execz .LBB131_207
.LBB131_227:
	s_waitcnt lgkmcnt(5)
	v_add_co_u32_e32 v10, vcc, 0x4000, v0
	s_nop 1
	v_addc_co_u32_e32 v11, vcc, 0, v1, vcc
	s_waitcnt lgkmcnt(4)
	global_store_dword v[10:11], v9, off
	s_or_b64 exec, exec, s[0:1]
	s_and_saveexec_b64 s[0:1], s[34:35]
	s_cbranch_execz .LBB131_208
.LBB131_228:
	s_waitcnt lgkmcnt(4)
	v_add_co_u32_e32 v8, vcc, 0x4000, v0
	s_nop 1
	v_addc_co_u32_e32 v9, vcc, 0, v1, vcc
	s_waitcnt lgkmcnt(3)
	global_store_dword v[8:9], v6, off offset:1024
	s_or_b64 exec, exec, s[0:1]
	s_and_saveexec_b64 s[0:1], s[36:37]
	s_cbranch_execz .LBB131_209
.LBB131_229:
	s_waitcnt lgkmcnt(4)
	v_add_co_u32_e32 v8, vcc, 0x4000, v0
	s_nop 1
	v_addc_co_u32_e32 v9, vcc, 0, v1, vcc
	s_waitcnt lgkmcnt(3)
	global_store_dword v[8:9], v7, off offset:2048
	s_or_b64 exec, exec, s[0:1]
	s_and_saveexec_b64 s[0:1], s[38:39]
	s_cbranch_execz .LBB131_210
.LBB131_230:
	s_waitcnt lgkmcnt(3)
	v_add_co_u32_e32 v6, vcc, 0x4000, v0
	s_nop 1
	v_addc_co_u32_e32 v7, vcc, 0, v1, vcc
	s_waitcnt lgkmcnt(2)
	global_store_dword v[6:7], v4, off offset:3072
	s_or_b64 exec, exec, s[0:1]
	s_and_saveexec_b64 s[0:1], s[40:41]
	s_cbranch_execz .LBB131_211
.LBB131_231:
	s_waitcnt lgkmcnt(3)
	v_add_co_u32_e32 v6, vcc, 0x5000, v0
	s_nop 1
	v_addc_co_u32_e32 v7, vcc, 0, v1, vcc
	s_waitcnt lgkmcnt(2)
	global_store_dword v[6:7], v5, off
	s_or_b64 exec, exec, s[0:1]
	s_and_saveexec_b64 s[0:1], s[42:43]
	s_cbranch_execz .LBB131_212
.LBB131_232:
	s_waitcnt lgkmcnt(2)
	v_add_co_u32_e32 v4, vcc, 0x5000, v0
	s_nop 1
	v_addc_co_u32_e32 v5, vcc, 0, v1, vcc
	s_waitcnt lgkmcnt(1)
	global_store_dword v[4:5], v2, off offset:1024
	s_or_b64 exec, exec, s[0:1]
	s_and_saveexec_b64 s[0:1], s[44:45]
	s_cbranch_execz .LBB131_213
.LBB131_233:
	s_waitcnt lgkmcnt(2)
	v_add_co_u32_e32 v4, vcc, 0x5000, v0
	s_nop 1
	v_addc_co_u32_e32 v5, vcc, 0, v1, vcc
	s_waitcnt lgkmcnt(1)
	global_store_dword v[4:5], v3, off offset:2048
	s_or_b64 exec, exec, s[0:1]
	s_and_saveexec_b64 s[0:1], s[46:47]
	s_cbranch_execz .LBB131_214
.LBB131_234:
	v_add_co_u32_e32 v0, vcc, 0x5000, v0
	s_nop 1
	v_addc_co_u32_e32 v1, vcc, 0, v1, vcc
	s_waitcnt lgkmcnt(0)
	global_store_dword v[0:1], v24, off offset:3072
	s_endpgm
	.section	.rodata,"a",@progbits
	.p2align	6, 0x0
	.amdhsa_kernel _ZN7rocprim17ROCPRIM_400000_NS6detail17trampoline_kernelINS0_14default_configENS1_20scan_config_selectorIfEEZZNS1_9scan_implILNS1_25lookback_scan_determinismE0ELb0ELb0ES3_PKfPffZZZN2at6native31launch_logcumsumexp_cuda_kernelERKNSB_10TensorBaseESF_lENKUlvE_clEvENKUlvE0_clEvEUlffE_fEEDaPvRmT3_T4_T5_mT6_P12ihipStream_tbENKUlT_T0_E_clISt17integral_constantIbLb1EESW_EEDaSR_SS_EUlSR_E0_NS1_11comp_targetILNS1_3genE5ELNS1_11target_archE942ELNS1_3gpuE9ELNS1_3repE0EEENS1_30default_config_static_selectorELNS0_4arch9wavefront6targetE1EEEvT1_
		.amdhsa_group_segment_fixed_size 24576
		.amdhsa_private_segment_fixed_size 0
		.amdhsa_kernarg_size 32
		.amdhsa_user_sgpr_count 2
		.amdhsa_user_sgpr_dispatch_ptr 0
		.amdhsa_user_sgpr_queue_ptr 0
		.amdhsa_user_sgpr_kernarg_segment_ptr 1
		.amdhsa_user_sgpr_dispatch_id 0
		.amdhsa_user_sgpr_kernarg_preload_length 0
		.amdhsa_user_sgpr_kernarg_preload_offset 0
		.amdhsa_user_sgpr_private_segment_size 0
		.amdhsa_uses_dynamic_stack 0
		.amdhsa_enable_private_segment 0
		.amdhsa_system_sgpr_workgroup_id_x 1
		.amdhsa_system_sgpr_workgroup_id_y 0
		.amdhsa_system_sgpr_workgroup_id_z 0
		.amdhsa_system_sgpr_workgroup_info 0
		.amdhsa_system_vgpr_workitem_id 0
		.amdhsa_next_free_vgpr 78
		.amdhsa_next_free_sgpr 100
		.amdhsa_accum_offset 80
		.amdhsa_reserve_vcc 1
		.amdhsa_float_round_mode_32 0
		.amdhsa_float_round_mode_16_64 0
		.amdhsa_float_denorm_mode_32 3
		.amdhsa_float_denorm_mode_16_64 3
		.amdhsa_dx10_clamp 1
		.amdhsa_ieee_mode 1
		.amdhsa_fp16_overflow 0
		.amdhsa_tg_split 0
		.amdhsa_exception_fp_ieee_invalid_op 0
		.amdhsa_exception_fp_denorm_src 0
		.amdhsa_exception_fp_ieee_div_zero 0
		.amdhsa_exception_fp_ieee_overflow 0
		.amdhsa_exception_fp_ieee_underflow 0
		.amdhsa_exception_fp_ieee_inexact 0
		.amdhsa_exception_int_div_zero 0
	.end_amdhsa_kernel
	.section	.text._ZN7rocprim17ROCPRIM_400000_NS6detail17trampoline_kernelINS0_14default_configENS1_20scan_config_selectorIfEEZZNS1_9scan_implILNS1_25lookback_scan_determinismE0ELb0ELb0ES3_PKfPffZZZN2at6native31launch_logcumsumexp_cuda_kernelERKNSB_10TensorBaseESF_lENKUlvE_clEvENKUlvE0_clEvEUlffE_fEEDaPvRmT3_T4_T5_mT6_P12ihipStream_tbENKUlT_T0_E_clISt17integral_constantIbLb1EESW_EEDaSR_SS_EUlSR_E0_NS1_11comp_targetILNS1_3genE5ELNS1_11target_archE942ELNS1_3gpuE9ELNS1_3repE0EEENS1_30default_config_static_selectorELNS0_4arch9wavefront6targetE1EEEvT1_,"axG",@progbits,_ZN7rocprim17ROCPRIM_400000_NS6detail17trampoline_kernelINS0_14default_configENS1_20scan_config_selectorIfEEZZNS1_9scan_implILNS1_25lookback_scan_determinismE0ELb0ELb0ES3_PKfPffZZZN2at6native31launch_logcumsumexp_cuda_kernelERKNSB_10TensorBaseESF_lENKUlvE_clEvENKUlvE0_clEvEUlffE_fEEDaPvRmT3_T4_T5_mT6_P12ihipStream_tbENKUlT_T0_E_clISt17integral_constantIbLb1EESW_EEDaSR_SS_EUlSR_E0_NS1_11comp_targetILNS1_3genE5ELNS1_11target_archE942ELNS1_3gpuE9ELNS1_3repE0EEENS1_30default_config_static_selectorELNS0_4arch9wavefront6targetE1EEEvT1_,comdat
.Lfunc_end131:
	.size	_ZN7rocprim17ROCPRIM_400000_NS6detail17trampoline_kernelINS0_14default_configENS1_20scan_config_selectorIfEEZZNS1_9scan_implILNS1_25lookback_scan_determinismE0ELb0ELb0ES3_PKfPffZZZN2at6native31launch_logcumsumexp_cuda_kernelERKNSB_10TensorBaseESF_lENKUlvE_clEvENKUlvE0_clEvEUlffE_fEEDaPvRmT3_T4_T5_mT6_P12ihipStream_tbENKUlT_T0_E_clISt17integral_constantIbLb1EESW_EEDaSR_SS_EUlSR_E0_NS1_11comp_targetILNS1_3genE5ELNS1_11target_archE942ELNS1_3gpuE9ELNS1_3repE0EEENS1_30default_config_static_selectorELNS0_4arch9wavefront6targetE1EEEvT1_, .Lfunc_end131-_ZN7rocprim17ROCPRIM_400000_NS6detail17trampoline_kernelINS0_14default_configENS1_20scan_config_selectorIfEEZZNS1_9scan_implILNS1_25lookback_scan_determinismE0ELb0ELb0ES3_PKfPffZZZN2at6native31launch_logcumsumexp_cuda_kernelERKNSB_10TensorBaseESF_lENKUlvE_clEvENKUlvE0_clEvEUlffE_fEEDaPvRmT3_T4_T5_mT6_P12ihipStream_tbENKUlT_T0_E_clISt17integral_constantIbLb1EESW_EEDaSR_SS_EUlSR_E0_NS1_11comp_targetILNS1_3genE5ELNS1_11target_archE942ELNS1_3gpuE9ELNS1_3repE0EEENS1_30default_config_static_selectorELNS0_4arch9wavefront6targetE1EEEvT1_
                                        ; -- End function
	.section	.AMDGPU.csdata,"",@progbits
; Kernel info:
; codeLenInByte = 53584
; NumSgprs: 106
; NumVgprs: 78
; NumAgprs: 0
; TotalNumVgprs: 78
; ScratchSize: 0
; MemoryBound: 0
; FloatMode: 240
; IeeeMode: 1
; LDSByteSize: 24576 bytes/workgroup (compile time only)
; SGPRBlocks: 13
; VGPRBlocks: 9
; NumSGPRsForWavesPerEU: 106
; NumVGPRsForWavesPerEU: 78
; AccumOffset: 80
; Occupancy: 2
; WaveLimiterHint : 0
; COMPUTE_PGM_RSRC2:SCRATCH_EN: 0
; COMPUTE_PGM_RSRC2:USER_SGPR: 2
; COMPUTE_PGM_RSRC2:TRAP_HANDLER: 0
; COMPUTE_PGM_RSRC2:TGID_X_EN: 1
; COMPUTE_PGM_RSRC2:TGID_Y_EN: 0
; COMPUTE_PGM_RSRC2:TGID_Z_EN: 0
; COMPUTE_PGM_RSRC2:TIDIG_COMP_CNT: 0
; COMPUTE_PGM_RSRC3_GFX90A:ACCUM_OFFSET: 19
; COMPUTE_PGM_RSRC3_GFX90A:TG_SPLIT: 0
	.section	.text._ZN7rocprim17ROCPRIM_400000_NS6detail17trampoline_kernelINS0_14default_configENS1_20scan_config_selectorIfEEZZNS1_9scan_implILNS1_25lookback_scan_determinismE0ELb0ELb0ES3_PKfPffZZZN2at6native31launch_logcumsumexp_cuda_kernelERKNSB_10TensorBaseESF_lENKUlvE_clEvENKUlvE0_clEvEUlffE_fEEDaPvRmT3_T4_T5_mT6_P12ihipStream_tbENKUlT_T0_E_clISt17integral_constantIbLb1EESW_EEDaSR_SS_EUlSR_E0_NS1_11comp_targetILNS1_3genE4ELNS1_11target_archE910ELNS1_3gpuE8ELNS1_3repE0EEENS1_30default_config_static_selectorELNS0_4arch9wavefront6targetE1EEEvT1_,"axG",@progbits,_ZN7rocprim17ROCPRIM_400000_NS6detail17trampoline_kernelINS0_14default_configENS1_20scan_config_selectorIfEEZZNS1_9scan_implILNS1_25lookback_scan_determinismE0ELb0ELb0ES3_PKfPffZZZN2at6native31launch_logcumsumexp_cuda_kernelERKNSB_10TensorBaseESF_lENKUlvE_clEvENKUlvE0_clEvEUlffE_fEEDaPvRmT3_T4_T5_mT6_P12ihipStream_tbENKUlT_T0_E_clISt17integral_constantIbLb1EESW_EEDaSR_SS_EUlSR_E0_NS1_11comp_targetILNS1_3genE4ELNS1_11target_archE910ELNS1_3gpuE8ELNS1_3repE0EEENS1_30default_config_static_selectorELNS0_4arch9wavefront6targetE1EEEvT1_,comdat
	.globl	_ZN7rocprim17ROCPRIM_400000_NS6detail17trampoline_kernelINS0_14default_configENS1_20scan_config_selectorIfEEZZNS1_9scan_implILNS1_25lookback_scan_determinismE0ELb0ELb0ES3_PKfPffZZZN2at6native31launch_logcumsumexp_cuda_kernelERKNSB_10TensorBaseESF_lENKUlvE_clEvENKUlvE0_clEvEUlffE_fEEDaPvRmT3_T4_T5_mT6_P12ihipStream_tbENKUlT_T0_E_clISt17integral_constantIbLb1EESW_EEDaSR_SS_EUlSR_E0_NS1_11comp_targetILNS1_3genE4ELNS1_11target_archE910ELNS1_3gpuE8ELNS1_3repE0EEENS1_30default_config_static_selectorELNS0_4arch9wavefront6targetE1EEEvT1_ ; -- Begin function _ZN7rocprim17ROCPRIM_400000_NS6detail17trampoline_kernelINS0_14default_configENS1_20scan_config_selectorIfEEZZNS1_9scan_implILNS1_25lookback_scan_determinismE0ELb0ELb0ES3_PKfPffZZZN2at6native31launch_logcumsumexp_cuda_kernelERKNSB_10TensorBaseESF_lENKUlvE_clEvENKUlvE0_clEvEUlffE_fEEDaPvRmT3_T4_T5_mT6_P12ihipStream_tbENKUlT_T0_E_clISt17integral_constantIbLb1EESW_EEDaSR_SS_EUlSR_E0_NS1_11comp_targetILNS1_3genE4ELNS1_11target_archE910ELNS1_3gpuE8ELNS1_3repE0EEENS1_30default_config_static_selectorELNS0_4arch9wavefront6targetE1EEEvT1_
	.p2align	8
	.type	_ZN7rocprim17ROCPRIM_400000_NS6detail17trampoline_kernelINS0_14default_configENS1_20scan_config_selectorIfEEZZNS1_9scan_implILNS1_25lookback_scan_determinismE0ELb0ELb0ES3_PKfPffZZZN2at6native31launch_logcumsumexp_cuda_kernelERKNSB_10TensorBaseESF_lENKUlvE_clEvENKUlvE0_clEvEUlffE_fEEDaPvRmT3_T4_T5_mT6_P12ihipStream_tbENKUlT_T0_E_clISt17integral_constantIbLb1EESW_EEDaSR_SS_EUlSR_E0_NS1_11comp_targetILNS1_3genE4ELNS1_11target_archE910ELNS1_3gpuE8ELNS1_3repE0EEENS1_30default_config_static_selectorELNS0_4arch9wavefront6targetE1EEEvT1_,@function
_ZN7rocprim17ROCPRIM_400000_NS6detail17trampoline_kernelINS0_14default_configENS1_20scan_config_selectorIfEEZZNS1_9scan_implILNS1_25lookback_scan_determinismE0ELb0ELb0ES3_PKfPffZZZN2at6native31launch_logcumsumexp_cuda_kernelERKNSB_10TensorBaseESF_lENKUlvE_clEvENKUlvE0_clEvEUlffE_fEEDaPvRmT3_T4_T5_mT6_P12ihipStream_tbENKUlT_T0_E_clISt17integral_constantIbLb1EESW_EEDaSR_SS_EUlSR_E0_NS1_11comp_targetILNS1_3genE4ELNS1_11target_archE910ELNS1_3gpuE8ELNS1_3repE0EEENS1_30default_config_static_selectorELNS0_4arch9wavefront6targetE1EEEvT1_: ; @_ZN7rocprim17ROCPRIM_400000_NS6detail17trampoline_kernelINS0_14default_configENS1_20scan_config_selectorIfEEZZNS1_9scan_implILNS1_25lookback_scan_determinismE0ELb0ELb0ES3_PKfPffZZZN2at6native31launch_logcumsumexp_cuda_kernelERKNSB_10TensorBaseESF_lENKUlvE_clEvENKUlvE0_clEvEUlffE_fEEDaPvRmT3_T4_T5_mT6_P12ihipStream_tbENKUlT_T0_E_clISt17integral_constantIbLb1EESW_EEDaSR_SS_EUlSR_E0_NS1_11comp_targetILNS1_3genE4ELNS1_11target_archE910ELNS1_3gpuE8ELNS1_3repE0EEENS1_30default_config_static_selectorELNS0_4arch9wavefront6targetE1EEEvT1_
; %bb.0:
	.section	.rodata,"a",@progbits
	.p2align	6, 0x0
	.amdhsa_kernel _ZN7rocprim17ROCPRIM_400000_NS6detail17trampoline_kernelINS0_14default_configENS1_20scan_config_selectorIfEEZZNS1_9scan_implILNS1_25lookback_scan_determinismE0ELb0ELb0ES3_PKfPffZZZN2at6native31launch_logcumsumexp_cuda_kernelERKNSB_10TensorBaseESF_lENKUlvE_clEvENKUlvE0_clEvEUlffE_fEEDaPvRmT3_T4_T5_mT6_P12ihipStream_tbENKUlT_T0_E_clISt17integral_constantIbLb1EESW_EEDaSR_SS_EUlSR_E0_NS1_11comp_targetILNS1_3genE4ELNS1_11target_archE910ELNS1_3gpuE8ELNS1_3repE0EEENS1_30default_config_static_selectorELNS0_4arch9wavefront6targetE1EEEvT1_
		.amdhsa_group_segment_fixed_size 0
		.amdhsa_private_segment_fixed_size 0
		.amdhsa_kernarg_size 32
		.amdhsa_user_sgpr_count 2
		.amdhsa_user_sgpr_dispatch_ptr 0
		.amdhsa_user_sgpr_queue_ptr 0
		.amdhsa_user_sgpr_kernarg_segment_ptr 1
		.amdhsa_user_sgpr_dispatch_id 0
		.amdhsa_user_sgpr_kernarg_preload_length 0
		.amdhsa_user_sgpr_kernarg_preload_offset 0
		.amdhsa_user_sgpr_private_segment_size 0
		.amdhsa_uses_dynamic_stack 0
		.amdhsa_enable_private_segment 0
		.amdhsa_system_sgpr_workgroup_id_x 1
		.amdhsa_system_sgpr_workgroup_id_y 0
		.amdhsa_system_sgpr_workgroup_id_z 0
		.amdhsa_system_sgpr_workgroup_info 0
		.amdhsa_system_vgpr_workitem_id 0
		.amdhsa_next_free_vgpr 1
		.amdhsa_next_free_sgpr 0
		.amdhsa_accum_offset 4
		.amdhsa_reserve_vcc 0
		.amdhsa_float_round_mode_32 0
		.amdhsa_float_round_mode_16_64 0
		.amdhsa_float_denorm_mode_32 3
		.amdhsa_float_denorm_mode_16_64 3
		.amdhsa_dx10_clamp 1
		.amdhsa_ieee_mode 1
		.amdhsa_fp16_overflow 0
		.amdhsa_tg_split 0
		.amdhsa_exception_fp_ieee_invalid_op 0
		.amdhsa_exception_fp_denorm_src 0
		.amdhsa_exception_fp_ieee_div_zero 0
		.amdhsa_exception_fp_ieee_overflow 0
		.amdhsa_exception_fp_ieee_underflow 0
		.amdhsa_exception_fp_ieee_inexact 0
		.amdhsa_exception_int_div_zero 0
	.end_amdhsa_kernel
	.section	.text._ZN7rocprim17ROCPRIM_400000_NS6detail17trampoline_kernelINS0_14default_configENS1_20scan_config_selectorIfEEZZNS1_9scan_implILNS1_25lookback_scan_determinismE0ELb0ELb0ES3_PKfPffZZZN2at6native31launch_logcumsumexp_cuda_kernelERKNSB_10TensorBaseESF_lENKUlvE_clEvENKUlvE0_clEvEUlffE_fEEDaPvRmT3_T4_T5_mT6_P12ihipStream_tbENKUlT_T0_E_clISt17integral_constantIbLb1EESW_EEDaSR_SS_EUlSR_E0_NS1_11comp_targetILNS1_3genE4ELNS1_11target_archE910ELNS1_3gpuE8ELNS1_3repE0EEENS1_30default_config_static_selectorELNS0_4arch9wavefront6targetE1EEEvT1_,"axG",@progbits,_ZN7rocprim17ROCPRIM_400000_NS6detail17trampoline_kernelINS0_14default_configENS1_20scan_config_selectorIfEEZZNS1_9scan_implILNS1_25lookback_scan_determinismE0ELb0ELb0ES3_PKfPffZZZN2at6native31launch_logcumsumexp_cuda_kernelERKNSB_10TensorBaseESF_lENKUlvE_clEvENKUlvE0_clEvEUlffE_fEEDaPvRmT3_T4_T5_mT6_P12ihipStream_tbENKUlT_T0_E_clISt17integral_constantIbLb1EESW_EEDaSR_SS_EUlSR_E0_NS1_11comp_targetILNS1_3genE4ELNS1_11target_archE910ELNS1_3gpuE8ELNS1_3repE0EEENS1_30default_config_static_selectorELNS0_4arch9wavefront6targetE1EEEvT1_,comdat
.Lfunc_end132:
	.size	_ZN7rocprim17ROCPRIM_400000_NS6detail17trampoline_kernelINS0_14default_configENS1_20scan_config_selectorIfEEZZNS1_9scan_implILNS1_25lookback_scan_determinismE0ELb0ELb0ES3_PKfPffZZZN2at6native31launch_logcumsumexp_cuda_kernelERKNSB_10TensorBaseESF_lENKUlvE_clEvENKUlvE0_clEvEUlffE_fEEDaPvRmT3_T4_T5_mT6_P12ihipStream_tbENKUlT_T0_E_clISt17integral_constantIbLb1EESW_EEDaSR_SS_EUlSR_E0_NS1_11comp_targetILNS1_3genE4ELNS1_11target_archE910ELNS1_3gpuE8ELNS1_3repE0EEENS1_30default_config_static_selectorELNS0_4arch9wavefront6targetE1EEEvT1_, .Lfunc_end132-_ZN7rocprim17ROCPRIM_400000_NS6detail17trampoline_kernelINS0_14default_configENS1_20scan_config_selectorIfEEZZNS1_9scan_implILNS1_25lookback_scan_determinismE0ELb0ELb0ES3_PKfPffZZZN2at6native31launch_logcumsumexp_cuda_kernelERKNSB_10TensorBaseESF_lENKUlvE_clEvENKUlvE0_clEvEUlffE_fEEDaPvRmT3_T4_T5_mT6_P12ihipStream_tbENKUlT_T0_E_clISt17integral_constantIbLb1EESW_EEDaSR_SS_EUlSR_E0_NS1_11comp_targetILNS1_3genE4ELNS1_11target_archE910ELNS1_3gpuE8ELNS1_3repE0EEENS1_30default_config_static_selectorELNS0_4arch9wavefront6targetE1EEEvT1_
                                        ; -- End function
	.section	.AMDGPU.csdata,"",@progbits
; Kernel info:
; codeLenInByte = 0
; NumSgprs: 6
; NumVgprs: 0
; NumAgprs: 0
; TotalNumVgprs: 0
; ScratchSize: 0
; MemoryBound: 0
; FloatMode: 240
; IeeeMode: 1
; LDSByteSize: 0 bytes/workgroup (compile time only)
; SGPRBlocks: 0
; VGPRBlocks: 0
; NumSGPRsForWavesPerEU: 6
; NumVGPRsForWavesPerEU: 1
; AccumOffset: 4
; Occupancy: 8
; WaveLimiterHint : 0
; COMPUTE_PGM_RSRC2:SCRATCH_EN: 0
; COMPUTE_PGM_RSRC2:USER_SGPR: 2
; COMPUTE_PGM_RSRC2:TRAP_HANDLER: 0
; COMPUTE_PGM_RSRC2:TGID_X_EN: 1
; COMPUTE_PGM_RSRC2:TGID_Y_EN: 0
; COMPUTE_PGM_RSRC2:TGID_Z_EN: 0
; COMPUTE_PGM_RSRC2:TIDIG_COMP_CNT: 0
; COMPUTE_PGM_RSRC3_GFX90A:ACCUM_OFFSET: 0
; COMPUTE_PGM_RSRC3_GFX90A:TG_SPLIT: 0
	.section	.text._ZN7rocprim17ROCPRIM_400000_NS6detail17trampoline_kernelINS0_14default_configENS1_20scan_config_selectorIfEEZZNS1_9scan_implILNS1_25lookback_scan_determinismE0ELb0ELb0ES3_PKfPffZZZN2at6native31launch_logcumsumexp_cuda_kernelERKNSB_10TensorBaseESF_lENKUlvE_clEvENKUlvE0_clEvEUlffE_fEEDaPvRmT3_T4_T5_mT6_P12ihipStream_tbENKUlT_T0_E_clISt17integral_constantIbLb1EESW_EEDaSR_SS_EUlSR_E0_NS1_11comp_targetILNS1_3genE3ELNS1_11target_archE908ELNS1_3gpuE7ELNS1_3repE0EEENS1_30default_config_static_selectorELNS0_4arch9wavefront6targetE1EEEvT1_,"axG",@progbits,_ZN7rocprim17ROCPRIM_400000_NS6detail17trampoline_kernelINS0_14default_configENS1_20scan_config_selectorIfEEZZNS1_9scan_implILNS1_25lookback_scan_determinismE0ELb0ELb0ES3_PKfPffZZZN2at6native31launch_logcumsumexp_cuda_kernelERKNSB_10TensorBaseESF_lENKUlvE_clEvENKUlvE0_clEvEUlffE_fEEDaPvRmT3_T4_T5_mT6_P12ihipStream_tbENKUlT_T0_E_clISt17integral_constantIbLb1EESW_EEDaSR_SS_EUlSR_E0_NS1_11comp_targetILNS1_3genE3ELNS1_11target_archE908ELNS1_3gpuE7ELNS1_3repE0EEENS1_30default_config_static_selectorELNS0_4arch9wavefront6targetE1EEEvT1_,comdat
	.globl	_ZN7rocprim17ROCPRIM_400000_NS6detail17trampoline_kernelINS0_14default_configENS1_20scan_config_selectorIfEEZZNS1_9scan_implILNS1_25lookback_scan_determinismE0ELb0ELb0ES3_PKfPffZZZN2at6native31launch_logcumsumexp_cuda_kernelERKNSB_10TensorBaseESF_lENKUlvE_clEvENKUlvE0_clEvEUlffE_fEEDaPvRmT3_T4_T5_mT6_P12ihipStream_tbENKUlT_T0_E_clISt17integral_constantIbLb1EESW_EEDaSR_SS_EUlSR_E0_NS1_11comp_targetILNS1_3genE3ELNS1_11target_archE908ELNS1_3gpuE7ELNS1_3repE0EEENS1_30default_config_static_selectorELNS0_4arch9wavefront6targetE1EEEvT1_ ; -- Begin function _ZN7rocprim17ROCPRIM_400000_NS6detail17trampoline_kernelINS0_14default_configENS1_20scan_config_selectorIfEEZZNS1_9scan_implILNS1_25lookback_scan_determinismE0ELb0ELb0ES3_PKfPffZZZN2at6native31launch_logcumsumexp_cuda_kernelERKNSB_10TensorBaseESF_lENKUlvE_clEvENKUlvE0_clEvEUlffE_fEEDaPvRmT3_T4_T5_mT6_P12ihipStream_tbENKUlT_T0_E_clISt17integral_constantIbLb1EESW_EEDaSR_SS_EUlSR_E0_NS1_11comp_targetILNS1_3genE3ELNS1_11target_archE908ELNS1_3gpuE7ELNS1_3repE0EEENS1_30default_config_static_selectorELNS0_4arch9wavefront6targetE1EEEvT1_
	.p2align	8
	.type	_ZN7rocprim17ROCPRIM_400000_NS6detail17trampoline_kernelINS0_14default_configENS1_20scan_config_selectorIfEEZZNS1_9scan_implILNS1_25lookback_scan_determinismE0ELb0ELb0ES3_PKfPffZZZN2at6native31launch_logcumsumexp_cuda_kernelERKNSB_10TensorBaseESF_lENKUlvE_clEvENKUlvE0_clEvEUlffE_fEEDaPvRmT3_T4_T5_mT6_P12ihipStream_tbENKUlT_T0_E_clISt17integral_constantIbLb1EESW_EEDaSR_SS_EUlSR_E0_NS1_11comp_targetILNS1_3genE3ELNS1_11target_archE908ELNS1_3gpuE7ELNS1_3repE0EEENS1_30default_config_static_selectorELNS0_4arch9wavefront6targetE1EEEvT1_,@function
_ZN7rocprim17ROCPRIM_400000_NS6detail17trampoline_kernelINS0_14default_configENS1_20scan_config_selectorIfEEZZNS1_9scan_implILNS1_25lookback_scan_determinismE0ELb0ELb0ES3_PKfPffZZZN2at6native31launch_logcumsumexp_cuda_kernelERKNSB_10TensorBaseESF_lENKUlvE_clEvENKUlvE0_clEvEUlffE_fEEDaPvRmT3_T4_T5_mT6_P12ihipStream_tbENKUlT_T0_E_clISt17integral_constantIbLb1EESW_EEDaSR_SS_EUlSR_E0_NS1_11comp_targetILNS1_3genE3ELNS1_11target_archE908ELNS1_3gpuE7ELNS1_3repE0EEENS1_30default_config_static_selectorELNS0_4arch9wavefront6targetE1EEEvT1_: ; @_ZN7rocprim17ROCPRIM_400000_NS6detail17trampoline_kernelINS0_14default_configENS1_20scan_config_selectorIfEEZZNS1_9scan_implILNS1_25lookback_scan_determinismE0ELb0ELb0ES3_PKfPffZZZN2at6native31launch_logcumsumexp_cuda_kernelERKNSB_10TensorBaseESF_lENKUlvE_clEvENKUlvE0_clEvEUlffE_fEEDaPvRmT3_T4_T5_mT6_P12ihipStream_tbENKUlT_T0_E_clISt17integral_constantIbLb1EESW_EEDaSR_SS_EUlSR_E0_NS1_11comp_targetILNS1_3genE3ELNS1_11target_archE908ELNS1_3gpuE7ELNS1_3repE0EEENS1_30default_config_static_selectorELNS0_4arch9wavefront6targetE1EEEvT1_
; %bb.0:
	.section	.rodata,"a",@progbits
	.p2align	6, 0x0
	.amdhsa_kernel _ZN7rocprim17ROCPRIM_400000_NS6detail17trampoline_kernelINS0_14default_configENS1_20scan_config_selectorIfEEZZNS1_9scan_implILNS1_25lookback_scan_determinismE0ELb0ELb0ES3_PKfPffZZZN2at6native31launch_logcumsumexp_cuda_kernelERKNSB_10TensorBaseESF_lENKUlvE_clEvENKUlvE0_clEvEUlffE_fEEDaPvRmT3_T4_T5_mT6_P12ihipStream_tbENKUlT_T0_E_clISt17integral_constantIbLb1EESW_EEDaSR_SS_EUlSR_E0_NS1_11comp_targetILNS1_3genE3ELNS1_11target_archE908ELNS1_3gpuE7ELNS1_3repE0EEENS1_30default_config_static_selectorELNS0_4arch9wavefront6targetE1EEEvT1_
		.amdhsa_group_segment_fixed_size 0
		.amdhsa_private_segment_fixed_size 0
		.amdhsa_kernarg_size 32
		.amdhsa_user_sgpr_count 2
		.amdhsa_user_sgpr_dispatch_ptr 0
		.amdhsa_user_sgpr_queue_ptr 0
		.amdhsa_user_sgpr_kernarg_segment_ptr 1
		.amdhsa_user_sgpr_dispatch_id 0
		.amdhsa_user_sgpr_kernarg_preload_length 0
		.amdhsa_user_sgpr_kernarg_preload_offset 0
		.amdhsa_user_sgpr_private_segment_size 0
		.amdhsa_uses_dynamic_stack 0
		.amdhsa_enable_private_segment 0
		.amdhsa_system_sgpr_workgroup_id_x 1
		.amdhsa_system_sgpr_workgroup_id_y 0
		.amdhsa_system_sgpr_workgroup_id_z 0
		.amdhsa_system_sgpr_workgroup_info 0
		.amdhsa_system_vgpr_workitem_id 0
		.amdhsa_next_free_vgpr 1
		.amdhsa_next_free_sgpr 0
		.amdhsa_accum_offset 4
		.amdhsa_reserve_vcc 0
		.amdhsa_float_round_mode_32 0
		.amdhsa_float_round_mode_16_64 0
		.amdhsa_float_denorm_mode_32 3
		.amdhsa_float_denorm_mode_16_64 3
		.amdhsa_dx10_clamp 1
		.amdhsa_ieee_mode 1
		.amdhsa_fp16_overflow 0
		.amdhsa_tg_split 0
		.amdhsa_exception_fp_ieee_invalid_op 0
		.amdhsa_exception_fp_denorm_src 0
		.amdhsa_exception_fp_ieee_div_zero 0
		.amdhsa_exception_fp_ieee_overflow 0
		.amdhsa_exception_fp_ieee_underflow 0
		.amdhsa_exception_fp_ieee_inexact 0
		.amdhsa_exception_int_div_zero 0
	.end_amdhsa_kernel
	.section	.text._ZN7rocprim17ROCPRIM_400000_NS6detail17trampoline_kernelINS0_14default_configENS1_20scan_config_selectorIfEEZZNS1_9scan_implILNS1_25lookback_scan_determinismE0ELb0ELb0ES3_PKfPffZZZN2at6native31launch_logcumsumexp_cuda_kernelERKNSB_10TensorBaseESF_lENKUlvE_clEvENKUlvE0_clEvEUlffE_fEEDaPvRmT3_T4_T5_mT6_P12ihipStream_tbENKUlT_T0_E_clISt17integral_constantIbLb1EESW_EEDaSR_SS_EUlSR_E0_NS1_11comp_targetILNS1_3genE3ELNS1_11target_archE908ELNS1_3gpuE7ELNS1_3repE0EEENS1_30default_config_static_selectorELNS0_4arch9wavefront6targetE1EEEvT1_,"axG",@progbits,_ZN7rocprim17ROCPRIM_400000_NS6detail17trampoline_kernelINS0_14default_configENS1_20scan_config_selectorIfEEZZNS1_9scan_implILNS1_25lookback_scan_determinismE0ELb0ELb0ES3_PKfPffZZZN2at6native31launch_logcumsumexp_cuda_kernelERKNSB_10TensorBaseESF_lENKUlvE_clEvENKUlvE0_clEvEUlffE_fEEDaPvRmT3_T4_T5_mT6_P12ihipStream_tbENKUlT_T0_E_clISt17integral_constantIbLb1EESW_EEDaSR_SS_EUlSR_E0_NS1_11comp_targetILNS1_3genE3ELNS1_11target_archE908ELNS1_3gpuE7ELNS1_3repE0EEENS1_30default_config_static_selectorELNS0_4arch9wavefront6targetE1EEEvT1_,comdat
.Lfunc_end133:
	.size	_ZN7rocprim17ROCPRIM_400000_NS6detail17trampoline_kernelINS0_14default_configENS1_20scan_config_selectorIfEEZZNS1_9scan_implILNS1_25lookback_scan_determinismE0ELb0ELb0ES3_PKfPffZZZN2at6native31launch_logcumsumexp_cuda_kernelERKNSB_10TensorBaseESF_lENKUlvE_clEvENKUlvE0_clEvEUlffE_fEEDaPvRmT3_T4_T5_mT6_P12ihipStream_tbENKUlT_T0_E_clISt17integral_constantIbLb1EESW_EEDaSR_SS_EUlSR_E0_NS1_11comp_targetILNS1_3genE3ELNS1_11target_archE908ELNS1_3gpuE7ELNS1_3repE0EEENS1_30default_config_static_selectorELNS0_4arch9wavefront6targetE1EEEvT1_, .Lfunc_end133-_ZN7rocprim17ROCPRIM_400000_NS6detail17trampoline_kernelINS0_14default_configENS1_20scan_config_selectorIfEEZZNS1_9scan_implILNS1_25lookback_scan_determinismE0ELb0ELb0ES3_PKfPffZZZN2at6native31launch_logcumsumexp_cuda_kernelERKNSB_10TensorBaseESF_lENKUlvE_clEvENKUlvE0_clEvEUlffE_fEEDaPvRmT3_T4_T5_mT6_P12ihipStream_tbENKUlT_T0_E_clISt17integral_constantIbLb1EESW_EEDaSR_SS_EUlSR_E0_NS1_11comp_targetILNS1_3genE3ELNS1_11target_archE908ELNS1_3gpuE7ELNS1_3repE0EEENS1_30default_config_static_selectorELNS0_4arch9wavefront6targetE1EEEvT1_
                                        ; -- End function
	.section	.AMDGPU.csdata,"",@progbits
; Kernel info:
; codeLenInByte = 0
; NumSgprs: 6
; NumVgprs: 0
; NumAgprs: 0
; TotalNumVgprs: 0
; ScratchSize: 0
; MemoryBound: 0
; FloatMode: 240
; IeeeMode: 1
; LDSByteSize: 0 bytes/workgroup (compile time only)
; SGPRBlocks: 0
; VGPRBlocks: 0
; NumSGPRsForWavesPerEU: 6
; NumVGPRsForWavesPerEU: 1
; AccumOffset: 4
; Occupancy: 8
; WaveLimiterHint : 0
; COMPUTE_PGM_RSRC2:SCRATCH_EN: 0
; COMPUTE_PGM_RSRC2:USER_SGPR: 2
; COMPUTE_PGM_RSRC2:TRAP_HANDLER: 0
; COMPUTE_PGM_RSRC2:TGID_X_EN: 1
; COMPUTE_PGM_RSRC2:TGID_Y_EN: 0
; COMPUTE_PGM_RSRC2:TGID_Z_EN: 0
; COMPUTE_PGM_RSRC2:TIDIG_COMP_CNT: 0
; COMPUTE_PGM_RSRC3_GFX90A:ACCUM_OFFSET: 0
; COMPUTE_PGM_RSRC3_GFX90A:TG_SPLIT: 0
	.section	.text._ZN7rocprim17ROCPRIM_400000_NS6detail17trampoline_kernelINS0_14default_configENS1_20scan_config_selectorIfEEZZNS1_9scan_implILNS1_25lookback_scan_determinismE0ELb0ELb0ES3_PKfPffZZZN2at6native31launch_logcumsumexp_cuda_kernelERKNSB_10TensorBaseESF_lENKUlvE_clEvENKUlvE0_clEvEUlffE_fEEDaPvRmT3_T4_T5_mT6_P12ihipStream_tbENKUlT_T0_E_clISt17integral_constantIbLb1EESW_EEDaSR_SS_EUlSR_E0_NS1_11comp_targetILNS1_3genE2ELNS1_11target_archE906ELNS1_3gpuE6ELNS1_3repE0EEENS1_30default_config_static_selectorELNS0_4arch9wavefront6targetE1EEEvT1_,"axG",@progbits,_ZN7rocprim17ROCPRIM_400000_NS6detail17trampoline_kernelINS0_14default_configENS1_20scan_config_selectorIfEEZZNS1_9scan_implILNS1_25lookback_scan_determinismE0ELb0ELb0ES3_PKfPffZZZN2at6native31launch_logcumsumexp_cuda_kernelERKNSB_10TensorBaseESF_lENKUlvE_clEvENKUlvE0_clEvEUlffE_fEEDaPvRmT3_T4_T5_mT6_P12ihipStream_tbENKUlT_T0_E_clISt17integral_constantIbLb1EESW_EEDaSR_SS_EUlSR_E0_NS1_11comp_targetILNS1_3genE2ELNS1_11target_archE906ELNS1_3gpuE6ELNS1_3repE0EEENS1_30default_config_static_selectorELNS0_4arch9wavefront6targetE1EEEvT1_,comdat
	.globl	_ZN7rocprim17ROCPRIM_400000_NS6detail17trampoline_kernelINS0_14default_configENS1_20scan_config_selectorIfEEZZNS1_9scan_implILNS1_25lookback_scan_determinismE0ELb0ELb0ES3_PKfPffZZZN2at6native31launch_logcumsumexp_cuda_kernelERKNSB_10TensorBaseESF_lENKUlvE_clEvENKUlvE0_clEvEUlffE_fEEDaPvRmT3_T4_T5_mT6_P12ihipStream_tbENKUlT_T0_E_clISt17integral_constantIbLb1EESW_EEDaSR_SS_EUlSR_E0_NS1_11comp_targetILNS1_3genE2ELNS1_11target_archE906ELNS1_3gpuE6ELNS1_3repE0EEENS1_30default_config_static_selectorELNS0_4arch9wavefront6targetE1EEEvT1_ ; -- Begin function _ZN7rocprim17ROCPRIM_400000_NS6detail17trampoline_kernelINS0_14default_configENS1_20scan_config_selectorIfEEZZNS1_9scan_implILNS1_25lookback_scan_determinismE0ELb0ELb0ES3_PKfPffZZZN2at6native31launch_logcumsumexp_cuda_kernelERKNSB_10TensorBaseESF_lENKUlvE_clEvENKUlvE0_clEvEUlffE_fEEDaPvRmT3_T4_T5_mT6_P12ihipStream_tbENKUlT_T0_E_clISt17integral_constantIbLb1EESW_EEDaSR_SS_EUlSR_E0_NS1_11comp_targetILNS1_3genE2ELNS1_11target_archE906ELNS1_3gpuE6ELNS1_3repE0EEENS1_30default_config_static_selectorELNS0_4arch9wavefront6targetE1EEEvT1_
	.p2align	8
	.type	_ZN7rocprim17ROCPRIM_400000_NS6detail17trampoline_kernelINS0_14default_configENS1_20scan_config_selectorIfEEZZNS1_9scan_implILNS1_25lookback_scan_determinismE0ELb0ELb0ES3_PKfPffZZZN2at6native31launch_logcumsumexp_cuda_kernelERKNSB_10TensorBaseESF_lENKUlvE_clEvENKUlvE0_clEvEUlffE_fEEDaPvRmT3_T4_T5_mT6_P12ihipStream_tbENKUlT_T0_E_clISt17integral_constantIbLb1EESW_EEDaSR_SS_EUlSR_E0_NS1_11comp_targetILNS1_3genE2ELNS1_11target_archE906ELNS1_3gpuE6ELNS1_3repE0EEENS1_30default_config_static_selectorELNS0_4arch9wavefront6targetE1EEEvT1_,@function
_ZN7rocprim17ROCPRIM_400000_NS6detail17trampoline_kernelINS0_14default_configENS1_20scan_config_selectorIfEEZZNS1_9scan_implILNS1_25lookback_scan_determinismE0ELb0ELb0ES3_PKfPffZZZN2at6native31launch_logcumsumexp_cuda_kernelERKNSB_10TensorBaseESF_lENKUlvE_clEvENKUlvE0_clEvEUlffE_fEEDaPvRmT3_T4_T5_mT6_P12ihipStream_tbENKUlT_T0_E_clISt17integral_constantIbLb1EESW_EEDaSR_SS_EUlSR_E0_NS1_11comp_targetILNS1_3genE2ELNS1_11target_archE906ELNS1_3gpuE6ELNS1_3repE0EEENS1_30default_config_static_selectorELNS0_4arch9wavefront6targetE1EEEvT1_: ; @_ZN7rocprim17ROCPRIM_400000_NS6detail17trampoline_kernelINS0_14default_configENS1_20scan_config_selectorIfEEZZNS1_9scan_implILNS1_25lookback_scan_determinismE0ELb0ELb0ES3_PKfPffZZZN2at6native31launch_logcumsumexp_cuda_kernelERKNSB_10TensorBaseESF_lENKUlvE_clEvENKUlvE0_clEvEUlffE_fEEDaPvRmT3_T4_T5_mT6_P12ihipStream_tbENKUlT_T0_E_clISt17integral_constantIbLb1EESW_EEDaSR_SS_EUlSR_E0_NS1_11comp_targetILNS1_3genE2ELNS1_11target_archE906ELNS1_3gpuE6ELNS1_3repE0EEENS1_30default_config_static_selectorELNS0_4arch9wavefront6targetE1EEEvT1_
; %bb.0:
	.section	.rodata,"a",@progbits
	.p2align	6, 0x0
	.amdhsa_kernel _ZN7rocprim17ROCPRIM_400000_NS6detail17trampoline_kernelINS0_14default_configENS1_20scan_config_selectorIfEEZZNS1_9scan_implILNS1_25lookback_scan_determinismE0ELb0ELb0ES3_PKfPffZZZN2at6native31launch_logcumsumexp_cuda_kernelERKNSB_10TensorBaseESF_lENKUlvE_clEvENKUlvE0_clEvEUlffE_fEEDaPvRmT3_T4_T5_mT6_P12ihipStream_tbENKUlT_T0_E_clISt17integral_constantIbLb1EESW_EEDaSR_SS_EUlSR_E0_NS1_11comp_targetILNS1_3genE2ELNS1_11target_archE906ELNS1_3gpuE6ELNS1_3repE0EEENS1_30default_config_static_selectorELNS0_4arch9wavefront6targetE1EEEvT1_
		.amdhsa_group_segment_fixed_size 0
		.amdhsa_private_segment_fixed_size 0
		.amdhsa_kernarg_size 32
		.amdhsa_user_sgpr_count 2
		.amdhsa_user_sgpr_dispatch_ptr 0
		.amdhsa_user_sgpr_queue_ptr 0
		.amdhsa_user_sgpr_kernarg_segment_ptr 1
		.amdhsa_user_sgpr_dispatch_id 0
		.amdhsa_user_sgpr_kernarg_preload_length 0
		.amdhsa_user_sgpr_kernarg_preload_offset 0
		.amdhsa_user_sgpr_private_segment_size 0
		.amdhsa_uses_dynamic_stack 0
		.amdhsa_enable_private_segment 0
		.amdhsa_system_sgpr_workgroup_id_x 1
		.amdhsa_system_sgpr_workgroup_id_y 0
		.amdhsa_system_sgpr_workgroup_id_z 0
		.amdhsa_system_sgpr_workgroup_info 0
		.amdhsa_system_vgpr_workitem_id 0
		.amdhsa_next_free_vgpr 1
		.amdhsa_next_free_sgpr 0
		.amdhsa_accum_offset 4
		.amdhsa_reserve_vcc 0
		.amdhsa_float_round_mode_32 0
		.amdhsa_float_round_mode_16_64 0
		.amdhsa_float_denorm_mode_32 3
		.amdhsa_float_denorm_mode_16_64 3
		.amdhsa_dx10_clamp 1
		.amdhsa_ieee_mode 1
		.amdhsa_fp16_overflow 0
		.amdhsa_tg_split 0
		.amdhsa_exception_fp_ieee_invalid_op 0
		.amdhsa_exception_fp_denorm_src 0
		.amdhsa_exception_fp_ieee_div_zero 0
		.amdhsa_exception_fp_ieee_overflow 0
		.amdhsa_exception_fp_ieee_underflow 0
		.amdhsa_exception_fp_ieee_inexact 0
		.amdhsa_exception_int_div_zero 0
	.end_amdhsa_kernel
	.section	.text._ZN7rocprim17ROCPRIM_400000_NS6detail17trampoline_kernelINS0_14default_configENS1_20scan_config_selectorIfEEZZNS1_9scan_implILNS1_25lookback_scan_determinismE0ELb0ELb0ES3_PKfPffZZZN2at6native31launch_logcumsumexp_cuda_kernelERKNSB_10TensorBaseESF_lENKUlvE_clEvENKUlvE0_clEvEUlffE_fEEDaPvRmT3_T4_T5_mT6_P12ihipStream_tbENKUlT_T0_E_clISt17integral_constantIbLb1EESW_EEDaSR_SS_EUlSR_E0_NS1_11comp_targetILNS1_3genE2ELNS1_11target_archE906ELNS1_3gpuE6ELNS1_3repE0EEENS1_30default_config_static_selectorELNS0_4arch9wavefront6targetE1EEEvT1_,"axG",@progbits,_ZN7rocprim17ROCPRIM_400000_NS6detail17trampoline_kernelINS0_14default_configENS1_20scan_config_selectorIfEEZZNS1_9scan_implILNS1_25lookback_scan_determinismE0ELb0ELb0ES3_PKfPffZZZN2at6native31launch_logcumsumexp_cuda_kernelERKNSB_10TensorBaseESF_lENKUlvE_clEvENKUlvE0_clEvEUlffE_fEEDaPvRmT3_T4_T5_mT6_P12ihipStream_tbENKUlT_T0_E_clISt17integral_constantIbLb1EESW_EEDaSR_SS_EUlSR_E0_NS1_11comp_targetILNS1_3genE2ELNS1_11target_archE906ELNS1_3gpuE6ELNS1_3repE0EEENS1_30default_config_static_selectorELNS0_4arch9wavefront6targetE1EEEvT1_,comdat
.Lfunc_end134:
	.size	_ZN7rocprim17ROCPRIM_400000_NS6detail17trampoline_kernelINS0_14default_configENS1_20scan_config_selectorIfEEZZNS1_9scan_implILNS1_25lookback_scan_determinismE0ELb0ELb0ES3_PKfPffZZZN2at6native31launch_logcumsumexp_cuda_kernelERKNSB_10TensorBaseESF_lENKUlvE_clEvENKUlvE0_clEvEUlffE_fEEDaPvRmT3_T4_T5_mT6_P12ihipStream_tbENKUlT_T0_E_clISt17integral_constantIbLb1EESW_EEDaSR_SS_EUlSR_E0_NS1_11comp_targetILNS1_3genE2ELNS1_11target_archE906ELNS1_3gpuE6ELNS1_3repE0EEENS1_30default_config_static_selectorELNS0_4arch9wavefront6targetE1EEEvT1_, .Lfunc_end134-_ZN7rocprim17ROCPRIM_400000_NS6detail17trampoline_kernelINS0_14default_configENS1_20scan_config_selectorIfEEZZNS1_9scan_implILNS1_25lookback_scan_determinismE0ELb0ELb0ES3_PKfPffZZZN2at6native31launch_logcumsumexp_cuda_kernelERKNSB_10TensorBaseESF_lENKUlvE_clEvENKUlvE0_clEvEUlffE_fEEDaPvRmT3_T4_T5_mT6_P12ihipStream_tbENKUlT_T0_E_clISt17integral_constantIbLb1EESW_EEDaSR_SS_EUlSR_E0_NS1_11comp_targetILNS1_3genE2ELNS1_11target_archE906ELNS1_3gpuE6ELNS1_3repE0EEENS1_30default_config_static_selectorELNS0_4arch9wavefront6targetE1EEEvT1_
                                        ; -- End function
	.section	.AMDGPU.csdata,"",@progbits
; Kernel info:
; codeLenInByte = 0
; NumSgprs: 6
; NumVgprs: 0
; NumAgprs: 0
; TotalNumVgprs: 0
; ScratchSize: 0
; MemoryBound: 0
; FloatMode: 240
; IeeeMode: 1
; LDSByteSize: 0 bytes/workgroup (compile time only)
; SGPRBlocks: 0
; VGPRBlocks: 0
; NumSGPRsForWavesPerEU: 6
; NumVGPRsForWavesPerEU: 1
; AccumOffset: 4
; Occupancy: 8
; WaveLimiterHint : 0
; COMPUTE_PGM_RSRC2:SCRATCH_EN: 0
; COMPUTE_PGM_RSRC2:USER_SGPR: 2
; COMPUTE_PGM_RSRC2:TRAP_HANDLER: 0
; COMPUTE_PGM_RSRC2:TGID_X_EN: 1
; COMPUTE_PGM_RSRC2:TGID_Y_EN: 0
; COMPUTE_PGM_RSRC2:TGID_Z_EN: 0
; COMPUTE_PGM_RSRC2:TIDIG_COMP_CNT: 0
; COMPUTE_PGM_RSRC3_GFX90A:ACCUM_OFFSET: 0
; COMPUTE_PGM_RSRC3_GFX90A:TG_SPLIT: 0
	.section	.text._ZN7rocprim17ROCPRIM_400000_NS6detail17trampoline_kernelINS0_14default_configENS1_20scan_config_selectorIfEEZZNS1_9scan_implILNS1_25lookback_scan_determinismE0ELb0ELb0ES3_PKfPffZZZN2at6native31launch_logcumsumexp_cuda_kernelERKNSB_10TensorBaseESF_lENKUlvE_clEvENKUlvE0_clEvEUlffE_fEEDaPvRmT3_T4_T5_mT6_P12ihipStream_tbENKUlT_T0_E_clISt17integral_constantIbLb1EESW_EEDaSR_SS_EUlSR_E0_NS1_11comp_targetILNS1_3genE10ELNS1_11target_archE1201ELNS1_3gpuE5ELNS1_3repE0EEENS1_30default_config_static_selectorELNS0_4arch9wavefront6targetE1EEEvT1_,"axG",@progbits,_ZN7rocprim17ROCPRIM_400000_NS6detail17trampoline_kernelINS0_14default_configENS1_20scan_config_selectorIfEEZZNS1_9scan_implILNS1_25lookback_scan_determinismE0ELb0ELb0ES3_PKfPffZZZN2at6native31launch_logcumsumexp_cuda_kernelERKNSB_10TensorBaseESF_lENKUlvE_clEvENKUlvE0_clEvEUlffE_fEEDaPvRmT3_T4_T5_mT6_P12ihipStream_tbENKUlT_T0_E_clISt17integral_constantIbLb1EESW_EEDaSR_SS_EUlSR_E0_NS1_11comp_targetILNS1_3genE10ELNS1_11target_archE1201ELNS1_3gpuE5ELNS1_3repE0EEENS1_30default_config_static_selectorELNS0_4arch9wavefront6targetE1EEEvT1_,comdat
	.globl	_ZN7rocprim17ROCPRIM_400000_NS6detail17trampoline_kernelINS0_14default_configENS1_20scan_config_selectorIfEEZZNS1_9scan_implILNS1_25lookback_scan_determinismE0ELb0ELb0ES3_PKfPffZZZN2at6native31launch_logcumsumexp_cuda_kernelERKNSB_10TensorBaseESF_lENKUlvE_clEvENKUlvE0_clEvEUlffE_fEEDaPvRmT3_T4_T5_mT6_P12ihipStream_tbENKUlT_T0_E_clISt17integral_constantIbLb1EESW_EEDaSR_SS_EUlSR_E0_NS1_11comp_targetILNS1_3genE10ELNS1_11target_archE1201ELNS1_3gpuE5ELNS1_3repE0EEENS1_30default_config_static_selectorELNS0_4arch9wavefront6targetE1EEEvT1_ ; -- Begin function _ZN7rocprim17ROCPRIM_400000_NS6detail17trampoline_kernelINS0_14default_configENS1_20scan_config_selectorIfEEZZNS1_9scan_implILNS1_25lookback_scan_determinismE0ELb0ELb0ES3_PKfPffZZZN2at6native31launch_logcumsumexp_cuda_kernelERKNSB_10TensorBaseESF_lENKUlvE_clEvENKUlvE0_clEvEUlffE_fEEDaPvRmT3_T4_T5_mT6_P12ihipStream_tbENKUlT_T0_E_clISt17integral_constantIbLb1EESW_EEDaSR_SS_EUlSR_E0_NS1_11comp_targetILNS1_3genE10ELNS1_11target_archE1201ELNS1_3gpuE5ELNS1_3repE0EEENS1_30default_config_static_selectorELNS0_4arch9wavefront6targetE1EEEvT1_
	.p2align	8
	.type	_ZN7rocprim17ROCPRIM_400000_NS6detail17trampoline_kernelINS0_14default_configENS1_20scan_config_selectorIfEEZZNS1_9scan_implILNS1_25lookback_scan_determinismE0ELb0ELb0ES3_PKfPffZZZN2at6native31launch_logcumsumexp_cuda_kernelERKNSB_10TensorBaseESF_lENKUlvE_clEvENKUlvE0_clEvEUlffE_fEEDaPvRmT3_T4_T5_mT6_P12ihipStream_tbENKUlT_T0_E_clISt17integral_constantIbLb1EESW_EEDaSR_SS_EUlSR_E0_NS1_11comp_targetILNS1_3genE10ELNS1_11target_archE1201ELNS1_3gpuE5ELNS1_3repE0EEENS1_30default_config_static_selectorELNS0_4arch9wavefront6targetE1EEEvT1_,@function
_ZN7rocprim17ROCPRIM_400000_NS6detail17trampoline_kernelINS0_14default_configENS1_20scan_config_selectorIfEEZZNS1_9scan_implILNS1_25lookback_scan_determinismE0ELb0ELb0ES3_PKfPffZZZN2at6native31launch_logcumsumexp_cuda_kernelERKNSB_10TensorBaseESF_lENKUlvE_clEvENKUlvE0_clEvEUlffE_fEEDaPvRmT3_T4_T5_mT6_P12ihipStream_tbENKUlT_T0_E_clISt17integral_constantIbLb1EESW_EEDaSR_SS_EUlSR_E0_NS1_11comp_targetILNS1_3genE10ELNS1_11target_archE1201ELNS1_3gpuE5ELNS1_3repE0EEENS1_30default_config_static_selectorELNS0_4arch9wavefront6targetE1EEEvT1_: ; @_ZN7rocprim17ROCPRIM_400000_NS6detail17trampoline_kernelINS0_14default_configENS1_20scan_config_selectorIfEEZZNS1_9scan_implILNS1_25lookback_scan_determinismE0ELb0ELb0ES3_PKfPffZZZN2at6native31launch_logcumsumexp_cuda_kernelERKNSB_10TensorBaseESF_lENKUlvE_clEvENKUlvE0_clEvEUlffE_fEEDaPvRmT3_T4_T5_mT6_P12ihipStream_tbENKUlT_T0_E_clISt17integral_constantIbLb1EESW_EEDaSR_SS_EUlSR_E0_NS1_11comp_targetILNS1_3genE10ELNS1_11target_archE1201ELNS1_3gpuE5ELNS1_3repE0EEENS1_30default_config_static_selectorELNS0_4arch9wavefront6targetE1EEEvT1_
; %bb.0:
	.section	.rodata,"a",@progbits
	.p2align	6, 0x0
	.amdhsa_kernel _ZN7rocprim17ROCPRIM_400000_NS6detail17trampoline_kernelINS0_14default_configENS1_20scan_config_selectorIfEEZZNS1_9scan_implILNS1_25lookback_scan_determinismE0ELb0ELb0ES3_PKfPffZZZN2at6native31launch_logcumsumexp_cuda_kernelERKNSB_10TensorBaseESF_lENKUlvE_clEvENKUlvE0_clEvEUlffE_fEEDaPvRmT3_T4_T5_mT6_P12ihipStream_tbENKUlT_T0_E_clISt17integral_constantIbLb1EESW_EEDaSR_SS_EUlSR_E0_NS1_11comp_targetILNS1_3genE10ELNS1_11target_archE1201ELNS1_3gpuE5ELNS1_3repE0EEENS1_30default_config_static_selectorELNS0_4arch9wavefront6targetE1EEEvT1_
		.amdhsa_group_segment_fixed_size 0
		.amdhsa_private_segment_fixed_size 0
		.amdhsa_kernarg_size 32
		.amdhsa_user_sgpr_count 2
		.amdhsa_user_sgpr_dispatch_ptr 0
		.amdhsa_user_sgpr_queue_ptr 0
		.amdhsa_user_sgpr_kernarg_segment_ptr 1
		.amdhsa_user_sgpr_dispatch_id 0
		.amdhsa_user_sgpr_kernarg_preload_length 0
		.amdhsa_user_sgpr_kernarg_preload_offset 0
		.amdhsa_user_sgpr_private_segment_size 0
		.amdhsa_uses_dynamic_stack 0
		.amdhsa_enable_private_segment 0
		.amdhsa_system_sgpr_workgroup_id_x 1
		.amdhsa_system_sgpr_workgroup_id_y 0
		.amdhsa_system_sgpr_workgroup_id_z 0
		.amdhsa_system_sgpr_workgroup_info 0
		.amdhsa_system_vgpr_workitem_id 0
		.amdhsa_next_free_vgpr 1
		.amdhsa_next_free_sgpr 0
		.amdhsa_accum_offset 4
		.amdhsa_reserve_vcc 0
		.amdhsa_float_round_mode_32 0
		.amdhsa_float_round_mode_16_64 0
		.amdhsa_float_denorm_mode_32 3
		.amdhsa_float_denorm_mode_16_64 3
		.amdhsa_dx10_clamp 1
		.amdhsa_ieee_mode 1
		.amdhsa_fp16_overflow 0
		.amdhsa_tg_split 0
		.amdhsa_exception_fp_ieee_invalid_op 0
		.amdhsa_exception_fp_denorm_src 0
		.amdhsa_exception_fp_ieee_div_zero 0
		.amdhsa_exception_fp_ieee_overflow 0
		.amdhsa_exception_fp_ieee_underflow 0
		.amdhsa_exception_fp_ieee_inexact 0
		.amdhsa_exception_int_div_zero 0
	.end_amdhsa_kernel
	.section	.text._ZN7rocprim17ROCPRIM_400000_NS6detail17trampoline_kernelINS0_14default_configENS1_20scan_config_selectorIfEEZZNS1_9scan_implILNS1_25lookback_scan_determinismE0ELb0ELb0ES3_PKfPffZZZN2at6native31launch_logcumsumexp_cuda_kernelERKNSB_10TensorBaseESF_lENKUlvE_clEvENKUlvE0_clEvEUlffE_fEEDaPvRmT3_T4_T5_mT6_P12ihipStream_tbENKUlT_T0_E_clISt17integral_constantIbLb1EESW_EEDaSR_SS_EUlSR_E0_NS1_11comp_targetILNS1_3genE10ELNS1_11target_archE1201ELNS1_3gpuE5ELNS1_3repE0EEENS1_30default_config_static_selectorELNS0_4arch9wavefront6targetE1EEEvT1_,"axG",@progbits,_ZN7rocprim17ROCPRIM_400000_NS6detail17trampoline_kernelINS0_14default_configENS1_20scan_config_selectorIfEEZZNS1_9scan_implILNS1_25lookback_scan_determinismE0ELb0ELb0ES3_PKfPffZZZN2at6native31launch_logcumsumexp_cuda_kernelERKNSB_10TensorBaseESF_lENKUlvE_clEvENKUlvE0_clEvEUlffE_fEEDaPvRmT3_T4_T5_mT6_P12ihipStream_tbENKUlT_T0_E_clISt17integral_constantIbLb1EESW_EEDaSR_SS_EUlSR_E0_NS1_11comp_targetILNS1_3genE10ELNS1_11target_archE1201ELNS1_3gpuE5ELNS1_3repE0EEENS1_30default_config_static_selectorELNS0_4arch9wavefront6targetE1EEEvT1_,comdat
.Lfunc_end135:
	.size	_ZN7rocprim17ROCPRIM_400000_NS6detail17trampoline_kernelINS0_14default_configENS1_20scan_config_selectorIfEEZZNS1_9scan_implILNS1_25lookback_scan_determinismE0ELb0ELb0ES3_PKfPffZZZN2at6native31launch_logcumsumexp_cuda_kernelERKNSB_10TensorBaseESF_lENKUlvE_clEvENKUlvE0_clEvEUlffE_fEEDaPvRmT3_T4_T5_mT6_P12ihipStream_tbENKUlT_T0_E_clISt17integral_constantIbLb1EESW_EEDaSR_SS_EUlSR_E0_NS1_11comp_targetILNS1_3genE10ELNS1_11target_archE1201ELNS1_3gpuE5ELNS1_3repE0EEENS1_30default_config_static_selectorELNS0_4arch9wavefront6targetE1EEEvT1_, .Lfunc_end135-_ZN7rocprim17ROCPRIM_400000_NS6detail17trampoline_kernelINS0_14default_configENS1_20scan_config_selectorIfEEZZNS1_9scan_implILNS1_25lookback_scan_determinismE0ELb0ELb0ES3_PKfPffZZZN2at6native31launch_logcumsumexp_cuda_kernelERKNSB_10TensorBaseESF_lENKUlvE_clEvENKUlvE0_clEvEUlffE_fEEDaPvRmT3_T4_T5_mT6_P12ihipStream_tbENKUlT_T0_E_clISt17integral_constantIbLb1EESW_EEDaSR_SS_EUlSR_E0_NS1_11comp_targetILNS1_3genE10ELNS1_11target_archE1201ELNS1_3gpuE5ELNS1_3repE0EEENS1_30default_config_static_selectorELNS0_4arch9wavefront6targetE1EEEvT1_
                                        ; -- End function
	.section	.AMDGPU.csdata,"",@progbits
; Kernel info:
; codeLenInByte = 0
; NumSgprs: 6
; NumVgprs: 0
; NumAgprs: 0
; TotalNumVgprs: 0
; ScratchSize: 0
; MemoryBound: 0
; FloatMode: 240
; IeeeMode: 1
; LDSByteSize: 0 bytes/workgroup (compile time only)
; SGPRBlocks: 0
; VGPRBlocks: 0
; NumSGPRsForWavesPerEU: 6
; NumVGPRsForWavesPerEU: 1
; AccumOffset: 4
; Occupancy: 8
; WaveLimiterHint : 0
; COMPUTE_PGM_RSRC2:SCRATCH_EN: 0
; COMPUTE_PGM_RSRC2:USER_SGPR: 2
; COMPUTE_PGM_RSRC2:TRAP_HANDLER: 0
; COMPUTE_PGM_RSRC2:TGID_X_EN: 1
; COMPUTE_PGM_RSRC2:TGID_Y_EN: 0
; COMPUTE_PGM_RSRC2:TGID_Z_EN: 0
; COMPUTE_PGM_RSRC2:TIDIG_COMP_CNT: 0
; COMPUTE_PGM_RSRC3_GFX90A:ACCUM_OFFSET: 0
; COMPUTE_PGM_RSRC3_GFX90A:TG_SPLIT: 0
	.section	.text._ZN7rocprim17ROCPRIM_400000_NS6detail17trampoline_kernelINS0_14default_configENS1_20scan_config_selectorIfEEZZNS1_9scan_implILNS1_25lookback_scan_determinismE0ELb0ELb0ES3_PKfPffZZZN2at6native31launch_logcumsumexp_cuda_kernelERKNSB_10TensorBaseESF_lENKUlvE_clEvENKUlvE0_clEvEUlffE_fEEDaPvRmT3_T4_T5_mT6_P12ihipStream_tbENKUlT_T0_E_clISt17integral_constantIbLb1EESW_EEDaSR_SS_EUlSR_E0_NS1_11comp_targetILNS1_3genE10ELNS1_11target_archE1200ELNS1_3gpuE4ELNS1_3repE0EEENS1_30default_config_static_selectorELNS0_4arch9wavefront6targetE1EEEvT1_,"axG",@progbits,_ZN7rocprim17ROCPRIM_400000_NS6detail17trampoline_kernelINS0_14default_configENS1_20scan_config_selectorIfEEZZNS1_9scan_implILNS1_25lookback_scan_determinismE0ELb0ELb0ES3_PKfPffZZZN2at6native31launch_logcumsumexp_cuda_kernelERKNSB_10TensorBaseESF_lENKUlvE_clEvENKUlvE0_clEvEUlffE_fEEDaPvRmT3_T4_T5_mT6_P12ihipStream_tbENKUlT_T0_E_clISt17integral_constantIbLb1EESW_EEDaSR_SS_EUlSR_E0_NS1_11comp_targetILNS1_3genE10ELNS1_11target_archE1200ELNS1_3gpuE4ELNS1_3repE0EEENS1_30default_config_static_selectorELNS0_4arch9wavefront6targetE1EEEvT1_,comdat
	.globl	_ZN7rocprim17ROCPRIM_400000_NS6detail17trampoline_kernelINS0_14default_configENS1_20scan_config_selectorIfEEZZNS1_9scan_implILNS1_25lookback_scan_determinismE0ELb0ELb0ES3_PKfPffZZZN2at6native31launch_logcumsumexp_cuda_kernelERKNSB_10TensorBaseESF_lENKUlvE_clEvENKUlvE0_clEvEUlffE_fEEDaPvRmT3_T4_T5_mT6_P12ihipStream_tbENKUlT_T0_E_clISt17integral_constantIbLb1EESW_EEDaSR_SS_EUlSR_E0_NS1_11comp_targetILNS1_3genE10ELNS1_11target_archE1200ELNS1_3gpuE4ELNS1_3repE0EEENS1_30default_config_static_selectorELNS0_4arch9wavefront6targetE1EEEvT1_ ; -- Begin function _ZN7rocprim17ROCPRIM_400000_NS6detail17trampoline_kernelINS0_14default_configENS1_20scan_config_selectorIfEEZZNS1_9scan_implILNS1_25lookback_scan_determinismE0ELb0ELb0ES3_PKfPffZZZN2at6native31launch_logcumsumexp_cuda_kernelERKNSB_10TensorBaseESF_lENKUlvE_clEvENKUlvE0_clEvEUlffE_fEEDaPvRmT3_T4_T5_mT6_P12ihipStream_tbENKUlT_T0_E_clISt17integral_constantIbLb1EESW_EEDaSR_SS_EUlSR_E0_NS1_11comp_targetILNS1_3genE10ELNS1_11target_archE1200ELNS1_3gpuE4ELNS1_3repE0EEENS1_30default_config_static_selectorELNS0_4arch9wavefront6targetE1EEEvT1_
	.p2align	8
	.type	_ZN7rocprim17ROCPRIM_400000_NS6detail17trampoline_kernelINS0_14default_configENS1_20scan_config_selectorIfEEZZNS1_9scan_implILNS1_25lookback_scan_determinismE0ELb0ELb0ES3_PKfPffZZZN2at6native31launch_logcumsumexp_cuda_kernelERKNSB_10TensorBaseESF_lENKUlvE_clEvENKUlvE0_clEvEUlffE_fEEDaPvRmT3_T4_T5_mT6_P12ihipStream_tbENKUlT_T0_E_clISt17integral_constantIbLb1EESW_EEDaSR_SS_EUlSR_E0_NS1_11comp_targetILNS1_3genE10ELNS1_11target_archE1200ELNS1_3gpuE4ELNS1_3repE0EEENS1_30default_config_static_selectorELNS0_4arch9wavefront6targetE1EEEvT1_,@function
_ZN7rocprim17ROCPRIM_400000_NS6detail17trampoline_kernelINS0_14default_configENS1_20scan_config_selectorIfEEZZNS1_9scan_implILNS1_25lookback_scan_determinismE0ELb0ELb0ES3_PKfPffZZZN2at6native31launch_logcumsumexp_cuda_kernelERKNSB_10TensorBaseESF_lENKUlvE_clEvENKUlvE0_clEvEUlffE_fEEDaPvRmT3_T4_T5_mT6_P12ihipStream_tbENKUlT_T0_E_clISt17integral_constantIbLb1EESW_EEDaSR_SS_EUlSR_E0_NS1_11comp_targetILNS1_3genE10ELNS1_11target_archE1200ELNS1_3gpuE4ELNS1_3repE0EEENS1_30default_config_static_selectorELNS0_4arch9wavefront6targetE1EEEvT1_: ; @_ZN7rocprim17ROCPRIM_400000_NS6detail17trampoline_kernelINS0_14default_configENS1_20scan_config_selectorIfEEZZNS1_9scan_implILNS1_25lookback_scan_determinismE0ELb0ELb0ES3_PKfPffZZZN2at6native31launch_logcumsumexp_cuda_kernelERKNSB_10TensorBaseESF_lENKUlvE_clEvENKUlvE0_clEvEUlffE_fEEDaPvRmT3_T4_T5_mT6_P12ihipStream_tbENKUlT_T0_E_clISt17integral_constantIbLb1EESW_EEDaSR_SS_EUlSR_E0_NS1_11comp_targetILNS1_3genE10ELNS1_11target_archE1200ELNS1_3gpuE4ELNS1_3repE0EEENS1_30default_config_static_selectorELNS0_4arch9wavefront6targetE1EEEvT1_
; %bb.0:
	.section	.rodata,"a",@progbits
	.p2align	6, 0x0
	.amdhsa_kernel _ZN7rocprim17ROCPRIM_400000_NS6detail17trampoline_kernelINS0_14default_configENS1_20scan_config_selectorIfEEZZNS1_9scan_implILNS1_25lookback_scan_determinismE0ELb0ELb0ES3_PKfPffZZZN2at6native31launch_logcumsumexp_cuda_kernelERKNSB_10TensorBaseESF_lENKUlvE_clEvENKUlvE0_clEvEUlffE_fEEDaPvRmT3_T4_T5_mT6_P12ihipStream_tbENKUlT_T0_E_clISt17integral_constantIbLb1EESW_EEDaSR_SS_EUlSR_E0_NS1_11comp_targetILNS1_3genE10ELNS1_11target_archE1200ELNS1_3gpuE4ELNS1_3repE0EEENS1_30default_config_static_selectorELNS0_4arch9wavefront6targetE1EEEvT1_
		.amdhsa_group_segment_fixed_size 0
		.amdhsa_private_segment_fixed_size 0
		.amdhsa_kernarg_size 32
		.amdhsa_user_sgpr_count 2
		.amdhsa_user_sgpr_dispatch_ptr 0
		.amdhsa_user_sgpr_queue_ptr 0
		.amdhsa_user_sgpr_kernarg_segment_ptr 1
		.amdhsa_user_sgpr_dispatch_id 0
		.amdhsa_user_sgpr_kernarg_preload_length 0
		.amdhsa_user_sgpr_kernarg_preload_offset 0
		.amdhsa_user_sgpr_private_segment_size 0
		.amdhsa_uses_dynamic_stack 0
		.amdhsa_enable_private_segment 0
		.amdhsa_system_sgpr_workgroup_id_x 1
		.amdhsa_system_sgpr_workgroup_id_y 0
		.amdhsa_system_sgpr_workgroup_id_z 0
		.amdhsa_system_sgpr_workgroup_info 0
		.amdhsa_system_vgpr_workitem_id 0
		.amdhsa_next_free_vgpr 1
		.amdhsa_next_free_sgpr 0
		.amdhsa_accum_offset 4
		.amdhsa_reserve_vcc 0
		.amdhsa_float_round_mode_32 0
		.amdhsa_float_round_mode_16_64 0
		.amdhsa_float_denorm_mode_32 3
		.amdhsa_float_denorm_mode_16_64 3
		.amdhsa_dx10_clamp 1
		.amdhsa_ieee_mode 1
		.amdhsa_fp16_overflow 0
		.amdhsa_tg_split 0
		.amdhsa_exception_fp_ieee_invalid_op 0
		.amdhsa_exception_fp_denorm_src 0
		.amdhsa_exception_fp_ieee_div_zero 0
		.amdhsa_exception_fp_ieee_overflow 0
		.amdhsa_exception_fp_ieee_underflow 0
		.amdhsa_exception_fp_ieee_inexact 0
		.amdhsa_exception_int_div_zero 0
	.end_amdhsa_kernel
	.section	.text._ZN7rocprim17ROCPRIM_400000_NS6detail17trampoline_kernelINS0_14default_configENS1_20scan_config_selectorIfEEZZNS1_9scan_implILNS1_25lookback_scan_determinismE0ELb0ELb0ES3_PKfPffZZZN2at6native31launch_logcumsumexp_cuda_kernelERKNSB_10TensorBaseESF_lENKUlvE_clEvENKUlvE0_clEvEUlffE_fEEDaPvRmT3_T4_T5_mT6_P12ihipStream_tbENKUlT_T0_E_clISt17integral_constantIbLb1EESW_EEDaSR_SS_EUlSR_E0_NS1_11comp_targetILNS1_3genE10ELNS1_11target_archE1200ELNS1_3gpuE4ELNS1_3repE0EEENS1_30default_config_static_selectorELNS0_4arch9wavefront6targetE1EEEvT1_,"axG",@progbits,_ZN7rocprim17ROCPRIM_400000_NS6detail17trampoline_kernelINS0_14default_configENS1_20scan_config_selectorIfEEZZNS1_9scan_implILNS1_25lookback_scan_determinismE0ELb0ELb0ES3_PKfPffZZZN2at6native31launch_logcumsumexp_cuda_kernelERKNSB_10TensorBaseESF_lENKUlvE_clEvENKUlvE0_clEvEUlffE_fEEDaPvRmT3_T4_T5_mT6_P12ihipStream_tbENKUlT_T0_E_clISt17integral_constantIbLb1EESW_EEDaSR_SS_EUlSR_E0_NS1_11comp_targetILNS1_3genE10ELNS1_11target_archE1200ELNS1_3gpuE4ELNS1_3repE0EEENS1_30default_config_static_selectorELNS0_4arch9wavefront6targetE1EEEvT1_,comdat
.Lfunc_end136:
	.size	_ZN7rocprim17ROCPRIM_400000_NS6detail17trampoline_kernelINS0_14default_configENS1_20scan_config_selectorIfEEZZNS1_9scan_implILNS1_25lookback_scan_determinismE0ELb0ELb0ES3_PKfPffZZZN2at6native31launch_logcumsumexp_cuda_kernelERKNSB_10TensorBaseESF_lENKUlvE_clEvENKUlvE0_clEvEUlffE_fEEDaPvRmT3_T4_T5_mT6_P12ihipStream_tbENKUlT_T0_E_clISt17integral_constantIbLb1EESW_EEDaSR_SS_EUlSR_E0_NS1_11comp_targetILNS1_3genE10ELNS1_11target_archE1200ELNS1_3gpuE4ELNS1_3repE0EEENS1_30default_config_static_selectorELNS0_4arch9wavefront6targetE1EEEvT1_, .Lfunc_end136-_ZN7rocprim17ROCPRIM_400000_NS6detail17trampoline_kernelINS0_14default_configENS1_20scan_config_selectorIfEEZZNS1_9scan_implILNS1_25lookback_scan_determinismE0ELb0ELb0ES3_PKfPffZZZN2at6native31launch_logcumsumexp_cuda_kernelERKNSB_10TensorBaseESF_lENKUlvE_clEvENKUlvE0_clEvEUlffE_fEEDaPvRmT3_T4_T5_mT6_P12ihipStream_tbENKUlT_T0_E_clISt17integral_constantIbLb1EESW_EEDaSR_SS_EUlSR_E0_NS1_11comp_targetILNS1_3genE10ELNS1_11target_archE1200ELNS1_3gpuE4ELNS1_3repE0EEENS1_30default_config_static_selectorELNS0_4arch9wavefront6targetE1EEEvT1_
                                        ; -- End function
	.section	.AMDGPU.csdata,"",@progbits
; Kernel info:
; codeLenInByte = 0
; NumSgprs: 6
; NumVgprs: 0
; NumAgprs: 0
; TotalNumVgprs: 0
; ScratchSize: 0
; MemoryBound: 0
; FloatMode: 240
; IeeeMode: 1
; LDSByteSize: 0 bytes/workgroup (compile time only)
; SGPRBlocks: 0
; VGPRBlocks: 0
; NumSGPRsForWavesPerEU: 6
; NumVGPRsForWavesPerEU: 1
; AccumOffset: 4
; Occupancy: 8
; WaveLimiterHint : 0
; COMPUTE_PGM_RSRC2:SCRATCH_EN: 0
; COMPUTE_PGM_RSRC2:USER_SGPR: 2
; COMPUTE_PGM_RSRC2:TRAP_HANDLER: 0
; COMPUTE_PGM_RSRC2:TGID_X_EN: 1
; COMPUTE_PGM_RSRC2:TGID_Y_EN: 0
; COMPUTE_PGM_RSRC2:TGID_Z_EN: 0
; COMPUTE_PGM_RSRC2:TIDIG_COMP_CNT: 0
; COMPUTE_PGM_RSRC3_GFX90A:ACCUM_OFFSET: 0
; COMPUTE_PGM_RSRC3_GFX90A:TG_SPLIT: 0
	.section	.text._ZN7rocprim17ROCPRIM_400000_NS6detail17trampoline_kernelINS0_14default_configENS1_20scan_config_selectorIfEEZZNS1_9scan_implILNS1_25lookback_scan_determinismE0ELb0ELb0ES3_PKfPffZZZN2at6native31launch_logcumsumexp_cuda_kernelERKNSB_10TensorBaseESF_lENKUlvE_clEvENKUlvE0_clEvEUlffE_fEEDaPvRmT3_T4_T5_mT6_P12ihipStream_tbENKUlT_T0_E_clISt17integral_constantIbLb1EESW_EEDaSR_SS_EUlSR_E0_NS1_11comp_targetILNS1_3genE9ELNS1_11target_archE1100ELNS1_3gpuE3ELNS1_3repE0EEENS1_30default_config_static_selectorELNS0_4arch9wavefront6targetE1EEEvT1_,"axG",@progbits,_ZN7rocprim17ROCPRIM_400000_NS6detail17trampoline_kernelINS0_14default_configENS1_20scan_config_selectorIfEEZZNS1_9scan_implILNS1_25lookback_scan_determinismE0ELb0ELb0ES3_PKfPffZZZN2at6native31launch_logcumsumexp_cuda_kernelERKNSB_10TensorBaseESF_lENKUlvE_clEvENKUlvE0_clEvEUlffE_fEEDaPvRmT3_T4_T5_mT6_P12ihipStream_tbENKUlT_T0_E_clISt17integral_constantIbLb1EESW_EEDaSR_SS_EUlSR_E0_NS1_11comp_targetILNS1_3genE9ELNS1_11target_archE1100ELNS1_3gpuE3ELNS1_3repE0EEENS1_30default_config_static_selectorELNS0_4arch9wavefront6targetE1EEEvT1_,comdat
	.globl	_ZN7rocprim17ROCPRIM_400000_NS6detail17trampoline_kernelINS0_14default_configENS1_20scan_config_selectorIfEEZZNS1_9scan_implILNS1_25lookback_scan_determinismE0ELb0ELb0ES3_PKfPffZZZN2at6native31launch_logcumsumexp_cuda_kernelERKNSB_10TensorBaseESF_lENKUlvE_clEvENKUlvE0_clEvEUlffE_fEEDaPvRmT3_T4_T5_mT6_P12ihipStream_tbENKUlT_T0_E_clISt17integral_constantIbLb1EESW_EEDaSR_SS_EUlSR_E0_NS1_11comp_targetILNS1_3genE9ELNS1_11target_archE1100ELNS1_3gpuE3ELNS1_3repE0EEENS1_30default_config_static_selectorELNS0_4arch9wavefront6targetE1EEEvT1_ ; -- Begin function _ZN7rocprim17ROCPRIM_400000_NS6detail17trampoline_kernelINS0_14default_configENS1_20scan_config_selectorIfEEZZNS1_9scan_implILNS1_25lookback_scan_determinismE0ELb0ELb0ES3_PKfPffZZZN2at6native31launch_logcumsumexp_cuda_kernelERKNSB_10TensorBaseESF_lENKUlvE_clEvENKUlvE0_clEvEUlffE_fEEDaPvRmT3_T4_T5_mT6_P12ihipStream_tbENKUlT_T0_E_clISt17integral_constantIbLb1EESW_EEDaSR_SS_EUlSR_E0_NS1_11comp_targetILNS1_3genE9ELNS1_11target_archE1100ELNS1_3gpuE3ELNS1_3repE0EEENS1_30default_config_static_selectorELNS0_4arch9wavefront6targetE1EEEvT1_
	.p2align	8
	.type	_ZN7rocprim17ROCPRIM_400000_NS6detail17trampoline_kernelINS0_14default_configENS1_20scan_config_selectorIfEEZZNS1_9scan_implILNS1_25lookback_scan_determinismE0ELb0ELb0ES3_PKfPffZZZN2at6native31launch_logcumsumexp_cuda_kernelERKNSB_10TensorBaseESF_lENKUlvE_clEvENKUlvE0_clEvEUlffE_fEEDaPvRmT3_T4_T5_mT6_P12ihipStream_tbENKUlT_T0_E_clISt17integral_constantIbLb1EESW_EEDaSR_SS_EUlSR_E0_NS1_11comp_targetILNS1_3genE9ELNS1_11target_archE1100ELNS1_3gpuE3ELNS1_3repE0EEENS1_30default_config_static_selectorELNS0_4arch9wavefront6targetE1EEEvT1_,@function
_ZN7rocprim17ROCPRIM_400000_NS6detail17trampoline_kernelINS0_14default_configENS1_20scan_config_selectorIfEEZZNS1_9scan_implILNS1_25lookback_scan_determinismE0ELb0ELb0ES3_PKfPffZZZN2at6native31launch_logcumsumexp_cuda_kernelERKNSB_10TensorBaseESF_lENKUlvE_clEvENKUlvE0_clEvEUlffE_fEEDaPvRmT3_T4_T5_mT6_P12ihipStream_tbENKUlT_T0_E_clISt17integral_constantIbLb1EESW_EEDaSR_SS_EUlSR_E0_NS1_11comp_targetILNS1_3genE9ELNS1_11target_archE1100ELNS1_3gpuE3ELNS1_3repE0EEENS1_30default_config_static_selectorELNS0_4arch9wavefront6targetE1EEEvT1_: ; @_ZN7rocprim17ROCPRIM_400000_NS6detail17trampoline_kernelINS0_14default_configENS1_20scan_config_selectorIfEEZZNS1_9scan_implILNS1_25lookback_scan_determinismE0ELb0ELb0ES3_PKfPffZZZN2at6native31launch_logcumsumexp_cuda_kernelERKNSB_10TensorBaseESF_lENKUlvE_clEvENKUlvE0_clEvEUlffE_fEEDaPvRmT3_T4_T5_mT6_P12ihipStream_tbENKUlT_T0_E_clISt17integral_constantIbLb1EESW_EEDaSR_SS_EUlSR_E0_NS1_11comp_targetILNS1_3genE9ELNS1_11target_archE1100ELNS1_3gpuE3ELNS1_3repE0EEENS1_30default_config_static_selectorELNS0_4arch9wavefront6targetE1EEEvT1_
; %bb.0:
	.section	.rodata,"a",@progbits
	.p2align	6, 0x0
	.amdhsa_kernel _ZN7rocprim17ROCPRIM_400000_NS6detail17trampoline_kernelINS0_14default_configENS1_20scan_config_selectorIfEEZZNS1_9scan_implILNS1_25lookback_scan_determinismE0ELb0ELb0ES3_PKfPffZZZN2at6native31launch_logcumsumexp_cuda_kernelERKNSB_10TensorBaseESF_lENKUlvE_clEvENKUlvE0_clEvEUlffE_fEEDaPvRmT3_T4_T5_mT6_P12ihipStream_tbENKUlT_T0_E_clISt17integral_constantIbLb1EESW_EEDaSR_SS_EUlSR_E0_NS1_11comp_targetILNS1_3genE9ELNS1_11target_archE1100ELNS1_3gpuE3ELNS1_3repE0EEENS1_30default_config_static_selectorELNS0_4arch9wavefront6targetE1EEEvT1_
		.amdhsa_group_segment_fixed_size 0
		.amdhsa_private_segment_fixed_size 0
		.amdhsa_kernarg_size 32
		.amdhsa_user_sgpr_count 2
		.amdhsa_user_sgpr_dispatch_ptr 0
		.amdhsa_user_sgpr_queue_ptr 0
		.amdhsa_user_sgpr_kernarg_segment_ptr 1
		.amdhsa_user_sgpr_dispatch_id 0
		.amdhsa_user_sgpr_kernarg_preload_length 0
		.amdhsa_user_sgpr_kernarg_preload_offset 0
		.amdhsa_user_sgpr_private_segment_size 0
		.amdhsa_uses_dynamic_stack 0
		.amdhsa_enable_private_segment 0
		.amdhsa_system_sgpr_workgroup_id_x 1
		.amdhsa_system_sgpr_workgroup_id_y 0
		.amdhsa_system_sgpr_workgroup_id_z 0
		.amdhsa_system_sgpr_workgroup_info 0
		.amdhsa_system_vgpr_workitem_id 0
		.amdhsa_next_free_vgpr 1
		.amdhsa_next_free_sgpr 0
		.amdhsa_accum_offset 4
		.amdhsa_reserve_vcc 0
		.amdhsa_float_round_mode_32 0
		.amdhsa_float_round_mode_16_64 0
		.amdhsa_float_denorm_mode_32 3
		.amdhsa_float_denorm_mode_16_64 3
		.amdhsa_dx10_clamp 1
		.amdhsa_ieee_mode 1
		.amdhsa_fp16_overflow 0
		.amdhsa_tg_split 0
		.amdhsa_exception_fp_ieee_invalid_op 0
		.amdhsa_exception_fp_denorm_src 0
		.amdhsa_exception_fp_ieee_div_zero 0
		.amdhsa_exception_fp_ieee_overflow 0
		.amdhsa_exception_fp_ieee_underflow 0
		.amdhsa_exception_fp_ieee_inexact 0
		.amdhsa_exception_int_div_zero 0
	.end_amdhsa_kernel
	.section	.text._ZN7rocprim17ROCPRIM_400000_NS6detail17trampoline_kernelINS0_14default_configENS1_20scan_config_selectorIfEEZZNS1_9scan_implILNS1_25lookback_scan_determinismE0ELb0ELb0ES3_PKfPffZZZN2at6native31launch_logcumsumexp_cuda_kernelERKNSB_10TensorBaseESF_lENKUlvE_clEvENKUlvE0_clEvEUlffE_fEEDaPvRmT3_T4_T5_mT6_P12ihipStream_tbENKUlT_T0_E_clISt17integral_constantIbLb1EESW_EEDaSR_SS_EUlSR_E0_NS1_11comp_targetILNS1_3genE9ELNS1_11target_archE1100ELNS1_3gpuE3ELNS1_3repE0EEENS1_30default_config_static_selectorELNS0_4arch9wavefront6targetE1EEEvT1_,"axG",@progbits,_ZN7rocprim17ROCPRIM_400000_NS6detail17trampoline_kernelINS0_14default_configENS1_20scan_config_selectorIfEEZZNS1_9scan_implILNS1_25lookback_scan_determinismE0ELb0ELb0ES3_PKfPffZZZN2at6native31launch_logcumsumexp_cuda_kernelERKNSB_10TensorBaseESF_lENKUlvE_clEvENKUlvE0_clEvEUlffE_fEEDaPvRmT3_T4_T5_mT6_P12ihipStream_tbENKUlT_T0_E_clISt17integral_constantIbLb1EESW_EEDaSR_SS_EUlSR_E0_NS1_11comp_targetILNS1_3genE9ELNS1_11target_archE1100ELNS1_3gpuE3ELNS1_3repE0EEENS1_30default_config_static_selectorELNS0_4arch9wavefront6targetE1EEEvT1_,comdat
.Lfunc_end137:
	.size	_ZN7rocprim17ROCPRIM_400000_NS6detail17trampoline_kernelINS0_14default_configENS1_20scan_config_selectorIfEEZZNS1_9scan_implILNS1_25lookback_scan_determinismE0ELb0ELb0ES3_PKfPffZZZN2at6native31launch_logcumsumexp_cuda_kernelERKNSB_10TensorBaseESF_lENKUlvE_clEvENKUlvE0_clEvEUlffE_fEEDaPvRmT3_T4_T5_mT6_P12ihipStream_tbENKUlT_T0_E_clISt17integral_constantIbLb1EESW_EEDaSR_SS_EUlSR_E0_NS1_11comp_targetILNS1_3genE9ELNS1_11target_archE1100ELNS1_3gpuE3ELNS1_3repE0EEENS1_30default_config_static_selectorELNS0_4arch9wavefront6targetE1EEEvT1_, .Lfunc_end137-_ZN7rocprim17ROCPRIM_400000_NS6detail17trampoline_kernelINS0_14default_configENS1_20scan_config_selectorIfEEZZNS1_9scan_implILNS1_25lookback_scan_determinismE0ELb0ELb0ES3_PKfPffZZZN2at6native31launch_logcumsumexp_cuda_kernelERKNSB_10TensorBaseESF_lENKUlvE_clEvENKUlvE0_clEvEUlffE_fEEDaPvRmT3_T4_T5_mT6_P12ihipStream_tbENKUlT_T0_E_clISt17integral_constantIbLb1EESW_EEDaSR_SS_EUlSR_E0_NS1_11comp_targetILNS1_3genE9ELNS1_11target_archE1100ELNS1_3gpuE3ELNS1_3repE0EEENS1_30default_config_static_selectorELNS0_4arch9wavefront6targetE1EEEvT1_
                                        ; -- End function
	.section	.AMDGPU.csdata,"",@progbits
; Kernel info:
; codeLenInByte = 0
; NumSgprs: 6
; NumVgprs: 0
; NumAgprs: 0
; TotalNumVgprs: 0
; ScratchSize: 0
; MemoryBound: 0
; FloatMode: 240
; IeeeMode: 1
; LDSByteSize: 0 bytes/workgroup (compile time only)
; SGPRBlocks: 0
; VGPRBlocks: 0
; NumSGPRsForWavesPerEU: 6
; NumVGPRsForWavesPerEU: 1
; AccumOffset: 4
; Occupancy: 8
; WaveLimiterHint : 0
; COMPUTE_PGM_RSRC2:SCRATCH_EN: 0
; COMPUTE_PGM_RSRC2:USER_SGPR: 2
; COMPUTE_PGM_RSRC2:TRAP_HANDLER: 0
; COMPUTE_PGM_RSRC2:TGID_X_EN: 1
; COMPUTE_PGM_RSRC2:TGID_Y_EN: 0
; COMPUTE_PGM_RSRC2:TGID_Z_EN: 0
; COMPUTE_PGM_RSRC2:TIDIG_COMP_CNT: 0
; COMPUTE_PGM_RSRC3_GFX90A:ACCUM_OFFSET: 0
; COMPUTE_PGM_RSRC3_GFX90A:TG_SPLIT: 0
	.section	.text._ZN7rocprim17ROCPRIM_400000_NS6detail17trampoline_kernelINS0_14default_configENS1_20scan_config_selectorIfEEZZNS1_9scan_implILNS1_25lookback_scan_determinismE0ELb0ELb0ES3_PKfPffZZZN2at6native31launch_logcumsumexp_cuda_kernelERKNSB_10TensorBaseESF_lENKUlvE_clEvENKUlvE0_clEvEUlffE_fEEDaPvRmT3_T4_T5_mT6_P12ihipStream_tbENKUlT_T0_E_clISt17integral_constantIbLb1EESW_EEDaSR_SS_EUlSR_E0_NS1_11comp_targetILNS1_3genE8ELNS1_11target_archE1030ELNS1_3gpuE2ELNS1_3repE0EEENS1_30default_config_static_selectorELNS0_4arch9wavefront6targetE1EEEvT1_,"axG",@progbits,_ZN7rocprim17ROCPRIM_400000_NS6detail17trampoline_kernelINS0_14default_configENS1_20scan_config_selectorIfEEZZNS1_9scan_implILNS1_25lookback_scan_determinismE0ELb0ELb0ES3_PKfPffZZZN2at6native31launch_logcumsumexp_cuda_kernelERKNSB_10TensorBaseESF_lENKUlvE_clEvENKUlvE0_clEvEUlffE_fEEDaPvRmT3_T4_T5_mT6_P12ihipStream_tbENKUlT_T0_E_clISt17integral_constantIbLb1EESW_EEDaSR_SS_EUlSR_E0_NS1_11comp_targetILNS1_3genE8ELNS1_11target_archE1030ELNS1_3gpuE2ELNS1_3repE0EEENS1_30default_config_static_selectorELNS0_4arch9wavefront6targetE1EEEvT1_,comdat
	.globl	_ZN7rocprim17ROCPRIM_400000_NS6detail17trampoline_kernelINS0_14default_configENS1_20scan_config_selectorIfEEZZNS1_9scan_implILNS1_25lookback_scan_determinismE0ELb0ELb0ES3_PKfPffZZZN2at6native31launch_logcumsumexp_cuda_kernelERKNSB_10TensorBaseESF_lENKUlvE_clEvENKUlvE0_clEvEUlffE_fEEDaPvRmT3_T4_T5_mT6_P12ihipStream_tbENKUlT_T0_E_clISt17integral_constantIbLb1EESW_EEDaSR_SS_EUlSR_E0_NS1_11comp_targetILNS1_3genE8ELNS1_11target_archE1030ELNS1_3gpuE2ELNS1_3repE0EEENS1_30default_config_static_selectorELNS0_4arch9wavefront6targetE1EEEvT1_ ; -- Begin function _ZN7rocprim17ROCPRIM_400000_NS6detail17trampoline_kernelINS0_14default_configENS1_20scan_config_selectorIfEEZZNS1_9scan_implILNS1_25lookback_scan_determinismE0ELb0ELb0ES3_PKfPffZZZN2at6native31launch_logcumsumexp_cuda_kernelERKNSB_10TensorBaseESF_lENKUlvE_clEvENKUlvE0_clEvEUlffE_fEEDaPvRmT3_T4_T5_mT6_P12ihipStream_tbENKUlT_T0_E_clISt17integral_constantIbLb1EESW_EEDaSR_SS_EUlSR_E0_NS1_11comp_targetILNS1_3genE8ELNS1_11target_archE1030ELNS1_3gpuE2ELNS1_3repE0EEENS1_30default_config_static_selectorELNS0_4arch9wavefront6targetE1EEEvT1_
	.p2align	8
	.type	_ZN7rocprim17ROCPRIM_400000_NS6detail17trampoline_kernelINS0_14default_configENS1_20scan_config_selectorIfEEZZNS1_9scan_implILNS1_25lookback_scan_determinismE0ELb0ELb0ES3_PKfPffZZZN2at6native31launch_logcumsumexp_cuda_kernelERKNSB_10TensorBaseESF_lENKUlvE_clEvENKUlvE0_clEvEUlffE_fEEDaPvRmT3_T4_T5_mT6_P12ihipStream_tbENKUlT_T0_E_clISt17integral_constantIbLb1EESW_EEDaSR_SS_EUlSR_E0_NS1_11comp_targetILNS1_3genE8ELNS1_11target_archE1030ELNS1_3gpuE2ELNS1_3repE0EEENS1_30default_config_static_selectorELNS0_4arch9wavefront6targetE1EEEvT1_,@function
_ZN7rocprim17ROCPRIM_400000_NS6detail17trampoline_kernelINS0_14default_configENS1_20scan_config_selectorIfEEZZNS1_9scan_implILNS1_25lookback_scan_determinismE0ELb0ELb0ES3_PKfPffZZZN2at6native31launch_logcumsumexp_cuda_kernelERKNSB_10TensorBaseESF_lENKUlvE_clEvENKUlvE0_clEvEUlffE_fEEDaPvRmT3_T4_T5_mT6_P12ihipStream_tbENKUlT_T0_E_clISt17integral_constantIbLb1EESW_EEDaSR_SS_EUlSR_E0_NS1_11comp_targetILNS1_3genE8ELNS1_11target_archE1030ELNS1_3gpuE2ELNS1_3repE0EEENS1_30default_config_static_selectorELNS0_4arch9wavefront6targetE1EEEvT1_: ; @_ZN7rocprim17ROCPRIM_400000_NS6detail17trampoline_kernelINS0_14default_configENS1_20scan_config_selectorIfEEZZNS1_9scan_implILNS1_25lookback_scan_determinismE0ELb0ELb0ES3_PKfPffZZZN2at6native31launch_logcumsumexp_cuda_kernelERKNSB_10TensorBaseESF_lENKUlvE_clEvENKUlvE0_clEvEUlffE_fEEDaPvRmT3_T4_T5_mT6_P12ihipStream_tbENKUlT_T0_E_clISt17integral_constantIbLb1EESW_EEDaSR_SS_EUlSR_E0_NS1_11comp_targetILNS1_3genE8ELNS1_11target_archE1030ELNS1_3gpuE2ELNS1_3repE0EEENS1_30default_config_static_selectorELNS0_4arch9wavefront6targetE1EEEvT1_
; %bb.0:
	.section	.rodata,"a",@progbits
	.p2align	6, 0x0
	.amdhsa_kernel _ZN7rocprim17ROCPRIM_400000_NS6detail17trampoline_kernelINS0_14default_configENS1_20scan_config_selectorIfEEZZNS1_9scan_implILNS1_25lookback_scan_determinismE0ELb0ELb0ES3_PKfPffZZZN2at6native31launch_logcumsumexp_cuda_kernelERKNSB_10TensorBaseESF_lENKUlvE_clEvENKUlvE0_clEvEUlffE_fEEDaPvRmT3_T4_T5_mT6_P12ihipStream_tbENKUlT_T0_E_clISt17integral_constantIbLb1EESW_EEDaSR_SS_EUlSR_E0_NS1_11comp_targetILNS1_3genE8ELNS1_11target_archE1030ELNS1_3gpuE2ELNS1_3repE0EEENS1_30default_config_static_selectorELNS0_4arch9wavefront6targetE1EEEvT1_
		.amdhsa_group_segment_fixed_size 0
		.amdhsa_private_segment_fixed_size 0
		.amdhsa_kernarg_size 32
		.amdhsa_user_sgpr_count 2
		.amdhsa_user_sgpr_dispatch_ptr 0
		.amdhsa_user_sgpr_queue_ptr 0
		.amdhsa_user_sgpr_kernarg_segment_ptr 1
		.amdhsa_user_sgpr_dispatch_id 0
		.amdhsa_user_sgpr_kernarg_preload_length 0
		.amdhsa_user_sgpr_kernarg_preload_offset 0
		.amdhsa_user_sgpr_private_segment_size 0
		.amdhsa_uses_dynamic_stack 0
		.amdhsa_enable_private_segment 0
		.amdhsa_system_sgpr_workgroup_id_x 1
		.amdhsa_system_sgpr_workgroup_id_y 0
		.amdhsa_system_sgpr_workgroup_id_z 0
		.amdhsa_system_sgpr_workgroup_info 0
		.amdhsa_system_vgpr_workitem_id 0
		.amdhsa_next_free_vgpr 1
		.amdhsa_next_free_sgpr 0
		.amdhsa_accum_offset 4
		.amdhsa_reserve_vcc 0
		.amdhsa_float_round_mode_32 0
		.amdhsa_float_round_mode_16_64 0
		.amdhsa_float_denorm_mode_32 3
		.amdhsa_float_denorm_mode_16_64 3
		.amdhsa_dx10_clamp 1
		.amdhsa_ieee_mode 1
		.amdhsa_fp16_overflow 0
		.amdhsa_tg_split 0
		.amdhsa_exception_fp_ieee_invalid_op 0
		.amdhsa_exception_fp_denorm_src 0
		.amdhsa_exception_fp_ieee_div_zero 0
		.amdhsa_exception_fp_ieee_overflow 0
		.amdhsa_exception_fp_ieee_underflow 0
		.amdhsa_exception_fp_ieee_inexact 0
		.amdhsa_exception_int_div_zero 0
	.end_amdhsa_kernel
	.section	.text._ZN7rocprim17ROCPRIM_400000_NS6detail17trampoline_kernelINS0_14default_configENS1_20scan_config_selectorIfEEZZNS1_9scan_implILNS1_25lookback_scan_determinismE0ELb0ELb0ES3_PKfPffZZZN2at6native31launch_logcumsumexp_cuda_kernelERKNSB_10TensorBaseESF_lENKUlvE_clEvENKUlvE0_clEvEUlffE_fEEDaPvRmT3_T4_T5_mT6_P12ihipStream_tbENKUlT_T0_E_clISt17integral_constantIbLb1EESW_EEDaSR_SS_EUlSR_E0_NS1_11comp_targetILNS1_3genE8ELNS1_11target_archE1030ELNS1_3gpuE2ELNS1_3repE0EEENS1_30default_config_static_selectorELNS0_4arch9wavefront6targetE1EEEvT1_,"axG",@progbits,_ZN7rocprim17ROCPRIM_400000_NS6detail17trampoline_kernelINS0_14default_configENS1_20scan_config_selectorIfEEZZNS1_9scan_implILNS1_25lookback_scan_determinismE0ELb0ELb0ES3_PKfPffZZZN2at6native31launch_logcumsumexp_cuda_kernelERKNSB_10TensorBaseESF_lENKUlvE_clEvENKUlvE0_clEvEUlffE_fEEDaPvRmT3_T4_T5_mT6_P12ihipStream_tbENKUlT_T0_E_clISt17integral_constantIbLb1EESW_EEDaSR_SS_EUlSR_E0_NS1_11comp_targetILNS1_3genE8ELNS1_11target_archE1030ELNS1_3gpuE2ELNS1_3repE0EEENS1_30default_config_static_selectorELNS0_4arch9wavefront6targetE1EEEvT1_,comdat
.Lfunc_end138:
	.size	_ZN7rocprim17ROCPRIM_400000_NS6detail17trampoline_kernelINS0_14default_configENS1_20scan_config_selectorIfEEZZNS1_9scan_implILNS1_25lookback_scan_determinismE0ELb0ELb0ES3_PKfPffZZZN2at6native31launch_logcumsumexp_cuda_kernelERKNSB_10TensorBaseESF_lENKUlvE_clEvENKUlvE0_clEvEUlffE_fEEDaPvRmT3_T4_T5_mT6_P12ihipStream_tbENKUlT_T0_E_clISt17integral_constantIbLb1EESW_EEDaSR_SS_EUlSR_E0_NS1_11comp_targetILNS1_3genE8ELNS1_11target_archE1030ELNS1_3gpuE2ELNS1_3repE0EEENS1_30default_config_static_selectorELNS0_4arch9wavefront6targetE1EEEvT1_, .Lfunc_end138-_ZN7rocprim17ROCPRIM_400000_NS6detail17trampoline_kernelINS0_14default_configENS1_20scan_config_selectorIfEEZZNS1_9scan_implILNS1_25lookback_scan_determinismE0ELb0ELb0ES3_PKfPffZZZN2at6native31launch_logcumsumexp_cuda_kernelERKNSB_10TensorBaseESF_lENKUlvE_clEvENKUlvE0_clEvEUlffE_fEEDaPvRmT3_T4_T5_mT6_P12ihipStream_tbENKUlT_T0_E_clISt17integral_constantIbLb1EESW_EEDaSR_SS_EUlSR_E0_NS1_11comp_targetILNS1_3genE8ELNS1_11target_archE1030ELNS1_3gpuE2ELNS1_3repE0EEENS1_30default_config_static_selectorELNS0_4arch9wavefront6targetE1EEEvT1_
                                        ; -- End function
	.section	.AMDGPU.csdata,"",@progbits
; Kernel info:
; codeLenInByte = 0
; NumSgprs: 6
; NumVgprs: 0
; NumAgprs: 0
; TotalNumVgprs: 0
; ScratchSize: 0
; MemoryBound: 0
; FloatMode: 240
; IeeeMode: 1
; LDSByteSize: 0 bytes/workgroup (compile time only)
; SGPRBlocks: 0
; VGPRBlocks: 0
; NumSGPRsForWavesPerEU: 6
; NumVGPRsForWavesPerEU: 1
; AccumOffset: 4
; Occupancy: 8
; WaveLimiterHint : 0
; COMPUTE_PGM_RSRC2:SCRATCH_EN: 0
; COMPUTE_PGM_RSRC2:USER_SGPR: 2
; COMPUTE_PGM_RSRC2:TRAP_HANDLER: 0
; COMPUTE_PGM_RSRC2:TGID_X_EN: 1
; COMPUTE_PGM_RSRC2:TGID_Y_EN: 0
; COMPUTE_PGM_RSRC2:TGID_Z_EN: 0
; COMPUTE_PGM_RSRC2:TIDIG_COMP_CNT: 0
; COMPUTE_PGM_RSRC3_GFX90A:ACCUM_OFFSET: 0
; COMPUTE_PGM_RSRC3_GFX90A:TG_SPLIT: 0
	.section	.text._ZN7rocprim17ROCPRIM_400000_NS6detail31init_lookback_scan_state_kernelINS1_19lookback_scan_stateIfLb1ELb1EEENS1_16block_id_wrapperIjLb0EEEEEvT_jT0_jPNS7_10value_typeE,"axG",@progbits,_ZN7rocprim17ROCPRIM_400000_NS6detail31init_lookback_scan_state_kernelINS1_19lookback_scan_stateIfLb1ELb1EEENS1_16block_id_wrapperIjLb0EEEEEvT_jT0_jPNS7_10value_typeE,comdat
	.protected	_ZN7rocprim17ROCPRIM_400000_NS6detail31init_lookback_scan_state_kernelINS1_19lookback_scan_stateIfLb1ELb1EEENS1_16block_id_wrapperIjLb0EEEEEvT_jT0_jPNS7_10value_typeE ; -- Begin function _ZN7rocprim17ROCPRIM_400000_NS6detail31init_lookback_scan_state_kernelINS1_19lookback_scan_stateIfLb1ELb1EEENS1_16block_id_wrapperIjLb0EEEEEvT_jT0_jPNS7_10value_typeE
	.globl	_ZN7rocprim17ROCPRIM_400000_NS6detail31init_lookback_scan_state_kernelINS1_19lookback_scan_stateIfLb1ELb1EEENS1_16block_id_wrapperIjLb0EEEEEvT_jT0_jPNS7_10value_typeE
	.p2align	8
	.type	_ZN7rocprim17ROCPRIM_400000_NS6detail31init_lookback_scan_state_kernelINS1_19lookback_scan_stateIfLb1ELb1EEENS1_16block_id_wrapperIjLb0EEEEEvT_jT0_jPNS7_10value_typeE,@function
_ZN7rocprim17ROCPRIM_400000_NS6detail31init_lookback_scan_state_kernelINS1_19lookback_scan_stateIfLb1ELb1EEENS1_16block_id_wrapperIjLb0EEEEEvT_jT0_jPNS7_10value_typeE: ; @_ZN7rocprim17ROCPRIM_400000_NS6detail31init_lookback_scan_state_kernelINS1_19lookback_scan_stateIfLb1ELb1EEENS1_16block_id_wrapperIjLb0EEEEEvT_jT0_jPNS7_10value_typeE
; %bb.0:
	s_load_dword s3, s[0:1], 0x2c
	s_load_dwordx2 s[6:7], s[0:1], 0x18
	s_load_dwordx2 s[4:5], s[0:1], 0x0
	s_load_dword s8, s[0:1], 0x8
	s_waitcnt lgkmcnt(0)
	s_and_b32 s3, s3, 0xffff
	s_mul_i32 s2, s2, s3
	s_cmp_eq_u64 s[6:7], 0
	v_add_u32_e32 v0, s2, v0
	s_cbranch_scc1 .LBB139_9
; %bb.1:
	s_load_dword s2, s[0:1], 0x10
	s_mov_b32 s3, 0
	s_waitcnt lgkmcnt(0)
	s_cmp_lt_u32 s2, s8
	s_cselect_b32 s0, s2, 0
	v_cmp_eq_u32_e32 vcc, s0, v0
	s_and_saveexec_b64 s[0:1], vcc
	s_cbranch_execz .LBB139_8
; %bb.2:
	s_add_i32 s2, s2, 64
	s_lshl_b64 s[2:3], s[2:3], 3
	s_add_u32 s2, s4, s2
	s_addc_u32 s3, s5, s3
	v_mov_b32_e32 v2, 0
	global_load_dwordx2 v[4:5], v2, s[2:3] sc1
	s_waitcnt vmcnt(0)
	v_and_b32_e32 v3, 0xff, v5
	v_cmp_ne_u64_e32 vcc, 0, v[2:3]
	s_cbranch_vccnz .LBB139_7
; %bb.3:
	s_mov_b32 s9, 1
.LBB139_4:                              ; =>This Loop Header: Depth=1
                                        ;     Child Loop BB139_5 Depth 2
	s_max_u32 s10, s9, 1
.LBB139_5:                              ;   Parent Loop BB139_4 Depth=1
                                        ; =>  This Inner Loop Header: Depth=2
	s_add_i32 s10, s10, -1
	s_cmp_eq_u32 s10, 0
	s_sleep 1
	s_cbranch_scc0 .LBB139_5
; %bb.6:                                ;   in Loop: Header=BB139_4 Depth=1
	global_load_dwordx2 v[4:5], v2, s[2:3] sc1
	s_cmp_lt_u32 s9, 32
	s_cselect_b64 s[10:11], -1, 0
	s_cmp_lg_u64 s[10:11], 0
	s_addc_u32 s9, s9, 0
	s_waitcnt vmcnt(0)
	v_and_b32_e32 v3, 0xff, v5
	v_cmp_ne_u64_e32 vcc, 0, v[2:3]
	s_cbranch_vccz .LBB139_4
.LBB139_7:
	v_mov_b32_e32 v1, 0
	global_store_dword v1, v4, s[6:7]
.LBB139_8:
	s_or_b64 exec, exec, s[0:1]
.LBB139_9:
	v_cmp_gt_u32_e32 vcc, s8, v0
	s_and_saveexec_b64 s[0:1], vcc
	s_cbranch_execnz .LBB139_12
; %bb.10:
	s_or_b64 exec, exec, s[0:1]
	v_cmp_gt_u32_e32 vcc, 64, v0
	s_and_saveexec_b64 s[0:1], vcc
	s_cbranch_execnz .LBB139_13
.LBB139_11:
	s_endpgm
.LBB139_12:
	v_add_u32_e32 v2, 64, v0
	v_mov_b32_e32 v3, 0
	v_lshl_add_u64 v[4:5], v[2:3], 3, s[4:5]
	v_mov_b32_e32 v2, v3
	global_store_dwordx2 v[4:5], v[2:3], off
	s_or_b64 exec, exec, s[0:1]
	v_cmp_gt_u32_e32 vcc, 64, v0
	s_and_saveexec_b64 s[0:1], vcc
	s_cbranch_execz .LBB139_11
.LBB139_13:
	v_mov_b32_e32 v1, 0
	v_lshl_add_u64 v[2:3], v[0:1], 3, s[4:5]
	v_mov_b32_e32 v5, 0xff
	v_mov_b32_e32 v4, v1
	global_store_dwordx2 v[2:3], v[4:5], off
	s_endpgm
	.section	.rodata,"a",@progbits
	.p2align	6, 0x0
	.amdhsa_kernel _ZN7rocprim17ROCPRIM_400000_NS6detail31init_lookback_scan_state_kernelINS1_19lookback_scan_stateIfLb1ELb1EEENS1_16block_id_wrapperIjLb0EEEEEvT_jT0_jPNS7_10value_typeE
		.amdhsa_group_segment_fixed_size 0
		.amdhsa_private_segment_fixed_size 0
		.amdhsa_kernarg_size 288
		.amdhsa_user_sgpr_count 2
		.amdhsa_user_sgpr_dispatch_ptr 0
		.amdhsa_user_sgpr_queue_ptr 0
		.amdhsa_user_sgpr_kernarg_segment_ptr 1
		.amdhsa_user_sgpr_dispatch_id 0
		.amdhsa_user_sgpr_kernarg_preload_length 0
		.amdhsa_user_sgpr_kernarg_preload_offset 0
		.amdhsa_user_sgpr_private_segment_size 0
		.amdhsa_uses_dynamic_stack 0
		.amdhsa_enable_private_segment 0
		.amdhsa_system_sgpr_workgroup_id_x 1
		.amdhsa_system_sgpr_workgroup_id_y 0
		.amdhsa_system_sgpr_workgroup_id_z 0
		.amdhsa_system_sgpr_workgroup_info 0
		.amdhsa_system_vgpr_workitem_id 0
		.amdhsa_next_free_vgpr 6
		.amdhsa_next_free_sgpr 12
		.amdhsa_accum_offset 8
		.amdhsa_reserve_vcc 1
		.amdhsa_float_round_mode_32 0
		.amdhsa_float_round_mode_16_64 0
		.amdhsa_float_denorm_mode_32 3
		.amdhsa_float_denorm_mode_16_64 3
		.amdhsa_dx10_clamp 1
		.amdhsa_ieee_mode 1
		.amdhsa_fp16_overflow 0
		.amdhsa_tg_split 0
		.amdhsa_exception_fp_ieee_invalid_op 0
		.amdhsa_exception_fp_denorm_src 0
		.amdhsa_exception_fp_ieee_div_zero 0
		.amdhsa_exception_fp_ieee_overflow 0
		.amdhsa_exception_fp_ieee_underflow 0
		.amdhsa_exception_fp_ieee_inexact 0
		.amdhsa_exception_int_div_zero 0
	.end_amdhsa_kernel
	.section	.text._ZN7rocprim17ROCPRIM_400000_NS6detail31init_lookback_scan_state_kernelINS1_19lookback_scan_stateIfLb1ELb1EEENS1_16block_id_wrapperIjLb0EEEEEvT_jT0_jPNS7_10value_typeE,"axG",@progbits,_ZN7rocprim17ROCPRIM_400000_NS6detail31init_lookback_scan_state_kernelINS1_19lookback_scan_stateIfLb1ELb1EEENS1_16block_id_wrapperIjLb0EEEEEvT_jT0_jPNS7_10value_typeE,comdat
.Lfunc_end139:
	.size	_ZN7rocprim17ROCPRIM_400000_NS6detail31init_lookback_scan_state_kernelINS1_19lookback_scan_stateIfLb1ELb1EEENS1_16block_id_wrapperIjLb0EEEEEvT_jT0_jPNS7_10value_typeE, .Lfunc_end139-_ZN7rocprim17ROCPRIM_400000_NS6detail31init_lookback_scan_state_kernelINS1_19lookback_scan_stateIfLb1ELb1EEENS1_16block_id_wrapperIjLb0EEEEEvT_jT0_jPNS7_10value_typeE
                                        ; -- End function
	.section	.AMDGPU.csdata,"",@progbits
; Kernel info:
; codeLenInByte = 340
; NumSgprs: 18
; NumVgprs: 6
; NumAgprs: 0
; TotalNumVgprs: 6
; ScratchSize: 0
; MemoryBound: 0
; FloatMode: 240
; IeeeMode: 1
; LDSByteSize: 0 bytes/workgroup (compile time only)
; SGPRBlocks: 2
; VGPRBlocks: 0
; NumSGPRsForWavesPerEU: 18
; NumVGPRsForWavesPerEU: 6
; AccumOffset: 8
; Occupancy: 8
; WaveLimiterHint : 0
; COMPUTE_PGM_RSRC2:SCRATCH_EN: 0
; COMPUTE_PGM_RSRC2:USER_SGPR: 2
; COMPUTE_PGM_RSRC2:TRAP_HANDLER: 0
; COMPUTE_PGM_RSRC2:TGID_X_EN: 1
; COMPUTE_PGM_RSRC2:TGID_Y_EN: 0
; COMPUTE_PGM_RSRC2:TGID_Z_EN: 0
; COMPUTE_PGM_RSRC2:TIDIG_COMP_CNT: 0
; COMPUTE_PGM_RSRC3_GFX90A:ACCUM_OFFSET: 1
; COMPUTE_PGM_RSRC3_GFX90A:TG_SPLIT: 0
	.section	.text._ZN7rocprim17ROCPRIM_400000_NS6detail17trampoline_kernelINS0_14default_configENS1_20scan_config_selectorIfEEZZNS1_9scan_implILNS1_25lookback_scan_determinismE0ELb0ELb0ES3_PKfPffZZZN2at6native31launch_logcumsumexp_cuda_kernelERKNSB_10TensorBaseESF_lENKUlvE_clEvENKUlvE0_clEvEUlffE_fEEDaPvRmT3_T4_T5_mT6_P12ihipStream_tbENKUlT_T0_E_clISt17integral_constantIbLb1EESV_IbLb0EEEEDaSR_SS_EUlSR_E_NS1_11comp_targetILNS1_3genE0ELNS1_11target_archE4294967295ELNS1_3gpuE0ELNS1_3repE0EEENS1_30default_config_static_selectorELNS0_4arch9wavefront6targetE1EEEvT1_,"axG",@progbits,_ZN7rocprim17ROCPRIM_400000_NS6detail17trampoline_kernelINS0_14default_configENS1_20scan_config_selectorIfEEZZNS1_9scan_implILNS1_25lookback_scan_determinismE0ELb0ELb0ES3_PKfPffZZZN2at6native31launch_logcumsumexp_cuda_kernelERKNSB_10TensorBaseESF_lENKUlvE_clEvENKUlvE0_clEvEUlffE_fEEDaPvRmT3_T4_T5_mT6_P12ihipStream_tbENKUlT_T0_E_clISt17integral_constantIbLb1EESV_IbLb0EEEEDaSR_SS_EUlSR_E_NS1_11comp_targetILNS1_3genE0ELNS1_11target_archE4294967295ELNS1_3gpuE0ELNS1_3repE0EEENS1_30default_config_static_selectorELNS0_4arch9wavefront6targetE1EEEvT1_,comdat
	.globl	_ZN7rocprim17ROCPRIM_400000_NS6detail17trampoline_kernelINS0_14default_configENS1_20scan_config_selectorIfEEZZNS1_9scan_implILNS1_25lookback_scan_determinismE0ELb0ELb0ES3_PKfPffZZZN2at6native31launch_logcumsumexp_cuda_kernelERKNSB_10TensorBaseESF_lENKUlvE_clEvENKUlvE0_clEvEUlffE_fEEDaPvRmT3_T4_T5_mT6_P12ihipStream_tbENKUlT_T0_E_clISt17integral_constantIbLb1EESV_IbLb0EEEEDaSR_SS_EUlSR_E_NS1_11comp_targetILNS1_3genE0ELNS1_11target_archE4294967295ELNS1_3gpuE0ELNS1_3repE0EEENS1_30default_config_static_selectorELNS0_4arch9wavefront6targetE1EEEvT1_ ; -- Begin function _ZN7rocprim17ROCPRIM_400000_NS6detail17trampoline_kernelINS0_14default_configENS1_20scan_config_selectorIfEEZZNS1_9scan_implILNS1_25lookback_scan_determinismE0ELb0ELb0ES3_PKfPffZZZN2at6native31launch_logcumsumexp_cuda_kernelERKNSB_10TensorBaseESF_lENKUlvE_clEvENKUlvE0_clEvEUlffE_fEEDaPvRmT3_T4_T5_mT6_P12ihipStream_tbENKUlT_T0_E_clISt17integral_constantIbLb1EESV_IbLb0EEEEDaSR_SS_EUlSR_E_NS1_11comp_targetILNS1_3genE0ELNS1_11target_archE4294967295ELNS1_3gpuE0ELNS1_3repE0EEENS1_30default_config_static_selectorELNS0_4arch9wavefront6targetE1EEEvT1_
	.p2align	8
	.type	_ZN7rocprim17ROCPRIM_400000_NS6detail17trampoline_kernelINS0_14default_configENS1_20scan_config_selectorIfEEZZNS1_9scan_implILNS1_25lookback_scan_determinismE0ELb0ELb0ES3_PKfPffZZZN2at6native31launch_logcumsumexp_cuda_kernelERKNSB_10TensorBaseESF_lENKUlvE_clEvENKUlvE0_clEvEUlffE_fEEDaPvRmT3_T4_T5_mT6_P12ihipStream_tbENKUlT_T0_E_clISt17integral_constantIbLb1EESV_IbLb0EEEEDaSR_SS_EUlSR_E_NS1_11comp_targetILNS1_3genE0ELNS1_11target_archE4294967295ELNS1_3gpuE0ELNS1_3repE0EEENS1_30default_config_static_selectorELNS0_4arch9wavefront6targetE1EEEvT1_,@function
_ZN7rocprim17ROCPRIM_400000_NS6detail17trampoline_kernelINS0_14default_configENS1_20scan_config_selectorIfEEZZNS1_9scan_implILNS1_25lookback_scan_determinismE0ELb0ELb0ES3_PKfPffZZZN2at6native31launch_logcumsumexp_cuda_kernelERKNSB_10TensorBaseESF_lENKUlvE_clEvENKUlvE0_clEvEUlffE_fEEDaPvRmT3_T4_T5_mT6_P12ihipStream_tbENKUlT_T0_E_clISt17integral_constantIbLb1EESV_IbLb0EEEEDaSR_SS_EUlSR_E_NS1_11comp_targetILNS1_3genE0ELNS1_11target_archE4294967295ELNS1_3gpuE0ELNS1_3repE0EEENS1_30default_config_static_selectorELNS0_4arch9wavefront6targetE1EEEvT1_: ; @_ZN7rocprim17ROCPRIM_400000_NS6detail17trampoline_kernelINS0_14default_configENS1_20scan_config_selectorIfEEZZNS1_9scan_implILNS1_25lookback_scan_determinismE0ELb0ELb0ES3_PKfPffZZZN2at6native31launch_logcumsumexp_cuda_kernelERKNSB_10TensorBaseESF_lENKUlvE_clEvENKUlvE0_clEvEUlffE_fEEDaPvRmT3_T4_T5_mT6_P12ihipStream_tbENKUlT_T0_E_clISt17integral_constantIbLb1EESV_IbLb0EEEEDaSR_SS_EUlSR_E_NS1_11comp_targetILNS1_3genE0ELNS1_11target_archE4294967295ELNS1_3gpuE0ELNS1_3repE0EEENS1_30default_config_static_selectorELNS0_4arch9wavefront6targetE1EEEvT1_
; %bb.0:
	.section	.rodata,"a",@progbits
	.p2align	6, 0x0
	.amdhsa_kernel _ZN7rocprim17ROCPRIM_400000_NS6detail17trampoline_kernelINS0_14default_configENS1_20scan_config_selectorIfEEZZNS1_9scan_implILNS1_25lookback_scan_determinismE0ELb0ELb0ES3_PKfPffZZZN2at6native31launch_logcumsumexp_cuda_kernelERKNSB_10TensorBaseESF_lENKUlvE_clEvENKUlvE0_clEvEUlffE_fEEDaPvRmT3_T4_T5_mT6_P12ihipStream_tbENKUlT_T0_E_clISt17integral_constantIbLb1EESV_IbLb0EEEEDaSR_SS_EUlSR_E_NS1_11comp_targetILNS1_3genE0ELNS1_11target_archE4294967295ELNS1_3gpuE0ELNS1_3repE0EEENS1_30default_config_static_selectorELNS0_4arch9wavefront6targetE1EEEvT1_
		.amdhsa_group_segment_fixed_size 0
		.amdhsa_private_segment_fixed_size 0
		.amdhsa_kernarg_size 96
		.amdhsa_user_sgpr_count 2
		.amdhsa_user_sgpr_dispatch_ptr 0
		.amdhsa_user_sgpr_queue_ptr 0
		.amdhsa_user_sgpr_kernarg_segment_ptr 1
		.amdhsa_user_sgpr_dispatch_id 0
		.amdhsa_user_sgpr_kernarg_preload_length 0
		.amdhsa_user_sgpr_kernarg_preload_offset 0
		.amdhsa_user_sgpr_private_segment_size 0
		.amdhsa_uses_dynamic_stack 0
		.amdhsa_enable_private_segment 0
		.amdhsa_system_sgpr_workgroup_id_x 1
		.amdhsa_system_sgpr_workgroup_id_y 0
		.amdhsa_system_sgpr_workgroup_id_z 0
		.amdhsa_system_sgpr_workgroup_info 0
		.amdhsa_system_vgpr_workitem_id 0
		.amdhsa_next_free_vgpr 1
		.amdhsa_next_free_sgpr 0
		.amdhsa_accum_offset 4
		.amdhsa_reserve_vcc 0
		.amdhsa_float_round_mode_32 0
		.amdhsa_float_round_mode_16_64 0
		.amdhsa_float_denorm_mode_32 3
		.amdhsa_float_denorm_mode_16_64 3
		.amdhsa_dx10_clamp 1
		.amdhsa_ieee_mode 1
		.amdhsa_fp16_overflow 0
		.amdhsa_tg_split 0
		.amdhsa_exception_fp_ieee_invalid_op 0
		.amdhsa_exception_fp_denorm_src 0
		.amdhsa_exception_fp_ieee_div_zero 0
		.amdhsa_exception_fp_ieee_overflow 0
		.amdhsa_exception_fp_ieee_underflow 0
		.amdhsa_exception_fp_ieee_inexact 0
		.amdhsa_exception_int_div_zero 0
	.end_amdhsa_kernel
	.section	.text._ZN7rocprim17ROCPRIM_400000_NS6detail17trampoline_kernelINS0_14default_configENS1_20scan_config_selectorIfEEZZNS1_9scan_implILNS1_25lookback_scan_determinismE0ELb0ELb0ES3_PKfPffZZZN2at6native31launch_logcumsumexp_cuda_kernelERKNSB_10TensorBaseESF_lENKUlvE_clEvENKUlvE0_clEvEUlffE_fEEDaPvRmT3_T4_T5_mT6_P12ihipStream_tbENKUlT_T0_E_clISt17integral_constantIbLb1EESV_IbLb0EEEEDaSR_SS_EUlSR_E_NS1_11comp_targetILNS1_3genE0ELNS1_11target_archE4294967295ELNS1_3gpuE0ELNS1_3repE0EEENS1_30default_config_static_selectorELNS0_4arch9wavefront6targetE1EEEvT1_,"axG",@progbits,_ZN7rocprim17ROCPRIM_400000_NS6detail17trampoline_kernelINS0_14default_configENS1_20scan_config_selectorIfEEZZNS1_9scan_implILNS1_25lookback_scan_determinismE0ELb0ELb0ES3_PKfPffZZZN2at6native31launch_logcumsumexp_cuda_kernelERKNSB_10TensorBaseESF_lENKUlvE_clEvENKUlvE0_clEvEUlffE_fEEDaPvRmT3_T4_T5_mT6_P12ihipStream_tbENKUlT_T0_E_clISt17integral_constantIbLb1EESV_IbLb0EEEEDaSR_SS_EUlSR_E_NS1_11comp_targetILNS1_3genE0ELNS1_11target_archE4294967295ELNS1_3gpuE0ELNS1_3repE0EEENS1_30default_config_static_selectorELNS0_4arch9wavefront6targetE1EEEvT1_,comdat
.Lfunc_end140:
	.size	_ZN7rocprim17ROCPRIM_400000_NS6detail17trampoline_kernelINS0_14default_configENS1_20scan_config_selectorIfEEZZNS1_9scan_implILNS1_25lookback_scan_determinismE0ELb0ELb0ES3_PKfPffZZZN2at6native31launch_logcumsumexp_cuda_kernelERKNSB_10TensorBaseESF_lENKUlvE_clEvENKUlvE0_clEvEUlffE_fEEDaPvRmT3_T4_T5_mT6_P12ihipStream_tbENKUlT_T0_E_clISt17integral_constantIbLb1EESV_IbLb0EEEEDaSR_SS_EUlSR_E_NS1_11comp_targetILNS1_3genE0ELNS1_11target_archE4294967295ELNS1_3gpuE0ELNS1_3repE0EEENS1_30default_config_static_selectorELNS0_4arch9wavefront6targetE1EEEvT1_, .Lfunc_end140-_ZN7rocprim17ROCPRIM_400000_NS6detail17trampoline_kernelINS0_14default_configENS1_20scan_config_selectorIfEEZZNS1_9scan_implILNS1_25lookback_scan_determinismE0ELb0ELb0ES3_PKfPffZZZN2at6native31launch_logcumsumexp_cuda_kernelERKNSB_10TensorBaseESF_lENKUlvE_clEvENKUlvE0_clEvEUlffE_fEEDaPvRmT3_T4_T5_mT6_P12ihipStream_tbENKUlT_T0_E_clISt17integral_constantIbLb1EESV_IbLb0EEEEDaSR_SS_EUlSR_E_NS1_11comp_targetILNS1_3genE0ELNS1_11target_archE4294967295ELNS1_3gpuE0ELNS1_3repE0EEENS1_30default_config_static_selectorELNS0_4arch9wavefront6targetE1EEEvT1_
                                        ; -- End function
	.section	.AMDGPU.csdata,"",@progbits
; Kernel info:
; codeLenInByte = 0
; NumSgprs: 6
; NumVgprs: 0
; NumAgprs: 0
; TotalNumVgprs: 0
; ScratchSize: 0
; MemoryBound: 0
; FloatMode: 240
; IeeeMode: 1
; LDSByteSize: 0 bytes/workgroup (compile time only)
; SGPRBlocks: 0
; VGPRBlocks: 0
; NumSGPRsForWavesPerEU: 6
; NumVGPRsForWavesPerEU: 1
; AccumOffset: 4
; Occupancy: 8
; WaveLimiterHint : 0
; COMPUTE_PGM_RSRC2:SCRATCH_EN: 0
; COMPUTE_PGM_RSRC2:USER_SGPR: 2
; COMPUTE_PGM_RSRC2:TRAP_HANDLER: 0
; COMPUTE_PGM_RSRC2:TGID_X_EN: 1
; COMPUTE_PGM_RSRC2:TGID_Y_EN: 0
; COMPUTE_PGM_RSRC2:TGID_Z_EN: 0
; COMPUTE_PGM_RSRC2:TIDIG_COMP_CNT: 0
; COMPUTE_PGM_RSRC3_GFX90A:ACCUM_OFFSET: 0
; COMPUTE_PGM_RSRC3_GFX90A:TG_SPLIT: 0
	.text
	.p2align	2                               ; -- Begin function _ZZZN7rocprim17ROCPRIM_400000_NS6detail9scan_implILNS1_25lookback_scan_determinismE0ELb0ELb0ENS0_14default_configEPKfPffZZZN2at6native31launch_logcumsumexp_cuda_kernelERKNS8_10TensorBaseESC_lENKUlvE_clEvENKUlvE0_clEvEUlffE_fEEDaPvRmT3_T4_T5_mT6_P12ihipStream_tbENKUlT_T0_E_clISt17integral_constantIbLb1EESS_IbLb0EEEEDaSO_SP_ENKUlSO_E_clINS1_13target_configIS4_NS1_20scan_config_selectorIfEENS1_11comp_targetILNS1_3genE5ELNS1_11target_archE942ELNS1_3gpuE9ELNS1_3repE0EEELNS0_4arch9wavefront6targetE1EEEEEDaSO_
	.type	_ZZZN7rocprim17ROCPRIM_400000_NS6detail9scan_implILNS1_25lookback_scan_determinismE0ELb0ELb0ENS0_14default_configEPKfPffZZZN2at6native31launch_logcumsumexp_cuda_kernelERKNS8_10TensorBaseESC_lENKUlvE_clEvENKUlvE0_clEvEUlffE_fEEDaPvRmT3_T4_T5_mT6_P12ihipStream_tbENKUlT_T0_E_clISt17integral_constantIbLb1EESS_IbLb0EEEEDaSO_SP_ENKUlSO_E_clINS1_13target_configIS4_NS1_20scan_config_selectorIfEENS1_11comp_targetILNS1_3genE5ELNS1_11target_archE942ELNS1_3gpuE9ELNS1_3repE0EEELNS0_4arch9wavefront6targetE1EEEEEDaSO_,@function
_ZZZN7rocprim17ROCPRIM_400000_NS6detail9scan_implILNS1_25lookback_scan_determinismE0ELb0ELb0ENS0_14default_configEPKfPffZZZN2at6native31launch_logcumsumexp_cuda_kernelERKNS8_10TensorBaseESC_lENKUlvE_clEvENKUlvE0_clEvEUlffE_fEEDaPvRmT3_T4_T5_mT6_P12ihipStream_tbENKUlT_T0_E_clISt17integral_constantIbLb1EESS_IbLb0EEEEDaSO_SP_ENKUlSO_E_clINS1_13target_configIS4_NS1_20scan_config_selectorIfEENS1_11comp_targetILNS1_3genE5ELNS1_11target_archE942ELNS1_3gpuE9ELNS1_3repE0EEELNS0_4arch9wavefront6targetE1EEEEEDaSO_: ; @_ZZZN7rocprim17ROCPRIM_400000_NS6detail9scan_implILNS1_25lookback_scan_determinismE0ELb0ELb0ENS0_14default_configEPKfPffZZZN2at6native31launch_logcumsumexp_cuda_kernelERKNS8_10TensorBaseESC_lENKUlvE_clEvENKUlvE0_clEvEUlffE_fEEDaPvRmT3_T4_T5_mT6_P12ihipStream_tbENKUlT_T0_E_clISt17integral_constantIbLb1EESS_IbLb0EEEEDaSO_SP_ENKUlSO_E_clINS1_13target_configIS4_NS1_20scan_config_selectorIfEENS1_11comp_targetILNS1_3genE5ELNS1_11target_archE942ELNS1_3gpuE9ELNS1_3repE0EEELNS0_4arch9wavefront6targetE1EEEEEDaSO_
; %bb.0:
	s_waitcnt vmcnt(0) expcnt(0) lgkmcnt(0)
	s_or_saveexec_b64 s[0:1], -1
	scratch_store_dword off, v40, s32       ; 4-byte Folded Spill
	s_mov_b64 exec, s[0:1]
	v_writelane_b32 v40, s30, 0
	s_nop 1
	v_writelane_b32 v40, s31, 1
	flat_load_dwordx4 v[10:13], v[0:1]
	flat_load_dwordx3 v[96:98], v[0:1] offset:40
	flat_load_dwordx4 v[14:17], v[0:1] offset:16
	flat_load_dwordx4 v[2:5], v[0:1] offset:56
	;; [unrolled: 1-line block ×3, first 2 shown]
	s_movk_i32 s0, 0x1800
	s_mov_b32 s63, 0
	v_and_b32_e32 v0, 0x3ff, v31
	s_mul_i32 s62, s12, 0x1800
	s_waitcnt vmcnt(0) lgkmcnt(0)
	v_lshl_add_u64 v[10:11], v[12:13], 2, v[10:11]
	v_add_u32_e32 v1, -1, v98
	v_mul_lo_u32 v20, v1, s0
	v_sub_co_u32_e32 v98, vcc, v16, v20
	v_cmp_ne_u32_e64 s[0:1], s12, v1
	v_lshl_add_u64 v[18:19], s[62:63], 2, v[10:11]
	v_subbrev_co_u32_e32 v99, vcc, 0, v17, vcc
	v_lshlrev_b32_e32 v10, 2, v0
	s_and_saveexec_b64 s[2:3], s[0:1]
	s_xor_b64 s[2:3], exec, s[2:3]
	s_cbranch_execz .LBB141_2
; %bb.1:
	v_mov_b32_e32 v11, 0
	v_lshl_add_u64 v[16:17], v[18:19], 0, v[10:11]
	v_add_co_u32_e32 v18, vcc, 0x1000, v16
	s_nop 1
	v_addc_co_u32_e32 v19, vcc, 0, v17, vcc
	flat_load_dword v1, v[16:17]
	flat_load_dword v11, v[16:17] offset:1024
	flat_load_dword v22, v[16:17] offset:2048
	;; [unrolled: 1-line block ×3, first 2 shown]
	flat_load_dword v24, v[18:19]
	flat_load_dword v25, v[18:19] offset:1024
	flat_load_dword v26, v[18:19] offset:2048
	;; [unrolled: 1-line block ×3, first 2 shown]
	v_add_co_u32_e32 v18, vcc, 0x2000, v16
	s_nop 1
	v_addc_co_u32_e32 v19, vcc, 0, v17, vcc
	v_add_co_u32_e32 v20, vcc, 0x3000, v16
	s_nop 1
	v_addc_co_u32_e32 v21, vcc, 0, v17, vcc
	flat_load_dword v28, v[18:19]
	flat_load_dword v29, v[18:19] offset:1024
	flat_load_dword v30, v[18:19] offset:2048
	;; [unrolled: 1-line block ×3, first 2 shown]
	flat_load_dword v32, v[20:21]
	flat_load_dword v33, v[20:21] offset:1024
	flat_load_dword v34, v[20:21] offset:2048
	;; [unrolled: 1-line block ×3, first 2 shown]
	v_add_co_u32_e32 v18, vcc, 0x4000, v16
	s_nop 1
	v_addc_co_u32_e32 v19, vcc, 0, v17, vcc
	v_add_co_u32_e32 v16, vcc, 0x5000, v16
	s_nop 1
	v_addc_co_u32_e32 v17, vcc, 0, v17, vcc
	flat_load_dword v20, v[18:19]
	flat_load_dword v21, v[18:19] offset:1024
	flat_load_dword v36, v[18:19] offset:2048
	flat_load_dword v37, v[18:19] offset:3072
	flat_load_dword v38, v[16:17]
	flat_load_dword v39, v[16:17] offset:1024
	flat_load_dword v48, v[16:17] offset:2048
	;; [unrolled: 1-line block ×3, first 2 shown]
                                        ; implicit-def: $vgpr18_vgpr19
	s_waitcnt vmcnt(0) lgkmcnt(0)
	ds_write2st64_b32 v10, v1, v11 offset1:4
	ds_write2st64_b32 v10, v22, v23 offset0:8 offset1:12
	ds_write2st64_b32 v10, v24, v25 offset0:16 offset1:20
	;; [unrolled: 1-line block ×11, first 2 shown]
	s_waitcnt lgkmcnt(0)
	s_barrier
.LBB141_2:
	s_andn2_saveexec_b64 s[2:3], s[2:3]
	s_cbranch_execz .LBB141_52
; %bb.3:
	flat_load_dword v1, v[18:19]
	v_cmp_lt_u32_e32 vcc, v0, v98
	s_waitcnt vmcnt(0) lgkmcnt(0)
	v_mov_b32_e32 v16, v1
	s_and_saveexec_b64 s[4:5], vcc
	s_cbranch_execz .LBB141_5
; %bb.4:
	v_mov_b32_e32 v11, 0
	v_lshl_add_u64 v[16:17], v[18:19], 0, v[10:11]
	flat_load_dword v16, v[16:17]
.LBB141_5:
	s_or_b64 exec, exec, s[4:5]
	v_add_u32_e32 v11, 0x100, v0
	v_cmp_lt_u32_e32 vcc, v11, v98
	v_mov_b32_e32 v17, v1
	s_and_saveexec_b64 s[4:5], vcc
	s_cbranch_execz .LBB141_7
; %bb.6:
	v_mov_b32_e32 v11, 0
	v_lshl_add_u64 v[20:21], v[18:19], 0, v[10:11]
	flat_load_dword v17, v[20:21] offset:1024
.LBB141_7:
	s_or_b64 exec, exec, s[4:5]
	v_add_u32_e32 v11, 0x200, v0
	v_cmp_lt_u32_e32 vcc, v11, v98
	v_mov_b32_e32 v20, v1
	s_and_saveexec_b64 s[4:5], vcc
	s_cbranch_execz .LBB141_9
; %bb.8:
	v_mov_b32_e32 v11, 0
	v_lshl_add_u64 v[20:21], v[18:19], 0, v[10:11]
	flat_load_dword v20, v[20:21] offset:2048
.LBB141_9:
	;; [unrolled: 11-line block ×3, first 2 shown]
	s_or_b64 exec, exec, s[4:5]
	v_or_b32_e32 v22, 0x400, v0
	v_cmp_lt_u32_e32 vcc, v22, v98
	v_mov_b32_e32 v21, v1
	s_and_saveexec_b64 s[4:5], vcc
	s_cbranch_execz .LBB141_13
; %bb.12:
	v_lshlrev_b32_e32 v22, 2, v22
	v_mov_b32_e32 v23, 0
	v_lshl_add_u64 v[22:23], v[18:19], 0, v[22:23]
	flat_load_dword v21, v[22:23]
.LBB141_13:
	s_or_b64 exec, exec, s[4:5]
	v_add_u32_e32 v23, 0x500, v0
	v_cmp_lt_u32_e32 vcc, v23, v98
	v_mov_b32_e32 v22, v1
	s_and_saveexec_b64 s[4:5], vcc
	s_cbranch_execz .LBB141_15
; %bb.14:
	v_lshlrev_b32_e32 v22, 2, v23
	v_mov_b32_e32 v23, 0
	v_lshl_add_u64 v[22:23], v[18:19], 0, v[22:23]
	flat_load_dword v22, v[22:23]
.LBB141_15:
	s_or_b64 exec, exec, s[4:5]
	v_add_u32_e32 v24, 0x600, v0
	v_cmp_lt_u32_e32 vcc, v24, v98
	v_mov_b32_e32 v23, v1
	s_and_saveexec_b64 s[4:5], vcc
	s_cbranch_execz .LBB141_17
; %bb.16:
	v_lshlrev_b32_e32 v24, 2, v24
	v_mov_b32_e32 v25, 0
	v_lshl_add_u64 v[24:25], v[18:19], 0, v[24:25]
	flat_load_dword v23, v[24:25]
.LBB141_17:
	s_or_b64 exec, exec, s[4:5]
	v_add_u32_e32 v25, 0x700, v0
	v_cmp_lt_u32_e32 vcc, v25, v98
	v_mov_b32_e32 v24, v1
	s_and_saveexec_b64 s[4:5], vcc
	s_cbranch_execz .LBB141_19
; %bb.18:
	v_lshlrev_b32_e32 v24, 2, v25
	v_mov_b32_e32 v25, 0
	v_lshl_add_u64 v[24:25], v[18:19], 0, v[24:25]
	flat_load_dword v24, v[24:25]
.LBB141_19:
	s_or_b64 exec, exec, s[4:5]
	v_or_b32_e32 v26, 0x800, v0
	v_cmp_lt_u32_e32 vcc, v26, v98
	v_mov_b32_e32 v25, v1
	s_and_saveexec_b64 s[4:5], vcc
	s_cbranch_execz .LBB141_21
; %bb.20:
	v_lshlrev_b32_e32 v26, 2, v26
	v_mov_b32_e32 v27, 0
	v_lshl_add_u64 v[26:27], v[18:19], 0, v[26:27]
	flat_load_dword v25, v[26:27]
.LBB141_21:
	s_or_b64 exec, exec, s[4:5]
	v_add_u32_e32 v27, 0x900, v0
	v_cmp_lt_u32_e32 vcc, v27, v98
	v_mov_b32_e32 v26, v1
	s_and_saveexec_b64 s[4:5], vcc
	s_cbranch_execz .LBB141_23
; %bb.22:
	v_lshlrev_b32_e32 v26, 2, v27
	v_mov_b32_e32 v27, 0
	v_lshl_add_u64 v[26:27], v[18:19], 0, v[26:27]
	flat_load_dword v26, v[26:27]
.LBB141_23:
	s_or_b64 exec, exec, s[4:5]
	v_add_u32_e32 v28, 0xa00, v0
	v_cmp_lt_u32_e32 vcc, v28, v98
	v_mov_b32_e32 v27, v1
	s_and_saveexec_b64 s[4:5], vcc
	s_cbranch_execz .LBB141_25
; %bb.24:
	v_lshlrev_b32_e32 v28, 2, v28
	v_mov_b32_e32 v29, 0
	v_lshl_add_u64 v[28:29], v[18:19], 0, v[28:29]
	flat_load_dword v27, v[28:29]
.LBB141_25:
	s_or_b64 exec, exec, s[4:5]
	v_add_u32_e32 v29, 0xb00, v0
	v_cmp_lt_u32_e32 vcc, v29, v98
	v_mov_b32_e32 v28, v1
	s_and_saveexec_b64 s[4:5], vcc
	s_cbranch_execz .LBB141_27
; %bb.26:
	v_lshlrev_b32_e32 v28, 2, v29
	v_mov_b32_e32 v29, 0
	v_lshl_add_u64 v[28:29], v[18:19], 0, v[28:29]
	flat_load_dword v28, v[28:29]
.LBB141_27:
	;; [unrolled: 48-line block ×4, first 2 shown]
	s_or_b64 exec, exec, s[4:5]
	v_or_b32_e32 v38, 0x1400, v0
	v_cmp_lt_u32_e32 vcc, v38, v98
	v_mov_b32_e32 v37, v1
	s_and_saveexec_b64 s[4:5], vcc
	s_cbranch_execz .LBB141_45
; %bb.44:
	v_lshlrev_b32_e32 v38, 2, v38
	v_mov_b32_e32 v39, 0
	v_lshl_add_u64 v[38:39], v[18:19], 0, v[38:39]
	flat_load_dword v37, v[38:39]
.LBB141_45:
	s_or_b64 exec, exec, s[4:5]
	v_add_u32_e32 v39, 0x1500, v0
	v_cmp_lt_u32_e32 vcc, v39, v98
	v_mov_b32_e32 v38, v1
	s_and_saveexec_b64 s[4:5], vcc
	s_cbranch_execz .LBB141_47
; %bb.46:
	v_lshlrev_b32_e32 v38, 2, v39
	v_mov_b32_e32 v39, 0
	v_lshl_add_u64 v[38:39], v[18:19], 0, v[38:39]
	flat_load_dword v38, v[38:39]
.LBB141_47:
	s_or_b64 exec, exec, s[4:5]
	v_add_u32_e32 v48, 0x1600, v0
	;; [unrolled: 12-line block ×3, first 2 shown]
	v_cmp_lt_u32_e32 vcc, v48, v98
	s_and_saveexec_b64 s[4:5], vcc
	s_cbranch_execz .LBB141_51
; %bb.50:
	v_lshlrev_b32_e32 v48, 2, v48
	v_mov_b32_e32 v49, 0
	v_lshl_add_u64 v[18:19], v[18:19], 0, v[48:49]
	flat_load_dword v1, v[18:19]
.LBB141_51:
	s_or_b64 exec, exec, s[4:5]
	s_waitcnt vmcnt(0) lgkmcnt(0)
	ds_write2st64_b32 v10, v16, v17 offset1:4
	ds_write2st64_b32 v10, v20, v11 offset0:8 offset1:12
	ds_write2st64_b32 v10, v21, v22 offset0:16 offset1:20
	;; [unrolled: 1-line block ×11, first 2 shown]
	s_waitcnt lgkmcnt(0)
	s_barrier
.LBB141_52:
	s_or_b64 exec, exec, s[2:3]
	v_mul_u32_u24_e32 v100, 24, v0
	v_lshlrev_b32_e32 v1, 2, v100
	ds_read_b128 v[16:19], v1
	ds_read_b128 v[36:39], v1 offset:16
	ds_read_b128 v[32:35], v1 offset:32
	;; [unrolled: 1-line block ×5, first 2 shown]
	s_cmp_lg_u32 s12, 0
	s_waitcnt lgkmcnt(5)
	v_cmp_u_f32_e64 s[2:3], v17, v17
	v_max_f32_e32 v11, v17, v17
	s_waitcnt lgkmcnt(0)
	s_barrier
	s_cbranch_scc0 .LBB141_269
; %bb.53:
	v_max_f32_e32 v119, v16, v16
	v_min_f32_e32 v48, v119, v11
	v_cmp_u_f32_e64 s[50:51], v16, v16
	s_movk_i32 s6, 0x1f8
	v_mov_b32_e32 v128, v16
	v_cndmask_b32_e64 v48, v48, v16, s[50:51]
	v_cndmask_b32_e64 v49, v48, v17, s[2:3]
	v_max_f32_e32 v48, v119, v11
	v_cndmask_b32_e64 v48, v48, v16, s[50:51]
	v_cndmask_b32_e64 v48, v48, v17, s[2:3]
	v_cmp_neq_f32_e32 vcc, v49, v48
	v_cmp_class_f32_e64 s[4:5], v49, s6
	s_or_b64 s[8:9], vcc, s[4:5]
	s_and_saveexec_b64 s[4:5], s[8:9]
	s_cbranch_execz .LBB141_55
; %bb.54:
	v_sub_f32_e32 v49, v49, v48
	s_mov_b32 s7, 0x3fb8aa3b
	v_mul_f32_e32 v50, 0x3fb8aa3b, v49
	v_fma_f32 v51, v49, s7, -v50
	v_rndne_f32_e32 v52, v50
	v_fmamk_f32 v51, v49, 0x32a5705f, v51
	v_sub_f32_e32 v50, v50, v52
	v_add_f32_e32 v50, v50, v51
	v_exp_f32_e32 v50, v50
	v_cvt_i32_f32_e32 v51, v52
	s_mov_b32 s7, 0xc2ce8ed0
	v_cmp_ngt_f32_e32 vcc, s7, v49
	s_mov_b32 s7, 0x42b17218
	v_ldexp_f32 v50, v50, v51
	v_cndmask_b32_e32 v50, 0, v50, vcc
	v_mov_b32_e32 v51, 0x7f800000
	v_cmp_nlt_f32_e32 vcc, s7, v49
	s_mov_b32 s7, 0x3f2aaaab
	s_mov_b32 s8, 0x7f800000
	v_cndmask_b32_e32 v82, v51, v50, vcc
	v_add_f32_e32 v49, 1.0, v82
	v_add_f32_e32 v50, -1.0, v49
	v_sub_f32_e32 v51, v50, v49
	v_add_f32_e32 v51, 1.0, v51
	v_sub_f32_e32 v50, v82, v50
	v_add_f32_e32 v52, v50, v51
	v_frexp_mant_f32_e32 v53, v49
	v_cvt_f64_f32_e32 v[50:51], v49
	v_frexp_exp_i32_f64_e32 v50, v[50:51]
	v_cmp_gt_f32_e32 vcc, s7, v53
	s_mov_b32 s7, 0x3f317218
	s_nop 0
	v_subbrev_co_u32_e32 v66, vcc, 0, v50, vcc
	v_sub_u32_e32 v50, 0, v66
	v_ldexp_f32 v49, v49, v50
	v_ldexp_f32 v50, v52, v50
	v_add_f32_e32 v52, -1.0, v49
	v_add_f32_e32 v51, 1.0, v52
	v_sub_f32_e32 v51, v49, v51
	v_add_f32_e32 v53, v50, v51
	v_add_f32_e32 v51, 1.0, v49
	v_add_f32_e32 v54, -1.0, v51
	v_sub_f32_e32 v49, v49, v54
	v_add_f32_e32 v49, v50, v49
	v_add_f32_e32 v67, v51, v49
	v_rcp_f32_e32 v68, v67
	v_sub_f32_e32 v50, v51, v67
	v_add_f32_e32 v51, v52, v53
	v_add_f32_e32 v49, v49, v50
	v_mul_f32_e32 v70, v51, v68
	v_sub_f32_e32 v50, v52, v51
	v_mul_f32_e32 v52, v67, v70
	v_fma_f32 v54, v70, v67, -v52
	v_fmac_f32_e32 v54, v70, v49
	v_add_f32_e32 v69, v53, v50
	v_add_f32_e32 v50, v52, v54
	v_sub_f32_e32 v53, v51, v50
	v_pk_add_f32 v[64:65], v[50:51], v[52:53] neg_lo:[0,1] neg_hi:[0,1]
	v_mov_b32_e32 v55, v50
	v_pk_add_f32 v[50:51], v[64:65], v[54:55] neg_lo:[0,1] neg_hi:[0,1]
	v_cmp_eq_f32_e32 vcc, s8, v82
	v_add_f32_e32 v51, v69, v51
	v_add_f32_e32 v50, v50, v51
	;; [unrolled: 1-line block ×3, first 2 shown]
	v_mul_f32_e32 v69, v68, v51
	v_mul_f32_e32 v52, v67, v69
	v_fma_f32 v54, v69, v67, -v52
	v_fmac_f32_e32 v54, v69, v49
	v_sub_f32_e32 v49, v53, v51
	v_add_f32_e32 v49, v50, v49
	v_add_f32_e32 v50, v52, v54
	v_sub_f32_e32 v53, v51, v50
	v_pk_add_f32 v[64:65], v[50:51], v[52:53] neg_lo:[0,1] neg_hi:[0,1]
	v_mov_b32_e32 v55, v50
	v_pk_add_f32 v[50:51], v[64:65], v[54:55] neg_lo:[0,1] neg_hi:[0,1]
	v_cvt_f32_i32_e32 v52, v66
	v_add_f32_e32 v49, v49, v51
	v_add_f32_e32 v49, v50, v49
	;; [unrolled: 1-line block ×4, first 2 shown]
	v_sub_f32_e32 v51, v50, v70
	v_mul_f32_e32 v49, v68, v49
	v_sub_f32_e32 v51, v69, v51
	v_add_f32_e32 v49, v51, v49
	v_add_f32_e32 v53, v50, v49
	v_mul_f32_e32 v54, v53, v53
	v_mov_b32_e32 v51, 0x3ecc95a3
	v_fmac_f32_e32 v51, 0x3e9b6dac, v54
	v_sub_f32_e32 v50, v53, v50
	v_fmaak_f32 v51, v54, v51, 0x3f2aaada
	v_sub_f32_e32 v49, v49, v50
	v_ldexp_f32 v55, v53, 1
	v_mul_f32_e32 v53, v53, v54
	v_mov_b32_e32 v50, 0x3f317218
	v_pk_mul_f32 v[50:51], v[52:53], v[50:51]
	v_ldexp_f32 v49, v49, 1
	v_fma_f32 v53, v52, s7, -v50
	v_fmamk_f32 v54, v52, 0xb102e308, v53
	v_pk_add_f32 v[52:53], v[50:51], v[54:55]
	v_mov_b32_e32 v64, v50
	v_sub_f32_e32 v55, v53, v55
	v_sub_f32_e32 v55, v51, v55
	v_add_f32_e32 v65, v49, v55
	v_pk_add_f32 v[50:51], v[52:53], v[50:51] neg_lo:[0,1] neg_hi:[0,1]
	v_pk_add_f32 v[66:67], v[52:53], v[64:65]
	v_mov_b32_e32 v55, v52
	v_mov_b32_e32 v51, v67
	v_pk_add_f32 v[68:69], v[54:55], v[50:51] neg_lo:[0,1] neg_hi:[0,1]
	v_pk_add_f32 v[50:51], v[54:55], v[50:51]
	v_mov_b32_e32 v64, v65
	v_mov_b32_e32 v54, v51
	v_pk_add_f32 v[70:71], v[54:55], v[52:53] neg_lo:[0,1] neg_hi:[0,1]
	v_mov_b32_e32 v50, v67
	v_mov_b32_e32 v49, v70
	v_pk_add_f32 v[80:81], v[66:67], v[48:49] neg_lo:[0,1] neg_hi:[0,1]
	v_mov_b32_e32 v66, v53
	v_mov_b32_e32 v67, v70
	v_mov_b32_e32 v69, v51
	v_pk_add_f32 v[50:51], v[50:51], v[66:67] neg_lo:[0,1] neg_hi:[0,1]
	v_mov_b32_e32 v65, v52
	v_pk_add_f32 v[50:51], v[64:65], v[50:51] neg_lo:[0,1] neg_hi:[0,1]
	v_mov_b32_e32 v80, v68
	v_pk_add_f32 v[52:53], v[80:81], v[50:51]
	s_mov_b32 s7, 0x33800000
	v_mov_b32_e32 v64, v53
	v_pk_add_f32 v[64:65], v[52:53], v[64:65]
	v_cmp_lt_f32_e64 s[8:9], |v82|, s7
	v_pk_add_f32 v[54:55], v[54:55], v[64:65]
	v_mov_b32_e32 v51, v64
	v_mov_b32_e32 v53, v54
	v_pk_add_f32 v[66:67], v[52:53], v[68:69] neg_lo:[0,1] neg_hi:[0,1]
	s_or_b64 vcc, vcc, s[8:9]
	v_sub_f32_e32 v49, v52, v66
	v_pk_add_f32 v[50:51], v[50:51], v[66:67] neg_lo:[0,1] neg_hi:[0,1]
	v_sub_f32_e32 v49, v68, v49
	v_add_f32_e32 v49, v50, v49
	v_add_f32_e32 v49, v49, v51
	;; [unrolled: 1-line block ×3, first 2 shown]
	v_cndmask_b32_e32 v49, v49, v82, vcc
	v_add_f32_e32 v128, v48, v49
.LBB141_55:
	s_or_b64 exec, exec, s[4:5]
	v_max_f32_e32 v68, v18, v18
	v_max_f32_e32 v48, v128, v128
	v_min_f32_e32 v49, v48, v68
	v_cmp_u_f32_e32 vcc, v128, v128
	v_max_f32_e32 v48, v48, v68
	v_cmp_u_f32_e64 s[4:5], v18, v18
	v_cndmask_b32_e32 v49, v49, v128, vcc
	v_cndmask_b32_e32 v48, v48, v128, vcc
	v_cndmask_b32_e64 v49, v49, v18, s[4:5]
	v_cndmask_b32_e64 v48, v48, v18, s[4:5]
	v_cmp_neq_f32_e32 vcc, v49, v48
	v_cmp_class_f32_e64 s[6:7], v49, s6
	s_or_b64 s[8:9], vcc, s[6:7]
	s_and_saveexec_b64 s[6:7], s[8:9]
	s_cbranch_execz .LBB141_57
; %bb.56:
	v_sub_f32_e32 v49, v49, v48
	s_mov_b32 s8, 0x3fb8aa3b
	v_mul_f32_e32 v50, 0x3fb8aa3b, v49
	v_fma_f32 v51, v49, s8, -v50
	v_rndne_f32_e32 v52, v50
	v_fmamk_f32 v51, v49, 0x32a5705f, v51
	v_sub_f32_e32 v50, v50, v52
	v_add_f32_e32 v50, v50, v51
	v_exp_f32_e32 v50, v50
	v_cvt_i32_f32_e32 v51, v52
	s_mov_b32 s8, 0xc2ce8ed0
	v_cmp_ngt_f32_e32 vcc, s8, v49
	s_mov_b32 s8, 0x42b17218
	v_ldexp_f32 v50, v50, v51
	v_cndmask_b32_e32 v50, 0, v50, vcc
	v_mov_b32_e32 v51, 0x7f800000
	v_cmp_nlt_f32_e32 vcc, s8, v49
	s_mov_b32 s8, 0x3f2aaaab
	s_mov_b32 s9, 0x7f800000
	v_cndmask_b32_e32 v69, v51, v50, vcc
	v_add_f32_e32 v49, 1.0, v69
	v_add_f32_e32 v50, -1.0, v49
	v_sub_f32_e32 v51, v50, v49
	v_add_f32_e32 v51, 1.0, v51
	v_sub_f32_e32 v50, v69, v50
	v_add_f32_e32 v52, v50, v51
	v_frexp_mant_f32_e32 v53, v49
	v_cvt_f64_f32_e32 v[50:51], v49
	v_frexp_exp_i32_f64_e32 v50, v[50:51]
	v_cmp_gt_f32_e32 vcc, s8, v53
	s_mov_b32 s8, 0x3f317218
	s_nop 0
	v_subbrev_co_u32_e32 v66, vcc, 0, v50, vcc
	v_sub_u32_e32 v50, 0, v66
	v_ldexp_f32 v49, v49, v50
	v_ldexp_f32 v50, v52, v50
	v_add_f32_e32 v52, -1.0, v49
	v_add_f32_e32 v51, 1.0, v52
	v_sub_f32_e32 v51, v49, v51
	v_add_f32_e32 v53, v50, v51
	v_add_f32_e32 v51, 1.0, v49
	v_add_f32_e32 v54, -1.0, v51
	v_sub_f32_e32 v49, v49, v54
	v_add_f32_e32 v49, v50, v49
	v_add_f32_e32 v67, v51, v49
	v_rcp_f32_e32 v70, v67
	v_sub_f32_e32 v50, v51, v67
	v_add_f32_e32 v51, v52, v53
	v_add_f32_e32 v49, v49, v50
	v_mul_f32_e32 v80, v51, v70
	v_sub_f32_e32 v50, v52, v51
	v_mul_f32_e32 v52, v67, v80
	v_fma_f32 v54, v80, v67, -v52
	v_fmac_f32_e32 v54, v80, v49
	v_add_f32_e32 v71, v53, v50
	v_add_f32_e32 v50, v52, v54
	v_sub_f32_e32 v53, v51, v50
	v_pk_add_f32 v[64:65], v[50:51], v[52:53] neg_lo:[0,1] neg_hi:[0,1]
	v_mov_b32_e32 v55, v50
	v_pk_add_f32 v[50:51], v[64:65], v[54:55] neg_lo:[0,1] neg_hi:[0,1]
	v_cmp_eq_f32_e32 vcc, s9, v69
	v_add_f32_e32 v51, v71, v51
	v_add_f32_e32 v50, v50, v51
	v_add_f32_e32 v51, v53, v50
	v_mul_f32_e32 v71, v70, v51
	v_mul_f32_e32 v52, v67, v71
	v_fma_f32 v54, v71, v67, -v52
	v_fmac_f32_e32 v54, v71, v49
	v_sub_f32_e32 v49, v53, v51
	v_add_f32_e32 v49, v50, v49
	v_add_f32_e32 v50, v52, v54
	v_sub_f32_e32 v53, v51, v50
	v_pk_add_f32 v[64:65], v[50:51], v[52:53] neg_lo:[0,1] neg_hi:[0,1]
	v_mov_b32_e32 v55, v50
	v_pk_add_f32 v[50:51], v[64:65], v[54:55] neg_lo:[0,1] neg_hi:[0,1]
	v_cvt_f32_i32_e32 v52, v66
	v_add_f32_e32 v49, v49, v51
	v_add_f32_e32 v49, v50, v49
	;; [unrolled: 1-line block ×4, first 2 shown]
	v_sub_f32_e32 v51, v50, v80
	v_mul_f32_e32 v49, v70, v49
	v_sub_f32_e32 v51, v71, v51
	v_add_f32_e32 v49, v51, v49
	v_add_f32_e32 v53, v50, v49
	v_mul_f32_e32 v54, v53, v53
	v_mov_b32_e32 v51, 0x3ecc95a3
	v_fmac_f32_e32 v51, 0x3e9b6dac, v54
	v_sub_f32_e32 v50, v53, v50
	v_fmaak_f32 v51, v54, v51, 0x3f2aaada
	v_sub_f32_e32 v49, v49, v50
	v_ldexp_f32 v55, v53, 1
	v_mul_f32_e32 v53, v53, v54
	v_mov_b32_e32 v50, 0x3f317218
	v_pk_mul_f32 v[50:51], v[52:53], v[50:51]
	v_ldexp_f32 v49, v49, 1
	v_fma_f32 v53, v52, s8, -v50
	v_fmamk_f32 v54, v52, 0xb102e308, v53
	v_pk_add_f32 v[52:53], v[50:51], v[54:55]
	v_mov_b32_e32 v64, v50
	v_sub_f32_e32 v55, v53, v55
	v_sub_f32_e32 v55, v51, v55
	v_add_f32_e32 v65, v49, v55
	v_pk_add_f32 v[50:51], v[52:53], v[50:51] neg_lo:[0,1] neg_hi:[0,1]
	v_pk_add_f32 v[66:67], v[52:53], v[64:65]
	v_mov_b32_e32 v55, v52
	v_mov_b32_e32 v51, v67
	v_pk_add_f32 v[70:71], v[54:55], v[50:51] neg_lo:[0,1] neg_hi:[0,1]
	v_pk_add_f32 v[50:51], v[54:55], v[50:51]
	v_mov_b32_e32 v64, v65
	v_mov_b32_e32 v54, v51
	v_pk_add_f32 v[80:81], v[54:55], v[52:53] neg_lo:[0,1] neg_hi:[0,1]
	v_mov_b32_e32 v50, v67
	v_mov_b32_e32 v49, v80
	v_pk_add_f32 v[82:83], v[66:67], v[48:49] neg_lo:[0,1] neg_hi:[0,1]
	v_mov_b32_e32 v66, v53
	v_mov_b32_e32 v67, v80
	v_mov_b32_e32 v71, v51
	v_pk_add_f32 v[50:51], v[50:51], v[66:67] neg_lo:[0,1] neg_hi:[0,1]
	v_mov_b32_e32 v65, v52
	v_pk_add_f32 v[50:51], v[64:65], v[50:51] neg_lo:[0,1] neg_hi:[0,1]
	v_mov_b32_e32 v82, v70
	v_pk_add_f32 v[52:53], v[82:83], v[50:51]
	s_mov_b32 s8, 0x33800000
	v_mov_b32_e32 v64, v53
	v_pk_add_f32 v[64:65], v[52:53], v[64:65]
	v_cmp_lt_f32_e64 s[8:9], |v69|, s8
	v_pk_add_f32 v[54:55], v[54:55], v[64:65]
	v_mov_b32_e32 v51, v64
	v_mov_b32_e32 v53, v54
	v_pk_add_f32 v[66:67], v[52:53], v[70:71] neg_lo:[0,1] neg_hi:[0,1]
	s_or_b64 vcc, vcc, s[8:9]
	v_sub_f32_e32 v49, v52, v66
	v_pk_add_f32 v[50:51], v[50:51], v[66:67] neg_lo:[0,1] neg_hi:[0,1]
	v_sub_f32_e32 v49, v70, v49
	v_add_f32_e32 v49, v50, v49
	v_add_f32_e32 v49, v49, v51
	;; [unrolled: 1-line block ×3, first 2 shown]
	v_cndmask_b32_e32 v49, v49, v69, vcc
	v_add_f32_e32 v128, v48, v49
.LBB141_57:
	s_or_b64 exec, exec, s[6:7]
	v_max_f32_e32 v69, v19, v19
	v_max_f32_e32 v48, v128, v128
	v_min_f32_e32 v49, v48, v69
	v_cmp_u_f32_e32 vcc, v128, v128
	v_max_f32_e32 v48, v48, v69
	v_cmp_u_f32_e64 s[6:7], v19, v19
	v_cndmask_b32_e32 v49, v49, v128, vcc
	v_cndmask_b32_e32 v48, v48, v128, vcc
	v_cndmask_b32_e64 v49, v49, v19, s[6:7]
	v_cndmask_b32_e64 v48, v48, v19, s[6:7]
	s_movk_i32 s10, 0x1f8
	v_cmp_neq_f32_e32 vcc, v49, v48
	v_cmp_class_f32_e64 s[8:9], v49, s10
	s_or_b64 s[14:15], vcc, s[8:9]
	s_and_saveexec_b64 s[8:9], s[14:15]
	s_cbranch_execz .LBB141_59
; %bb.58:
	v_sub_f32_e32 v49, v49, v48
	s_mov_b32 s11, 0x3fb8aa3b
	v_mul_f32_e32 v50, 0x3fb8aa3b, v49
	v_fma_f32 v51, v49, s11, -v50
	v_rndne_f32_e32 v52, v50
	v_fmamk_f32 v51, v49, 0x32a5705f, v51
	v_sub_f32_e32 v50, v50, v52
	v_add_f32_e32 v50, v50, v51
	v_exp_f32_e32 v50, v50
	v_cvt_i32_f32_e32 v51, v52
	s_mov_b32 s11, 0xc2ce8ed0
	v_cmp_ngt_f32_e32 vcc, s11, v49
	s_mov_b32 s11, 0x42b17218
	v_ldexp_f32 v50, v50, v51
	v_cndmask_b32_e32 v50, 0, v50, vcc
	v_mov_b32_e32 v51, 0x7f800000
	v_cmp_nlt_f32_e32 vcc, s11, v49
	s_mov_b32 s11, 0x3f2aaaab
	s_mov_b32 s13, 0x7f800000
	v_cndmask_b32_e32 v84, v51, v50, vcc
	v_add_f32_e32 v49, 1.0, v84
	v_add_f32_e32 v50, -1.0, v49
	v_sub_f32_e32 v51, v50, v49
	v_add_f32_e32 v51, 1.0, v51
	v_sub_f32_e32 v50, v84, v50
	v_add_f32_e32 v52, v50, v51
	v_frexp_mant_f32_e32 v53, v49
	v_cvt_f64_f32_e32 v[50:51], v49
	v_frexp_exp_i32_f64_e32 v50, v[50:51]
	v_cmp_gt_f32_e32 vcc, s11, v53
	s_mov_b32 s11, 0x3f317218
	s_nop 0
	v_subbrev_co_u32_e32 v66, vcc, 0, v50, vcc
	v_sub_u32_e32 v50, 0, v66
	v_ldexp_f32 v49, v49, v50
	v_ldexp_f32 v50, v52, v50
	v_add_f32_e32 v52, -1.0, v49
	v_add_f32_e32 v51, 1.0, v52
	v_sub_f32_e32 v51, v49, v51
	v_add_f32_e32 v53, v50, v51
	v_add_f32_e32 v51, 1.0, v49
	v_add_f32_e32 v54, -1.0, v51
	v_sub_f32_e32 v49, v49, v54
	v_add_f32_e32 v49, v50, v49
	v_add_f32_e32 v67, v51, v49
	v_rcp_f32_e32 v70, v67
	v_sub_f32_e32 v50, v51, v67
	v_add_f32_e32 v51, v52, v53
	v_add_f32_e32 v49, v49, v50
	v_mul_f32_e32 v80, v51, v70
	v_sub_f32_e32 v50, v52, v51
	v_mul_f32_e32 v52, v67, v80
	v_fma_f32 v54, v80, v67, -v52
	v_fmac_f32_e32 v54, v80, v49
	v_add_f32_e32 v71, v53, v50
	v_add_f32_e32 v50, v52, v54
	v_sub_f32_e32 v53, v51, v50
	v_pk_add_f32 v[64:65], v[50:51], v[52:53] neg_lo:[0,1] neg_hi:[0,1]
	v_mov_b32_e32 v55, v50
	v_pk_add_f32 v[50:51], v[64:65], v[54:55] neg_lo:[0,1] neg_hi:[0,1]
	v_cmp_eq_f32_e32 vcc, s13, v84
	v_add_f32_e32 v51, v71, v51
	v_add_f32_e32 v50, v50, v51
	;; [unrolled: 1-line block ×3, first 2 shown]
	v_mul_f32_e32 v71, v70, v51
	v_mul_f32_e32 v52, v67, v71
	v_fma_f32 v54, v71, v67, -v52
	v_fmac_f32_e32 v54, v71, v49
	v_sub_f32_e32 v49, v53, v51
	v_add_f32_e32 v49, v50, v49
	v_add_f32_e32 v50, v52, v54
	v_sub_f32_e32 v53, v51, v50
	v_pk_add_f32 v[64:65], v[50:51], v[52:53] neg_lo:[0,1] neg_hi:[0,1]
	v_mov_b32_e32 v55, v50
	v_pk_add_f32 v[50:51], v[64:65], v[54:55] neg_lo:[0,1] neg_hi:[0,1]
	v_cvt_f32_i32_e32 v52, v66
	v_add_f32_e32 v49, v49, v51
	v_add_f32_e32 v49, v50, v49
	;; [unrolled: 1-line block ×4, first 2 shown]
	v_sub_f32_e32 v51, v50, v80
	v_mul_f32_e32 v49, v70, v49
	v_sub_f32_e32 v51, v71, v51
	v_add_f32_e32 v49, v51, v49
	v_add_f32_e32 v53, v50, v49
	v_mul_f32_e32 v54, v53, v53
	v_mov_b32_e32 v51, 0x3ecc95a3
	v_fmac_f32_e32 v51, 0x3e9b6dac, v54
	v_sub_f32_e32 v50, v53, v50
	v_fmaak_f32 v51, v54, v51, 0x3f2aaada
	v_sub_f32_e32 v49, v49, v50
	v_ldexp_f32 v55, v53, 1
	v_mul_f32_e32 v53, v53, v54
	v_mov_b32_e32 v50, 0x3f317218
	v_pk_mul_f32 v[50:51], v[52:53], v[50:51]
	v_ldexp_f32 v49, v49, 1
	v_fma_f32 v53, v52, s11, -v50
	v_fmamk_f32 v54, v52, 0xb102e308, v53
	v_pk_add_f32 v[52:53], v[50:51], v[54:55]
	v_mov_b32_e32 v64, v50
	v_sub_f32_e32 v55, v53, v55
	v_sub_f32_e32 v55, v51, v55
	v_add_f32_e32 v65, v49, v55
	v_pk_add_f32 v[50:51], v[52:53], v[50:51] neg_lo:[0,1] neg_hi:[0,1]
	v_pk_add_f32 v[66:67], v[52:53], v[64:65]
	v_mov_b32_e32 v55, v52
	v_mov_b32_e32 v51, v67
	v_pk_add_f32 v[70:71], v[54:55], v[50:51] neg_lo:[0,1] neg_hi:[0,1]
	v_pk_add_f32 v[50:51], v[54:55], v[50:51]
	v_mov_b32_e32 v64, v65
	v_mov_b32_e32 v54, v51
	v_pk_add_f32 v[80:81], v[54:55], v[52:53] neg_lo:[0,1] neg_hi:[0,1]
	v_mov_b32_e32 v50, v67
	v_mov_b32_e32 v49, v80
	v_pk_add_f32 v[82:83], v[66:67], v[48:49] neg_lo:[0,1] neg_hi:[0,1]
	v_mov_b32_e32 v66, v53
	v_mov_b32_e32 v67, v80
	;; [unrolled: 1-line block ×3, first 2 shown]
	v_pk_add_f32 v[50:51], v[50:51], v[66:67] neg_lo:[0,1] neg_hi:[0,1]
	v_mov_b32_e32 v65, v52
	v_pk_add_f32 v[50:51], v[64:65], v[50:51] neg_lo:[0,1] neg_hi:[0,1]
	v_mov_b32_e32 v82, v70
	v_pk_add_f32 v[52:53], v[82:83], v[50:51]
	s_mov_b32 s11, 0x33800000
	v_mov_b32_e32 v64, v53
	v_pk_add_f32 v[64:65], v[52:53], v[64:65]
	v_cmp_lt_f32_e64 s[14:15], |v84|, s11
	v_pk_add_f32 v[54:55], v[54:55], v[64:65]
	v_mov_b32_e32 v51, v64
	v_mov_b32_e32 v53, v54
	v_pk_add_f32 v[66:67], v[52:53], v[70:71] neg_lo:[0,1] neg_hi:[0,1]
	s_or_b64 vcc, vcc, s[14:15]
	v_sub_f32_e32 v49, v52, v66
	v_pk_add_f32 v[50:51], v[50:51], v[66:67] neg_lo:[0,1] neg_hi:[0,1]
	v_sub_f32_e32 v49, v70, v49
	v_add_f32_e32 v49, v50, v49
	v_add_f32_e32 v49, v49, v51
	;; [unrolled: 1-line block ×3, first 2 shown]
	v_cndmask_b32_e32 v49, v49, v84, vcc
	v_add_f32_e32 v128, v48, v49
.LBB141_59:
	s_or_b64 exec, exec, s[8:9]
	v_max_f32_e32 v70, v36, v36
	v_max_f32_e32 v48, v128, v128
	v_min_f32_e32 v49, v48, v70
	v_cmp_u_f32_e32 vcc, v128, v128
	v_max_f32_e32 v48, v48, v70
	v_cmp_u_f32_e64 s[8:9], v36, v36
	v_cndmask_b32_e32 v49, v49, v128, vcc
	v_cndmask_b32_e32 v48, v48, v128, vcc
	v_cndmask_b32_e64 v49, v49, v36, s[8:9]
	v_cndmask_b32_e64 v48, v48, v36, s[8:9]
	v_cmp_neq_f32_e32 vcc, v49, v48
	v_cmp_class_f32_e64 s[10:11], v49, s10
	s_or_b64 s[14:15], vcc, s[10:11]
	s_and_saveexec_b64 s[10:11], s[14:15]
	s_cbranch_execz .LBB141_61
; %bb.60:
	v_sub_f32_e32 v49, v49, v48
	s_mov_b32 s13, 0x3fb8aa3b
	v_mul_f32_e32 v50, 0x3fb8aa3b, v49
	v_fma_f32 v51, v49, s13, -v50
	v_rndne_f32_e32 v52, v50
	v_fmamk_f32 v51, v49, 0x32a5705f, v51
	v_sub_f32_e32 v50, v50, v52
	v_add_f32_e32 v50, v50, v51
	v_exp_f32_e32 v50, v50
	v_cvt_i32_f32_e32 v51, v52
	s_mov_b32 s13, 0xc2ce8ed0
	v_cmp_ngt_f32_e32 vcc, s13, v49
	s_mov_b32 s13, 0x42b17218
	v_ldexp_f32 v50, v50, v51
	v_cndmask_b32_e32 v50, 0, v50, vcc
	v_mov_b32_e32 v51, 0x7f800000
	v_cmp_nlt_f32_e32 vcc, s13, v49
	s_mov_b32 s13, 0x3f2aaaab
	s_mov_b32 s14, 0x7f800000
	v_cndmask_b32_e32 v71, v51, v50, vcc
	v_add_f32_e32 v49, 1.0, v71
	v_add_f32_e32 v50, -1.0, v49
	v_sub_f32_e32 v51, v50, v49
	v_add_f32_e32 v51, 1.0, v51
	v_sub_f32_e32 v50, v71, v50
	v_add_f32_e32 v52, v50, v51
	v_frexp_mant_f32_e32 v53, v49
	v_cvt_f64_f32_e32 v[50:51], v49
	v_frexp_exp_i32_f64_e32 v50, v[50:51]
	v_cmp_gt_f32_e32 vcc, s13, v53
	s_mov_b32 s13, 0x3f317218
	s_nop 0
	v_subbrev_co_u32_e32 v66, vcc, 0, v50, vcc
	v_sub_u32_e32 v50, 0, v66
	v_ldexp_f32 v49, v49, v50
	v_ldexp_f32 v50, v52, v50
	v_add_f32_e32 v52, -1.0, v49
	v_add_f32_e32 v51, 1.0, v52
	v_sub_f32_e32 v51, v49, v51
	v_add_f32_e32 v53, v50, v51
	v_add_f32_e32 v51, 1.0, v49
	v_add_f32_e32 v54, -1.0, v51
	v_sub_f32_e32 v49, v49, v54
	v_add_f32_e32 v49, v50, v49
	v_add_f32_e32 v67, v51, v49
	v_rcp_f32_e32 v80, v67
	v_sub_f32_e32 v50, v51, v67
	v_add_f32_e32 v51, v52, v53
	v_add_f32_e32 v49, v49, v50
	v_mul_f32_e32 v82, v51, v80
	v_sub_f32_e32 v50, v52, v51
	v_mul_f32_e32 v52, v67, v82
	v_fma_f32 v54, v82, v67, -v52
	v_fmac_f32_e32 v54, v82, v49
	v_add_f32_e32 v81, v53, v50
	v_add_f32_e32 v50, v52, v54
	v_sub_f32_e32 v53, v51, v50
	v_pk_add_f32 v[64:65], v[50:51], v[52:53] neg_lo:[0,1] neg_hi:[0,1]
	v_mov_b32_e32 v55, v50
	v_pk_add_f32 v[50:51], v[64:65], v[54:55] neg_lo:[0,1] neg_hi:[0,1]
	v_cmp_eq_f32_e32 vcc, s14, v71
	v_add_f32_e32 v51, v81, v51
	v_add_f32_e32 v50, v50, v51
	;; [unrolled: 1-line block ×3, first 2 shown]
	v_mul_f32_e32 v81, v80, v51
	v_mul_f32_e32 v52, v67, v81
	v_fma_f32 v54, v81, v67, -v52
	v_fmac_f32_e32 v54, v81, v49
	v_sub_f32_e32 v49, v53, v51
	v_add_f32_e32 v49, v50, v49
	v_add_f32_e32 v50, v52, v54
	v_sub_f32_e32 v53, v51, v50
	v_pk_add_f32 v[64:65], v[50:51], v[52:53] neg_lo:[0,1] neg_hi:[0,1]
	v_mov_b32_e32 v55, v50
	v_pk_add_f32 v[50:51], v[64:65], v[54:55] neg_lo:[0,1] neg_hi:[0,1]
	v_cvt_f32_i32_e32 v52, v66
	v_add_f32_e32 v49, v49, v51
	v_add_f32_e32 v49, v50, v49
	;; [unrolled: 1-line block ×4, first 2 shown]
	v_sub_f32_e32 v51, v50, v82
	v_mul_f32_e32 v49, v80, v49
	v_sub_f32_e32 v51, v81, v51
	v_add_f32_e32 v49, v51, v49
	v_add_f32_e32 v53, v50, v49
	v_mul_f32_e32 v54, v53, v53
	v_mov_b32_e32 v51, 0x3ecc95a3
	v_fmac_f32_e32 v51, 0x3e9b6dac, v54
	v_sub_f32_e32 v50, v53, v50
	v_fmaak_f32 v51, v54, v51, 0x3f2aaada
	v_sub_f32_e32 v49, v49, v50
	v_ldexp_f32 v55, v53, 1
	v_mul_f32_e32 v53, v53, v54
	v_mov_b32_e32 v50, 0x3f317218
	v_pk_mul_f32 v[50:51], v[52:53], v[50:51]
	v_ldexp_f32 v49, v49, 1
	v_fma_f32 v53, v52, s13, -v50
	v_fmamk_f32 v54, v52, 0xb102e308, v53
	v_pk_add_f32 v[52:53], v[50:51], v[54:55]
	v_mov_b32_e32 v64, v50
	v_sub_f32_e32 v55, v53, v55
	v_sub_f32_e32 v55, v51, v55
	v_add_f32_e32 v65, v49, v55
	v_pk_add_f32 v[50:51], v[52:53], v[50:51] neg_lo:[0,1] neg_hi:[0,1]
	v_pk_add_f32 v[66:67], v[52:53], v[64:65]
	v_mov_b32_e32 v55, v52
	v_mov_b32_e32 v51, v67
	v_pk_add_f32 v[80:81], v[54:55], v[50:51] neg_lo:[0,1] neg_hi:[0,1]
	v_pk_add_f32 v[50:51], v[54:55], v[50:51]
	v_mov_b32_e32 v64, v65
	v_mov_b32_e32 v54, v51
	v_pk_add_f32 v[82:83], v[54:55], v[52:53] neg_lo:[0,1] neg_hi:[0,1]
	v_mov_b32_e32 v50, v67
	v_mov_b32_e32 v49, v82
	v_pk_add_f32 v[84:85], v[66:67], v[48:49] neg_lo:[0,1] neg_hi:[0,1]
	v_mov_b32_e32 v66, v53
	v_mov_b32_e32 v67, v82
	;; [unrolled: 1-line block ×3, first 2 shown]
	v_pk_add_f32 v[50:51], v[50:51], v[66:67] neg_lo:[0,1] neg_hi:[0,1]
	v_mov_b32_e32 v65, v52
	v_pk_add_f32 v[50:51], v[64:65], v[50:51] neg_lo:[0,1] neg_hi:[0,1]
	v_mov_b32_e32 v84, v80
	v_pk_add_f32 v[52:53], v[84:85], v[50:51]
	s_mov_b32 s13, 0x33800000
	v_mov_b32_e32 v64, v53
	v_pk_add_f32 v[64:65], v[52:53], v[64:65]
	v_cmp_lt_f32_e64 s[14:15], |v71|, s13
	v_pk_add_f32 v[54:55], v[54:55], v[64:65]
	v_mov_b32_e32 v51, v64
	v_mov_b32_e32 v53, v54
	v_pk_add_f32 v[66:67], v[52:53], v[80:81] neg_lo:[0,1] neg_hi:[0,1]
	s_or_b64 vcc, vcc, s[14:15]
	v_sub_f32_e32 v49, v52, v66
	v_pk_add_f32 v[50:51], v[50:51], v[66:67] neg_lo:[0,1] neg_hi:[0,1]
	v_sub_f32_e32 v49, v80, v49
	v_add_f32_e32 v49, v50, v49
	v_add_f32_e32 v49, v49, v51
	;; [unrolled: 1-line block ×3, first 2 shown]
	v_cndmask_b32_e32 v49, v49, v71, vcc
	v_add_f32_e32 v128, v48, v49
.LBB141_61:
	s_or_b64 exec, exec, s[10:11]
	v_max_f32_e32 v71, v37, v37
	v_max_f32_e32 v48, v128, v128
	v_min_f32_e32 v49, v48, v71
	v_cmp_u_f32_e32 vcc, v128, v128
	v_max_f32_e32 v48, v48, v71
	v_cmp_u_f32_e64 s[10:11], v37, v37
	v_cndmask_b32_e32 v49, v49, v128, vcc
	v_cndmask_b32_e32 v48, v48, v128, vcc
	v_cndmask_b32_e64 v49, v49, v37, s[10:11]
	v_cndmask_b32_e64 v48, v48, v37, s[10:11]
	s_movk_i32 s13, 0x1f8
	v_cmp_neq_f32_e32 vcc, v49, v48
	v_cmp_class_f32_e64 s[14:15], v49, s13
	s_or_b64 s[16:17], vcc, s[14:15]
	s_and_saveexec_b64 s[14:15], s[16:17]
	s_cbranch_execz .LBB141_63
; %bb.62:
	v_sub_f32_e32 v49, v49, v48
	s_mov_b32 s16, 0x3fb8aa3b
	v_mul_f32_e32 v50, 0x3fb8aa3b, v49
	v_fma_f32 v51, v49, s16, -v50
	v_rndne_f32_e32 v52, v50
	v_fmamk_f32 v51, v49, 0x32a5705f, v51
	v_sub_f32_e32 v50, v50, v52
	v_add_f32_e32 v50, v50, v51
	v_exp_f32_e32 v50, v50
	v_cvt_i32_f32_e32 v51, v52
	s_mov_b32 s16, 0xc2ce8ed0
	v_cmp_ngt_f32_e32 vcc, s16, v49
	s_mov_b32 s16, 0x42b17218
	v_ldexp_f32 v50, v50, v51
	v_cndmask_b32_e32 v50, 0, v50, vcc
	v_mov_b32_e32 v51, 0x7f800000
	v_cmp_nlt_f32_e32 vcc, s16, v49
	s_mov_b32 s16, 0x3f2aaaab
	s_mov_b32 s17, 0x7f800000
	v_cndmask_b32_e32 v86, v51, v50, vcc
	v_add_f32_e32 v49, 1.0, v86
	v_add_f32_e32 v50, -1.0, v49
	v_sub_f32_e32 v51, v50, v49
	v_add_f32_e32 v51, 1.0, v51
	v_sub_f32_e32 v50, v86, v50
	v_add_f32_e32 v52, v50, v51
	v_frexp_mant_f32_e32 v53, v49
	v_cvt_f64_f32_e32 v[50:51], v49
	v_frexp_exp_i32_f64_e32 v50, v[50:51]
	v_cmp_gt_f32_e32 vcc, s16, v53
	s_mov_b32 s16, 0x3f317218
	s_nop 0
	v_subbrev_co_u32_e32 v66, vcc, 0, v50, vcc
	v_sub_u32_e32 v50, 0, v66
	v_ldexp_f32 v49, v49, v50
	v_ldexp_f32 v50, v52, v50
	v_add_f32_e32 v52, -1.0, v49
	v_add_f32_e32 v51, 1.0, v52
	v_sub_f32_e32 v51, v49, v51
	v_add_f32_e32 v53, v50, v51
	v_add_f32_e32 v51, 1.0, v49
	v_add_f32_e32 v54, -1.0, v51
	v_sub_f32_e32 v49, v49, v54
	v_add_f32_e32 v49, v50, v49
	v_add_f32_e32 v67, v51, v49
	v_rcp_f32_e32 v80, v67
	v_sub_f32_e32 v50, v51, v67
	v_add_f32_e32 v51, v52, v53
	v_add_f32_e32 v49, v49, v50
	v_mul_f32_e32 v82, v51, v80
	v_sub_f32_e32 v50, v52, v51
	v_mul_f32_e32 v52, v67, v82
	v_fma_f32 v54, v82, v67, -v52
	v_fmac_f32_e32 v54, v82, v49
	v_add_f32_e32 v81, v53, v50
	v_add_f32_e32 v50, v52, v54
	v_sub_f32_e32 v53, v51, v50
	v_pk_add_f32 v[64:65], v[50:51], v[52:53] neg_lo:[0,1] neg_hi:[0,1]
	v_mov_b32_e32 v55, v50
	v_pk_add_f32 v[50:51], v[64:65], v[54:55] neg_lo:[0,1] neg_hi:[0,1]
	v_cmp_eq_f32_e32 vcc, s17, v86
	v_add_f32_e32 v51, v81, v51
	v_add_f32_e32 v50, v50, v51
	;; [unrolled: 1-line block ×3, first 2 shown]
	v_mul_f32_e32 v81, v80, v51
	v_mul_f32_e32 v52, v67, v81
	v_fma_f32 v54, v81, v67, -v52
	v_fmac_f32_e32 v54, v81, v49
	v_sub_f32_e32 v49, v53, v51
	v_add_f32_e32 v49, v50, v49
	v_add_f32_e32 v50, v52, v54
	v_sub_f32_e32 v53, v51, v50
	v_pk_add_f32 v[64:65], v[50:51], v[52:53] neg_lo:[0,1] neg_hi:[0,1]
	v_mov_b32_e32 v55, v50
	v_pk_add_f32 v[50:51], v[64:65], v[54:55] neg_lo:[0,1] neg_hi:[0,1]
	v_cvt_f32_i32_e32 v52, v66
	v_add_f32_e32 v49, v49, v51
	v_add_f32_e32 v49, v50, v49
	;; [unrolled: 1-line block ×4, first 2 shown]
	v_sub_f32_e32 v51, v50, v82
	v_mul_f32_e32 v49, v80, v49
	v_sub_f32_e32 v51, v81, v51
	v_add_f32_e32 v49, v51, v49
	v_add_f32_e32 v53, v50, v49
	v_mul_f32_e32 v54, v53, v53
	v_mov_b32_e32 v51, 0x3ecc95a3
	v_fmac_f32_e32 v51, 0x3e9b6dac, v54
	v_sub_f32_e32 v50, v53, v50
	v_fmaak_f32 v51, v54, v51, 0x3f2aaada
	v_sub_f32_e32 v49, v49, v50
	v_ldexp_f32 v55, v53, 1
	v_mul_f32_e32 v53, v53, v54
	v_mov_b32_e32 v50, 0x3f317218
	v_pk_mul_f32 v[50:51], v[52:53], v[50:51]
	v_ldexp_f32 v49, v49, 1
	v_fma_f32 v53, v52, s16, -v50
	v_fmamk_f32 v54, v52, 0xb102e308, v53
	v_pk_add_f32 v[52:53], v[50:51], v[54:55]
	v_mov_b32_e32 v64, v50
	v_sub_f32_e32 v55, v53, v55
	v_sub_f32_e32 v55, v51, v55
	v_add_f32_e32 v65, v49, v55
	v_pk_add_f32 v[50:51], v[52:53], v[50:51] neg_lo:[0,1] neg_hi:[0,1]
	v_pk_add_f32 v[66:67], v[52:53], v[64:65]
	v_mov_b32_e32 v55, v52
	v_mov_b32_e32 v51, v67
	v_pk_add_f32 v[80:81], v[54:55], v[50:51] neg_lo:[0,1] neg_hi:[0,1]
	v_pk_add_f32 v[50:51], v[54:55], v[50:51]
	v_mov_b32_e32 v64, v65
	v_mov_b32_e32 v54, v51
	v_pk_add_f32 v[82:83], v[54:55], v[52:53] neg_lo:[0,1] neg_hi:[0,1]
	v_mov_b32_e32 v50, v67
	v_mov_b32_e32 v49, v82
	v_pk_add_f32 v[84:85], v[66:67], v[48:49] neg_lo:[0,1] neg_hi:[0,1]
	v_mov_b32_e32 v66, v53
	v_mov_b32_e32 v67, v82
	;; [unrolled: 1-line block ×3, first 2 shown]
	v_pk_add_f32 v[50:51], v[50:51], v[66:67] neg_lo:[0,1] neg_hi:[0,1]
	v_mov_b32_e32 v65, v52
	v_pk_add_f32 v[50:51], v[64:65], v[50:51] neg_lo:[0,1] neg_hi:[0,1]
	v_mov_b32_e32 v84, v80
	v_pk_add_f32 v[52:53], v[84:85], v[50:51]
	s_mov_b32 s16, 0x33800000
	v_mov_b32_e32 v64, v53
	v_pk_add_f32 v[64:65], v[52:53], v[64:65]
	v_cmp_lt_f32_e64 s[16:17], |v86|, s16
	v_pk_add_f32 v[54:55], v[54:55], v[64:65]
	v_mov_b32_e32 v51, v64
	v_mov_b32_e32 v53, v54
	v_pk_add_f32 v[66:67], v[52:53], v[80:81] neg_lo:[0,1] neg_hi:[0,1]
	s_or_b64 vcc, vcc, s[16:17]
	v_sub_f32_e32 v49, v52, v66
	v_pk_add_f32 v[50:51], v[50:51], v[66:67] neg_lo:[0,1] neg_hi:[0,1]
	v_sub_f32_e32 v49, v80, v49
	v_add_f32_e32 v49, v50, v49
	v_add_f32_e32 v49, v49, v51
	;; [unrolled: 1-line block ×3, first 2 shown]
	v_cndmask_b32_e32 v49, v49, v86, vcc
	v_add_f32_e32 v128, v48, v49
.LBB141_63:
	s_or_b64 exec, exec, s[14:15]
	v_max_f32_e32 v80, v38, v38
	v_max_f32_e32 v48, v128, v128
	v_min_f32_e32 v49, v48, v80
	v_cmp_u_f32_e32 vcc, v128, v128
	v_max_f32_e32 v48, v48, v80
	v_cmp_u_f32_e64 s[58:59], v38, v38
	v_cndmask_b32_e32 v49, v49, v128, vcc
	v_cndmask_b32_e32 v48, v48, v128, vcc
	v_cndmask_b32_e64 v49, v49, v38, s[58:59]
	v_cndmask_b32_e64 v48, v48, v38, s[58:59]
	v_cmp_neq_f32_e32 vcc, v49, v48
	v_cmp_class_f32_e64 s[14:15], v49, s13
	s_or_b64 s[16:17], vcc, s[14:15]
	s_and_saveexec_b64 s[14:15], s[16:17]
	s_cbranch_execz .LBB141_65
; %bb.64:
	v_sub_f32_e32 v49, v49, v48
	s_mov_b32 s13, 0x3fb8aa3b
	v_mul_f32_e32 v50, 0x3fb8aa3b, v49
	v_fma_f32 v51, v49, s13, -v50
	v_rndne_f32_e32 v52, v50
	v_fmamk_f32 v51, v49, 0x32a5705f, v51
	v_sub_f32_e32 v50, v50, v52
	v_add_f32_e32 v50, v50, v51
	v_exp_f32_e32 v50, v50
	v_cvt_i32_f32_e32 v51, v52
	s_mov_b32 s13, 0xc2ce8ed0
	v_cmp_ngt_f32_e32 vcc, s13, v49
	s_mov_b32 s13, 0x42b17218
	v_ldexp_f32 v50, v50, v51
	v_cndmask_b32_e32 v50, 0, v50, vcc
	v_mov_b32_e32 v51, 0x7f800000
	v_cmp_nlt_f32_e32 vcc, s13, v49
	s_mov_b32 s13, 0x3f2aaaab
	s_mov_b32 s16, 0x7f800000
	v_cndmask_b32_e32 v81, v51, v50, vcc
	v_add_f32_e32 v49, 1.0, v81
	v_add_f32_e32 v50, -1.0, v49
	v_sub_f32_e32 v51, v50, v49
	v_add_f32_e32 v51, 1.0, v51
	v_sub_f32_e32 v50, v81, v50
	v_add_f32_e32 v52, v50, v51
	v_frexp_mant_f32_e32 v53, v49
	v_cvt_f64_f32_e32 v[50:51], v49
	v_frexp_exp_i32_f64_e32 v50, v[50:51]
	v_cmp_gt_f32_e32 vcc, s13, v53
	s_mov_b32 s13, 0x3f317218
	s_nop 0
	v_subbrev_co_u32_e32 v66, vcc, 0, v50, vcc
	v_sub_u32_e32 v50, 0, v66
	v_ldexp_f32 v49, v49, v50
	v_ldexp_f32 v50, v52, v50
	v_add_f32_e32 v52, -1.0, v49
	v_add_f32_e32 v51, 1.0, v52
	v_sub_f32_e32 v51, v49, v51
	v_add_f32_e32 v53, v50, v51
	v_add_f32_e32 v51, 1.0, v49
	v_add_f32_e32 v54, -1.0, v51
	v_sub_f32_e32 v49, v49, v54
	v_add_f32_e32 v49, v50, v49
	v_add_f32_e32 v67, v51, v49
	v_rcp_f32_e32 v82, v67
	v_sub_f32_e32 v50, v51, v67
	v_add_f32_e32 v51, v52, v53
	v_add_f32_e32 v49, v49, v50
	v_mul_f32_e32 v84, v51, v82
	v_sub_f32_e32 v50, v52, v51
	v_mul_f32_e32 v52, v67, v84
	v_fma_f32 v54, v84, v67, -v52
	v_fmac_f32_e32 v54, v84, v49
	v_add_f32_e32 v83, v53, v50
	v_add_f32_e32 v50, v52, v54
	v_sub_f32_e32 v53, v51, v50
	v_pk_add_f32 v[64:65], v[50:51], v[52:53] neg_lo:[0,1] neg_hi:[0,1]
	v_mov_b32_e32 v55, v50
	v_pk_add_f32 v[50:51], v[64:65], v[54:55] neg_lo:[0,1] neg_hi:[0,1]
	v_cmp_eq_f32_e32 vcc, s16, v81
	v_add_f32_e32 v51, v83, v51
	v_add_f32_e32 v50, v50, v51
	;; [unrolled: 1-line block ×3, first 2 shown]
	v_mul_f32_e32 v83, v82, v51
	v_mul_f32_e32 v52, v67, v83
	v_fma_f32 v54, v83, v67, -v52
	v_fmac_f32_e32 v54, v83, v49
	v_sub_f32_e32 v49, v53, v51
	v_add_f32_e32 v49, v50, v49
	v_add_f32_e32 v50, v52, v54
	v_sub_f32_e32 v53, v51, v50
	v_pk_add_f32 v[64:65], v[50:51], v[52:53] neg_lo:[0,1] neg_hi:[0,1]
	v_mov_b32_e32 v55, v50
	v_pk_add_f32 v[50:51], v[64:65], v[54:55] neg_lo:[0,1] neg_hi:[0,1]
	v_cvt_f32_i32_e32 v52, v66
	v_add_f32_e32 v49, v49, v51
	v_add_f32_e32 v49, v50, v49
	;; [unrolled: 1-line block ×4, first 2 shown]
	v_sub_f32_e32 v51, v50, v84
	v_mul_f32_e32 v49, v82, v49
	v_sub_f32_e32 v51, v83, v51
	v_add_f32_e32 v49, v51, v49
	v_add_f32_e32 v53, v50, v49
	v_mul_f32_e32 v54, v53, v53
	v_mov_b32_e32 v51, 0x3ecc95a3
	v_fmac_f32_e32 v51, 0x3e9b6dac, v54
	v_sub_f32_e32 v50, v53, v50
	v_fmaak_f32 v51, v54, v51, 0x3f2aaada
	v_sub_f32_e32 v49, v49, v50
	v_ldexp_f32 v55, v53, 1
	v_mul_f32_e32 v53, v53, v54
	v_mov_b32_e32 v50, 0x3f317218
	v_pk_mul_f32 v[50:51], v[52:53], v[50:51]
	v_ldexp_f32 v49, v49, 1
	v_fma_f32 v53, v52, s13, -v50
	v_fmamk_f32 v54, v52, 0xb102e308, v53
	v_pk_add_f32 v[52:53], v[50:51], v[54:55]
	v_mov_b32_e32 v64, v50
	v_sub_f32_e32 v55, v53, v55
	v_sub_f32_e32 v55, v51, v55
	v_add_f32_e32 v65, v49, v55
	v_pk_add_f32 v[50:51], v[52:53], v[50:51] neg_lo:[0,1] neg_hi:[0,1]
	v_pk_add_f32 v[66:67], v[52:53], v[64:65]
	v_mov_b32_e32 v55, v52
	v_mov_b32_e32 v51, v67
	v_pk_add_f32 v[82:83], v[54:55], v[50:51] neg_lo:[0,1] neg_hi:[0,1]
	v_pk_add_f32 v[50:51], v[54:55], v[50:51]
	v_mov_b32_e32 v64, v65
	v_mov_b32_e32 v54, v51
	v_pk_add_f32 v[84:85], v[54:55], v[52:53] neg_lo:[0,1] neg_hi:[0,1]
	v_mov_b32_e32 v50, v67
	v_mov_b32_e32 v49, v84
	v_pk_add_f32 v[86:87], v[66:67], v[48:49] neg_lo:[0,1] neg_hi:[0,1]
	v_mov_b32_e32 v66, v53
	v_mov_b32_e32 v67, v84
	;; [unrolled: 1-line block ×3, first 2 shown]
	v_pk_add_f32 v[50:51], v[50:51], v[66:67] neg_lo:[0,1] neg_hi:[0,1]
	v_mov_b32_e32 v65, v52
	v_pk_add_f32 v[50:51], v[64:65], v[50:51] neg_lo:[0,1] neg_hi:[0,1]
	v_mov_b32_e32 v86, v82
	v_pk_add_f32 v[52:53], v[86:87], v[50:51]
	s_mov_b32 s13, 0x33800000
	v_mov_b32_e32 v64, v53
	v_pk_add_f32 v[64:65], v[52:53], v[64:65]
	v_cmp_lt_f32_e64 s[16:17], |v81|, s13
	v_pk_add_f32 v[54:55], v[54:55], v[64:65]
	v_mov_b32_e32 v51, v64
	v_mov_b32_e32 v53, v54
	v_pk_add_f32 v[66:67], v[52:53], v[82:83] neg_lo:[0,1] neg_hi:[0,1]
	s_or_b64 vcc, vcc, s[16:17]
	v_sub_f32_e32 v49, v52, v66
	v_pk_add_f32 v[50:51], v[50:51], v[66:67] neg_lo:[0,1] neg_hi:[0,1]
	v_sub_f32_e32 v49, v82, v49
	v_add_f32_e32 v49, v50, v49
	v_add_f32_e32 v49, v49, v51
	;; [unrolled: 1-line block ×3, first 2 shown]
	v_cndmask_b32_e32 v49, v49, v81, vcc
	v_add_f32_e32 v128, v48, v49
.LBB141_65:
	s_or_b64 exec, exec, s[14:15]
	v_max_f32_e32 v81, v39, v39
	v_max_f32_e32 v48, v128, v128
	v_min_f32_e32 v49, v48, v81
	v_cmp_u_f32_e32 vcc, v128, v128
	v_max_f32_e32 v48, v48, v81
	v_cmp_u_f32_e64 s[14:15], v39, v39
	v_cndmask_b32_e32 v49, v49, v128, vcc
	v_cndmask_b32_e32 v48, v48, v128, vcc
	v_cndmask_b32_e64 v49, v49, v39, s[14:15]
	v_cndmask_b32_e64 v48, v48, v39, s[14:15]
	s_movk_i32 s13, 0x1f8
	v_cmp_neq_f32_e32 vcc, v49, v48
	v_cmp_class_f32_e64 s[16:17], v49, s13
	s_or_b64 s[18:19], vcc, s[16:17]
	s_and_saveexec_b64 s[16:17], s[18:19]
	s_cbranch_execz .LBB141_67
; %bb.66:
	v_sub_f32_e32 v49, v49, v48
	s_mov_b32 s18, 0x3fb8aa3b
	v_mul_f32_e32 v50, 0x3fb8aa3b, v49
	v_fma_f32 v51, v49, s18, -v50
	v_rndne_f32_e32 v52, v50
	v_fmamk_f32 v51, v49, 0x32a5705f, v51
	v_sub_f32_e32 v50, v50, v52
	v_add_f32_e32 v50, v50, v51
	v_exp_f32_e32 v50, v50
	v_cvt_i32_f32_e32 v51, v52
	s_mov_b32 s18, 0xc2ce8ed0
	v_cmp_ngt_f32_e32 vcc, s18, v49
	s_mov_b32 s18, 0x42b17218
	v_ldexp_f32 v50, v50, v51
	v_cndmask_b32_e32 v50, 0, v50, vcc
	v_mov_b32_e32 v51, 0x7f800000
	v_cmp_nlt_f32_e32 vcc, s18, v49
	s_mov_b32 s18, 0x3f2aaaab
	s_mov_b32 s19, 0x7f800000
	v_cndmask_b32_e32 v101, v51, v50, vcc
	v_add_f32_e32 v49, 1.0, v101
	v_add_f32_e32 v50, -1.0, v49
	v_sub_f32_e32 v51, v50, v49
	v_add_f32_e32 v51, 1.0, v51
	v_sub_f32_e32 v50, v101, v50
	v_add_f32_e32 v52, v50, v51
	v_frexp_mant_f32_e32 v53, v49
	v_cvt_f64_f32_e32 v[50:51], v49
	v_frexp_exp_i32_f64_e32 v50, v[50:51]
	v_cmp_gt_f32_e32 vcc, s18, v53
	s_mov_b32 s18, 0x3f317218
	s_nop 0
	v_subbrev_co_u32_e32 v66, vcc, 0, v50, vcc
	v_sub_u32_e32 v50, 0, v66
	v_ldexp_f32 v49, v49, v50
	v_ldexp_f32 v50, v52, v50
	v_add_f32_e32 v52, -1.0, v49
	v_add_f32_e32 v51, 1.0, v52
	v_sub_f32_e32 v51, v49, v51
	v_add_f32_e32 v53, v50, v51
	v_add_f32_e32 v51, 1.0, v49
	v_add_f32_e32 v54, -1.0, v51
	v_sub_f32_e32 v49, v49, v54
	v_add_f32_e32 v49, v50, v49
	v_add_f32_e32 v67, v51, v49
	v_rcp_f32_e32 v82, v67
	v_sub_f32_e32 v50, v51, v67
	v_add_f32_e32 v51, v52, v53
	v_add_f32_e32 v49, v49, v50
	v_mul_f32_e32 v84, v51, v82
	v_sub_f32_e32 v50, v52, v51
	v_mul_f32_e32 v52, v67, v84
	v_fma_f32 v54, v84, v67, -v52
	v_fmac_f32_e32 v54, v84, v49
	v_add_f32_e32 v83, v53, v50
	v_add_f32_e32 v50, v52, v54
	v_sub_f32_e32 v53, v51, v50
	v_pk_add_f32 v[64:65], v[50:51], v[52:53] neg_lo:[0,1] neg_hi:[0,1]
	v_mov_b32_e32 v55, v50
	v_pk_add_f32 v[50:51], v[64:65], v[54:55] neg_lo:[0,1] neg_hi:[0,1]
	v_cmp_eq_f32_e32 vcc, s19, v101
	v_add_f32_e32 v51, v83, v51
	v_add_f32_e32 v50, v50, v51
	v_add_f32_e32 v51, v53, v50
	v_mul_f32_e32 v83, v82, v51
	v_mul_f32_e32 v52, v67, v83
	v_fma_f32 v54, v83, v67, -v52
	v_fmac_f32_e32 v54, v83, v49
	v_sub_f32_e32 v49, v53, v51
	v_add_f32_e32 v49, v50, v49
	v_add_f32_e32 v50, v52, v54
	v_sub_f32_e32 v53, v51, v50
	v_pk_add_f32 v[64:65], v[50:51], v[52:53] neg_lo:[0,1] neg_hi:[0,1]
	v_mov_b32_e32 v55, v50
	v_pk_add_f32 v[50:51], v[64:65], v[54:55] neg_lo:[0,1] neg_hi:[0,1]
	v_cvt_f32_i32_e32 v52, v66
	v_add_f32_e32 v49, v49, v51
	v_add_f32_e32 v49, v50, v49
	;; [unrolled: 1-line block ×4, first 2 shown]
	v_sub_f32_e32 v51, v50, v84
	v_mul_f32_e32 v49, v82, v49
	v_sub_f32_e32 v51, v83, v51
	v_add_f32_e32 v49, v51, v49
	v_add_f32_e32 v53, v50, v49
	v_mul_f32_e32 v54, v53, v53
	v_mov_b32_e32 v51, 0x3ecc95a3
	v_fmac_f32_e32 v51, 0x3e9b6dac, v54
	v_sub_f32_e32 v50, v53, v50
	v_fmaak_f32 v51, v54, v51, 0x3f2aaada
	v_sub_f32_e32 v49, v49, v50
	v_ldexp_f32 v55, v53, 1
	v_mul_f32_e32 v53, v53, v54
	v_mov_b32_e32 v50, 0x3f317218
	v_pk_mul_f32 v[50:51], v[52:53], v[50:51]
	v_ldexp_f32 v49, v49, 1
	v_fma_f32 v53, v52, s18, -v50
	v_fmamk_f32 v54, v52, 0xb102e308, v53
	v_pk_add_f32 v[52:53], v[50:51], v[54:55]
	v_mov_b32_e32 v64, v50
	v_sub_f32_e32 v55, v53, v55
	v_sub_f32_e32 v55, v51, v55
	v_add_f32_e32 v65, v49, v55
	v_pk_add_f32 v[50:51], v[52:53], v[50:51] neg_lo:[0,1] neg_hi:[0,1]
	v_pk_add_f32 v[66:67], v[52:53], v[64:65]
	v_mov_b32_e32 v55, v52
	v_mov_b32_e32 v51, v67
	v_pk_add_f32 v[82:83], v[54:55], v[50:51] neg_lo:[0,1] neg_hi:[0,1]
	v_pk_add_f32 v[50:51], v[54:55], v[50:51]
	v_mov_b32_e32 v64, v65
	v_mov_b32_e32 v54, v51
	v_pk_add_f32 v[84:85], v[54:55], v[52:53] neg_lo:[0,1] neg_hi:[0,1]
	v_mov_b32_e32 v50, v67
	v_mov_b32_e32 v49, v84
	v_pk_add_f32 v[86:87], v[66:67], v[48:49] neg_lo:[0,1] neg_hi:[0,1]
	v_mov_b32_e32 v66, v53
	v_mov_b32_e32 v67, v84
	;; [unrolled: 1-line block ×3, first 2 shown]
	v_pk_add_f32 v[50:51], v[50:51], v[66:67] neg_lo:[0,1] neg_hi:[0,1]
	v_mov_b32_e32 v65, v52
	v_pk_add_f32 v[50:51], v[64:65], v[50:51] neg_lo:[0,1] neg_hi:[0,1]
	v_mov_b32_e32 v86, v82
	v_pk_add_f32 v[52:53], v[86:87], v[50:51]
	s_mov_b32 s18, 0x33800000
	v_mov_b32_e32 v64, v53
	v_pk_add_f32 v[64:65], v[52:53], v[64:65]
	v_cmp_lt_f32_e64 s[18:19], |v101|, s18
	v_pk_add_f32 v[54:55], v[54:55], v[64:65]
	v_mov_b32_e32 v51, v64
	v_mov_b32_e32 v53, v54
	v_pk_add_f32 v[66:67], v[52:53], v[82:83] neg_lo:[0,1] neg_hi:[0,1]
	s_or_b64 vcc, vcc, s[18:19]
	v_sub_f32_e32 v49, v52, v66
	v_pk_add_f32 v[50:51], v[50:51], v[66:67] neg_lo:[0,1] neg_hi:[0,1]
	v_sub_f32_e32 v49, v82, v49
	v_add_f32_e32 v49, v50, v49
	v_add_f32_e32 v49, v49, v51
	;; [unrolled: 1-line block ×3, first 2 shown]
	v_cndmask_b32_e32 v49, v49, v101, vcc
	v_add_f32_e32 v128, v48, v49
.LBB141_67:
	s_or_b64 exec, exec, s[16:17]
	v_max_f32_e32 v82, v32, v32
	v_max_f32_e32 v48, v128, v128
	v_min_f32_e32 v49, v48, v82
	v_cmp_u_f32_e32 vcc, v128, v128
	v_max_f32_e32 v48, v48, v82
	v_cmp_u_f32_e64 s[16:17], v32, v32
	v_cndmask_b32_e32 v49, v49, v128, vcc
	v_cndmask_b32_e32 v48, v48, v128, vcc
	v_cndmask_b32_e64 v49, v49, v32, s[16:17]
	v_cndmask_b32_e64 v48, v48, v32, s[16:17]
	v_cmp_neq_f32_e32 vcc, v49, v48
	v_cmp_class_f32_e64 s[18:19], v49, s13
	s_or_b64 s[20:21], vcc, s[18:19]
	s_and_saveexec_b64 s[18:19], s[20:21]
	s_cbranch_execz .LBB141_69
; %bb.68:
	v_sub_f32_e32 v49, v49, v48
	s_mov_b32 s13, 0x3fb8aa3b
	v_mul_f32_e32 v50, 0x3fb8aa3b, v49
	v_fma_f32 v51, v49, s13, -v50
	v_rndne_f32_e32 v52, v50
	v_fmamk_f32 v51, v49, 0x32a5705f, v51
	v_sub_f32_e32 v50, v50, v52
	v_add_f32_e32 v50, v50, v51
	v_exp_f32_e32 v50, v50
	v_cvt_i32_f32_e32 v51, v52
	s_mov_b32 s13, 0xc2ce8ed0
	v_cmp_ngt_f32_e32 vcc, s13, v49
	s_mov_b32 s13, 0x42b17218
	v_ldexp_f32 v50, v50, v51
	v_cndmask_b32_e32 v50, 0, v50, vcc
	v_mov_b32_e32 v51, 0x7f800000
	v_cmp_nlt_f32_e32 vcc, s13, v49
	s_mov_b32 s13, 0x3f2aaaab
	s_mov_b32 s20, 0x7f800000
	v_cndmask_b32_e32 v83, v51, v50, vcc
	v_add_f32_e32 v49, 1.0, v83
	v_add_f32_e32 v50, -1.0, v49
	v_sub_f32_e32 v51, v50, v49
	v_add_f32_e32 v51, 1.0, v51
	v_sub_f32_e32 v50, v83, v50
	v_add_f32_e32 v52, v50, v51
	v_frexp_mant_f32_e32 v53, v49
	v_cvt_f64_f32_e32 v[50:51], v49
	v_frexp_exp_i32_f64_e32 v50, v[50:51]
	v_cmp_gt_f32_e32 vcc, s13, v53
	s_mov_b32 s13, 0x3f317218
	s_nop 0
	v_subbrev_co_u32_e32 v66, vcc, 0, v50, vcc
	v_sub_u32_e32 v50, 0, v66
	v_ldexp_f32 v49, v49, v50
	v_ldexp_f32 v50, v52, v50
	v_add_f32_e32 v52, -1.0, v49
	v_add_f32_e32 v51, 1.0, v52
	v_sub_f32_e32 v51, v49, v51
	v_add_f32_e32 v53, v50, v51
	v_add_f32_e32 v51, 1.0, v49
	v_add_f32_e32 v54, -1.0, v51
	v_sub_f32_e32 v49, v49, v54
	v_add_f32_e32 v49, v50, v49
	v_add_f32_e32 v67, v51, v49
	v_rcp_f32_e32 v84, v67
	v_sub_f32_e32 v50, v51, v67
	v_add_f32_e32 v51, v52, v53
	v_add_f32_e32 v49, v49, v50
	v_mul_f32_e32 v86, v51, v84
	v_sub_f32_e32 v50, v52, v51
	v_mul_f32_e32 v52, v67, v86
	v_fma_f32 v54, v86, v67, -v52
	v_fmac_f32_e32 v54, v86, v49
	v_add_f32_e32 v85, v53, v50
	v_add_f32_e32 v50, v52, v54
	v_sub_f32_e32 v53, v51, v50
	v_pk_add_f32 v[64:65], v[50:51], v[52:53] neg_lo:[0,1] neg_hi:[0,1]
	v_mov_b32_e32 v55, v50
	v_pk_add_f32 v[50:51], v[64:65], v[54:55] neg_lo:[0,1] neg_hi:[0,1]
	v_cmp_eq_f32_e32 vcc, s20, v83
	v_add_f32_e32 v51, v85, v51
	v_add_f32_e32 v50, v50, v51
	;; [unrolled: 1-line block ×3, first 2 shown]
	v_mul_f32_e32 v85, v84, v51
	v_mul_f32_e32 v52, v67, v85
	v_fma_f32 v54, v85, v67, -v52
	v_fmac_f32_e32 v54, v85, v49
	v_sub_f32_e32 v49, v53, v51
	v_add_f32_e32 v49, v50, v49
	v_add_f32_e32 v50, v52, v54
	v_sub_f32_e32 v53, v51, v50
	v_pk_add_f32 v[64:65], v[50:51], v[52:53] neg_lo:[0,1] neg_hi:[0,1]
	v_mov_b32_e32 v55, v50
	v_pk_add_f32 v[50:51], v[64:65], v[54:55] neg_lo:[0,1] neg_hi:[0,1]
	v_cvt_f32_i32_e32 v52, v66
	v_add_f32_e32 v49, v49, v51
	v_add_f32_e32 v49, v50, v49
	;; [unrolled: 1-line block ×4, first 2 shown]
	v_sub_f32_e32 v51, v50, v86
	v_mul_f32_e32 v49, v84, v49
	v_sub_f32_e32 v51, v85, v51
	v_add_f32_e32 v49, v51, v49
	v_add_f32_e32 v53, v50, v49
	v_mul_f32_e32 v54, v53, v53
	v_mov_b32_e32 v51, 0x3ecc95a3
	v_fmac_f32_e32 v51, 0x3e9b6dac, v54
	v_sub_f32_e32 v50, v53, v50
	v_fmaak_f32 v51, v54, v51, 0x3f2aaada
	v_sub_f32_e32 v49, v49, v50
	v_ldexp_f32 v55, v53, 1
	v_mul_f32_e32 v53, v53, v54
	v_mov_b32_e32 v50, 0x3f317218
	v_pk_mul_f32 v[50:51], v[52:53], v[50:51]
	v_ldexp_f32 v49, v49, 1
	v_fma_f32 v53, v52, s13, -v50
	v_fmamk_f32 v54, v52, 0xb102e308, v53
	v_pk_add_f32 v[52:53], v[50:51], v[54:55]
	v_mov_b32_e32 v64, v50
	v_sub_f32_e32 v55, v53, v55
	v_sub_f32_e32 v55, v51, v55
	v_add_f32_e32 v65, v49, v55
	v_pk_add_f32 v[50:51], v[52:53], v[50:51] neg_lo:[0,1] neg_hi:[0,1]
	v_pk_add_f32 v[66:67], v[52:53], v[64:65]
	v_mov_b32_e32 v55, v52
	v_mov_b32_e32 v51, v67
	v_pk_add_f32 v[84:85], v[54:55], v[50:51] neg_lo:[0,1] neg_hi:[0,1]
	v_pk_add_f32 v[50:51], v[54:55], v[50:51]
	v_mov_b32_e32 v64, v65
	v_mov_b32_e32 v54, v51
	v_pk_add_f32 v[86:87], v[54:55], v[52:53] neg_lo:[0,1] neg_hi:[0,1]
	v_mov_b32_e32 v50, v67
	v_mov_b32_e32 v49, v86
	v_pk_add_f32 v[102:103], v[66:67], v[48:49] neg_lo:[0,1] neg_hi:[0,1]
	v_mov_b32_e32 v66, v53
	v_mov_b32_e32 v67, v86
	;; [unrolled: 1-line block ×3, first 2 shown]
	v_pk_add_f32 v[50:51], v[50:51], v[66:67] neg_lo:[0,1] neg_hi:[0,1]
	v_mov_b32_e32 v65, v52
	v_pk_add_f32 v[50:51], v[64:65], v[50:51] neg_lo:[0,1] neg_hi:[0,1]
	v_mov_b32_e32 v102, v84
	v_pk_add_f32 v[52:53], v[102:103], v[50:51]
	s_mov_b32 s13, 0x33800000
	v_mov_b32_e32 v64, v53
	v_pk_add_f32 v[64:65], v[52:53], v[64:65]
	v_cmp_lt_f32_e64 s[20:21], |v83|, s13
	v_pk_add_f32 v[54:55], v[54:55], v[64:65]
	v_mov_b32_e32 v51, v64
	v_mov_b32_e32 v53, v54
	v_pk_add_f32 v[66:67], v[52:53], v[84:85] neg_lo:[0,1] neg_hi:[0,1]
	s_or_b64 vcc, vcc, s[20:21]
	v_sub_f32_e32 v49, v52, v66
	v_pk_add_f32 v[50:51], v[50:51], v[66:67] neg_lo:[0,1] neg_hi:[0,1]
	v_sub_f32_e32 v49, v84, v49
	v_add_f32_e32 v49, v50, v49
	v_add_f32_e32 v49, v49, v51
	;; [unrolled: 1-line block ×3, first 2 shown]
	v_cndmask_b32_e32 v49, v49, v83, vcc
	v_add_f32_e32 v128, v48, v49
.LBB141_69:
	s_or_b64 exec, exec, s[18:19]
	v_max_f32_e32 v83, v33, v33
	v_max_f32_e32 v48, v128, v128
	v_min_f32_e32 v49, v48, v83
	v_cmp_u_f32_e32 vcc, v128, v128
	v_max_f32_e32 v48, v48, v83
	v_cmp_u_f32_e64 s[18:19], v33, v33
	v_cndmask_b32_e32 v49, v49, v128, vcc
	v_cndmask_b32_e32 v48, v48, v128, vcc
	v_cndmask_b32_e64 v49, v49, v33, s[18:19]
	v_cndmask_b32_e64 v48, v48, v33, s[18:19]
	s_movk_i32 s13, 0x1f8
	v_cmp_neq_f32_e32 vcc, v49, v48
	v_cmp_class_f32_e64 s[20:21], v49, s13
	s_or_b64 s[22:23], vcc, s[20:21]
	s_and_saveexec_b64 s[20:21], s[22:23]
	s_cbranch_execz .LBB141_71
; %bb.70:
	v_sub_f32_e32 v49, v49, v48
	s_mov_b32 s22, 0x3fb8aa3b
	v_mul_f32_e32 v50, 0x3fb8aa3b, v49
	v_fma_f32 v51, v49, s22, -v50
	v_rndne_f32_e32 v52, v50
	v_fmamk_f32 v51, v49, 0x32a5705f, v51
	v_sub_f32_e32 v50, v50, v52
	v_add_f32_e32 v50, v50, v51
	v_exp_f32_e32 v50, v50
	v_cvt_i32_f32_e32 v51, v52
	s_mov_b32 s22, 0xc2ce8ed0
	v_cmp_ngt_f32_e32 vcc, s22, v49
	s_mov_b32 s22, 0x42b17218
	v_ldexp_f32 v50, v50, v51
	v_cndmask_b32_e32 v50, 0, v50, vcc
	v_mov_b32_e32 v51, 0x7f800000
	v_cmp_nlt_f32_e32 vcc, s22, v49
	s_mov_b32 s22, 0x3f2aaaab
	s_mov_b32 s23, 0x7f800000
	v_cndmask_b32_e32 v101, v51, v50, vcc
	v_add_f32_e32 v49, 1.0, v101
	v_add_f32_e32 v50, -1.0, v49
	v_sub_f32_e32 v51, v50, v49
	v_add_f32_e32 v51, 1.0, v51
	v_sub_f32_e32 v50, v101, v50
	v_add_f32_e32 v52, v50, v51
	v_frexp_mant_f32_e32 v53, v49
	v_cvt_f64_f32_e32 v[50:51], v49
	v_frexp_exp_i32_f64_e32 v50, v[50:51]
	v_cmp_gt_f32_e32 vcc, s22, v53
	s_mov_b32 s22, 0x3f317218
	s_nop 0
	v_subbrev_co_u32_e32 v66, vcc, 0, v50, vcc
	v_sub_u32_e32 v50, 0, v66
	v_ldexp_f32 v49, v49, v50
	v_ldexp_f32 v50, v52, v50
	v_add_f32_e32 v52, -1.0, v49
	v_add_f32_e32 v51, 1.0, v52
	v_sub_f32_e32 v51, v49, v51
	v_add_f32_e32 v53, v50, v51
	v_add_f32_e32 v51, 1.0, v49
	v_add_f32_e32 v54, -1.0, v51
	v_sub_f32_e32 v49, v49, v54
	v_add_f32_e32 v49, v50, v49
	v_add_f32_e32 v67, v51, v49
	v_rcp_f32_e32 v84, v67
	v_sub_f32_e32 v50, v51, v67
	v_add_f32_e32 v51, v52, v53
	v_add_f32_e32 v49, v49, v50
	v_mul_f32_e32 v86, v51, v84
	v_sub_f32_e32 v50, v52, v51
	v_mul_f32_e32 v52, v67, v86
	v_fma_f32 v54, v86, v67, -v52
	v_fmac_f32_e32 v54, v86, v49
	v_add_f32_e32 v85, v53, v50
	v_add_f32_e32 v50, v52, v54
	v_sub_f32_e32 v53, v51, v50
	v_pk_add_f32 v[64:65], v[50:51], v[52:53] neg_lo:[0,1] neg_hi:[0,1]
	v_mov_b32_e32 v55, v50
	v_pk_add_f32 v[50:51], v[64:65], v[54:55] neg_lo:[0,1] neg_hi:[0,1]
	v_cmp_eq_f32_e32 vcc, s23, v101
	v_add_f32_e32 v51, v85, v51
	v_add_f32_e32 v50, v50, v51
	;; [unrolled: 1-line block ×3, first 2 shown]
	v_mul_f32_e32 v85, v84, v51
	v_mul_f32_e32 v52, v67, v85
	v_fma_f32 v54, v85, v67, -v52
	v_fmac_f32_e32 v54, v85, v49
	v_sub_f32_e32 v49, v53, v51
	v_add_f32_e32 v49, v50, v49
	v_add_f32_e32 v50, v52, v54
	v_sub_f32_e32 v53, v51, v50
	v_pk_add_f32 v[64:65], v[50:51], v[52:53] neg_lo:[0,1] neg_hi:[0,1]
	v_mov_b32_e32 v55, v50
	v_pk_add_f32 v[50:51], v[64:65], v[54:55] neg_lo:[0,1] neg_hi:[0,1]
	v_cvt_f32_i32_e32 v52, v66
	v_add_f32_e32 v49, v49, v51
	v_add_f32_e32 v49, v50, v49
	;; [unrolled: 1-line block ×4, first 2 shown]
	v_sub_f32_e32 v51, v50, v86
	v_mul_f32_e32 v49, v84, v49
	v_sub_f32_e32 v51, v85, v51
	v_add_f32_e32 v49, v51, v49
	v_add_f32_e32 v53, v50, v49
	v_mul_f32_e32 v54, v53, v53
	v_mov_b32_e32 v51, 0x3ecc95a3
	v_fmac_f32_e32 v51, 0x3e9b6dac, v54
	v_sub_f32_e32 v50, v53, v50
	v_fmaak_f32 v51, v54, v51, 0x3f2aaada
	v_sub_f32_e32 v49, v49, v50
	v_ldexp_f32 v55, v53, 1
	v_mul_f32_e32 v53, v53, v54
	v_mov_b32_e32 v50, 0x3f317218
	v_pk_mul_f32 v[50:51], v[52:53], v[50:51]
	v_ldexp_f32 v49, v49, 1
	v_fma_f32 v53, v52, s22, -v50
	v_fmamk_f32 v54, v52, 0xb102e308, v53
	v_pk_add_f32 v[52:53], v[50:51], v[54:55]
	v_mov_b32_e32 v64, v50
	v_sub_f32_e32 v55, v53, v55
	v_sub_f32_e32 v55, v51, v55
	v_add_f32_e32 v65, v49, v55
	v_pk_add_f32 v[50:51], v[52:53], v[50:51] neg_lo:[0,1] neg_hi:[0,1]
	v_pk_add_f32 v[66:67], v[52:53], v[64:65]
	v_mov_b32_e32 v55, v52
	v_mov_b32_e32 v51, v67
	v_pk_add_f32 v[84:85], v[54:55], v[50:51] neg_lo:[0,1] neg_hi:[0,1]
	v_pk_add_f32 v[50:51], v[54:55], v[50:51]
	v_mov_b32_e32 v64, v65
	v_mov_b32_e32 v54, v51
	v_pk_add_f32 v[86:87], v[54:55], v[52:53] neg_lo:[0,1] neg_hi:[0,1]
	v_mov_b32_e32 v50, v67
	v_mov_b32_e32 v49, v86
	v_pk_add_f32 v[102:103], v[66:67], v[48:49] neg_lo:[0,1] neg_hi:[0,1]
	v_mov_b32_e32 v66, v53
	v_mov_b32_e32 v67, v86
	;; [unrolled: 1-line block ×3, first 2 shown]
	v_pk_add_f32 v[50:51], v[50:51], v[66:67] neg_lo:[0,1] neg_hi:[0,1]
	v_mov_b32_e32 v65, v52
	v_pk_add_f32 v[50:51], v[64:65], v[50:51] neg_lo:[0,1] neg_hi:[0,1]
	v_mov_b32_e32 v102, v84
	v_pk_add_f32 v[52:53], v[102:103], v[50:51]
	s_mov_b32 s22, 0x33800000
	v_mov_b32_e32 v64, v53
	v_pk_add_f32 v[64:65], v[52:53], v[64:65]
	v_cmp_lt_f32_e64 s[22:23], |v101|, s22
	v_pk_add_f32 v[54:55], v[54:55], v[64:65]
	v_mov_b32_e32 v51, v64
	v_mov_b32_e32 v53, v54
	v_pk_add_f32 v[66:67], v[52:53], v[84:85] neg_lo:[0,1] neg_hi:[0,1]
	s_or_b64 vcc, vcc, s[22:23]
	v_sub_f32_e32 v49, v52, v66
	v_pk_add_f32 v[50:51], v[50:51], v[66:67] neg_lo:[0,1] neg_hi:[0,1]
	v_sub_f32_e32 v49, v84, v49
	v_add_f32_e32 v49, v50, v49
	v_add_f32_e32 v49, v49, v51
	;; [unrolled: 1-line block ×3, first 2 shown]
	v_cndmask_b32_e32 v49, v49, v101, vcc
	v_add_f32_e32 v128, v48, v49
.LBB141_71:
	s_or_b64 exec, exec, s[20:21]
	v_max_f32_e32 v84, v34, v34
	v_max_f32_e32 v48, v128, v128
	v_min_f32_e32 v49, v48, v84
	v_cmp_u_f32_e32 vcc, v128, v128
	v_max_f32_e32 v48, v48, v84
	v_cmp_u_f32_e64 s[20:21], v34, v34
	v_cndmask_b32_e32 v49, v49, v128, vcc
	v_cndmask_b32_e32 v48, v48, v128, vcc
	v_cndmask_b32_e64 v49, v49, v34, s[20:21]
	v_cndmask_b32_e64 v48, v48, v34, s[20:21]
	v_cmp_neq_f32_e32 vcc, v49, v48
	v_cmp_class_f32_e64 s[22:23], v49, s13
	s_or_b64 s[24:25], vcc, s[22:23]
	s_and_saveexec_b64 s[22:23], s[24:25]
	s_cbranch_execz .LBB141_73
; %bb.72:
	v_sub_f32_e32 v49, v49, v48
	s_mov_b32 s13, 0x3fb8aa3b
	v_mul_f32_e32 v50, 0x3fb8aa3b, v49
	v_fma_f32 v51, v49, s13, -v50
	v_rndne_f32_e32 v52, v50
	v_fmamk_f32 v51, v49, 0x32a5705f, v51
	v_sub_f32_e32 v50, v50, v52
	v_add_f32_e32 v50, v50, v51
	v_exp_f32_e32 v50, v50
	v_cvt_i32_f32_e32 v51, v52
	s_mov_b32 s13, 0xc2ce8ed0
	v_cmp_ngt_f32_e32 vcc, s13, v49
	s_mov_b32 s13, 0x42b17218
	v_ldexp_f32 v50, v50, v51
	v_cndmask_b32_e32 v50, 0, v50, vcc
	v_mov_b32_e32 v51, 0x7f800000
	v_cmp_nlt_f32_e32 vcc, s13, v49
	s_mov_b32 s13, 0x3f2aaaab
	s_mov_b32 s24, 0x7f800000
	v_cndmask_b32_e32 v85, v51, v50, vcc
	v_add_f32_e32 v49, 1.0, v85
	v_add_f32_e32 v50, -1.0, v49
	v_sub_f32_e32 v51, v50, v49
	v_add_f32_e32 v51, 1.0, v51
	v_sub_f32_e32 v50, v85, v50
	v_add_f32_e32 v52, v50, v51
	v_frexp_mant_f32_e32 v53, v49
	v_cvt_f64_f32_e32 v[50:51], v49
	v_frexp_exp_i32_f64_e32 v50, v[50:51]
	v_cmp_gt_f32_e32 vcc, s13, v53
	s_mov_b32 s13, 0x3f317218
	s_nop 0
	v_subbrev_co_u32_e32 v66, vcc, 0, v50, vcc
	v_sub_u32_e32 v50, 0, v66
	v_ldexp_f32 v49, v49, v50
	v_ldexp_f32 v50, v52, v50
	v_add_f32_e32 v52, -1.0, v49
	v_add_f32_e32 v51, 1.0, v52
	v_sub_f32_e32 v51, v49, v51
	v_add_f32_e32 v53, v50, v51
	v_add_f32_e32 v51, 1.0, v49
	v_add_f32_e32 v54, -1.0, v51
	v_sub_f32_e32 v49, v49, v54
	v_add_f32_e32 v49, v50, v49
	v_add_f32_e32 v67, v51, v49
	v_rcp_f32_e32 v86, v67
	v_sub_f32_e32 v50, v51, v67
	v_add_f32_e32 v51, v52, v53
	v_add_f32_e32 v49, v49, v50
	v_mul_f32_e32 v101, v51, v86
	v_sub_f32_e32 v50, v52, v51
	v_mul_f32_e32 v52, v67, v101
	v_fma_f32 v54, v101, v67, -v52
	v_fmac_f32_e32 v54, v101, v49
	v_add_f32_e32 v87, v53, v50
	v_add_f32_e32 v50, v52, v54
	v_sub_f32_e32 v53, v51, v50
	v_pk_add_f32 v[64:65], v[50:51], v[52:53] neg_lo:[0,1] neg_hi:[0,1]
	v_mov_b32_e32 v55, v50
	v_pk_add_f32 v[50:51], v[64:65], v[54:55] neg_lo:[0,1] neg_hi:[0,1]
	v_cmp_eq_f32_e32 vcc, s24, v85
	v_add_f32_e32 v51, v87, v51
	v_add_f32_e32 v50, v50, v51
	;; [unrolled: 1-line block ×3, first 2 shown]
	v_mul_f32_e32 v87, v86, v51
	v_mul_f32_e32 v52, v67, v87
	v_fma_f32 v54, v87, v67, -v52
	v_fmac_f32_e32 v54, v87, v49
	v_sub_f32_e32 v49, v53, v51
	v_add_f32_e32 v49, v50, v49
	v_add_f32_e32 v50, v52, v54
	v_sub_f32_e32 v53, v51, v50
	v_pk_add_f32 v[64:65], v[50:51], v[52:53] neg_lo:[0,1] neg_hi:[0,1]
	v_mov_b32_e32 v55, v50
	v_pk_add_f32 v[50:51], v[64:65], v[54:55] neg_lo:[0,1] neg_hi:[0,1]
	v_cvt_f32_i32_e32 v52, v66
	v_add_f32_e32 v49, v49, v51
	v_add_f32_e32 v49, v50, v49
	;; [unrolled: 1-line block ×4, first 2 shown]
	v_sub_f32_e32 v51, v50, v101
	v_mul_f32_e32 v49, v86, v49
	v_sub_f32_e32 v51, v87, v51
	v_add_f32_e32 v49, v51, v49
	v_add_f32_e32 v53, v50, v49
	v_mul_f32_e32 v54, v53, v53
	v_mov_b32_e32 v51, 0x3ecc95a3
	v_fmac_f32_e32 v51, 0x3e9b6dac, v54
	v_sub_f32_e32 v50, v53, v50
	v_fmaak_f32 v51, v54, v51, 0x3f2aaada
	v_sub_f32_e32 v49, v49, v50
	v_ldexp_f32 v55, v53, 1
	v_mul_f32_e32 v53, v53, v54
	v_mov_b32_e32 v50, 0x3f317218
	v_pk_mul_f32 v[50:51], v[52:53], v[50:51]
	v_ldexp_f32 v49, v49, 1
	v_fma_f32 v53, v52, s13, -v50
	v_fmamk_f32 v54, v52, 0xb102e308, v53
	v_pk_add_f32 v[52:53], v[50:51], v[54:55]
	v_mov_b32_e32 v64, v50
	v_sub_f32_e32 v55, v53, v55
	v_sub_f32_e32 v55, v51, v55
	v_add_f32_e32 v65, v49, v55
	v_pk_add_f32 v[50:51], v[52:53], v[50:51] neg_lo:[0,1] neg_hi:[0,1]
	v_pk_add_f32 v[66:67], v[52:53], v[64:65]
	v_mov_b32_e32 v55, v52
	v_mov_b32_e32 v51, v67
	v_pk_add_f32 v[86:87], v[54:55], v[50:51] neg_lo:[0,1] neg_hi:[0,1]
	v_pk_add_f32 v[50:51], v[54:55], v[50:51]
	v_mov_b32_e32 v64, v65
	v_mov_b32_e32 v54, v51
	v_pk_add_f32 v[102:103], v[54:55], v[52:53] neg_lo:[0,1] neg_hi:[0,1]
	v_mov_b32_e32 v50, v67
	v_mov_b32_e32 v49, v102
	v_pk_add_f32 v[112:113], v[66:67], v[48:49] neg_lo:[0,1] neg_hi:[0,1]
	v_mov_b32_e32 v66, v53
	v_mov_b32_e32 v67, v102
	;; [unrolled: 1-line block ×3, first 2 shown]
	v_pk_add_f32 v[50:51], v[50:51], v[66:67] neg_lo:[0,1] neg_hi:[0,1]
	v_mov_b32_e32 v65, v52
	v_pk_add_f32 v[50:51], v[64:65], v[50:51] neg_lo:[0,1] neg_hi:[0,1]
	v_mov_b32_e32 v112, v86
	v_pk_add_f32 v[52:53], v[112:113], v[50:51]
	s_mov_b32 s13, 0x33800000
	v_mov_b32_e32 v64, v53
	v_pk_add_f32 v[64:65], v[52:53], v[64:65]
	v_cmp_lt_f32_e64 s[24:25], |v85|, s13
	v_pk_add_f32 v[54:55], v[54:55], v[64:65]
	v_mov_b32_e32 v51, v64
	v_mov_b32_e32 v53, v54
	v_pk_add_f32 v[66:67], v[52:53], v[86:87] neg_lo:[0,1] neg_hi:[0,1]
	s_or_b64 vcc, vcc, s[24:25]
	v_sub_f32_e32 v49, v52, v66
	v_pk_add_f32 v[50:51], v[50:51], v[66:67] neg_lo:[0,1] neg_hi:[0,1]
	v_sub_f32_e32 v49, v86, v49
	v_add_f32_e32 v49, v50, v49
	v_add_f32_e32 v49, v49, v51
	;; [unrolled: 1-line block ×3, first 2 shown]
	v_cndmask_b32_e32 v49, v49, v85, vcc
	v_add_f32_e32 v128, v48, v49
.LBB141_73:
	s_or_b64 exec, exec, s[22:23]
	v_max_f32_e32 v85, v35, v35
	v_max_f32_e32 v48, v128, v128
	v_min_f32_e32 v49, v48, v85
	v_cmp_u_f32_e32 vcc, v128, v128
	v_max_f32_e32 v48, v48, v85
	v_cmp_u_f32_e64 s[22:23], v35, v35
	v_cndmask_b32_e32 v49, v49, v128, vcc
	v_cndmask_b32_e32 v48, v48, v128, vcc
	v_cndmask_b32_e64 v49, v49, v35, s[22:23]
	v_cndmask_b32_e64 v48, v48, v35, s[22:23]
	s_movk_i32 s13, 0x1f8
	v_cmp_neq_f32_e32 vcc, v49, v48
	v_cmp_class_f32_e64 s[24:25], v49, s13
	s_or_b64 s[26:27], vcc, s[24:25]
	s_and_saveexec_b64 s[24:25], s[26:27]
	s_cbranch_execz .LBB141_75
; %bb.74:
	v_sub_f32_e32 v49, v49, v48
	s_mov_b32 s26, 0x3fb8aa3b
	v_mul_f32_e32 v50, 0x3fb8aa3b, v49
	v_fma_f32 v51, v49, s26, -v50
	v_rndne_f32_e32 v52, v50
	v_fmamk_f32 v51, v49, 0x32a5705f, v51
	v_sub_f32_e32 v50, v50, v52
	v_add_f32_e32 v50, v50, v51
	v_exp_f32_e32 v50, v50
	v_cvt_i32_f32_e32 v51, v52
	s_mov_b32 s26, 0xc2ce8ed0
	v_cmp_ngt_f32_e32 vcc, s26, v49
	s_mov_b32 s26, 0x42b17218
	v_ldexp_f32 v50, v50, v51
	v_cndmask_b32_e32 v50, 0, v50, vcc
	v_mov_b32_e32 v51, 0x7f800000
	v_cmp_nlt_f32_e32 vcc, s26, v49
	s_mov_b32 s26, 0x3f2aaaab
	s_mov_b32 s27, 0x7f800000
	v_cndmask_b32_e32 v101, v51, v50, vcc
	v_add_f32_e32 v49, 1.0, v101
	v_add_f32_e32 v50, -1.0, v49
	v_sub_f32_e32 v51, v50, v49
	v_add_f32_e32 v51, 1.0, v51
	v_sub_f32_e32 v50, v101, v50
	v_add_f32_e32 v52, v50, v51
	v_frexp_mant_f32_e32 v53, v49
	v_cvt_f64_f32_e32 v[50:51], v49
	v_frexp_exp_i32_f64_e32 v50, v[50:51]
	v_cmp_gt_f32_e32 vcc, s26, v53
	s_mov_b32 s26, 0x3f317218
	s_nop 0
	v_subbrev_co_u32_e32 v66, vcc, 0, v50, vcc
	v_sub_u32_e32 v50, 0, v66
	v_ldexp_f32 v49, v49, v50
	v_ldexp_f32 v50, v52, v50
	v_add_f32_e32 v52, -1.0, v49
	v_add_f32_e32 v51, 1.0, v52
	v_sub_f32_e32 v51, v49, v51
	v_add_f32_e32 v53, v50, v51
	v_add_f32_e32 v51, 1.0, v49
	v_add_f32_e32 v54, -1.0, v51
	v_sub_f32_e32 v49, v49, v54
	v_add_f32_e32 v49, v50, v49
	v_add_f32_e32 v67, v51, v49
	v_rcp_f32_e32 v86, v67
	v_sub_f32_e32 v50, v51, v67
	v_add_f32_e32 v51, v52, v53
	v_add_f32_e32 v49, v49, v50
	v_mul_f32_e32 v102, v51, v86
	v_sub_f32_e32 v50, v52, v51
	v_mul_f32_e32 v52, v67, v102
	v_fma_f32 v54, v102, v67, -v52
	v_fmac_f32_e32 v54, v102, v49
	v_add_f32_e32 v87, v53, v50
	v_add_f32_e32 v50, v52, v54
	v_sub_f32_e32 v53, v51, v50
	v_pk_add_f32 v[64:65], v[50:51], v[52:53] neg_lo:[0,1] neg_hi:[0,1]
	v_mov_b32_e32 v55, v50
	v_pk_add_f32 v[50:51], v[64:65], v[54:55] neg_lo:[0,1] neg_hi:[0,1]
	v_cmp_eq_f32_e32 vcc, s27, v101
	v_add_f32_e32 v51, v87, v51
	v_add_f32_e32 v50, v50, v51
	;; [unrolled: 1-line block ×3, first 2 shown]
	v_mul_f32_e32 v87, v86, v51
	v_mul_f32_e32 v52, v67, v87
	v_fma_f32 v54, v87, v67, -v52
	v_fmac_f32_e32 v54, v87, v49
	v_sub_f32_e32 v49, v53, v51
	v_add_f32_e32 v49, v50, v49
	v_add_f32_e32 v50, v52, v54
	v_sub_f32_e32 v53, v51, v50
	v_pk_add_f32 v[64:65], v[50:51], v[52:53] neg_lo:[0,1] neg_hi:[0,1]
	v_mov_b32_e32 v55, v50
	v_pk_add_f32 v[50:51], v[64:65], v[54:55] neg_lo:[0,1] neg_hi:[0,1]
	v_cvt_f32_i32_e32 v52, v66
	v_add_f32_e32 v49, v49, v51
	v_add_f32_e32 v49, v50, v49
	;; [unrolled: 1-line block ×4, first 2 shown]
	v_sub_f32_e32 v51, v50, v102
	v_mul_f32_e32 v49, v86, v49
	v_sub_f32_e32 v51, v87, v51
	v_add_f32_e32 v49, v51, v49
	v_add_f32_e32 v53, v50, v49
	v_mul_f32_e32 v54, v53, v53
	v_mov_b32_e32 v51, 0x3ecc95a3
	v_fmac_f32_e32 v51, 0x3e9b6dac, v54
	v_sub_f32_e32 v50, v53, v50
	v_fmaak_f32 v51, v54, v51, 0x3f2aaada
	v_sub_f32_e32 v49, v49, v50
	v_ldexp_f32 v55, v53, 1
	v_mul_f32_e32 v53, v53, v54
	v_mov_b32_e32 v50, 0x3f317218
	v_pk_mul_f32 v[50:51], v[52:53], v[50:51]
	v_ldexp_f32 v49, v49, 1
	v_fma_f32 v53, v52, s26, -v50
	v_fmamk_f32 v54, v52, 0xb102e308, v53
	v_pk_add_f32 v[52:53], v[50:51], v[54:55]
	v_mov_b32_e32 v64, v50
	v_sub_f32_e32 v55, v53, v55
	v_sub_f32_e32 v55, v51, v55
	v_add_f32_e32 v65, v49, v55
	v_pk_add_f32 v[50:51], v[52:53], v[50:51] neg_lo:[0,1] neg_hi:[0,1]
	v_pk_add_f32 v[66:67], v[52:53], v[64:65]
	v_mov_b32_e32 v55, v52
	v_mov_b32_e32 v51, v67
	v_pk_add_f32 v[86:87], v[54:55], v[50:51] neg_lo:[0,1] neg_hi:[0,1]
	v_pk_add_f32 v[50:51], v[54:55], v[50:51]
	v_mov_b32_e32 v64, v65
	v_mov_b32_e32 v54, v51
	v_pk_add_f32 v[102:103], v[54:55], v[52:53] neg_lo:[0,1] neg_hi:[0,1]
	v_mov_b32_e32 v50, v67
	v_mov_b32_e32 v49, v102
	v_pk_add_f32 v[112:113], v[66:67], v[48:49] neg_lo:[0,1] neg_hi:[0,1]
	v_mov_b32_e32 v66, v53
	v_mov_b32_e32 v67, v102
	;; [unrolled: 1-line block ×3, first 2 shown]
	v_pk_add_f32 v[50:51], v[50:51], v[66:67] neg_lo:[0,1] neg_hi:[0,1]
	v_mov_b32_e32 v65, v52
	v_pk_add_f32 v[50:51], v[64:65], v[50:51] neg_lo:[0,1] neg_hi:[0,1]
	v_mov_b32_e32 v112, v86
	v_pk_add_f32 v[52:53], v[112:113], v[50:51]
	s_mov_b32 s26, 0x33800000
	v_mov_b32_e32 v64, v53
	v_pk_add_f32 v[64:65], v[52:53], v[64:65]
	v_cmp_lt_f32_e64 s[26:27], |v101|, s26
	v_pk_add_f32 v[54:55], v[54:55], v[64:65]
	v_mov_b32_e32 v51, v64
	v_mov_b32_e32 v53, v54
	v_pk_add_f32 v[66:67], v[52:53], v[86:87] neg_lo:[0,1] neg_hi:[0,1]
	s_or_b64 vcc, vcc, s[26:27]
	v_sub_f32_e32 v49, v52, v66
	v_pk_add_f32 v[50:51], v[50:51], v[66:67] neg_lo:[0,1] neg_hi:[0,1]
	v_sub_f32_e32 v49, v86, v49
	v_add_f32_e32 v49, v50, v49
	v_add_f32_e32 v49, v49, v51
	;; [unrolled: 1-line block ×3, first 2 shown]
	v_cndmask_b32_e32 v49, v49, v101, vcc
	v_add_f32_e32 v128, v48, v49
.LBB141_75:
	s_or_b64 exec, exec, s[24:25]
	v_max_f32_e32 v86, v28, v28
	v_max_f32_e32 v48, v128, v128
	v_min_f32_e32 v49, v48, v86
	v_cmp_u_f32_e32 vcc, v128, v128
	v_max_f32_e32 v48, v48, v86
	v_cmp_u_f32_e64 s[24:25], v28, v28
	v_cndmask_b32_e32 v49, v49, v128, vcc
	v_cndmask_b32_e32 v48, v48, v128, vcc
	v_cndmask_b32_e64 v49, v49, v28, s[24:25]
	v_cndmask_b32_e64 v48, v48, v28, s[24:25]
	v_cmp_neq_f32_e32 vcc, v49, v48
	v_cmp_class_f32_e64 s[26:27], v49, s13
	s_or_b64 s[28:29], vcc, s[26:27]
	s_and_saveexec_b64 s[26:27], s[28:29]
	s_cbranch_execz .LBB141_77
; %bb.76:
	v_sub_f32_e32 v49, v49, v48
	s_mov_b32 s13, 0x3fb8aa3b
	v_mul_f32_e32 v50, 0x3fb8aa3b, v49
	v_fma_f32 v51, v49, s13, -v50
	v_rndne_f32_e32 v52, v50
	v_fmamk_f32 v51, v49, 0x32a5705f, v51
	v_sub_f32_e32 v50, v50, v52
	v_add_f32_e32 v50, v50, v51
	v_exp_f32_e32 v50, v50
	v_cvt_i32_f32_e32 v51, v52
	s_mov_b32 s13, 0xc2ce8ed0
	v_cmp_ngt_f32_e32 vcc, s13, v49
	s_mov_b32 s13, 0x42b17218
	v_ldexp_f32 v50, v50, v51
	v_cndmask_b32_e32 v50, 0, v50, vcc
	v_mov_b32_e32 v51, 0x7f800000
	v_cmp_nlt_f32_e32 vcc, s13, v49
	s_mov_b32 s13, 0x3f2aaaab
	s_mov_b32 s28, 0x7f800000
	v_cndmask_b32_e32 v87, v51, v50, vcc
	v_add_f32_e32 v49, 1.0, v87
	v_add_f32_e32 v50, -1.0, v49
	v_sub_f32_e32 v51, v50, v49
	v_add_f32_e32 v51, 1.0, v51
	v_sub_f32_e32 v50, v87, v50
	v_add_f32_e32 v52, v50, v51
	v_frexp_mant_f32_e32 v53, v49
	v_cvt_f64_f32_e32 v[50:51], v49
	v_frexp_exp_i32_f64_e32 v50, v[50:51]
	v_cmp_gt_f32_e32 vcc, s13, v53
	s_mov_b32 s13, 0x3f317218
	s_nop 0
	v_subbrev_co_u32_e32 v66, vcc, 0, v50, vcc
	v_sub_u32_e32 v50, 0, v66
	v_ldexp_f32 v49, v49, v50
	v_ldexp_f32 v50, v52, v50
	v_add_f32_e32 v52, -1.0, v49
	v_add_f32_e32 v51, 1.0, v52
	v_sub_f32_e32 v51, v49, v51
	v_add_f32_e32 v53, v50, v51
	v_add_f32_e32 v51, 1.0, v49
	v_add_f32_e32 v54, -1.0, v51
	v_sub_f32_e32 v49, v49, v54
	v_add_f32_e32 v49, v50, v49
	v_add_f32_e32 v67, v51, v49
	v_rcp_f32_e32 v101, v67
	v_sub_f32_e32 v50, v51, v67
	v_add_f32_e32 v51, v52, v53
	v_add_f32_e32 v49, v49, v50
	v_mul_f32_e32 v103, v51, v101
	v_sub_f32_e32 v50, v52, v51
	v_mul_f32_e32 v52, v67, v103
	v_fma_f32 v54, v103, v67, -v52
	v_fmac_f32_e32 v54, v103, v49
	v_add_f32_e32 v102, v53, v50
	v_add_f32_e32 v50, v52, v54
	v_sub_f32_e32 v53, v51, v50
	v_pk_add_f32 v[64:65], v[50:51], v[52:53] neg_lo:[0,1] neg_hi:[0,1]
	v_mov_b32_e32 v55, v50
	v_pk_add_f32 v[50:51], v[64:65], v[54:55] neg_lo:[0,1] neg_hi:[0,1]
	v_cmp_eq_f32_e32 vcc, s28, v87
	v_add_f32_e32 v51, v102, v51
	v_add_f32_e32 v50, v50, v51
	;; [unrolled: 1-line block ×3, first 2 shown]
	v_mul_f32_e32 v102, v101, v51
	v_mul_f32_e32 v52, v67, v102
	v_fma_f32 v54, v102, v67, -v52
	v_fmac_f32_e32 v54, v102, v49
	v_sub_f32_e32 v49, v53, v51
	v_add_f32_e32 v49, v50, v49
	v_add_f32_e32 v50, v52, v54
	v_sub_f32_e32 v53, v51, v50
	v_pk_add_f32 v[64:65], v[50:51], v[52:53] neg_lo:[0,1] neg_hi:[0,1]
	v_mov_b32_e32 v55, v50
	v_pk_add_f32 v[50:51], v[64:65], v[54:55] neg_lo:[0,1] neg_hi:[0,1]
	v_cvt_f32_i32_e32 v52, v66
	v_add_f32_e32 v49, v49, v51
	v_add_f32_e32 v49, v50, v49
	;; [unrolled: 1-line block ×4, first 2 shown]
	v_sub_f32_e32 v51, v50, v103
	v_mul_f32_e32 v49, v101, v49
	v_sub_f32_e32 v51, v102, v51
	v_add_f32_e32 v49, v51, v49
	v_add_f32_e32 v53, v50, v49
	v_mul_f32_e32 v54, v53, v53
	v_mov_b32_e32 v51, 0x3ecc95a3
	v_fmac_f32_e32 v51, 0x3e9b6dac, v54
	v_sub_f32_e32 v50, v53, v50
	v_fmaak_f32 v51, v54, v51, 0x3f2aaada
	v_sub_f32_e32 v49, v49, v50
	v_ldexp_f32 v55, v53, 1
	v_mul_f32_e32 v53, v53, v54
	v_mov_b32_e32 v50, 0x3f317218
	v_pk_mul_f32 v[50:51], v[52:53], v[50:51]
	v_ldexp_f32 v49, v49, 1
	v_fma_f32 v53, v52, s13, -v50
	v_fmamk_f32 v54, v52, 0xb102e308, v53
	v_pk_add_f32 v[52:53], v[50:51], v[54:55]
	v_mov_b32_e32 v64, v50
	v_sub_f32_e32 v55, v53, v55
	v_sub_f32_e32 v55, v51, v55
	v_add_f32_e32 v65, v49, v55
	v_pk_add_f32 v[50:51], v[52:53], v[50:51] neg_lo:[0,1] neg_hi:[0,1]
	v_pk_add_f32 v[66:67], v[52:53], v[64:65]
	v_mov_b32_e32 v55, v52
	v_mov_b32_e32 v51, v67
	v_pk_add_f32 v[102:103], v[54:55], v[50:51] neg_lo:[0,1] neg_hi:[0,1]
	v_pk_add_f32 v[50:51], v[54:55], v[50:51]
	v_mov_b32_e32 v64, v65
	v_mov_b32_e32 v54, v51
	v_pk_add_f32 v[112:113], v[54:55], v[52:53] neg_lo:[0,1] neg_hi:[0,1]
	v_mov_b32_e32 v50, v67
	v_mov_b32_e32 v49, v112
	v_pk_add_f32 v[114:115], v[66:67], v[48:49] neg_lo:[0,1] neg_hi:[0,1]
	v_mov_b32_e32 v66, v53
	v_mov_b32_e32 v67, v112
	;; [unrolled: 1-line block ×3, first 2 shown]
	v_pk_add_f32 v[50:51], v[50:51], v[66:67] neg_lo:[0,1] neg_hi:[0,1]
	v_mov_b32_e32 v65, v52
	v_pk_add_f32 v[50:51], v[64:65], v[50:51] neg_lo:[0,1] neg_hi:[0,1]
	v_mov_b32_e32 v114, v102
	v_pk_add_f32 v[52:53], v[114:115], v[50:51]
	s_mov_b32 s13, 0x33800000
	v_mov_b32_e32 v64, v53
	v_pk_add_f32 v[64:65], v[52:53], v[64:65]
	v_cmp_lt_f32_e64 s[28:29], |v87|, s13
	v_pk_add_f32 v[54:55], v[54:55], v[64:65]
	v_mov_b32_e32 v51, v64
	v_mov_b32_e32 v53, v54
	v_pk_add_f32 v[66:67], v[52:53], v[102:103] neg_lo:[0,1] neg_hi:[0,1]
	s_or_b64 vcc, vcc, s[28:29]
	v_sub_f32_e32 v49, v52, v66
	v_pk_add_f32 v[50:51], v[50:51], v[66:67] neg_lo:[0,1] neg_hi:[0,1]
	v_sub_f32_e32 v49, v102, v49
	v_add_f32_e32 v49, v50, v49
	v_add_f32_e32 v49, v49, v51
	;; [unrolled: 1-line block ×3, first 2 shown]
	v_cndmask_b32_e32 v49, v49, v87, vcc
	v_add_f32_e32 v128, v48, v49
.LBB141_77:
	s_or_b64 exec, exec, s[26:27]
	v_max_f32_e32 v87, v29, v29
	v_max_f32_e32 v48, v128, v128
	v_min_f32_e32 v49, v48, v87
	v_cmp_u_f32_e32 vcc, v128, v128
	v_max_f32_e32 v48, v48, v87
	v_cmp_u_f32_e64 s[26:27], v29, v29
	v_cndmask_b32_e32 v49, v49, v128, vcc
	v_cndmask_b32_e32 v48, v48, v128, vcc
	v_cndmask_b32_e64 v49, v49, v29, s[26:27]
	v_cndmask_b32_e64 v48, v48, v29, s[26:27]
	s_movk_i32 s13, 0x1f8
	v_cmp_neq_f32_e32 vcc, v49, v48
	v_cmp_class_f32_e64 s[28:29], v49, s13
	s_or_b64 vcc, vcc, s[28:29]
	s_and_saveexec_b64 s[28:29], vcc
	s_cbranch_execz .LBB141_79
; %bb.78:
	v_sub_f32_e32 v49, v49, v48
	s_mov_b32 s30, 0x3fb8aa3b
	v_mul_f32_e32 v50, 0x3fb8aa3b, v49
	v_fma_f32 v51, v49, s30, -v50
	v_rndne_f32_e32 v52, v50
	v_fmamk_f32 v51, v49, 0x32a5705f, v51
	v_sub_f32_e32 v50, v50, v52
	v_add_f32_e32 v50, v50, v51
	v_exp_f32_e32 v50, v50
	v_cvt_i32_f32_e32 v51, v52
	s_mov_b32 s30, 0xc2ce8ed0
	v_cmp_ngt_f32_e32 vcc, s30, v49
	s_mov_b32 s30, 0x42b17218
	v_ldexp_f32 v50, v50, v51
	v_cndmask_b32_e32 v50, 0, v50, vcc
	v_mov_b32_e32 v51, 0x7f800000
	v_cmp_nlt_f32_e32 vcc, s30, v49
	s_mov_b32 s30, 0x3f2aaaab
	s_mov_b32 s31, 0x7f800000
	v_cndmask_b32_e32 v101, v51, v50, vcc
	v_add_f32_e32 v49, 1.0, v101
	v_add_f32_e32 v50, -1.0, v49
	v_sub_f32_e32 v51, v50, v49
	v_add_f32_e32 v51, 1.0, v51
	v_sub_f32_e32 v50, v101, v50
	v_add_f32_e32 v52, v50, v51
	v_frexp_mant_f32_e32 v53, v49
	v_cvt_f64_f32_e32 v[50:51], v49
	v_frexp_exp_i32_f64_e32 v50, v[50:51]
	v_cmp_gt_f32_e32 vcc, s30, v53
	s_mov_b32 s30, 0x3f317218
	s_nop 0
	v_subbrev_co_u32_e32 v66, vcc, 0, v50, vcc
	v_sub_u32_e32 v50, 0, v66
	v_ldexp_f32 v49, v49, v50
	v_ldexp_f32 v50, v52, v50
	v_add_f32_e32 v52, -1.0, v49
	v_add_f32_e32 v51, 1.0, v52
	v_sub_f32_e32 v51, v49, v51
	v_add_f32_e32 v53, v50, v51
	v_add_f32_e32 v51, 1.0, v49
	v_add_f32_e32 v54, -1.0, v51
	v_sub_f32_e32 v49, v49, v54
	v_add_f32_e32 v49, v50, v49
	v_add_f32_e32 v67, v51, v49
	v_rcp_f32_e32 v102, v67
	v_sub_f32_e32 v50, v51, v67
	v_add_f32_e32 v51, v52, v53
	v_add_f32_e32 v49, v49, v50
	v_mul_f32_e32 v112, v51, v102
	v_sub_f32_e32 v50, v52, v51
	v_mul_f32_e32 v52, v67, v112
	v_fma_f32 v54, v112, v67, -v52
	v_fmac_f32_e32 v54, v112, v49
	v_add_f32_e32 v103, v53, v50
	v_add_f32_e32 v50, v52, v54
	v_sub_f32_e32 v53, v51, v50
	v_pk_add_f32 v[64:65], v[50:51], v[52:53] neg_lo:[0,1] neg_hi:[0,1]
	v_mov_b32_e32 v55, v50
	v_pk_add_f32 v[50:51], v[64:65], v[54:55] neg_lo:[0,1] neg_hi:[0,1]
	v_cmp_eq_f32_e32 vcc, s31, v101
	v_add_f32_e32 v51, v103, v51
	v_add_f32_e32 v50, v50, v51
	;; [unrolled: 1-line block ×3, first 2 shown]
	v_mul_f32_e32 v103, v102, v51
	v_mul_f32_e32 v52, v67, v103
	v_fma_f32 v54, v103, v67, -v52
	v_fmac_f32_e32 v54, v103, v49
	v_sub_f32_e32 v49, v53, v51
	v_add_f32_e32 v49, v50, v49
	v_add_f32_e32 v50, v52, v54
	v_sub_f32_e32 v53, v51, v50
	v_pk_add_f32 v[64:65], v[50:51], v[52:53] neg_lo:[0,1] neg_hi:[0,1]
	v_mov_b32_e32 v55, v50
	v_pk_add_f32 v[50:51], v[64:65], v[54:55] neg_lo:[0,1] neg_hi:[0,1]
	v_cvt_f32_i32_e32 v52, v66
	v_add_f32_e32 v49, v49, v51
	v_add_f32_e32 v49, v50, v49
	;; [unrolled: 1-line block ×4, first 2 shown]
	v_sub_f32_e32 v51, v50, v112
	v_mul_f32_e32 v49, v102, v49
	v_sub_f32_e32 v51, v103, v51
	v_add_f32_e32 v49, v51, v49
	v_add_f32_e32 v53, v50, v49
	v_mul_f32_e32 v54, v53, v53
	v_mov_b32_e32 v51, 0x3ecc95a3
	v_fmac_f32_e32 v51, 0x3e9b6dac, v54
	v_sub_f32_e32 v50, v53, v50
	v_fmaak_f32 v51, v54, v51, 0x3f2aaada
	v_sub_f32_e32 v49, v49, v50
	v_ldexp_f32 v55, v53, 1
	v_mul_f32_e32 v53, v53, v54
	v_mov_b32_e32 v50, 0x3f317218
	v_pk_mul_f32 v[50:51], v[52:53], v[50:51]
	v_ldexp_f32 v49, v49, 1
	v_fma_f32 v53, v52, s30, -v50
	v_fmamk_f32 v54, v52, 0xb102e308, v53
	v_pk_add_f32 v[52:53], v[50:51], v[54:55]
	v_mov_b32_e32 v64, v50
	v_sub_f32_e32 v55, v53, v55
	v_sub_f32_e32 v55, v51, v55
	v_add_f32_e32 v65, v49, v55
	v_pk_add_f32 v[50:51], v[52:53], v[50:51] neg_lo:[0,1] neg_hi:[0,1]
	v_pk_add_f32 v[66:67], v[52:53], v[64:65]
	v_mov_b32_e32 v55, v52
	v_mov_b32_e32 v51, v67
	v_pk_add_f32 v[102:103], v[54:55], v[50:51] neg_lo:[0,1] neg_hi:[0,1]
	v_pk_add_f32 v[50:51], v[54:55], v[50:51]
	v_mov_b32_e32 v64, v65
	v_mov_b32_e32 v54, v51
	v_pk_add_f32 v[112:113], v[54:55], v[52:53] neg_lo:[0,1] neg_hi:[0,1]
	v_mov_b32_e32 v50, v67
	v_mov_b32_e32 v49, v112
	v_pk_add_f32 v[114:115], v[66:67], v[48:49] neg_lo:[0,1] neg_hi:[0,1]
	v_mov_b32_e32 v66, v53
	v_mov_b32_e32 v67, v112
	;; [unrolled: 1-line block ×3, first 2 shown]
	v_pk_add_f32 v[50:51], v[50:51], v[66:67] neg_lo:[0,1] neg_hi:[0,1]
	v_mov_b32_e32 v65, v52
	v_pk_add_f32 v[50:51], v[64:65], v[50:51] neg_lo:[0,1] neg_hi:[0,1]
	v_mov_b32_e32 v114, v102
	v_pk_add_f32 v[52:53], v[114:115], v[50:51]
	s_mov_b32 s30, 0x33800000
	v_mov_b32_e32 v64, v53
	v_pk_add_f32 v[64:65], v[52:53], v[64:65]
	v_cmp_lt_f32_e64 s[30:31], |v101|, s30
	v_pk_add_f32 v[54:55], v[54:55], v[64:65]
	v_mov_b32_e32 v51, v64
	v_mov_b32_e32 v53, v54
	v_pk_add_f32 v[66:67], v[52:53], v[102:103] neg_lo:[0,1] neg_hi:[0,1]
	s_or_b64 vcc, vcc, s[30:31]
	v_sub_f32_e32 v49, v52, v66
	v_pk_add_f32 v[50:51], v[50:51], v[66:67] neg_lo:[0,1] neg_hi:[0,1]
	v_sub_f32_e32 v49, v102, v49
	v_add_f32_e32 v49, v50, v49
	v_add_f32_e32 v49, v49, v51
	;; [unrolled: 1-line block ×3, first 2 shown]
	v_cndmask_b32_e32 v49, v49, v101, vcc
	v_add_f32_e32 v128, v48, v49
.LBB141_79:
	s_or_b64 exec, exec, s[28:29]
	v_max_f32_e32 v101, v30, v30
	v_max_f32_e32 v48, v128, v128
	v_min_f32_e32 v49, v48, v101
	v_cmp_u_f32_e32 vcc, v128, v128
	v_max_f32_e32 v48, v48, v101
	v_cmp_u_f32_e64 s[28:29], v30, v30
	v_cndmask_b32_e32 v49, v49, v128, vcc
	v_cndmask_b32_e32 v48, v48, v128, vcc
	v_cndmask_b32_e64 v49, v49, v30, s[28:29]
	v_cndmask_b32_e64 v48, v48, v30, s[28:29]
	v_cmp_neq_f32_e32 vcc, v49, v48
	v_cmp_class_f32_e64 s[30:31], v49, s13
	s_or_b64 vcc, vcc, s[30:31]
	s_and_saveexec_b64 s[30:31], vcc
	s_cbranch_execz .LBB141_81
; %bb.80:
	v_sub_f32_e32 v49, v49, v48
	s_mov_b32 s13, 0x3fb8aa3b
	v_mul_f32_e32 v50, 0x3fb8aa3b, v49
	v_fma_f32 v51, v49, s13, -v50
	v_rndne_f32_e32 v52, v50
	v_fmamk_f32 v51, v49, 0x32a5705f, v51
	v_sub_f32_e32 v50, v50, v52
	v_add_f32_e32 v50, v50, v51
	v_exp_f32_e32 v50, v50
	v_cvt_i32_f32_e32 v51, v52
	s_mov_b32 s13, 0xc2ce8ed0
	v_cmp_ngt_f32_e32 vcc, s13, v49
	s_mov_b32 s13, 0x42b17218
	v_ldexp_f32 v50, v50, v51
	v_cndmask_b32_e32 v50, 0, v50, vcc
	v_mov_b32_e32 v51, 0x7f800000
	v_cmp_nlt_f32_e32 vcc, s13, v49
	s_mov_b32 s13, 0x3f2aaaab
	s_mov_b32 s34, 0x7f800000
	v_cndmask_b32_e32 v116, v51, v50, vcc
	v_add_f32_e32 v49, 1.0, v116
	v_add_f32_e32 v50, -1.0, v49
	v_sub_f32_e32 v51, v50, v49
	v_add_f32_e32 v51, 1.0, v51
	v_sub_f32_e32 v50, v116, v50
	v_add_f32_e32 v52, v50, v51
	v_frexp_mant_f32_e32 v53, v49
	v_cvt_f64_f32_e32 v[50:51], v49
	v_frexp_exp_i32_f64_e32 v50, v[50:51]
	v_cmp_gt_f32_e32 vcc, s13, v53
	s_mov_b32 s13, 0x3f317218
	s_nop 0
	v_subbrev_co_u32_e32 v66, vcc, 0, v50, vcc
	v_sub_u32_e32 v50, 0, v66
	v_ldexp_f32 v49, v49, v50
	v_ldexp_f32 v50, v52, v50
	v_add_f32_e32 v52, -1.0, v49
	v_add_f32_e32 v51, 1.0, v52
	v_sub_f32_e32 v51, v49, v51
	v_add_f32_e32 v53, v50, v51
	v_add_f32_e32 v51, 1.0, v49
	v_add_f32_e32 v54, -1.0, v51
	v_sub_f32_e32 v49, v49, v54
	v_add_f32_e32 v49, v50, v49
	v_add_f32_e32 v67, v51, v49
	v_rcp_f32_e32 v102, v67
	v_sub_f32_e32 v50, v51, v67
	v_add_f32_e32 v51, v52, v53
	v_add_f32_e32 v49, v49, v50
	v_mul_f32_e32 v112, v51, v102
	v_sub_f32_e32 v50, v52, v51
	v_mul_f32_e32 v52, v67, v112
	v_fma_f32 v54, v112, v67, -v52
	v_fmac_f32_e32 v54, v112, v49
	v_add_f32_e32 v103, v53, v50
	v_add_f32_e32 v50, v52, v54
	v_sub_f32_e32 v53, v51, v50
	v_pk_add_f32 v[64:65], v[50:51], v[52:53] neg_lo:[0,1] neg_hi:[0,1]
	v_mov_b32_e32 v55, v50
	v_pk_add_f32 v[50:51], v[64:65], v[54:55] neg_lo:[0,1] neg_hi:[0,1]
	v_cmp_eq_f32_e32 vcc, s34, v116
	v_add_f32_e32 v51, v103, v51
	v_add_f32_e32 v50, v50, v51
	v_add_f32_e32 v51, v53, v50
	v_mul_f32_e32 v103, v102, v51
	v_mul_f32_e32 v52, v67, v103
	v_fma_f32 v54, v103, v67, -v52
	v_fmac_f32_e32 v54, v103, v49
	v_sub_f32_e32 v49, v53, v51
	v_add_f32_e32 v49, v50, v49
	v_add_f32_e32 v50, v52, v54
	v_sub_f32_e32 v53, v51, v50
	v_pk_add_f32 v[64:65], v[50:51], v[52:53] neg_lo:[0,1] neg_hi:[0,1]
	v_mov_b32_e32 v55, v50
	v_pk_add_f32 v[50:51], v[64:65], v[54:55] neg_lo:[0,1] neg_hi:[0,1]
	v_cvt_f32_i32_e32 v52, v66
	v_add_f32_e32 v49, v49, v51
	v_add_f32_e32 v49, v50, v49
	;; [unrolled: 1-line block ×4, first 2 shown]
	v_sub_f32_e32 v51, v50, v112
	v_mul_f32_e32 v49, v102, v49
	v_sub_f32_e32 v51, v103, v51
	v_add_f32_e32 v49, v51, v49
	v_add_f32_e32 v53, v50, v49
	v_mul_f32_e32 v54, v53, v53
	v_mov_b32_e32 v51, 0x3ecc95a3
	v_fmac_f32_e32 v51, 0x3e9b6dac, v54
	v_sub_f32_e32 v50, v53, v50
	v_fmaak_f32 v51, v54, v51, 0x3f2aaada
	v_sub_f32_e32 v49, v49, v50
	v_ldexp_f32 v55, v53, 1
	v_mul_f32_e32 v53, v53, v54
	v_mov_b32_e32 v50, 0x3f317218
	v_pk_mul_f32 v[50:51], v[52:53], v[50:51]
	v_ldexp_f32 v49, v49, 1
	v_fma_f32 v53, v52, s13, -v50
	v_fmamk_f32 v54, v52, 0xb102e308, v53
	v_pk_add_f32 v[52:53], v[50:51], v[54:55]
	v_mov_b32_e32 v64, v50
	v_sub_f32_e32 v55, v53, v55
	v_sub_f32_e32 v55, v51, v55
	v_add_f32_e32 v65, v49, v55
	v_pk_add_f32 v[50:51], v[52:53], v[50:51] neg_lo:[0,1] neg_hi:[0,1]
	v_pk_add_f32 v[66:67], v[52:53], v[64:65]
	v_mov_b32_e32 v55, v52
	v_mov_b32_e32 v51, v67
	v_pk_add_f32 v[102:103], v[54:55], v[50:51] neg_lo:[0,1] neg_hi:[0,1]
	v_pk_add_f32 v[50:51], v[54:55], v[50:51]
	v_mov_b32_e32 v64, v65
	v_mov_b32_e32 v54, v51
	v_pk_add_f32 v[112:113], v[54:55], v[52:53] neg_lo:[0,1] neg_hi:[0,1]
	v_mov_b32_e32 v50, v67
	v_mov_b32_e32 v49, v112
	v_pk_add_f32 v[114:115], v[66:67], v[48:49] neg_lo:[0,1] neg_hi:[0,1]
	v_mov_b32_e32 v66, v53
	v_mov_b32_e32 v67, v112
	;; [unrolled: 1-line block ×3, first 2 shown]
	v_pk_add_f32 v[50:51], v[50:51], v[66:67] neg_lo:[0,1] neg_hi:[0,1]
	v_mov_b32_e32 v65, v52
	v_pk_add_f32 v[50:51], v[64:65], v[50:51] neg_lo:[0,1] neg_hi:[0,1]
	v_mov_b32_e32 v114, v102
	v_pk_add_f32 v[52:53], v[114:115], v[50:51]
	s_mov_b32 s13, 0x33800000
	v_mov_b32_e32 v64, v53
	v_pk_add_f32 v[64:65], v[52:53], v[64:65]
	v_cmp_lt_f32_e64 s[34:35], |v116|, s13
	v_pk_add_f32 v[54:55], v[54:55], v[64:65]
	v_mov_b32_e32 v51, v64
	v_mov_b32_e32 v53, v54
	v_pk_add_f32 v[66:67], v[52:53], v[102:103] neg_lo:[0,1] neg_hi:[0,1]
	s_or_b64 vcc, vcc, s[34:35]
	v_sub_f32_e32 v49, v52, v66
	v_pk_add_f32 v[50:51], v[50:51], v[66:67] neg_lo:[0,1] neg_hi:[0,1]
	v_sub_f32_e32 v49, v102, v49
	v_add_f32_e32 v49, v50, v49
	v_add_f32_e32 v49, v49, v51
	;; [unrolled: 1-line block ×3, first 2 shown]
	v_cndmask_b32_e32 v49, v49, v116, vcc
	v_add_f32_e32 v128, v48, v49
.LBB141_81:
	s_or_b64 exec, exec, s[30:31]
	v_max_f32_e32 v102, v31, v31
	v_max_f32_e32 v48, v128, v128
	v_min_f32_e32 v49, v48, v102
	v_cmp_u_f32_e32 vcc, v128, v128
	v_max_f32_e32 v48, v48, v102
	v_cmp_u_f32_e64 s[30:31], v31, v31
	v_cndmask_b32_e32 v49, v49, v128, vcc
	v_cndmask_b32_e32 v48, v48, v128, vcc
	v_cndmask_b32_e64 v49, v49, v31, s[30:31]
	v_cndmask_b32_e64 v48, v48, v31, s[30:31]
	s_movk_i32 s13, 0x1f8
	v_cmp_neq_f32_e32 vcc, v49, v48
	v_cmp_class_f32_e64 s[34:35], v49, s13
	s_or_b64 vcc, vcc, s[34:35]
	s_and_saveexec_b64 s[34:35], vcc
	s_cbranch_execz .LBB141_83
; %bb.82:
	v_sub_f32_e32 v49, v49, v48
	s_mov_b32 s36, 0x3fb8aa3b
	v_mul_f32_e32 v50, 0x3fb8aa3b, v49
	v_fma_f32 v51, v49, s36, -v50
	v_rndne_f32_e32 v52, v50
	v_fmamk_f32 v51, v49, 0x32a5705f, v51
	v_sub_f32_e32 v50, v50, v52
	v_add_f32_e32 v50, v50, v51
	v_exp_f32_e32 v50, v50
	v_cvt_i32_f32_e32 v51, v52
	s_mov_b32 s36, 0xc2ce8ed0
	v_cmp_ngt_f32_e32 vcc, s36, v49
	s_mov_b32 s36, 0x42b17218
	v_ldexp_f32 v50, v50, v51
	v_cndmask_b32_e32 v50, 0, v50, vcc
	v_mov_b32_e32 v51, 0x7f800000
	v_cmp_nlt_f32_e32 vcc, s36, v49
	s_mov_b32 s36, 0x3f2aaaab
	s_mov_b32 s37, 0x7f800000
	v_cndmask_b32_e32 v103, v51, v50, vcc
	v_add_f32_e32 v49, 1.0, v103
	v_add_f32_e32 v50, -1.0, v49
	v_sub_f32_e32 v51, v50, v49
	v_add_f32_e32 v51, 1.0, v51
	v_sub_f32_e32 v50, v103, v50
	v_add_f32_e32 v52, v50, v51
	v_frexp_mant_f32_e32 v53, v49
	v_cvt_f64_f32_e32 v[50:51], v49
	v_frexp_exp_i32_f64_e32 v50, v[50:51]
	v_cmp_gt_f32_e32 vcc, s36, v53
	s_mov_b32 s36, 0x3f317218
	s_nop 0
	v_subbrev_co_u32_e32 v66, vcc, 0, v50, vcc
	v_sub_u32_e32 v50, 0, v66
	v_ldexp_f32 v49, v49, v50
	v_ldexp_f32 v50, v52, v50
	v_add_f32_e32 v52, -1.0, v49
	v_add_f32_e32 v51, 1.0, v52
	v_sub_f32_e32 v51, v49, v51
	v_add_f32_e32 v53, v50, v51
	v_add_f32_e32 v51, 1.0, v49
	v_add_f32_e32 v54, -1.0, v51
	v_sub_f32_e32 v49, v49, v54
	v_add_f32_e32 v49, v50, v49
	v_add_f32_e32 v67, v51, v49
	v_rcp_f32_e32 v112, v67
	v_sub_f32_e32 v50, v51, v67
	v_add_f32_e32 v51, v52, v53
	v_add_f32_e32 v49, v49, v50
	v_mul_f32_e32 v114, v51, v112
	v_sub_f32_e32 v50, v52, v51
	v_mul_f32_e32 v52, v67, v114
	v_fma_f32 v54, v114, v67, -v52
	v_fmac_f32_e32 v54, v114, v49
	v_add_f32_e32 v113, v53, v50
	v_add_f32_e32 v50, v52, v54
	v_sub_f32_e32 v53, v51, v50
	v_pk_add_f32 v[64:65], v[50:51], v[52:53] neg_lo:[0,1] neg_hi:[0,1]
	v_mov_b32_e32 v55, v50
	v_pk_add_f32 v[50:51], v[64:65], v[54:55] neg_lo:[0,1] neg_hi:[0,1]
	v_cmp_eq_f32_e32 vcc, s37, v103
	v_add_f32_e32 v51, v113, v51
	v_add_f32_e32 v50, v50, v51
	;; [unrolled: 1-line block ×3, first 2 shown]
	v_mul_f32_e32 v113, v112, v51
	v_mul_f32_e32 v52, v67, v113
	v_fma_f32 v54, v113, v67, -v52
	v_fmac_f32_e32 v54, v113, v49
	v_sub_f32_e32 v49, v53, v51
	v_add_f32_e32 v49, v50, v49
	v_add_f32_e32 v50, v52, v54
	v_sub_f32_e32 v53, v51, v50
	v_pk_add_f32 v[64:65], v[50:51], v[52:53] neg_lo:[0,1] neg_hi:[0,1]
	v_mov_b32_e32 v55, v50
	v_pk_add_f32 v[50:51], v[64:65], v[54:55] neg_lo:[0,1] neg_hi:[0,1]
	v_cvt_f32_i32_e32 v52, v66
	v_add_f32_e32 v49, v49, v51
	v_add_f32_e32 v49, v50, v49
	;; [unrolled: 1-line block ×4, first 2 shown]
	v_sub_f32_e32 v51, v50, v114
	v_mul_f32_e32 v49, v112, v49
	v_sub_f32_e32 v51, v113, v51
	v_add_f32_e32 v49, v51, v49
	v_add_f32_e32 v53, v50, v49
	v_mul_f32_e32 v54, v53, v53
	v_mov_b32_e32 v51, 0x3ecc95a3
	v_fmac_f32_e32 v51, 0x3e9b6dac, v54
	v_sub_f32_e32 v50, v53, v50
	v_fmaak_f32 v51, v54, v51, 0x3f2aaada
	v_sub_f32_e32 v49, v49, v50
	v_ldexp_f32 v55, v53, 1
	v_mul_f32_e32 v53, v53, v54
	v_mov_b32_e32 v50, 0x3f317218
	v_pk_mul_f32 v[50:51], v[52:53], v[50:51]
	v_ldexp_f32 v49, v49, 1
	v_fma_f32 v53, v52, s36, -v50
	v_fmamk_f32 v54, v52, 0xb102e308, v53
	v_pk_add_f32 v[52:53], v[50:51], v[54:55]
	v_mov_b32_e32 v64, v50
	v_sub_f32_e32 v55, v53, v55
	v_sub_f32_e32 v55, v51, v55
	v_add_f32_e32 v65, v49, v55
	v_pk_add_f32 v[50:51], v[52:53], v[50:51] neg_lo:[0,1] neg_hi:[0,1]
	v_pk_add_f32 v[66:67], v[52:53], v[64:65]
	v_mov_b32_e32 v55, v52
	v_mov_b32_e32 v51, v67
	v_pk_add_f32 v[112:113], v[54:55], v[50:51] neg_lo:[0,1] neg_hi:[0,1]
	v_pk_add_f32 v[50:51], v[54:55], v[50:51]
	v_mov_b32_e32 v64, v65
	v_mov_b32_e32 v54, v51
	v_pk_add_f32 v[114:115], v[54:55], v[52:53] neg_lo:[0,1] neg_hi:[0,1]
	v_mov_b32_e32 v50, v67
	v_mov_b32_e32 v49, v114
	v_pk_add_f32 v[116:117], v[66:67], v[48:49] neg_lo:[0,1] neg_hi:[0,1]
	v_mov_b32_e32 v66, v53
	v_mov_b32_e32 v67, v114
	;; [unrolled: 1-line block ×3, first 2 shown]
	v_pk_add_f32 v[50:51], v[50:51], v[66:67] neg_lo:[0,1] neg_hi:[0,1]
	v_mov_b32_e32 v65, v52
	v_pk_add_f32 v[50:51], v[64:65], v[50:51] neg_lo:[0,1] neg_hi:[0,1]
	v_mov_b32_e32 v116, v112
	v_pk_add_f32 v[52:53], v[116:117], v[50:51]
	s_mov_b32 s36, 0x33800000
	v_mov_b32_e32 v64, v53
	v_pk_add_f32 v[64:65], v[52:53], v[64:65]
	v_cmp_lt_f32_e64 s[36:37], |v103|, s36
	v_pk_add_f32 v[54:55], v[54:55], v[64:65]
	v_mov_b32_e32 v51, v64
	v_mov_b32_e32 v53, v54
	v_pk_add_f32 v[66:67], v[52:53], v[112:113] neg_lo:[0,1] neg_hi:[0,1]
	s_or_b64 vcc, vcc, s[36:37]
	v_sub_f32_e32 v49, v52, v66
	v_pk_add_f32 v[50:51], v[50:51], v[66:67] neg_lo:[0,1] neg_hi:[0,1]
	v_sub_f32_e32 v49, v112, v49
	v_add_f32_e32 v49, v50, v49
	v_add_f32_e32 v49, v49, v51
	;; [unrolled: 1-line block ×3, first 2 shown]
	v_cndmask_b32_e32 v49, v49, v103, vcc
	v_add_f32_e32 v128, v48, v49
.LBB141_83:
	s_or_b64 exec, exec, s[34:35]
	v_max_f32_e32 v103, v24, v24
	v_max_f32_e32 v48, v128, v128
	v_min_f32_e32 v49, v48, v103
	v_cmp_u_f32_e32 vcc, v128, v128
	v_max_f32_e32 v48, v48, v103
	v_cmp_u_f32_e64 s[34:35], v24, v24
	v_cndmask_b32_e32 v49, v49, v128, vcc
	v_cndmask_b32_e32 v48, v48, v128, vcc
	v_cndmask_b32_e64 v49, v49, v24, s[34:35]
	v_cndmask_b32_e64 v48, v48, v24, s[34:35]
	v_cmp_neq_f32_e32 vcc, v49, v48
	v_cmp_class_f32_e64 s[36:37], v49, s13
	s_or_b64 vcc, vcc, s[36:37]
	s_and_saveexec_b64 s[36:37], vcc
	s_cbranch_execz .LBB141_85
; %bb.84:
	v_sub_f32_e32 v49, v49, v48
	s_mov_b32 s13, 0x3fb8aa3b
	v_mul_f32_e32 v50, 0x3fb8aa3b, v49
	v_fma_f32 v51, v49, s13, -v50
	v_rndne_f32_e32 v52, v50
	v_fmamk_f32 v51, v49, 0x32a5705f, v51
	v_sub_f32_e32 v50, v50, v52
	v_add_f32_e32 v50, v50, v51
	v_exp_f32_e32 v50, v50
	v_cvt_i32_f32_e32 v51, v52
	s_mov_b32 s13, 0xc2ce8ed0
	v_cmp_ngt_f32_e32 vcc, s13, v49
	s_mov_b32 s13, 0x42b17218
	v_ldexp_f32 v50, v50, v51
	v_cndmask_b32_e32 v50, 0, v50, vcc
	v_mov_b32_e32 v51, 0x7f800000
	v_cmp_nlt_f32_e32 vcc, s13, v49
	s_mov_b32 s13, 0x3f2aaaab
	s_mov_b32 s38, 0x7f800000
	v_cndmask_b32_e32 v118, v51, v50, vcc
	v_add_f32_e32 v49, 1.0, v118
	v_add_f32_e32 v50, -1.0, v49
	v_sub_f32_e32 v51, v50, v49
	v_add_f32_e32 v51, 1.0, v51
	v_sub_f32_e32 v50, v118, v50
	v_add_f32_e32 v52, v50, v51
	v_frexp_mant_f32_e32 v53, v49
	v_cvt_f64_f32_e32 v[50:51], v49
	v_frexp_exp_i32_f64_e32 v50, v[50:51]
	v_cmp_gt_f32_e32 vcc, s13, v53
	s_mov_b32 s13, 0x3f317218
	s_nop 0
	v_subbrev_co_u32_e32 v66, vcc, 0, v50, vcc
	v_sub_u32_e32 v50, 0, v66
	v_ldexp_f32 v49, v49, v50
	v_ldexp_f32 v50, v52, v50
	v_add_f32_e32 v52, -1.0, v49
	v_add_f32_e32 v51, 1.0, v52
	v_sub_f32_e32 v51, v49, v51
	v_add_f32_e32 v53, v50, v51
	v_add_f32_e32 v51, 1.0, v49
	v_add_f32_e32 v54, -1.0, v51
	v_sub_f32_e32 v49, v49, v54
	v_add_f32_e32 v49, v50, v49
	v_add_f32_e32 v67, v51, v49
	v_rcp_f32_e32 v112, v67
	v_sub_f32_e32 v50, v51, v67
	v_add_f32_e32 v51, v52, v53
	v_add_f32_e32 v49, v49, v50
	v_mul_f32_e32 v114, v51, v112
	v_sub_f32_e32 v50, v52, v51
	v_mul_f32_e32 v52, v67, v114
	v_fma_f32 v54, v114, v67, -v52
	v_fmac_f32_e32 v54, v114, v49
	v_add_f32_e32 v113, v53, v50
	v_add_f32_e32 v50, v52, v54
	v_sub_f32_e32 v53, v51, v50
	v_pk_add_f32 v[64:65], v[50:51], v[52:53] neg_lo:[0,1] neg_hi:[0,1]
	v_mov_b32_e32 v55, v50
	v_pk_add_f32 v[50:51], v[64:65], v[54:55] neg_lo:[0,1] neg_hi:[0,1]
	v_cmp_eq_f32_e32 vcc, s38, v118
	v_add_f32_e32 v51, v113, v51
	v_add_f32_e32 v50, v50, v51
	;; [unrolled: 1-line block ×3, first 2 shown]
	v_mul_f32_e32 v113, v112, v51
	v_mul_f32_e32 v52, v67, v113
	v_fma_f32 v54, v113, v67, -v52
	v_fmac_f32_e32 v54, v113, v49
	v_sub_f32_e32 v49, v53, v51
	v_add_f32_e32 v49, v50, v49
	v_add_f32_e32 v50, v52, v54
	v_sub_f32_e32 v53, v51, v50
	v_pk_add_f32 v[64:65], v[50:51], v[52:53] neg_lo:[0,1] neg_hi:[0,1]
	v_mov_b32_e32 v55, v50
	v_pk_add_f32 v[50:51], v[64:65], v[54:55] neg_lo:[0,1] neg_hi:[0,1]
	v_cvt_f32_i32_e32 v52, v66
	v_add_f32_e32 v49, v49, v51
	v_add_f32_e32 v49, v50, v49
	v_add_f32_e32 v50, v114, v113
	v_add_f32_e32 v49, v53, v49
	v_sub_f32_e32 v51, v50, v114
	v_mul_f32_e32 v49, v112, v49
	v_sub_f32_e32 v51, v113, v51
	v_add_f32_e32 v49, v51, v49
	v_add_f32_e32 v53, v50, v49
	v_mul_f32_e32 v54, v53, v53
	v_mov_b32_e32 v51, 0x3ecc95a3
	v_fmac_f32_e32 v51, 0x3e9b6dac, v54
	v_sub_f32_e32 v50, v53, v50
	v_fmaak_f32 v51, v54, v51, 0x3f2aaada
	v_sub_f32_e32 v49, v49, v50
	v_ldexp_f32 v55, v53, 1
	v_mul_f32_e32 v53, v53, v54
	v_mov_b32_e32 v50, 0x3f317218
	v_pk_mul_f32 v[50:51], v[52:53], v[50:51]
	v_ldexp_f32 v49, v49, 1
	v_fma_f32 v53, v52, s13, -v50
	v_fmamk_f32 v54, v52, 0xb102e308, v53
	v_pk_add_f32 v[52:53], v[50:51], v[54:55]
	v_mov_b32_e32 v64, v50
	v_sub_f32_e32 v55, v53, v55
	v_sub_f32_e32 v55, v51, v55
	v_add_f32_e32 v65, v49, v55
	v_pk_add_f32 v[50:51], v[52:53], v[50:51] neg_lo:[0,1] neg_hi:[0,1]
	v_pk_add_f32 v[66:67], v[52:53], v[64:65]
	v_mov_b32_e32 v55, v52
	v_mov_b32_e32 v51, v67
	v_pk_add_f32 v[112:113], v[54:55], v[50:51] neg_lo:[0,1] neg_hi:[0,1]
	v_pk_add_f32 v[50:51], v[54:55], v[50:51]
	v_mov_b32_e32 v64, v65
	v_mov_b32_e32 v54, v51
	v_pk_add_f32 v[114:115], v[54:55], v[52:53] neg_lo:[0,1] neg_hi:[0,1]
	v_mov_b32_e32 v50, v67
	v_mov_b32_e32 v49, v114
	v_pk_add_f32 v[116:117], v[66:67], v[48:49] neg_lo:[0,1] neg_hi:[0,1]
	v_mov_b32_e32 v66, v53
	v_mov_b32_e32 v67, v114
	;; [unrolled: 1-line block ×3, first 2 shown]
	v_pk_add_f32 v[50:51], v[50:51], v[66:67] neg_lo:[0,1] neg_hi:[0,1]
	v_mov_b32_e32 v65, v52
	v_pk_add_f32 v[50:51], v[64:65], v[50:51] neg_lo:[0,1] neg_hi:[0,1]
	v_mov_b32_e32 v116, v112
	v_pk_add_f32 v[52:53], v[116:117], v[50:51]
	s_mov_b32 s13, 0x33800000
	v_mov_b32_e32 v64, v53
	v_pk_add_f32 v[64:65], v[52:53], v[64:65]
	v_cmp_lt_f32_e64 s[38:39], |v118|, s13
	v_pk_add_f32 v[54:55], v[54:55], v[64:65]
	v_mov_b32_e32 v51, v64
	v_mov_b32_e32 v53, v54
	v_pk_add_f32 v[66:67], v[52:53], v[112:113] neg_lo:[0,1] neg_hi:[0,1]
	s_or_b64 vcc, vcc, s[38:39]
	v_sub_f32_e32 v49, v52, v66
	v_pk_add_f32 v[50:51], v[50:51], v[66:67] neg_lo:[0,1] neg_hi:[0,1]
	v_sub_f32_e32 v49, v112, v49
	v_add_f32_e32 v49, v50, v49
	v_add_f32_e32 v49, v49, v51
	;; [unrolled: 1-line block ×3, first 2 shown]
	v_cndmask_b32_e32 v49, v49, v118, vcc
	v_add_f32_e32 v128, v48, v49
.LBB141_85:
	s_or_b64 exec, exec, s[36:37]
	v_max_f32_e32 v112, v25, v25
	v_max_f32_e32 v48, v128, v128
	v_min_f32_e32 v49, v48, v112
	v_cmp_u_f32_e32 vcc, v128, v128
	v_max_f32_e32 v48, v48, v112
	v_cmp_u_f32_e64 s[36:37], v25, v25
	v_cndmask_b32_e32 v49, v49, v128, vcc
	v_cndmask_b32_e32 v48, v48, v128, vcc
	v_cndmask_b32_e64 v49, v49, v25, s[36:37]
	v_cndmask_b32_e64 v48, v48, v25, s[36:37]
	s_movk_i32 s13, 0x1f8
	v_cmp_neq_f32_e32 vcc, v49, v48
	v_cmp_class_f32_e64 s[38:39], v49, s13
	s_or_b64 vcc, vcc, s[38:39]
	s_and_saveexec_b64 s[38:39], vcc
	s_cbranch_execz .LBB141_87
; %bb.86:
	v_sub_f32_e32 v49, v49, v48
	s_mov_b32 s40, 0x3fb8aa3b
	v_mul_f32_e32 v50, 0x3fb8aa3b, v49
	v_fma_f32 v51, v49, s40, -v50
	v_rndne_f32_e32 v52, v50
	v_fmamk_f32 v51, v49, 0x32a5705f, v51
	v_sub_f32_e32 v50, v50, v52
	v_add_f32_e32 v50, v50, v51
	v_exp_f32_e32 v50, v50
	v_cvt_i32_f32_e32 v51, v52
	s_mov_b32 s40, 0xc2ce8ed0
	v_cmp_ngt_f32_e32 vcc, s40, v49
	s_mov_b32 s40, 0x42b17218
	v_ldexp_f32 v50, v50, v51
	v_cndmask_b32_e32 v50, 0, v50, vcc
	v_mov_b32_e32 v51, 0x7f800000
	v_cmp_nlt_f32_e32 vcc, s40, v49
	s_mov_b32 s40, 0x3f2aaaab
	s_mov_b32 s41, 0x7f800000
	v_cndmask_b32_e32 v113, v51, v50, vcc
	v_add_f32_e32 v49, 1.0, v113
	v_add_f32_e32 v50, -1.0, v49
	v_sub_f32_e32 v51, v50, v49
	v_add_f32_e32 v51, 1.0, v51
	v_sub_f32_e32 v50, v113, v50
	v_add_f32_e32 v52, v50, v51
	v_frexp_mant_f32_e32 v53, v49
	v_cvt_f64_f32_e32 v[50:51], v49
	v_frexp_exp_i32_f64_e32 v50, v[50:51]
	v_cmp_gt_f32_e32 vcc, s40, v53
	s_mov_b32 s40, 0x3f317218
	s_nop 0
	v_subbrev_co_u32_e32 v66, vcc, 0, v50, vcc
	v_sub_u32_e32 v50, 0, v66
	v_ldexp_f32 v49, v49, v50
	v_ldexp_f32 v50, v52, v50
	v_add_f32_e32 v52, -1.0, v49
	v_add_f32_e32 v51, 1.0, v52
	v_sub_f32_e32 v51, v49, v51
	v_add_f32_e32 v53, v50, v51
	v_add_f32_e32 v51, 1.0, v49
	v_add_f32_e32 v54, -1.0, v51
	v_sub_f32_e32 v49, v49, v54
	v_add_f32_e32 v49, v50, v49
	v_add_f32_e32 v67, v51, v49
	v_rcp_f32_e32 v114, v67
	v_sub_f32_e32 v50, v51, v67
	v_add_f32_e32 v51, v52, v53
	v_add_f32_e32 v49, v49, v50
	v_mul_f32_e32 v116, v51, v114
	v_sub_f32_e32 v50, v52, v51
	v_mul_f32_e32 v52, v67, v116
	v_fma_f32 v54, v116, v67, -v52
	v_fmac_f32_e32 v54, v116, v49
	v_add_f32_e32 v115, v53, v50
	v_add_f32_e32 v50, v52, v54
	v_sub_f32_e32 v53, v51, v50
	v_pk_add_f32 v[64:65], v[50:51], v[52:53] neg_lo:[0,1] neg_hi:[0,1]
	v_mov_b32_e32 v55, v50
	v_pk_add_f32 v[50:51], v[64:65], v[54:55] neg_lo:[0,1] neg_hi:[0,1]
	v_cmp_eq_f32_e32 vcc, s41, v113
	v_add_f32_e32 v51, v115, v51
	v_add_f32_e32 v50, v50, v51
	;; [unrolled: 1-line block ×3, first 2 shown]
	v_mul_f32_e32 v115, v114, v51
	v_mul_f32_e32 v52, v67, v115
	v_fma_f32 v54, v115, v67, -v52
	v_fmac_f32_e32 v54, v115, v49
	v_sub_f32_e32 v49, v53, v51
	v_add_f32_e32 v49, v50, v49
	v_add_f32_e32 v50, v52, v54
	v_sub_f32_e32 v53, v51, v50
	v_pk_add_f32 v[64:65], v[50:51], v[52:53] neg_lo:[0,1] neg_hi:[0,1]
	v_mov_b32_e32 v55, v50
	v_pk_add_f32 v[50:51], v[64:65], v[54:55] neg_lo:[0,1] neg_hi:[0,1]
	v_cvt_f32_i32_e32 v52, v66
	v_add_f32_e32 v49, v49, v51
	v_add_f32_e32 v49, v50, v49
	;; [unrolled: 1-line block ×4, first 2 shown]
	v_sub_f32_e32 v51, v50, v116
	v_mul_f32_e32 v49, v114, v49
	v_sub_f32_e32 v51, v115, v51
	v_add_f32_e32 v49, v51, v49
	v_add_f32_e32 v53, v50, v49
	v_mul_f32_e32 v54, v53, v53
	v_mov_b32_e32 v51, 0x3ecc95a3
	v_fmac_f32_e32 v51, 0x3e9b6dac, v54
	v_sub_f32_e32 v50, v53, v50
	v_fmaak_f32 v51, v54, v51, 0x3f2aaada
	v_sub_f32_e32 v49, v49, v50
	v_ldexp_f32 v55, v53, 1
	v_mul_f32_e32 v53, v53, v54
	v_mov_b32_e32 v50, 0x3f317218
	v_pk_mul_f32 v[50:51], v[52:53], v[50:51]
	v_ldexp_f32 v49, v49, 1
	v_fma_f32 v53, v52, s40, -v50
	v_fmamk_f32 v54, v52, 0xb102e308, v53
	v_pk_add_f32 v[52:53], v[50:51], v[54:55]
	v_mov_b32_e32 v64, v50
	v_sub_f32_e32 v55, v53, v55
	v_sub_f32_e32 v55, v51, v55
	v_add_f32_e32 v65, v49, v55
	v_pk_add_f32 v[50:51], v[52:53], v[50:51] neg_lo:[0,1] neg_hi:[0,1]
	v_pk_add_f32 v[66:67], v[52:53], v[64:65]
	v_mov_b32_e32 v55, v52
	v_mov_b32_e32 v51, v67
	v_pk_add_f32 v[114:115], v[54:55], v[50:51] neg_lo:[0,1] neg_hi:[0,1]
	v_pk_add_f32 v[50:51], v[54:55], v[50:51]
	v_mov_b32_e32 v64, v65
	v_mov_b32_e32 v54, v51
	v_pk_add_f32 v[116:117], v[54:55], v[52:53] neg_lo:[0,1] neg_hi:[0,1]
	v_mov_b32_e32 v50, v67
	v_mov_b32_e32 v49, v116
	v_pk_add_f32 v[128:129], v[66:67], v[48:49] neg_lo:[0,1] neg_hi:[0,1]
	v_mov_b32_e32 v66, v53
	v_mov_b32_e32 v67, v116
	;; [unrolled: 1-line block ×3, first 2 shown]
	v_pk_add_f32 v[50:51], v[50:51], v[66:67] neg_lo:[0,1] neg_hi:[0,1]
	v_mov_b32_e32 v65, v52
	v_pk_add_f32 v[50:51], v[64:65], v[50:51] neg_lo:[0,1] neg_hi:[0,1]
	v_mov_b32_e32 v128, v114
	v_pk_add_f32 v[52:53], v[128:129], v[50:51]
	s_mov_b32 s40, 0x33800000
	v_mov_b32_e32 v64, v53
	v_pk_add_f32 v[64:65], v[52:53], v[64:65]
	v_cmp_lt_f32_e64 s[40:41], |v113|, s40
	v_pk_add_f32 v[54:55], v[54:55], v[64:65]
	v_mov_b32_e32 v51, v64
	v_mov_b32_e32 v53, v54
	v_pk_add_f32 v[66:67], v[52:53], v[114:115] neg_lo:[0,1] neg_hi:[0,1]
	s_or_b64 vcc, vcc, s[40:41]
	v_sub_f32_e32 v49, v52, v66
	v_pk_add_f32 v[50:51], v[50:51], v[66:67] neg_lo:[0,1] neg_hi:[0,1]
	v_sub_f32_e32 v49, v114, v49
	v_add_f32_e32 v49, v50, v49
	v_add_f32_e32 v49, v49, v51
	;; [unrolled: 1-line block ×3, first 2 shown]
	v_cndmask_b32_e32 v49, v49, v113, vcc
	v_add_f32_e32 v128, v48, v49
.LBB141_87:
	s_or_b64 exec, exec, s[38:39]
	v_max_f32_e32 v113, v26, v26
	v_max_f32_e32 v48, v128, v128
	v_min_f32_e32 v49, v48, v113
	v_cmp_u_f32_e32 vcc, v128, v128
	v_max_f32_e32 v48, v48, v113
	v_cmp_u_f32_e64 s[38:39], v26, v26
	v_cndmask_b32_e32 v49, v49, v128, vcc
	v_cndmask_b32_e32 v48, v48, v128, vcc
	v_cndmask_b32_e64 v49, v49, v26, s[38:39]
	v_cndmask_b32_e64 v48, v48, v26, s[38:39]
	v_cmp_neq_f32_e32 vcc, v49, v48
	v_cmp_class_f32_e64 s[40:41], v49, s13
	s_or_b64 vcc, vcc, s[40:41]
	s_and_saveexec_b64 s[40:41], vcc
	s_cbranch_execz .LBB141_89
; %bb.88:
	v_sub_f32_e32 v49, v49, v48
	s_mov_b32 s13, 0x3fb8aa3b
	v_mul_f32_e32 v50, 0x3fb8aa3b, v49
	v_fma_f32 v51, v49, s13, -v50
	v_rndne_f32_e32 v52, v50
	v_fmamk_f32 v51, v49, 0x32a5705f, v51
	v_sub_f32_e32 v50, v50, v52
	v_add_f32_e32 v50, v50, v51
	v_exp_f32_e32 v50, v50
	v_cvt_i32_f32_e32 v51, v52
	s_mov_b32 s13, 0xc2ce8ed0
	v_cmp_ngt_f32_e32 vcc, s13, v49
	s_mov_b32 s13, 0x42b17218
	v_ldexp_f32 v50, v50, v51
	v_cndmask_b32_e32 v50, 0, v50, vcc
	v_mov_b32_e32 v51, 0x7f800000
	v_cmp_nlt_f32_e32 vcc, s13, v49
	s_mov_b32 s13, 0x3f2aaaab
	s_mov_b32 s42, 0x7f800000
	v_cndmask_b32_e32 v118, v51, v50, vcc
	v_add_f32_e32 v49, 1.0, v118
	v_add_f32_e32 v50, -1.0, v49
	v_sub_f32_e32 v51, v50, v49
	v_add_f32_e32 v51, 1.0, v51
	v_sub_f32_e32 v50, v118, v50
	v_add_f32_e32 v52, v50, v51
	v_frexp_mant_f32_e32 v53, v49
	v_cvt_f64_f32_e32 v[50:51], v49
	v_frexp_exp_i32_f64_e32 v50, v[50:51]
	v_cmp_gt_f32_e32 vcc, s13, v53
	s_mov_b32 s13, 0x3f317218
	s_nop 0
	v_subbrev_co_u32_e32 v66, vcc, 0, v50, vcc
	v_sub_u32_e32 v50, 0, v66
	v_ldexp_f32 v49, v49, v50
	v_ldexp_f32 v50, v52, v50
	v_add_f32_e32 v52, -1.0, v49
	v_add_f32_e32 v51, 1.0, v52
	v_sub_f32_e32 v51, v49, v51
	v_add_f32_e32 v53, v50, v51
	v_add_f32_e32 v51, 1.0, v49
	v_add_f32_e32 v54, -1.0, v51
	v_sub_f32_e32 v49, v49, v54
	v_add_f32_e32 v49, v50, v49
	v_add_f32_e32 v67, v51, v49
	v_rcp_f32_e32 v114, v67
	v_sub_f32_e32 v50, v51, v67
	v_add_f32_e32 v51, v52, v53
	v_add_f32_e32 v49, v49, v50
	v_mul_f32_e32 v116, v51, v114
	v_sub_f32_e32 v50, v52, v51
	v_mul_f32_e32 v52, v67, v116
	v_fma_f32 v54, v116, v67, -v52
	v_fmac_f32_e32 v54, v116, v49
	v_add_f32_e32 v115, v53, v50
	v_add_f32_e32 v50, v52, v54
	v_sub_f32_e32 v53, v51, v50
	v_pk_add_f32 v[64:65], v[50:51], v[52:53] neg_lo:[0,1] neg_hi:[0,1]
	v_mov_b32_e32 v55, v50
	v_pk_add_f32 v[50:51], v[64:65], v[54:55] neg_lo:[0,1] neg_hi:[0,1]
	v_cmp_eq_f32_e32 vcc, s42, v118
	v_add_f32_e32 v51, v115, v51
	v_add_f32_e32 v50, v50, v51
	;; [unrolled: 1-line block ×3, first 2 shown]
	v_mul_f32_e32 v115, v114, v51
	v_mul_f32_e32 v52, v67, v115
	v_fma_f32 v54, v115, v67, -v52
	v_fmac_f32_e32 v54, v115, v49
	v_sub_f32_e32 v49, v53, v51
	v_add_f32_e32 v49, v50, v49
	v_add_f32_e32 v50, v52, v54
	v_sub_f32_e32 v53, v51, v50
	v_pk_add_f32 v[64:65], v[50:51], v[52:53] neg_lo:[0,1] neg_hi:[0,1]
	v_mov_b32_e32 v55, v50
	v_pk_add_f32 v[50:51], v[64:65], v[54:55] neg_lo:[0,1] neg_hi:[0,1]
	v_cvt_f32_i32_e32 v52, v66
	v_add_f32_e32 v49, v49, v51
	v_add_f32_e32 v49, v50, v49
	;; [unrolled: 1-line block ×4, first 2 shown]
	v_sub_f32_e32 v51, v50, v116
	v_mul_f32_e32 v49, v114, v49
	v_sub_f32_e32 v51, v115, v51
	v_add_f32_e32 v49, v51, v49
	v_add_f32_e32 v53, v50, v49
	v_mul_f32_e32 v54, v53, v53
	v_mov_b32_e32 v51, 0x3ecc95a3
	v_fmac_f32_e32 v51, 0x3e9b6dac, v54
	v_sub_f32_e32 v50, v53, v50
	v_fmaak_f32 v51, v54, v51, 0x3f2aaada
	v_sub_f32_e32 v49, v49, v50
	v_ldexp_f32 v55, v53, 1
	v_mul_f32_e32 v53, v53, v54
	v_mov_b32_e32 v50, 0x3f317218
	v_pk_mul_f32 v[50:51], v[52:53], v[50:51]
	v_ldexp_f32 v49, v49, 1
	v_fma_f32 v53, v52, s13, -v50
	v_fmamk_f32 v54, v52, 0xb102e308, v53
	v_pk_add_f32 v[52:53], v[50:51], v[54:55]
	v_mov_b32_e32 v64, v50
	v_sub_f32_e32 v55, v53, v55
	v_sub_f32_e32 v55, v51, v55
	v_add_f32_e32 v65, v49, v55
	v_pk_add_f32 v[50:51], v[52:53], v[50:51] neg_lo:[0,1] neg_hi:[0,1]
	v_pk_add_f32 v[66:67], v[52:53], v[64:65]
	v_mov_b32_e32 v55, v52
	v_mov_b32_e32 v51, v67
	v_pk_add_f32 v[114:115], v[54:55], v[50:51] neg_lo:[0,1] neg_hi:[0,1]
	v_pk_add_f32 v[50:51], v[54:55], v[50:51]
	v_mov_b32_e32 v64, v65
	v_mov_b32_e32 v54, v51
	v_pk_add_f32 v[116:117], v[54:55], v[52:53] neg_lo:[0,1] neg_hi:[0,1]
	v_mov_b32_e32 v50, v67
	v_mov_b32_e32 v49, v116
	v_pk_add_f32 v[128:129], v[66:67], v[48:49] neg_lo:[0,1] neg_hi:[0,1]
	v_mov_b32_e32 v66, v53
	v_mov_b32_e32 v67, v116
	;; [unrolled: 1-line block ×3, first 2 shown]
	v_pk_add_f32 v[50:51], v[50:51], v[66:67] neg_lo:[0,1] neg_hi:[0,1]
	v_mov_b32_e32 v65, v52
	v_pk_add_f32 v[50:51], v[64:65], v[50:51] neg_lo:[0,1] neg_hi:[0,1]
	v_mov_b32_e32 v128, v114
	v_pk_add_f32 v[52:53], v[128:129], v[50:51]
	s_mov_b32 s13, 0x33800000
	v_mov_b32_e32 v64, v53
	v_pk_add_f32 v[64:65], v[52:53], v[64:65]
	v_cmp_lt_f32_e64 s[42:43], |v118|, s13
	v_pk_add_f32 v[54:55], v[54:55], v[64:65]
	v_mov_b32_e32 v51, v64
	v_mov_b32_e32 v53, v54
	v_pk_add_f32 v[66:67], v[52:53], v[114:115] neg_lo:[0,1] neg_hi:[0,1]
	s_or_b64 vcc, vcc, s[42:43]
	v_sub_f32_e32 v49, v52, v66
	v_pk_add_f32 v[50:51], v[50:51], v[66:67] neg_lo:[0,1] neg_hi:[0,1]
	v_sub_f32_e32 v49, v114, v49
	v_add_f32_e32 v49, v50, v49
	v_add_f32_e32 v49, v49, v51
	;; [unrolled: 1-line block ×3, first 2 shown]
	v_cndmask_b32_e32 v49, v49, v118, vcc
	v_add_f32_e32 v128, v48, v49
.LBB141_89:
	s_or_b64 exec, exec, s[40:41]
	v_max_f32_e32 v114, v27, v27
	v_max_f32_e32 v48, v128, v128
	v_min_f32_e32 v49, v48, v114
	v_cmp_u_f32_e32 vcc, v128, v128
	v_max_f32_e32 v48, v48, v114
	v_cmp_u_f32_e64 s[40:41], v27, v27
	v_cndmask_b32_e32 v49, v49, v128, vcc
	v_cndmask_b32_e32 v48, v48, v128, vcc
	v_cndmask_b32_e64 v49, v49, v27, s[40:41]
	v_cndmask_b32_e64 v48, v48, v27, s[40:41]
	s_movk_i32 s13, 0x1f8
	v_cmp_neq_f32_e32 vcc, v49, v48
	v_cmp_class_f32_e64 s[42:43], v49, s13
	s_or_b64 vcc, vcc, s[42:43]
	s_and_saveexec_b64 s[42:43], vcc
	s_cbranch_execz .LBB141_91
; %bb.90:
	v_sub_f32_e32 v49, v49, v48
	s_mov_b32 s44, 0x3fb8aa3b
	v_mul_f32_e32 v50, 0x3fb8aa3b, v49
	v_fma_f32 v51, v49, s44, -v50
	v_rndne_f32_e32 v52, v50
	v_fmamk_f32 v51, v49, 0x32a5705f, v51
	v_sub_f32_e32 v50, v50, v52
	v_add_f32_e32 v50, v50, v51
	v_exp_f32_e32 v50, v50
	v_cvt_i32_f32_e32 v51, v52
	s_mov_b32 s44, 0xc2ce8ed0
	v_cmp_ngt_f32_e32 vcc, s44, v49
	s_mov_b32 s44, 0x42b17218
	v_ldexp_f32 v50, v50, v51
	v_cndmask_b32_e32 v50, 0, v50, vcc
	v_mov_b32_e32 v51, 0x7f800000
	v_cmp_nlt_f32_e32 vcc, s44, v49
	s_mov_b32 s44, 0x3f2aaaab
	s_mov_b32 s45, 0x7f800000
	v_cndmask_b32_e32 v115, v51, v50, vcc
	v_add_f32_e32 v49, 1.0, v115
	v_add_f32_e32 v50, -1.0, v49
	v_sub_f32_e32 v51, v50, v49
	v_add_f32_e32 v51, 1.0, v51
	v_sub_f32_e32 v50, v115, v50
	v_add_f32_e32 v52, v50, v51
	v_frexp_mant_f32_e32 v53, v49
	v_cvt_f64_f32_e32 v[50:51], v49
	v_frexp_exp_i32_f64_e32 v50, v[50:51]
	v_cmp_gt_f32_e32 vcc, s44, v53
	s_mov_b32 s44, 0x3f317218
	s_nop 0
	v_subbrev_co_u32_e32 v66, vcc, 0, v50, vcc
	v_sub_u32_e32 v50, 0, v66
	v_ldexp_f32 v49, v49, v50
	v_ldexp_f32 v50, v52, v50
	v_add_f32_e32 v52, -1.0, v49
	v_add_f32_e32 v51, 1.0, v52
	v_sub_f32_e32 v51, v49, v51
	v_add_f32_e32 v53, v50, v51
	v_add_f32_e32 v51, 1.0, v49
	v_add_f32_e32 v54, -1.0, v51
	v_sub_f32_e32 v49, v49, v54
	v_add_f32_e32 v49, v50, v49
	v_add_f32_e32 v67, v51, v49
	v_rcp_f32_e32 v116, v67
	v_sub_f32_e32 v50, v51, v67
	v_add_f32_e32 v51, v52, v53
	v_add_f32_e32 v49, v49, v50
	v_mul_f32_e32 v118, v51, v116
	v_sub_f32_e32 v50, v52, v51
	v_mul_f32_e32 v52, v67, v118
	v_fma_f32 v54, v118, v67, -v52
	v_fmac_f32_e32 v54, v118, v49
	v_add_f32_e32 v117, v53, v50
	v_add_f32_e32 v50, v52, v54
	v_sub_f32_e32 v53, v51, v50
	v_pk_add_f32 v[64:65], v[50:51], v[52:53] neg_lo:[0,1] neg_hi:[0,1]
	v_mov_b32_e32 v55, v50
	v_pk_add_f32 v[50:51], v[64:65], v[54:55] neg_lo:[0,1] neg_hi:[0,1]
	v_cmp_eq_f32_e32 vcc, s45, v115
	v_add_f32_e32 v51, v117, v51
	v_add_f32_e32 v50, v50, v51
	v_add_f32_e32 v51, v53, v50
	v_mul_f32_e32 v117, v116, v51
	v_mul_f32_e32 v52, v67, v117
	v_fma_f32 v54, v117, v67, -v52
	v_fmac_f32_e32 v54, v117, v49
	v_sub_f32_e32 v49, v53, v51
	v_add_f32_e32 v49, v50, v49
	v_add_f32_e32 v50, v52, v54
	v_sub_f32_e32 v53, v51, v50
	v_pk_add_f32 v[64:65], v[50:51], v[52:53] neg_lo:[0,1] neg_hi:[0,1]
	v_mov_b32_e32 v55, v50
	v_pk_add_f32 v[50:51], v[64:65], v[54:55] neg_lo:[0,1] neg_hi:[0,1]
	v_cvt_f32_i32_e32 v52, v66
	v_add_f32_e32 v49, v49, v51
	v_add_f32_e32 v49, v50, v49
	;; [unrolled: 1-line block ×4, first 2 shown]
	v_sub_f32_e32 v51, v50, v118
	v_mul_f32_e32 v49, v116, v49
	v_sub_f32_e32 v51, v117, v51
	v_add_f32_e32 v49, v51, v49
	v_add_f32_e32 v53, v50, v49
	v_mul_f32_e32 v54, v53, v53
	v_mov_b32_e32 v51, 0x3ecc95a3
	v_fmac_f32_e32 v51, 0x3e9b6dac, v54
	v_sub_f32_e32 v50, v53, v50
	v_fmaak_f32 v51, v54, v51, 0x3f2aaada
	v_sub_f32_e32 v49, v49, v50
	v_ldexp_f32 v55, v53, 1
	v_mul_f32_e32 v53, v53, v54
	v_mov_b32_e32 v50, 0x3f317218
	v_pk_mul_f32 v[50:51], v[52:53], v[50:51]
	v_ldexp_f32 v49, v49, 1
	v_fma_f32 v53, v52, s44, -v50
	v_fmamk_f32 v54, v52, 0xb102e308, v53
	v_pk_add_f32 v[52:53], v[50:51], v[54:55]
	v_mov_b32_e32 v64, v50
	v_sub_f32_e32 v55, v53, v55
	v_sub_f32_e32 v55, v51, v55
	v_add_f32_e32 v65, v49, v55
	v_pk_add_f32 v[50:51], v[52:53], v[50:51] neg_lo:[0,1] neg_hi:[0,1]
	v_pk_add_f32 v[66:67], v[52:53], v[64:65]
	v_mov_b32_e32 v55, v52
	v_mov_b32_e32 v51, v67
	v_pk_add_f32 v[116:117], v[54:55], v[50:51] neg_lo:[0,1] neg_hi:[0,1]
	v_pk_add_f32 v[50:51], v[54:55], v[50:51]
	v_mov_b32_e32 v64, v65
	v_mov_b32_e32 v54, v51
	v_pk_add_f32 v[128:129], v[54:55], v[52:53] neg_lo:[0,1] neg_hi:[0,1]
	v_mov_b32_e32 v50, v67
	v_mov_b32_e32 v49, v128
	v_pk_add_f32 v[130:131], v[66:67], v[48:49] neg_lo:[0,1] neg_hi:[0,1]
	v_mov_b32_e32 v66, v53
	v_mov_b32_e32 v67, v128
	;; [unrolled: 1-line block ×3, first 2 shown]
	v_pk_add_f32 v[50:51], v[50:51], v[66:67] neg_lo:[0,1] neg_hi:[0,1]
	v_mov_b32_e32 v65, v52
	v_pk_add_f32 v[50:51], v[64:65], v[50:51] neg_lo:[0,1] neg_hi:[0,1]
	v_mov_b32_e32 v130, v116
	v_pk_add_f32 v[52:53], v[130:131], v[50:51]
	s_mov_b32 s44, 0x33800000
	v_mov_b32_e32 v64, v53
	v_pk_add_f32 v[64:65], v[52:53], v[64:65]
	v_cmp_lt_f32_e64 s[44:45], |v115|, s44
	v_pk_add_f32 v[54:55], v[54:55], v[64:65]
	v_mov_b32_e32 v51, v64
	v_mov_b32_e32 v53, v54
	v_pk_add_f32 v[66:67], v[52:53], v[116:117] neg_lo:[0,1] neg_hi:[0,1]
	s_or_b64 vcc, vcc, s[44:45]
	v_sub_f32_e32 v49, v52, v66
	v_pk_add_f32 v[50:51], v[50:51], v[66:67] neg_lo:[0,1] neg_hi:[0,1]
	v_sub_f32_e32 v49, v116, v49
	v_add_f32_e32 v49, v50, v49
	v_add_f32_e32 v49, v49, v51
	;; [unrolled: 1-line block ×3, first 2 shown]
	v_cndmask_b32_e32 v49, v49, v115, vcc
	v_add_f32_e32 v128, v48, v49
.LBB141_91:
	s_or_b64 exec, exec, s[42:43]
	v_max_f32_e32 v115, v20, v20
	v_max_f32_e32 v48, v128, v128
	v_min_f32_e32 v49, v48, v115
	v_cmp_u_f32_e32 vcc, v128, v128
	v_max_f32_e32 v48, v48, v115
	v_cmp_u_f32_e64 s[42:43], v20, v20
	v_cndmask_b32_e32 v49, v49, v128, vcc
	v_cndmask_b32_e32 v48, v48, v128, vcc
	v_cndmask_b32_e64 v49, v49, v20, s[42:43]
	v_cndmask_b32_e64 v48, v48, v20, s[42:43]
	v_cmp_neq_f32_e32 vcc, v49, v48
	v_cmp_class_f32_e64 s[44:45], v49, s13
	s_or_b64 vcc, vcc, s[44:45]
	s_and_saveexec_b64 s[44:45], vcc
	s_cbranch_execz .LBB141_93
; %bb.92:
	v_sub_f32_e32 v49, v49, v48
	s_mov_b32 s13, 0x3fb8aa3b
	v_mul_f32_e32 v50, 0x3fb8aa3b, v49
	v_fma_f32 v51, v49, s13, -v50
	v_rndne_f32_e32 v52, v50
	v_fmamk_f32 v51, v49, 0x32a5705f, v51
	v_sub_f32_e32 v50, v50, v52
	v_add_f32_e32 v50, v50, v51
	v_exp_f32_e32 v50, v50
	v_cvt_i32_f32_e32 v51, v52
	s_mov_b32 s13, 0xc2ce8ed0
	v_cmp_ngt_f32_e32 vcc, s13, v49
	s_mov_b32 s13, 0x42b17218
	v_ldexp_f32 v50, v50, v51
	v_cndmask_b32_e32 v50, 0, v50, vcc
	v_mov_b32_e32 v51, 0x7f800000
	v_cmp_nlt_f32_e32 vcc, s13, v49
	s_mov_b32 s13, 0x3f2aaaab
	s_mov_b32 s46, 0x7f800000
	v_cndmask_b32_e32 v118, v51, v50, vcc
	v_add_f32_e32 v49, 1.0, v118
	v_add_f32_e32 v50, -1.0, v49
	v_sub_f32_e32 v51, v50, v49
	v_add_f32_e32 v51, 1.0, v51
	v_sub_f32_e32 v50, v118, v50
	v_add_f32_e32 v52, v50, v51
	v_frexp_mant_f32_e32 v53, v49
	v_cvt_f64_f32_e32 v[50:51], v49
	v_frexp_exp_i32_f64_e32 v50, v[50:51]
	v_cmp_gt_f32_e32 vcc, s13, v53
	s_mov_b32 s13, 0x3f317218
	s_nop 0
	v_subbrev_co_u32_e32 v66, vcc, 0, v50, vcc
	v_sub_u32_e32 v50, 0, v66
	v_ldexp_f32 v49, v49, v50
	v_ldexp_f32 v50, v52, v50
	v_add_f32_e32 v52, -1.0, v49
	v_add_f32_e32 v51, 1.0, v52
	v_sub_f32_e32 v51, v49, v51
	v_add_f32_e32 v53, v50, v51
	v_add_f32_e32 v51, 1.0, v49
	v_add_f32_e32 v54, -1.0, v51
	v_sub_f32_e32 v49, v49, v54
	v_add_f32_e32 v49, v50, v49
	v_add_f32_e32 v67, v51, v49
	v_rcp_f32_e32 v116, v67
	v_sub_f32_e32 v50, v51, v67
	v_add_f32_e32 v51, v52, v53
	v_add_f32_e32 v49, v49, v50
	v_mul_f32_e32 v128, v51, v116
	v_sub_f32_e32 v50, v52, v51
	v_mul_f32_e32 v52, v67, v128
	v_fma_f32 v54, v128, v67, -v52
	v_fmac_f32_e32 v54, v128, v49
	v_add_f32_e32 v117, v53, v50
	v_add_f32_e32 v50, v52, v54
	v_sub_f32_e32 v53, v51, v50
	v_pk_add_f32 v[64:65], v[50:51], v[52:53] neg_lo:[0,1] neg_hi:[0,1]
	v_mov_b32_e32 v55, v50
	v_pk_add_f32 v[50:51], v[64:65], v[54:55] neg_lo:[0,1] neg_hi:[0,1]
	v_cmp_eq_f32_e32 vcc, s46, v118
	v_add_f32_e32 v51, v117, v51
	v_add_f32_e32 v50, v50, v51
	;; [unrolled: 1-line block ×3, first 2 shown]
	v_mul_f32_e32 v117, v116, v51
	v_mul_f32_e32 v52, v67, v117
	v_fma_f32 v54, v117, v67, -v52
	v_fmac_f32_e32 v54, v117, v49
	v_sub_f32_e32 v49, v53, v51
	v_add_f32_e32 v49, v50, v49
	v_add_f32_e32 v50, v52, v54
	v_sub_f32_e32 v53, v51, v50
	v_pk_add_f32 v[64:65], v[50:51], v[52:53] neg_lo:[0,1] neg_hi:[0,1]
	v_mov_b32_e32 v55, v50
	v_pk_add_f32 v[50:51], v[64:65], v[54:55] neg_lo:[0,1] neg_hi:[0,1]
	v_cvt_f32_i32_e32 v52, v66
	v_add_f32_e32 v49, v49, v51
	v_add_f32_e32 v49, v50, v49
	;; [unrolled: 1-line block ×4, first 2 shown]
	v_sub_f32_e32 v51, v50, v128
	v_mul_f32_e32 v49, v116, v49
	v_sub_f32_e32 v51, v117, v51
	v_add_f32_e32 v49, v51, v49
	v_add_f32_e32 v53, v50, v49
	v_mul_f32_e32 v54, v53, v53
	v_mov_b32_e32 v51, 0x3ecc95a3
	v_fmac_f32_e32 v51, 0x3e9b6dac, v54
	v_sub_f32_e32 v50, v53, v50
	v_fmaak_f32 v51, v54, v51, 0x3f2aaada
	v_sub_f32_e32 v49, v49, v50
	v_ldexp_f32 v55, v53, 1
	v_mul_f32_e32 v53, v53, v54
	v_mov_b32_e32 v50, 0x3f317218
	v_pk_mul_f32 v[50:51], v[52:53], v[50:51]
	v_ldexp_f32 v49, v49, 1
	v_fma_f32 v53, v52, s13, -v50
	v_fmamk_f32 v54, v52, 0xb102e308, v53
	v_pk_add_f32 v[52:53], v[50:51], v[54:55]
	v_mov_b32_e32 v64, v50
	v_sub_f32_e32 v55, v53, v55
	v_sub_f32_e32 v55, v51, v55
	v_add_f32_e32 v65, v49, v55
	v_pk_add_f32 v[50:51], v[52:53], v[50:51] neg_lo:[0,1] neg_hi:[0,1]
	v_pk_add_f32 v[66:67], v[52:53], v[64:65]
	v_mov_b32_e32 v55, v52
	v_mov_b32_e32 v51, v67
	v_pk_add_f32 v[116:117], v[54:55], v[50:51] neg_lo:[0,1] neg_hi:[0,1]
	v_pk_add_f32 v[50:51], v[54:55], v[50:51]
	v_mov_b32_e32 v64, v65
	v_mov_b32_e32 v54, v51
	v_pk_add_f32 v[128:129], v[54:55], v[52:53] neg_lo:[0,1] neg_hi:[0,1]
	v_mov_b32_e32 v50, v67
	v_mov_b32_e32 v49, v128
	v_pk_add_f32 v[130:131], v[66:67], v[48:49] neg_lo:[0,1] neg_hi:[0,1]
	v_mov_b32_e32 v66, v53
	v_mov_b32_e32 v67, v128
	;; [unrolled: 1-line block ×3, first 2 shown]
	v_pk_add_f32 v[50:51], v[50:51], v[66:67] neg_lo:[0,1] neg_hi:[0,1]
	v_mov_b32_e32 v65, v52
	v_pk_add_f32 v[50:51], v[64:65], v[50:51] neg_lo:[0,1] neg_hi:[0,1]
	v_mov_b32_e32 v130, v116
	v_pk_add_f32 v[52:53], v[130:131], v[50:51]
	s_mov_b32 s13, 0x33800000
	v_mov_b32_e32 v64, v53
	v_pk_add_f32 v[64:65], v[52:53], v[64:65]
	v_cmp_lt_f32_e64 s[46:47], |v118|, s13
	v_pk_add_f32 v[54:55], v[54:55], v[64:65]
	v_mov_b32_e32 v51, v64
	v_mov_b32_e32 v53, v54
	v_pk_add_f32 v[66:67], v[52:53], v[116:117] neg_lo:[0,1] neg_hi:[0,1]
	s_or_b64 vcc, vcc, s[46:47]
	v_sub_f32_e32 v49, v52, v66
	v_pk_add_f32 v[50:51], v[50:51], v[66:67] neg_lo:[0,1] neg_hi:[0,1]
	v_sub_f32_e32 v49, v116, v49
	v_add_f32_e32 v49, v50, v49
	v_add_f32_e32 v49, v49, v51
	;; [unrolled: 1-line block ×3, first 2 shown]
	v_cndmask_b32_e32 v49, v49, v118, vcc
	v_add_f32_e32 v128, v48, v49
.LBB141_93:
	s_or_b64 exec, exec, s[44:45]
	v_max_f32_e32 v116, v21, v21
	v_max_f32_e32 v48, v128, v128
	v_min_f32_e32 v49, v48, v116
	v_cmp_u_f32_e32 vcc, v128, v128
	v_max_f32_e32 v48, v48, v116
	v_cmp_u_f32_e64 s[44:45], v21, v21
	v_cndmask_b32_e32 v49, v49, v128, vcc
	v_cndmask_b32_e32 v48, v48, v128, vcc
	v_cndmask_b32_e64 v49, v49, v21, s[44:45]
	v_cndmask_b32_e64 v48, v48, v21, s[44:45]
	s_movk_i32 s13, 0x1f8
	v_cmp_neq_f32_e32 vcc, v49, v48
	v_cmp_class_f32_e64 s[46:47], v49, s13
	s_or_b64 vcc, vcc, s[46:47]
	s_and_saveexec_b64 s[46:47], vcc
	s_cbranch_execz .LBB141_95
; %bb.94:
	v_sub_f32_e32 v49, v49, v48
	s_mov_b32 s48, 0x3fb8aa3b
	v_mul_f32_e32 v50, 0x3fb8aa3b, v49
	v_fma_f32 v51, v49, s48, -v50
	v_rndne_f32_e32 v52, v50
	v_fmamk_f32 v51, v49, 0x32a5705f, v51
	v_sub_f32_e32 v50, v50, v52
	v_add_f32_e32 v50, v50, v51
	v_exp_f32_e32 v50, v50
	v_cvt_i32_f32_e32 v51, v52
	s_mov_b32 s48, 0xc2ce8ed0
	v_cmp_ngt_f32_e32 vcc, s48, v49
	s_mov_b32 s48, 0x42b17218
	v_ldexp_f32 v50, v50, v51
	v_cndmask_b32_e32 v50, 0, v50, vcc
	v_mov_b32_e32 v51, 0x7f800000
	v_cmp_nlt_f32_e32 vcc, s48, v49
	s_mov_b32 s48, 0x3f2aaaab
	s_mov_b32 s49, 0x7f800000
	v_cndmask_b32_e32 v117, v51, v50, vcc
	v_add_f32_e32 v49, 1.0, v117
	v_add_f32_e32 v50, -1.0, v49
	v_sub_f32_e32 v51, v50, v49
	v_add_f32_e32 v51, 1.0, v51
	v_sub_f32_e32 v50, v117, v50
	v_add_f32_e32 v52, v50, v51
	v_frexp_mant_f32_e32 v53, v49
	v_cvt_f64_f32_e32 v[50:51], v49
	v_frexp_exp_i32_f64_e32 v50, v[50:51]
	v_cmp_gt_f32_e32 vcc, s48, v53
	s_mov_b32 s48, 0x3f317218
	s_nop 0
	v_subbrev_co_u32_e32 v66, vcc, 0, v50, vcc
	v_sub_u32_e32 v50, 0, v66
	v_ldexp_f32 v49, v49, v50
	v_ldexp_f32 v50, v52, v50
	v_add_f32_e32 v52, -1.0, v49
	v_add_f32_e32 v51, 1.0, v52
	v_sub_f32_e32 v51, v49, v51
	v_add_f32_e32 v53, v50, v51
	v_add_f32_e32 v51, 1.0, v49
	v_add_f32_e32 v54, -1.0, v51
	v_sub_f32_e32 v49, v49, v54
	v_add_f32_e32 v49, v50, v49
	v_add_f32_e32 v67, v51, v49
	v_rcp_f32_e32 v118, v67
	v_sub_f32_e32 v50, v51, v67
	v_add_f32_e32 v51, v52, v53
	v_add_f32_e32 v49, v49, v50
	v_mul_f32_e32 v129, v51, v118
	v_sub_f32_e32 v50, v52, v51
	v_mul_f32_e32 v52, v67, v129
	v_fma_f32 v54, v129, v67, -v52
	v_fmac_f32_e32 v54, v129, v49
	v_add_f32_e32 v128, v53, v50
	v_add_f32_e32 v50, v52, v54
	v_sub_f32_e32 v53, v51, v50
	v_pk_add_f32 v[64:65], v[50:51], v[52:53] neg_lo:[0,1] neg_hi:[0,1]
	v_mov_b32_e32 v55, v50
	v_pk_add_f32 v[50:51], v[64:65], v[54:55] neg_lo:[0,1] neg_hi:[0,1]
	v_cmp_eq_f32_e32 vcc, s49, v117
	v_add_f32_e32 v51, v128, v51
	v_add_f32_e32 v50, v50, v51
	;; [unrolled: 1-line block ×3, first 2 shown]
	v_mul_f32_e32 v128, v118, v51
	v_mul_f32_e32 v52, v67, v128
	v_fma_f32 v54, v128, v67, -v52
	v_fmac_f32_e32 v54, v128, v49
	v_sub_f32_e32 v49, v53, v51
	v_add_f32_e32 v49, v50, v49
	v_add_f32_e32 v50, v52, v54
	v_sub_f32_e32 v53, v51, v50
	v_pk_add_f32 v[64:65], v[50:51], v[52:53] neg_lo:[0,1] neg_hi:[0,1]
	v_mov_b32_e32 v55, v50
	v_pk_add_f32 v[50:51], v[64:65], v[54:55] neg_lo:[0,1] neg_hi:[0,1]
	v_cvt_f32_i32_e32 v52, v66
	v_add_f32_e32 v49, v49, v51
	v_add_f32_e32 v49, v50, v49
	;; [unrolled: 1-line block ×4, first 2 shown]
	v_sub_f32_e32 v51, v50, v129
	v_mul_f32_e32 v49, v118, v49
	v_sub_f32_e32 v51, v128, v51
	v_add_f32_e32 v49, v51, v49
	v_add_f32_e32 v53, v50, v49
	v_mul_f32_e32 v54, v53, v53
	v_mov_b32_e32 v51, 0x3ecc95a3
	v_fmac_f32_e32 v51, 0x3e9b6dac, v54
	v_sub_f32_e32 v50, v53, v50
	v_fmaak_f32 v51, v54, v51, 0x3f2aaada
	v_sub_f32_e32 v49, v49, v50
	v_ldexp_f32 v55, v53, 1
	v_mul_f32_e32 v53, v53, v54
	v_mov_b32_e32 v50, 0x3f317218
	v_pk_mul_f32 v[50:51], v[52:53], v[50:51]
	v_ldexp_f32 v49, v49, 1
	v_fma_f32 v53, v52, s48, -v50
	v_fmamk_f32 v54, v52, 0xb102e308, v53
	v_pk_add_f32 v[52:53], v[50:51], v[54:55]
	v_mov_b32_e32 v64, v50
	v_sub_f32_e32 v55, v53, v55
	v_sub_f32_e32 v55, v51, v55
	v_add_f32_e32 v65, v49, v55
	v_pk_add_f32 v[50:51], v[52:53], v[50:51] neg_lo:[0,1] neg_hi:[0,1]
	v_pk_add_f32 v[66:67], v[52:53], v[64:65]
	v_mov_b32_e32 v55, v52
	v_mov_b32_e32 v51, v67
	v_pk_add_f32 v[128:129], v[54:55], v[50:51] neg_lo:[0,1] neg_hi:[0,1]
	v_pk_add_f32 v[50:51], v[54:55], v[50:51]
	v_mov_b32_e32 v64, v65
	v_mov_b32_e32 v54, v51
	v_pk_add_f32 v[130:131], v[54:55], v[52:53] neg_lo:[0,1] neg_hi:[0,1]
	v_mov_b32_e32 v50, v67
	v_mov_b32_e32 v49, v130
	v_pk_add_f32 v[132:133], v[66:67], v[48:49] neg_lo:[0,1] neg_hi:[0,1]
	v_mov_b32_e32 v66, v53
	v_mov_b32_e32 v67, v130
	;; [unrolled: 1-line block ×3, first 2 shown]
	v_pk_add_f32 v[50:51], v[50:51], v[66:67] neg_lo:[0,1] neg_hi:[0,1]
	v_mov_b32_e32 v65, v52
	v_pk_add_f32 v[50:51], v[64:65], v[50:51] neg_lo:[0,1] neg_hi:[0,1]
	v_mov_b32_e32 v132, v128
	v_pk_add_f32 v[52:53], v[132:133], v[50:51]
	s_mov_b32 s48, 0x33800000
	v_mov_b32_e32 v64, v53
	v_pk_add_f32 v[64:65], v[52:53], v[64:65]
	v_cmp_lt_f32_e64 s[48:49], |v117|, s48
	v_pk_add_f32 v[54:55], v[54:55], v[64:65]
	v_mov_b32_e32 v51, v64
	v_mov_b32_e32 v53, v54
	v_pk_add_f32 v[66:67], v[52:53], v[128:129] neg_lo:[0,1] neg_hi:[0,1]
	s_or_b64 vcc, vcc, s[48:49]
	v_sub_f32_e32 v49, v52, v66
	v_pk_add_f32 v[50:51], v[50:51], v[66:67] neg_lo:[0,1] neg_hi:[0,1]
	v_sub_f32_e32 v49, v128, v49
	v_add_f32_e32 v49, v50, v49
	v_add_f32_e32 v49, v49, v51
	;; [unrolled: 1-line block ×3, first 2 shown]
	v_cndmask_b32_e32 v49, v49, v117, vcc
	v_add_f32_e32 v128, v48, v49
.LBB141_95:
	s_or_b64 exec, exec, s[46:47]
	v_max_f32_e32 v117, v22, v22
	v_max_f32_e32 v48, v128, v128
	v_min_f32_e32 v49, v48, v117
	v_cmp_u_f32_e32 vcc, v128, v128
	v_max_f32_e32 v48, v48, v117
	v_cmp_u_f32_e64 s[46:47], v22, v22
	v_cndmask_b32_e32 v49, v49, v128, vcc
	v_cndmask_b32_e32 v48, v48, v128, vcc
	v_cndmask_b32_e64 v49, v49, v22, s[46:47]
	v_cndmask_b32_e64 v48, v48, v22, s[46:47]
	v_cmp_neq_f32_e32 vcc, v49, v48
	v_cmp_class_f32_e64 s[48:49], v49, s13
	s_or_b64 vcc, vcc, s[48:49]
	s_and_saveexec_b64 s[48:49], vcc
	s_cbranch_execz .LBB141_97
; %bb.96:
	v_sub_f32_e32 v49, v49, v48
	s_mov_b32 s13, 0x3fb8aa3b
	v_mul_f32_e32 v50, 0x3fb8aa3b, v49
	v_fma_f32 v51, v49, s13, -v50
	v_rndne_f32_e32 v52, v50
	v_fmamk_f32 v51, v49, 0x32a5705f, v51
	v_sub_f32_e32 v50, v50, v52
	v_add_f32_e32 v50, v50, v51
	v_exp_f32_e32 v50, v50
	v_cvt_i32_f32_e32 v51, v52
	s_mov_b32 s13, 0xc2ce8ed0
	v_cmp_ngt_f32_e32 vcc, s13, v49
	s_mov_b32 s13, 0x42b17218
	v_ldexp_f32 v50, v50, v51
	v_cndmask_b32_e32 v50, 0, v50, vcc
	v_mov_b32_e32 v51, 0x7f800000
	v_cmp_nlt_f32_e32 vcc, s13, v49
	s_mov_b32 s13, 0x3f2aaaab
	s_mov_b32 s52, 0x7f800000
	v_cndmask_b32_e32 v118, v51, v50, vcc
	v_add_f32_e32 v49, 1.0, v118
	v_add_f32_e32 v50, -1.0, v49
	v_sub_f32_e32 v51, v50, v49
	v_add_f32_e32 v51, 1.0, v51
	v_sub_f32_e32 v50, v118, v50
	v_add_f32_e32 v52, v50, v51
	v_frexp_mant_f32_e32 v53, v49
	v_cvt_f64_f32_e32 v[50:51], v49
	v_frexp_exp_i32_f64_e32 v50, v[50:51]
	v_cmp_gt_f32_e32 vcc, s13, v53
	s_mov_b32 s13, 0x3f317218
	s_nop 0
	v_subbrev_co_u32_e32 v66, vcc, 0, v50, vcc
	v_sub_u32_e32 v50, 0, v66
	v_ldexp_f32 v49, v49, v50
	v_ldexp_f32 v50, v52, v50
	v_add_f32_e32 v52, -1.0, v49
	v_add_f32_e32 v51, 1.0, v52
	v_sub_f32_e32 v51, v49, v51
	v_add_f32_e32 v53, v50, v51
	v_add_f32_e32 v51, 1.0, v49
	v_add_f32_e32 v54, -1.0, v51
	v_sub_f32_e32 v49, v49, v54
	v_add_f32_e32 v49, v50, v49
	v_add_f32_e32 v67, v51, v49
	v_rcp_f32_e32 v128, v67
	v_sub_f32_e32 v50, v51, v67
	v_add_f32_e32 v51, v52, v53
	v_add_f32_e32 v49, v49, v50
	v_mul_f32_e32 v130, v51, v128
	v_sub_f32_e32 v50, v52, v51
	v_mul_f32_e32 v52, v67, v130
	v_fma_f32 v54, v130, v67, -v52
	v_fmac_f32_e32 v54, v130, v49
	v_add_f32_e32 v129, v53, v50
	v_add_f32_e32 v50, v52, v54
	v_sub_f32_e32 v53, v51, v50
	v_pk_add_f32 v[64:65], v[50:51], v[52:53] neg_lo:[0,1] neg_hi:[0,1]
	v_mov_b32_e32 v55, v50
	v_pk_add_f32 v[50:51], v[64:65], v[54:55] neg_lo:[0,1] neg_hi:[0,1]
	v_cmp_eq_f32_e32 vcc, s52, v118
	v_add_f32_e32 v51, v129, v51
	v_add_f32_e32 v50, v50, v51
	;; [unrolled: 1-line block ×3, first 2 shown]
	v_mul_f32_e32 v129, v128, v51
	v_mul_f32_e32 v52, v67, v129
	v_fma_f32 v54, v129, v67, -v52
	v_fmac_f32_e32 v54, v129, v49
	v_sub_f32_e32 v49, v53, v51
	v_add_f32_e32 v49, v50, v49
	v_add_f32_e32 v50, v52, v54
	v_sub_f32_e32 v53, v51, v50
	v_pk_add_f32 v[64:65], v[50:51], v[52:53] neg_lo:[0,1] neg_hi:[0,1]
	v_mov_b32_e32 v55, v50
	v_pk_add_f32 v[50:51], v[64:65], v[54:55] neg_lo:[0,1] neg_hi:[0,1]
	v_cvt_f32_i32_e32 v52, v66
	v_add_f32_e32 v49, v49, v51
	v_add_f32_e32 v49, v50, v49
	;; [unrolled: 1-line block ×4, first 2 shown]
	v_sub_f32_e32 v51, v50, v130
	v_mul_f32_e32 v49, v128, v49
	v_sub_f32_e32 v51, v129, v51
	v_add_f32_e32 v49, v51, v49
	v_add_f32_e32 v53, v50, v49
	v_mul_f32_e32 v54, v53, v53
	v_mov_b32_e32 v51, 0x3ecc95a3
	v_fmac_f32_e32 v51, 0x3e9b6dac, v54
	v_sub_f32_e32 v50, v53, v50
	v_fmaak_f32 v51, v54, v51, 0x3f2aaada
	v_sub_f32_e32 v49, v49, v50
	v_ldexp_f32 v55, v53, 1
	v_mul_f32_e32 v53, v53, v54
	v_mov_b32_e32 v50, 0x3f317218
	v_pk_mul_f32 v[50:51], v[52:53], v[50:51]
	v_ldexp_f32 v49, v49, 1
	v_fma_f32 v53, v52, s13, -v50
	v_fmamk_f32 v54, v52, 0xb102e308, v53
	v_pk_add_f32 v[52:53], v[50:51], v[54:55]
	v_mov_b32_e32 v64, v50
	v_sub_f32_e32 v55, v53, v55
	v_sub_f32_e32 v55, v51, v55
	v_add_f32_e32 v65, v49, v55
	v_pk_add_f32 v[50:51], v[52:53], v[50:51] neg_lo:[0,1] neg_hi:[0,1]
	v_pk_add_f32 v[66:67], v[52:53], v[64:65]
	v_mov_b32_e32 v55, v52
	v_mov_b32_e32 v51, v67
	v_pk_add_f32 v[128:129], v[54:55], v[50:51] neg_lo:[0,1] neg_hi:[0,1]
	v_pk_add_f32 v[50:51], v[54:55], v[50:51]
	v_mov_b32_e32 v64, v65
	v_mov_b32_e32 v54, v51
	v_pk_add_f32 v[130:131], v[54:55], v[52:53] neg_lo:[0,1] neg_hi:[0,1]
	v_mov_b32_e32 v50, v67
	v_mov_b32_e32 v49, v130
	v_pk_add_f32 v[132:133], v[66:67], v[48:49] neg_lo:[0,1] neg_hi:[0,1]
	v_mov_b32_e32 v66, v53
	v_mov_b32_e32 v67, v130
	;; [unrolled: 1-line block ×3, first 2 shown]
	v_pk_add_f32 v[50:51], v[50:51], v[66:67] neg_lo:[0,1] neg_hi:[0,1]
	v_mov_b32_e32 v65, v52
	v_pk_add_f32 v[50:51], v[64:65], v[50:51] neg_lo:[0,1] neg_hi:[0,1]
	v_mov_b32_e32 v132, v128
	v_pk_add_f32 v[52:53], v[132:133], v[50:51]
	s_mov_b32 s13, 0x33800000
	v_mov_b32_e32 v64, v53
	v_pk_add_f32 v[64:65], v[52:53], v[64:65]
	v_cmp_lt_f32_e64 s[52:53], |v118|, s13
	v_pk_add_f32 v[54:55], v[54:55], v[64:65]
	v_mov_b32_e32 v51, v64
	v_mov_b32_e32 v53, v54
	v_pk_add_f32 v[66:67], v[52:53], v[128:129] neg_lo:[0,1] neg_hi:[0,1]
	s_or_b64 vcc, vcc, s[52:53]
	v_sub_f32_e32 v49, v52, v66
	v_pk_add_f32 v[50:51], v[50:51], v[66:67] neg_lo:[0,1] neg_hi:[0,1]
	v_sub_f32_e32 v49, v128, v49
	v_add_f32_e32 v49, v50, v49
	v_add_f32_e32 v49, v49, v51
	;; [unrolled: 1-line block ×3, first 2 shown]
	v_cndmask_b32_e32 v49, v49, v118, vcc
	v_add_f32_e32 v128, v48, v49
.LBB141_97:
	s_or_b64 exec, exec, s[48:49]
	v_max_f32_e32 v118, v23, v23
	v_max_f32_e32 v48, v128, v128
	v_min_f32_e32 v49, v48, v118
	v_cmp_u_f32_e32 vcc, v128, v128
	v_max_f32_e32 v48, v48, v118
	v_cmp_u_f32_e64 s[48:49], v23, v23
	v_cndmask_b32_e32 v49, v49, v128, vcc
	v_cndmask_b32_e32 v48, v48, v128, vcc
	v_cndmask_b32_e64 v49, v49, v23, s[48:49]
	v_cndmask_b32_e64 v48, v48, v23, s[48:49]
	s_movk_i32 s13, 0x1f8
	v_cmp_neq_f32_e32 vcc, v49, v48
	v_cmp_class_f32_e64 s[52:53], v49, s13
	s_or_b64 vcc, vcc, s[52:53]
	s_and_saveexec_b64 s[52:53], vcc
	s_cbranch_execz .LBB141_99
; %bb.98:
	v_sub_f32_e32 v49, v49, v48
	s_mov_b32 s13, 0x3fb8aa3b
	v_mul_f32_e32 v50, 0x3fb8aa3b, v49
	v_fma_f32 v51, v49, s13, -v50
	v_rndne_f32_e32 v52, v50
	v_fmamk_f32 v51, v49, 0x32a5705f, v51
	v_sub_f32_e32 v50, v50, v52
	v_add_f32_e32 v50, v50, v51
	v_exp_f32_e32 v50, v50
	v_cvt_i32_f32_e32 v51, v52
	s_mov_b32 s13, 0xc2ce8ed0
	v_cmp_ngt_f32_e32 vcc, s13, v49
	s_mov_b32 s13, 0x42b17218
	v_ldexp_f32 v50, v50, v51
	v_cndmask_b32_e32 v50, 0, v50, vcc
	v_mov_b32_e32 v51, 0x7f800000
	v_cmp_nlt_f32_e32 vcc, s13, v49
	s_mov_b32 s13, 0x3f2aaaab
	s_mov_b32 s54, 0x7f800000
	v_cndmask_b32_e32 v134, v51, v50, vcc
	v_add_f32_e32 v49, 1.0, v134
	v_add_f32_e32 v50, -1.0, v49
	v_sub_f32_e32 v51, v50, v49
	v_add_f32_e32 v51, 1.0, v51
	v_sub_f32_e32 v50, v134, v50
	v_add_f32_e32 v52, v50, v51
	v_frexp_mant_f32_e32 v53, v49
	v_cvt_f64_f32_e32 v[50:51], v49
	v_frexp_exp_i32_f64_e32 v50, v[50:51]
	v_cmp_gt_f32_e32 vcc, s13, v53
	s_mov_b32 s13, 0x3f317218
	s_nop 0
	v_subbrev_co_u32_e32 v66, vcc, 0, v50, vcc
	v_sub_u32_e32 v50, 0, v66
	v_ldexp_f32 v49, v49, v50
	v_ldexp_f32 v50, v52, v50
	v_add_f32_e32 v52, -1.0, v49
	v_add_f32_e32 v51, 1.0, v52
	v_sub_f32_e32 v51, v49, v51
	v_add_f32_e32 v53, v50, v51
	v_add_f32_e32 v51, 1.0, v49
	v_add_f32_e32 v54, -1.0, v51
	v_sub_f32_e32 v49, v49, v54
	v_add_f32_e32 v49, v50, v49
	v_add_f32_e32 v67, v51, v49
	v_rcp_f32_e32 v128, v67
	v_sub_f32_e32 v50, v51, v67
	v_add_f32_e32 v51, v52, v53
	v_add_f32_e32 v49, v49, v50
	v_mul_f32_e32 v130, v51, v128
	v_sub_f32_e32 v50, v52, v51
	v_mul_f32_e32 v52, v67, v130
	v_fma_f32 v54, v130, v67, -v52
	v_fmac_f32_e32 v54, v130, v49
	v_add_f32_e32 v129, v53, v50
	v_add_f32_e32 v50, v52, v54
	v_sub_f32_e32 v53, v51, v50
	v_pk_add_f32 v[64:65], v[50:51], v[52:53] neg_lo:[0,1] neg_hi:[0,1]
	v_mov_b32_e32 v55, v50
	v_pk_add_f32 v[50:51], v[64:65], v[54:55] neg_lo:[0,1] neg_hi:[0,1]
	v_cmp_eq_f32_e32 vcc, s54, v134
	v_add_f32_e32 v51, v129, v51
	v_add_f32_e32 v50, v50, v51
	;; [unrolled: 1-line block ×3, first 2 shown]
	v_mul_f32_e32 v129, v128, v51
	v_mul_f32_e32 v52, v67, v129
	v_fma_f32 v54, v129, v67, -v52
	v_fmac_f32_e32 v54, v129, v49
	v_sub_f32_e32 v49, v53, v51
	v_add_f32_e32 v49, v50, v49
	v_add_f32_e32 v50, v52, v54
	v_sub_f32_e32 v53, v51, v50
	v_pk_add_f32 v[64:65], v[50:51], v[52:53] neg_lo:[0,1] neg_hi:[0,1]
	v_mov_b32_e32 v55, v50
	v_pk_add_f32 v[50:51], v[64:65], v[54:55] neg_lo:[0,1] neg_hi:[0,1]
	v_cvt_f32_i32_e32 v52, v66
	v_add_f32_e32 v49, v49, v51
	v_add_f32_e32 v49, v50, v49
	;; [unrolled: 1-line block ×4, first 2 shown]
	v_sub_f32_e32 v51, v50, v130
	v_mul_f32_e32 v49, v128, v49
	v_sub_f32_e32 v51, v129, v51
	v_add_f32_e32 v49, v51, v49
	v_add_f32_e32 v53, v50, v49
	v_mul_f32_e32 v54, v53, v53
	v_mov_b32_e32 v51, 0x3ecc95a3
	v_fmac_f32_e32 v51, 0x3e9b6dac, v54
	v_sub_f32_e32 v50, v53, v50
	v_fmaak_f32 v51, v54, v51, 0x3f2aaada
	v_sub_f32_e32 v49, v49, v50
	v_ldexp_f32 v55, v53, 1
	v_mul_f32_e32 v53, v53, v54
	v_mov_b32_e32 v50, 0x3f317218
	v_pk_mul_f32 v[50:51], v[52:53], v[50:51]
	v_ldexp_f32 v49, v49, 1
	v_fma_f32 v53, v52, s13, -v50
	v_fmamk_f32 v54, v52, 0xb102e308, v53
	v_pk_add_f32 v[52:53], v[50:51], v[54:55]
	v_mov_b32_e32 v64, v50
	v_sub_f32_e32 v55, v53, v55
	v_sub_f32_e32 v55, v51, v55
	v_add_f32_e32 v65, v49, v55
	v_pk_add_f32 v[50:51], v[52:53], v[50:51] neg_lo:[0,1] neg_hi:[0,1]
	v_pk_add_f32 v[66:67], v[52:53], v[64:65]
	v_mov_b32_e32 v55, v52
	v_mov_b32_e32 v51, v67
	v_pk_add_f32 v[128:129], v[54:55], v[50:51] neg_lo:[0,1] neg_hi:[0,1]
	v_pk_add_f32 v[50:51], v[54:55], v[50:51]
	v_mov_b32_e32 v64, v65
	v_mov_b32_e32 v54, v51
	v_pk_add_f32 v[130:131], v[54:55], v[52:53] neg_lo:[0,1] neg_hi:[0,1]
	v_mov_b32_e32 v50, v67
	v_mov_b32_e32 v49, v130
	v_pk_add_f32 v[132:133], v[66:67], v[48:49] neg_lo:[0,1] neg_hi:[0,1]
	v_mov_b32_e32 v66, v53
	v_mov_b32_e32 v67, v130
	;; [unrolled: 1-line block ×3, first 2 shown]
	v_pk_add_f32 v[50:51], v[50:51], v[66:67] neg_lo:[0,1] neg_hi:[0,1]
	v_mov_b32_e32 v65, v52
	v_pk_add_f32 v[50:51], v[64:65], v[50:51] neg_lo:[0,1] neg_hi:[0,1]
	v_mov_b32_e32 v132, v128
	v_pk_add_f32 v[52:53], v[132:133], v[50:51]
	s_mov_b32 s13, 0x33800000
	v_mov_b32_e32 v64, v53
	v_pk_add_f32 v[64:65], v[52:53], v[64:65]
	v_cmp_lt_f32_e64 s[54:55], |v134|, s13
	v_pk_add_f32 v[54:55], v[54:55], v[64:65]
	v_mov_b32_e32 v51, v64
	v_mov_b32_e32 v53, v54
	v_pk_add_f32 v[66:67], v[52:53], v[128:129] neg_lo:[0,1] neg_hi:[0,1]
	s_or_b64 vcc, vcc, s[54:55]
	v_sub_f32_e32 v49, v52, v66
	v_pk_add_f32 v[50:51], v[50:51], v[66:67] neg_lo:[0,1] neg_hi:[0,1]
	v_sub_f32_e32 v49, v128, v49
	v_add_f32_e32 v49, v50, v49
	v_add_f32_e32 v49, v49, v51
	;; [unrolled: 1-line block ×3, first 2 shown]
	v_cndmask_b32_e32 v49, v49, v134, vcc
	v_add_f32_e32 v128, v48, v49
.LBB141_99:
	s_or_b64 exec, exec, s[52:53]
	v_lshrrev_b32_e32 v48, 5, v0
	v_add_lshl_u32 v48, v48, v0, 2
	v_cmp_gt_u32_e32 vcc, 64, v0
	ds_write_b32 v48, v128
	s_waitcnt lgkmcnt(0)
	s_barrier
	s_and_saveexec_b64 s[60:61], vcc
	s_cbranch_execz .LBB141_139
; %bb.100:
	v_lshrrev_b32_e32 v48, 3, v0
	v_add_lshl_u32 v50, v48, v10, 2
	ds_read2_b32 v[48:49], v50 offset1:1
	s_movk_i32 s13, 0x1f8
	s_waitcnt lgkmcnt(0)
	v_max_f32_e32 v52, v49, v49
	v_max_f32_e32 v51, v48, v48
	v_min_f32_e32 v53, v51, v52
	v_max_f32_e32 v54, v51, v52
	v_cmp_u_f32_e64 s[52:53], v48, v48
	v_cmp_u_f32_e64 s[54:55], v49, v49
	s_nop 0
	v_cndmask_b32_e64 v52, v53, v48, s[52:53]
	v_cndmask_b32_e64 v53, v54, v48, s[52:53]
	;; [unrolled: 1-line block ×4, first 2 shown]
	v_cmp_neq_f32_e64 s[54:55], v52, v49
	v_cmp_class_f32_e64 s[56:57], v52, s13
	s_or_b64 s[54:55], s[54:55], s[56:57]
	v_mov_b32_e32 v53, v48
	s_and_saveexec_b64 s[56:57], s[54:55]
	s_cbranch_execz .LBB141_102
; %bb.101:
	v_sub_f32_e32 v52, v52, v49
	s_mov_b32 s54, 0x3fb8aa3b
	v_mul_f32_e32 v53, 0x3fb8aa3b, v52
	v_fma_f32 v54, v52, s54, -v53
	v_rndne_f32_e32 v55, v53
	v_fmamk_f32 v54, v52, 0x32a5705f, v54
	v_sub_f32_e32 v53, v53, v55
	v_add_f32_e32 v53, v53, v54
	v_exp_f32_e32 v53, v53
	v_cvt_i32_f32_e32 v54, v55
	s_mov_b32 s54, 0xc2ce8ed0
	v_cmp_ngt_f32_e64 s[54:55], s54, v52
	s_mov_b32 s64, 0x7f800000
	v_ldexp_f32 v53, v53, v54
	v_cndmask_b32_e64 v53, 0, v53, s[54:55]
	s_mov_b32 s54, 0x42b17218
	v_mov_b32_e32 v54, 0x7f800000
	v_cmp_nlt_f32_e64 s[54:55], s54, v52
	s_nop 1
	v_cndmask_b32_e64 v129, v54, v53, s[54:55]
	v_add_f32_e32 v54, 1.0, v129
	v_add_f32_e32 v52, -1.0, v54
	v_sub_f32_e32 v53, v52, v54
	v_add_f32_e32 v53, 1.0, v53
	v_sub_f32_e32 v52, v129, v52
	v_add_f32_e32 v55, v52, v53
	v_frexp_mant_f32_e32 v64, v54
	s_mov_b32 s54, 0x3f2aaaab
	v_cvt_f64_f32_e32 v[52:53], v54
	v_frexp_exp_i32_f64_e32 v52, v[52:53]
	v_cmp_gt_f32_e64 s[54:55], s54, v64
	s_nop 1
	v_subbrev_co_u32_e64 v130, s[54:55], 0, v52, s[54:55]
	v_sub_u32_e32 v52, 0, v130
	v_ldexp_f32 v53, v54, v52
	v_add_f32_e32 v54, -1.0, v53
	v_add_f32_e32 v64, 1.0, v53
	v_ldexp_f32 v52, v55, v52
	v_add_f32_e32 v55, 1.0, v54
	v_add_f32_e32 v65, -1.0, v64
	v_sub_f32_e32 v55, v53, v55
	v_sub_f32_e32 v53, v53, v65
	v_add_f32_e32 v55, v52, v55
	v_add_f32_e32 v52, v52, v53
	;; [unrolled: 1-line block ×3, first 2 shown]
	v_rcp_f32_e32 v133, v131
	v_sub_f32_e32 v53, v64, v131
	v_add_f32_e32 v132, v52, v53
	v_add_f32_e32 v53, v54, v55
	v_mul_f32_e32 v135, v53, v133
	v_sub_f32_e32 v52, v54, v53
	v_mul_f32_e32 v54, v131, v135
	v_fma_f32 v64, v135, v131, -v54
	v_fmac_f32_e32 v64, v135, v132
	v_add_f32_e32 v134, v55, v52
	v_add_f32_e32 v52, v54, v64
	v_sub_f32_e32 v55, v53, v52
	v_pk_add_f32 v[66:67], v[52:53], v[54:55] neg_lo:[0,1] neg_hi:[0,1]
	v_mov_b32_e32 v65, v52
	v_pk_add_f32 v[52:53], v[66:67], v[64:65] neg_lo:[0,1] neg_hi:[0,1]
	s_mov_b32 s54, 0x3f317218
	v_add_f32_e32 v53, v134, v53
	v_add_f32_e32 v52, v52, v53
	v_add_f32_e32 v53, v55, v52
	v_mul_f32_e32 v134, v133, v53
	v_mul_f32_e32 v54, v131, v134
	v_fma_f32 v64, v134, v131, -v54
	v_fmac_f32_e32 v64, v134, v132
	v_sub_f32_e32 v55, v55, v53
	v_add_f32_e32 v131, v52, v55
	v_add_f32_e32 v52, v54, v64
	v_sub_f32_e32 v55, v53, v52
	v_pk_add_f32 v[66:67], v[52:53], v[54:55] neg_lo:[0,1] neg_hi:[0,1]
	v_mov_b32_e32 v65, v52
	v_pk_add_f32 v[52:53], v[66:67], v[64:65] neg_lo:[0,1] neg_hi:[0,1]
	v_cvt_f32_i32_e32 v54, v130
	v_add_f32_e32 v53, v131, v53
	v_add_f32_e32 v52, v52, v53
	;; [unrolled: 1-line block ×4, first 2 shown]
	v_sub_f32_e32 v53, v55, v135
	v_mul_f32_e32 v52, v133, v52
	v_sub_f32_e32 v53, v134, v53
	v_add_f32_e32 v52, v53, v52
	v_add_f32_e32 v64, v55, v52
	v_mul_f32_e32 v66, v64, v64
	v_mov_b32_e32 v53, 0x3ecc95a3
	v_sub_f32_e32 v55, v64, v55
	v_fmac_f32_e32 v53, 0x3e9b6dac, v66
	v_sub_f32_e32 v52, v52, v55
	v_fmaak_f32 v53, v66, v53, 0x3f2aaada
	v_ldexp_f32 v67, v52, 1
	v_mul_f32_e32 v55, v64, v66
	v_mov_b32_e32 v52, 0x3f317218
	v_pk_mul_f32 v[52:53], v[54:55], v[52:53]
	v_ldexp_f32 v65, v64, 1
	v_fma_f32 v55, v54, s54, -v52
	v_fmamk_f32 v64, v54, 0xb102e308, v55
	v_pk_add_f32 v[54:55], v[52:53], v[64:65]
	v_mov_b32_e32 v66, v52
	v_sub_f32_e32 v65, v55, v65
	v_sub_f32_e32 v65, v53, v65
	v_add_f32_e32 v67, v67, v65
	v_pk_add_f32 v[52:53], v[54:55], v[52:53] neg_lo:[0,1] neg_hi:[0,1]
	v_pk_add_f32 v[130:131], v[54:55], v[66:67]
	v_mov_b32_e32 v65, v54
	v_mov_b32_e32 v53, v131
	v_pk_add_f32 v[132:133], v[64:65], v[52:53] neg_lo:[0,1] neg_hi:[0,1]
	v_pk_add_f32 v[52:53], v[64:65], v[52:53]
	v_mov_b32_e32 v66, v67
	v_mov_b32_e32 v64, v53
	v_pk_add_f32 v[134:135], v[64:65], v[54:55] neg_lo:[0,1] neg_hi:[0,1]
	v_mov_b32_e32 v52, v131
	v_mov_b32_e32 v65, v134
	v_pk_add_f32 v[144:145], v[130:131], v[64:65] neg_lo:[0,1] neg_hi:[0,1]
	v_mov_b32_e32 v130, v55
	v_mov_b32_e32 v131, v134
	;; [unrolled: 1-line block ×3, first 2 shown]
	v_pk_add_f32 v[52:53], v[52:53], v[130:131] neg_lo:[0,1] neg_hi:[0,1]
	v_mov_b32_e32 v67, v54
	v_pk_add_f32 v[52:53], v[66:67], v[52:53] neg_lo:[0,1] neg_hi:[0,1]
	v_mov_b32_e32 v144, v132
	v_pk_add_f32 v[54:55], v[144:145], v[52:53]
	v_cmp_eq_f32_e64 s[54:55], s64, v129
	v_mov_b32_e32 v66, v55
	v_pk_add_f32 v[66:67], v[54:55], v[66:67]
	s_mov_b32 s64, 0x33800000
	v_pk_add_f32 v[64:65], v[64:65], v[66:67]
	v_mov_b32_e32 v53, v66
	v_mov_b32_e32 v55, v64
	v_pk_add_f32 v[130:131], v[54:55], v[132:133] neg_lo:[0,1] neg_hi:[0,1]
	v_cmp_lt_f32_e64 s[64:65], |v129|, s64
	v_sub_f32_e32 v54, v54, v130
	v_pk_add_f32 v[52:53], v[52:53], v[130:131] neg_lo:[0,1] neg_hi:[0,1]
	v_sub_f32_e32 v54, v132, v54
	v_add_f32_e32 v52, v52, v54
	v_add_f32_e32 v52, v52, v53
	;; [unrolled: 1-line block ×3, first 2 shown]
	s_or_b64 s[54:55], s[54:55], s[64:65]
	v_cndmask_b32_e64 v52, v52, v129, s[54:55]
	v_add_f32_e32 v53, v49, v52
.LBB141_102:
	s_or_b64 exec, exec, s[56:57]
	ds_read_b32 v49, v50 offset:8
	v_max_f32_e32 v52, v53, v53
	v_cmp_u_f32_e64 s[54:55], v53, v53
	s_waitcnt lgkmcnt(0)
	v_max_f32_e32 v54, v49, v49
	v_min_f32_e32 v55, v52, v54
	v_max_f32_e32 v54, v52, v54
	v_cndmask_b32_e64 v52, v55, v53, s[54:55]
	v_cmp_u_f32_e64 s[56:57], v49, v49
	v_cndmask_b32_e64 v54, v54, v53, s[54:55]
	s_nop 0
	v_cndmask_b32_e64 v52, v52, v49, s[56:57]
	v_cndmask_b32_e64 v49, v54, v49, s[56:57]
	v_cmp_neq_f32_e64 s[54:55], v52, v49
	v_cmp_class_f32_e64 s[56:57], v52, s13
	s_or_b64 s[54:55], s[54:55], s[56:57]
	s_and_saveexec_b64 s[56:57], s[54:55]
	s_cbranch_execz .LBB141_104
; %bb.103:
	v_sub_f32_e32 v52, v52, v49
	s_mov_b32 s13, 0x3fb8aa3b
	v_mul_f32_e32 v53, 0x3fb8aa3b, v52
	v_fma_f32 v54, v52, s13, -v53
	v_rndne_f32_e32 v55, v53
	v_fmamk_f32 v54, v52, 0x32a5705f, v54
	v_sub_f32_e32 v53, v53, v55
	v_add_f32_e32 v53, v53, v54
	v_exp_f32_e32 v53, v53
	v_cvt_i32_f32_e32 v54, v55
	s_mov_b32 s13, 0xc2ce8ed0
	v_cmp_ngt_f32_e64 s[54:55], s13, v52
	s_mov_b32 s13, 0x42b17218
	v_ldexp_f32 v53, v53, v54
	v_cndmask_b32_e64 v53, 0, v53, s[54:55]
	v_mov_b32_e32 v54, 0x7f800000
	v_cmp_nlt_f32_e64 s[54:55], s13, v52
	s_mov_b32 s13, 0x3f2aaaab
	s_mov_b32 s64, 0x7f800000
	v_cndmask_b32_e64 v129, v54, v53, s[54:55]
	v_add_f32_e32 v54, 1.0, v129
	v_add_f32_e32 v52, -1.0, v54
	v_sub_f32_e32 v53, v52, v54
	v_add_f32_e32 v53, 1.0, v53
	v_sub_f32_e32 v52, v129, v52
	v_add_f32_e32 v55, v52, v53
	v_frexp_mant_f32_e32 v64, v54
	v_cvt_f64_f32_e32 v[52:53], v54
	v_frexp_exp_i32_f64_e32 v52, v[52:53]
	v_cmp_gt_f32_e64 s[54:55], s13, v64
	s_mov_b32 s13, 0x3f317218
	s_nop 0
	v_subbrev_co_u32_e64 v130, s[54:55], 0, v52, s[54:55]
	v_sub_u32_e32 v52, 0, v130
	v_ldexp_f32 v53, v54, v52
	v_add_f32_e32 v54, -1.0, v53
	v_add_f32_e32 v64, 1.0, v53
	v_ldexp_f32 v52, v55, v52
	v_add_f32_e32 v55, 1.0, v54
	v_add_f32_e32 v65, -1.0, v64
	v_sub_f32_e32 v55, v53, v55
	v_sub_f32_e32 v53, v53, v65
	v_add_f32_e32 v55, v52, v55
	v_add_f32_e32 v52, v52, v53
	;; [unrolled: 1-line block ×3, first 2 shown]
	v_rcp_f32_e32 v133, v131
	v_sub_f32_e32 v53, v64, v131
	v_add_f32_e32 v132, v52, v53
	v_add_f32_e32 v53, v54, v55
	v_mul_f32_e32 v135, v53, v133
	v_sub_f32_e32 v52, v54, v53
	v_mul_f32_e32 v54, v131, v135
	v_fma_f32 v64, v135, v131, -v54
	v_fmac_f32_e32 v64, v135, v132
	v_add_f32_e32 v134, v55, v52
	v_add_f32_e32 v52, v54, v64
	v_sub_f32_e32 v55, v53, v52
	v_pk_add_f32 v[66:67], v[52:53], v[54:55] neg_lo:[0,1] neg_hi:[0,1]
	v_mov_b32_e32 v65, v52
	v_pk_add_f32 v[52:53], v[66:67], v[64:65] neg_lo:[0,1] neg_hi:[0,1]
	v_cmp_eq_f32_e64 s[54:55], s64, v129
	v_add_f32_e32 v53, v134, v53
	v_add_f32_e32 v52, v52, v53
	v_add_f32_e32 v53, v55, v52
	v_mul_f32_e32 v134, v133, v53
	v_mul_f32_e32 v54, v131, v134
	v_fma_f32 v64, v134, v131, -v54
	v_fmac_f32_e32 v64, v134, v132
	v_sub_f32_e32 v55, v55, v53
	v_add_f32_e32 v131, v52, v55
	v_add_f32_e32 v52, v54, v64
	v_sub_f32_e32 v55, v53, v52
	v_pk_add_f32 v[66:67], v[52:53], v[54:55] neg_lo:[0,1] neg_hi:[0,1]
	v_mov_b32_e32 v65, v52
	v_pk_add_f32 v[52:53], v[66:67], v[64:65] neg_lo:[0,1] neg_hi:[0,1]
	v_cvt_f32_i32_e32 v54, v130
	v_add_f32_e32 v53, v131, v53
	v_add_f32_e32 v52, v52, v53
	;; [unrolled: 1-line block ×4, first 2 shown]
	v_sub_f32_e32 v53, v55, v135
	v_mul_f32_e32 v52, v133, v52
	v_sub_f32_e32 v53, v134, v53
	v_add_f32_e32 v52, v53, v52
	v_add_f32_e32 v64, v55, v52
	v_mul_f32_e32 v66, v64, v64
	v_mov_b32_e32 v53, 0x3ecc95a3
	v_sub_f32_e32 v55, v64, v55
	v_fmac_f32_e32 v53, 0x3e9b6dac, v66
	v_sub_f32_e32 v52, v52, v55
	v_fmaak_f32 v53, v66, v53, 0x3f2aaada
	v_ldexp_f32 v67, v52, 1
	v_mul_f32_e32 v55, v64, v66
	v_mov_b32_e32 v52, 0x3f317218
	v_pk_mul_f32 v[52:53], v[54:55], v[52:53]
	v_ldexp_f32 v65, v64, 1
	v_fma_f32 v55, v54, s13, -v52
	v_fmamk_f32 v64, v54, 0xb102e308, v55
	v_pk_add_f32 v[54:55], v[52:53], v[64:65]
	v_mov_b32_e32 v66, v52
	v_sub_f32_e32 v65, v55, v65
	v_sub_f32_e32 v65, v53, v65
	v_add_f32_e32 v67, v67, v65
	v_pk_add_f32 v[52:53], v[54:55], v[52:53] neg_lo:[0,1] neg_hi:[0,1]
	v_pk_add_f32 v[130:131], v[54:55], v[66:67]
	v_mov_b32_e32 v65, v54
	v_mov_b32_e32 v53, v131
	v_pk_add_f32 v[132:133], v[64:65], v[52:53] neg_lo:[0,1] neg_hi:[0,1]
	v_pk_add_f32 v[52:53], v[64:65], v[52:53]
	v_mov_b32_e32 v66, v67
	v_mov_b32_e32 v64, v53
	v_pk_add_f32 v[134:135], v[64:65], v[54:55] neg_lo:[0,1] neg_hi:[0,1]
	v_mov_b32_e32 v52, v131
	v_mov_b32_e32 v65, v134
	v_pk_add_f32 v[144:145], v[130:131], v[64:65] neg_lo:[0,1] neg_hi:[0,1]
	v_mov_b32_e32 v130, v55
	v_mov_b32_e32 v131, v134
	;; [unrolled: 1-line block ×3, first 2 shown]
	v_pk_add_f32 v[52:53], v[52:53], v[130:131] neg_lo:[0,1] neg_hi:[0,1]
	v_mov_b32_e32 v67, v54
	v_pk_add_f32 v[52:53], v[66:67], v[52:53] neg_lo:[0,1] neg_hi:[0,1]
	v_mov_b32_e32 v144, v132
	v_pk_add_f32 v[54:55], v[144:145], v[52:53]
	s_mov_b32 s13, 0x33800000
	v_mov_b32_e32 v66, v55
	v_pk_add_f32 v[66:67], v[54:55], v[66:67]
	v_cmp_lt_f32_e64 s[64:65], |v129|, s13
	v_pk_add_f32 v[64:65], v[64:65], v[66:67]
	v_mov_b32_e32 v53, v66
	v_mov_b32_e32 v55, v64
	v_pk_add_f32 v[130:131], v[54:55], v[132:133] neg_lo:[0,1] neg_hi:[0,1]
	s_or_b64 s[54:55], s[54:55], s[64:65]
	v_sub_f32_e32 v54, v54, v130
	v_pk_add_f32 v[52:53], v[52:53], v[130:131] neg_lo:[0,1] neg_hi:[0,1]
	v_sub_f32_e32 v54, v132, v54
	v_add_f32_e32 v52, v52, v54
	v_add_f32_e32 v52, v52, v53
	;; [unrolled: 1-line block ×3, first 2 shown]
	v_cndmask_b32_e64 v52, v52, v129, s[54:55]
	v_add_f32_e32 v53, v49, v52
.LBB141_104:
	s_or_b64 exec, exec, s[56:57]
	ds_read_b32 v49, v50 offset:12
	v_max_f32_e32 v52, v53, v53
	v_cmp_u_f32_e64 s[54:55], v53, v53
	s_movk_i32 s13, 0x1f8
	s_waitcnt lgkmcnt(0)
	v_max_f32_e32 v54, v49, v49
	v_min_f32_e32 v55, v52, v54
	v_max_f32_e32 v54, v52, v54
	v_cndmask_b32_e64 v52, v55, v53, s[54:55]
	v_cmp_u_f32_e64 s[56:57], v49, v49
	v_cndmask_b32_e64 v54, v54, v53, s[54:55]
	s_nop 0
	v_cndmask_b32_e64 v52, v52, v49, s[56:57]
	v_cndmask_b32_e64 v49, v54, v49, s[56:57]
	v_cmp_neq_f32_e64 s[54:55], v52, v49
	v_cmp_class_f32_e64 s[56:57], v52, s13
	s_or_b64 s[54:55], s[54:55], s[56:57]
	s_and_saveexec_b64 s[56:57], s[54:55]
	s_cbranch_execz .LBB141_106
; %bb.105:
	v_sub_f32_e32 v52, v52, v49
	s_mov_b32 s13, 0x3fb8aa3b
	v_mul_f32_e32 v53, 0x3fb8aa3b, v52
	v_fma_f32 v54, v52, s13, -v53
	v_rndne_f32_e32 v55, v53
	v_fmamk_f32 v54, v52, 0x32a5705f, v54
	v_sub_f32_e32 v53, v53, v55
	v_add_f32_e32 v53, v53, v54
	v_exp_f32_e32 v53, v53
	v_cvt_i32_f32_e32 v54, v55
	s_mov_b32 s13, 0xc2ce8ed0
	v_cmp_ngt_f32_e64 s[54:55], s13, v52
	s_mov_b32 s13, 0x42b17218
	v_ldexp_f32 v53, v53, v54
	v_cndmask_b32_e64 v53, 0, v53, s[54:55]
	v_mov_b32_e32 v54, 0x7f800000
	v_cmp_nlt_f32_e64 s[54:55], s13, v52
	s_mov_b32 s13, 0x3f2aaaab
	s_mov_b32 s64, 0x7f800000
	v_cndmask_b32_e64 v129, v54, v53, s[54:55]
	v_add_f32_e32 v54, 1.0, v129
	v_add_f32_e32 v52, -1.0, v54
	v_sub_f32_e32 v53, v52, v54
	v_add_f32_e32 v53, 1.0, v53
	v_sub_f32_e32 v52, v129, v52
	v_add_f32_e32 v55, v52, v53
	v_frexp_mant_f32_e32 v64, v54
	v_cvt_f64_f32_e32 v[52:53], v54
	v_frexp_exp_i32_f64_e32 v52, v[52:53]
	v_cmp_gt_f32_e64 s[54:55], s13, v64
	s_mov_b32 s13, 0x3f317218
	s_nop 0
	v_subbrev_co_u32_e64 v130, s[54:55], 0, v52, s[54:55]
	v_sub_u32_e32 v52, 0, v130
	v_ldexp_f32 v53, v54, v52
	v_add_f32_e32 v54, -1.0, v53
	v_add_f32_e32 v64, 1.0, v53
	v_ldexp_f32 v52, v55, v52
	v_add_f32_e32 v55, 1.0, v54
	v_add_f32_e32 v65, -1.0, v64
	v_sub_f32_e32 v55, v53, v55
	v_sub_f32_e32 v53, v53, v65
	v_add_f32_e32 v55, v52, v55
	v_add_f32_e32 v52, v52, v53
	;; [unrolled: 1-line block ×3, first 2 shown]
	v_rcp_f32_e32 v133, v131
	v_sub_f32_e32 v53, v64, v131
	v_add_f32_e32 v132, v52, v53
	v_add_f32_e32 v53, v54, v55
	v_mul_f32_e32 v135, v53, v133
	v_sub_f32_e32 v52, v54, v53
	v_mul_f32_e32 v54, v131, v135
	v_fma_f32 v64, v135, v131, -v54
	v_fmac_f32_e32 v64, v135, v132
	v_add_f32_e32 v134, v55, v52
	v_add_f32_e32 v52, v54, v64
	v_sub_f32_e32 v55, v53, v52
	v_pk_add_f32 v[66:67], v[52:53], v[54:55] neg_lo:[0,1] neg_hi:[0,1]
	v_mov_b32_e32 v65, v52
	v_pk_add_f32 v[52:53], v[66:67], v[64:65] neg_lo:[0,1] neg_hi:[0,1]
	v_cmp_eq_f32_e64 s[54:55], s64, v129
	v_add_f32_e32 v53, v134, v53
	v_add_f32_e32 v52, v52, v53
	v_add_f32_e32 v53, v55, v52
	v_mul_f32_e32 v134, v133, v53
	v_mul_f32_e32 v54, v131, v134
	v_fma_f32 v64, v134, v131, -v54
	v_fmac_f32_e32 v64, v134, v132
	v_sub_f32_e32 v55, v55, v53
	v_add_f32_e32 v131, v52, v55
	v_add_f32_e32 v52, v54, v64
	v_sub_f32_e32 v55, v53, v52
	v_pk_add_f32 v[66:67], v[52:53], v[54:55] neg_lo:[0,1] neg_hi:[0,1]
	v_mov_b32_e32 v65, v52
	v_pk_add_f32 v[52:53], v[66:67], v[64:65] neg_lo:[0,1] neg_hi:[0,1]
	v_cvt_f32_i32_e32 v54, v130
	v_add_f32_e32 v53, v131, v53
	v_add_f32_e32 v52, v52, v53
	;; [unrolled: 1-line block ×4, first 2 shown]
	v_sub_f32_e32 v53, v55, v135
	v_mul_f32_e32 v52, v133, v52
	v_sub_f32_e32 v53, v134, v53
	v_add_f32_e32 v52, v53, v52
	v_add_f32_e32 v64, v55, v52
	v_mul_f32_e32 v66, v64, v64
	v_mov_b32_e32 v53, 0x3ecc95a3
	v_sub_f32_e32 v55, v64, v55
	v_fmac_f32_e32 v53, 0x3e9b6dac, v66
	v_sub_f32_e32 v52, v52, v55
	v_fmaak_f32 v53, v66, v53, 0x3f2aaada
	v_ldexp_f32 v67, v52, 1
	v_mul_f32_e32 v55, v64, v66
	v_mov_b32_e32 v52, 0x3f317218
	v_pk_mul_f32 v[52:53], v[54:55], v[52:53]
	v_ldexp_f32 v65, v64, 1
	v_fma_f32 v55, v54, s13, -v52
	v_fmamk_f32 v64, v54, 0xb102e308, v55
	v_pk_add_f32 v[54:55], v[52:53], v[64:65]
	v_mov_b32_e32 v66, v52
	v_sub_f32_e32 v65, v55, v65
	v_sub_f32_e32 v65, v53, v65
	v_add_f32_e32 v67, v67, v65
	v_pk_add_f32 v[52:53], v[54:55], v[52:53] neg_lo:[0,1] neg_hi:[0,1]
	v_pk_add_f32 v[130:131], v[54:55], v[66:67]
	v_mov_b32_e32 v65, v54
	v_mov_b32_e32 v53, v131
	v_pk_add_f32 v[132:133], v[64:65], v[52:53] neg_lo:[0,1] neg_hi:[0,1]
	v_pk_add_f32 v[52:53], v[64:65], v[52:53]
	v_mov_b32_e32 v66, v67
	v_mov_b32_e32 v64, v53
	v_pk_add_f32 v[134:135], v[64:65], v[54:55] neg_lo:[0,1] neg_hi:[0,1]
	v_mov_b32_e32 v52, v131
	v_mov_b32_e32 v65, v134
	v_pk_add_f32 v[144:145], v[130:131], v[64:65] neg_lo:[0,1] neg_hi:[0,1]
	v_mov_b32_e32 v130, v55
	v_mov_b32_e32 v131, v134
	;; [unrolled: 1-line block ×3, first 2 shown]
	v_pk_add_f32 v[52:53], v[52:53], v[130:131] neg_lo:[0,1] neg_hi:[0,1]
	v_mov_b32_e32 v67, v54
	v_pk_add_f32 v[52:53], v[66:67], v[52:53] neg_lo:[0,1] neg_hi:[0,1]
	v_mov_b32_e32 v144, v132
	v_pk_add_f32 v[54:55], v[144:145], v[52:53]
	s_mov_b32 s13, 0x33800000
	v_mov_b32_e32 v66, v55
	v_pk_add_f32 v[66:67], v[54:55], v[66:67]
	v_cmp_lt_f32_e64 s[64:65], |v129|, s13
	v_pk_add_f32 v[64:65], v[64:65], v[66:67]
	v_mov_b32_e32 v53, v66
	v_mov_b32_e32 v55, v64
	v_pk_add_f32 v[130:131], v[54:55], v[132:133] neg_lo:[0,1] neg_hi:[0,1]
	s_or_b64 s[54:55], s[54:55], s[64:65]
	v_sub_f32_e32 v54, v54, v130
	v_pk_add_f32 v[52:53], v[52:53], v[130:131] neg_lo:[0,1] neg_hi:[0,1]
	v_sub_f32_e32 v54, v132, v54
	v_add_f32_e32 v52, v52, v54
	v_add_f32_e32 v52, v52, v53
	;; [unrolled: 1-line block ×3, first 2 shown]
	v_cndmask_b32_e64 v52, v52, v129, s[54:55]
	v_add_f32_e32 v53, v49, v52
.LBB141_106:
	s_or_b64 exec, exec, s[56:57]
	v_mbcnt_lo_u32_b32 v49, -1, 0
	v_mbcnt_hi_u32_b32 v49, -1, v49
	v_and_b32_e32 v52, 15, v49
	v_mov_b32_dpp v54, v53 row_shr:1 row_mask:0xf bank_mask:0xf
	v_cmp_ne_u32_e64 s[54:55], 0, v52
	s_and_saveexec_b64 s[56:57], s[54:55]
	s_xor_b64 s[64:65], exec, s[56:57]
	s_cbranch_execz .LBB141_110
; %bb.107:
	v_max_f32_e32 v64, v53, v53
	v_max_f32_e32 v65, v54, v54
	v_min_f32_e32 v55, v65, v64
	v_cmp_u_f32_e64 s[54:55], v54, v54
	v_max_f32_e32 v64, v65, v64
	v_cmp_u_f32_e64 s[56:57], v53, v53
	v_cndmask_b32_e64 v55, v55, v54, s[54:55]
	v_cndmask_b32_e64 v64, v64, v54, s[54:55]
	;; [unrolled: 1-line block ×4, first 2 shown]
	s_movk_i32 s13, 0x1f8
	v_cmp_neq_f32_e64 s[54:55], v55, v53
	v_cmp_class_f32_e64 s[56:57], v55, s13
	s_or_b64 s[54:55], s[54:55], s[56:57]
	s_and_saveexec_b64 s[56:57], s[54:55]
	s_cbranch_execz .LBB141_109
; %bb.108:
	v_sub_f32_e32 v54, v55, v53
	s_mov_b32 s13, 0x3fb8aa3b
	v_mul_f32_e32 v55, 0x3fb8aa3b, v54
	v_fma_f32 v64, v54, s13, -v55
	v_rndne_f32_e32 v65, v55
	v_fmamk_f32 v64, v54, 0x32a5705f, v64
	v_sub_f32_e32 v55, v55, v65
	v_add_f32_e32 v55, v55, v64
	v_exp_f32_e32 v55, v55
	v_cvt_i32_f32_e32 v64, v65
	s_mov_b32 s13, 0xc2ce8ed0
	v_cmp_ngt_f32_e64 s[54:55], s13, v54
	s_mov_b32 s13, 0x42b17218
	v_ldexp_f32 v55, v55, v64
	v_cndmask_b32_e64 v55, 0, v55, s[54:55]
	v_mov_b32_e32 v64, 0x7f800000
	v_cmp_nlt_f32_e64 s[54:55], s13, v54
	s_mov_b32 s13, 0x3f2aaaab
	s_mov_b32 s66, 0x7f800000
	v_cndmask_b32_e64 v129, v64, v55, s[54:55]
	v_add_f32_e32 v64, 1.0, v129
	v_add_f32_e32 v54, -1.0, v64
	v_sub_f32_e32 v55, v54, v64
	v_add_f32_e32 v55, 1.0, v55
	v_sub_f32_e32 v54, v129, v54
	v_add_f32_e32 v65, v54, v55
	v_frexp_mant_f32_e32 v66, v64
	v_cvt_f64_f32_e32 v[54:55], v64
	v_frexp_exp_i32_f64_e32 v54, v[54:55]
	v_cmp_gt_f32_e64 s[54:55], s13, v66
	s_mov_b32 s13, 0x3f317218
	s_nop 0
	v_subbrev_co_u32_e64 v132, s[54:55], 0, v54, s[54:55]
	v_sub_u32_e32 v54, 0, v132
	v_ldexp_f32 v55, v64, v54
	v_add_f32_e32 v64, -1.0, v55
	v_add_f32_e32 v66, 1.0, v55
	v_ldexp_f32 v54, v65, v54
	v_add_f32_e32 v65, 1.0, v64
	v_add_f32_e32 v67, -1.0, v66
	v_sub_f32_e32 v65, v55, v65
	v_sub_f32_e32 v55, v55, v67
	v_add_f32_e32 v65, v54, v65
	v_add_f32_e32 v54, v54, v55
	;; [unrolled: 1-line block ×3, first 2 shown]
	v_rcp_f32_e32 v135, v133
	v_sub_f32_e32 v55, v66, v133
	v_add_f32_e32 v134, v54, v55
	v_add_f32_e32 v55, v64, v65
	v_mul_f32_e32 v145, v55, v135
	v_sub_f32_e32 v54, v64, v55
	v_mul_f32_e32 v64, v133, v145
	v_fma_f32 v66, v145, v133, -v64
	v_fmac_f32_e32 v66, v145, v134
	v_add_f32_e32 v144, v65, v54
	v_add_f32_e32 v54, v64, v66
	v_sub_f32_e32 v65, v55, v54
	v_pk_add_f32 v[130:131], v[54:55], v[64:65] neg_lo:[0,1] neg_hi:[0,1]
	v_mov_b32_e32 v67, v54
	v_pk_add_f32 v[54:55], v[130:131], v[66:67] neg_lo:[0,1] neg_hi:[0,1]
	v_cmp_eq_f32_e64 s[54:55], s66, v129
	v_add_f32_e32 v55, v144, v55
	v_add_f32_e32 v54, v54, v55
	;; [unrolled: 1-line block ×3, first 2 shown]
	v_mul_f32_e32 v144, v135, v55
	v_mul_f32_e32 v64, v133, v144
	v_fma_f32 v66, v144, v133, -v64
	v_fmac_f32_e32 v66, v144, v134
	v_sub_f32_e32 v65, v65, v55
	v_add_f32_e32 v133, v54, v65
	v_add_f32_e32 v54, v64, v66
	v_sub_f32_e32 v65, v55, v54
	v_pk_add_f32 v[130:131], v[54:55], v[64:65] neg_lo:[0,1] neg_hi:[0,1]
	v_mov_b32_e32 v67, v54
	v_pk_add_f32 v[54:55], v[130:131], v[66:67] neg_lo:[0,1] neg_hi:[0,1]
	v_cvt_f32_i32_e32 v64, v132
	v_add_f32_e32 v55, v133, v55
	v_add_f32_e32 v54, v54, v55
	;; [unrolled: 1-line block ×4, first 2 shown]
	v_sub_f32_e32 v55, v65, v145
	v_mul_f32_e32 v54, v135, v54
	v_sub_f32_e32 v55, v144, v55
	v_add_f32_e32 v54, v55, v54
	v_add_f32_e32 v66, v65, v54
	v_mul_f32_e32 v130, v66, v66
	v_mov_b32_e32 v55, 0x3ecc95a3
	v_sub_f32_e32 v65, v66, v65
	v_fmac_f32_e32 v55, 0x3e9b6dac, v130
	v_sub_f32_e32 v54, v54, v65
	v_fmaak_f32 v55, v130, v55, 0x3f2aaada
	v_ldexp_f32 v131, v54, 1
	v_mul_f32_e32 v65, v66, v130
	v_mov_b32_e32 v54, 0x3f317218
	v_pk_mul_f32 v[54:55], v[64:65], v[54:55]
	v_ldexp_f32 v67, v66, 1
	v_fma_f32 v65, v64, s13, -v54
	v_fmamk_f32 v66, v64, 0xb102e308, v65
	v_pk_add_f32 v[64:65], v[54:55], v[66:67]
	v_mov_b32_e32 v130, v54
	v_sub_f32_e32 v67, v65, v67
	v_sub_f32_e32 v67, v55, v67
	v_add_f32_e32 v131, v131, v67
	v_pk_add_f32 v[54:55], v[64:65], v[54:55] neg_lo:[0,1] neg_hi:[0,1]
	v_pk_add_f32 v[132:133], v[64:65], v[130:131]
	v_mov_b32_e32 v67, v64
	v_mov_b32_e32 v55, v133
	v_pk_add_f32 v[134:135], v[66:67], v[54:55] neg_lo:[0,1] neg_hi:[0,1]
	v_pk_add_f32 v[54:55], v[66:67], v[54:55]
	v_mov_b32_e32 v130, v131
	v_mov_b32_e32 v66, v55
	v_pk_add_f32 v[144:145], v[66:67], v[64:65] neg_lo:[0,1] neg_hi:[0,1]
	v_mov_b32_e32 v54, v133
	v_mov_b32_e32 v67, v144
	v_pk_add_f32 v[146:147], v[132:133], v[66:67] neg_lo:[0,1] neg_hi:[0,1]
	v_mov_b32_e32 v132, v65
	v_mov_b32_e32 v133, v144
	;; [unrolled: 1-line block ×3, first 2 shown]
	v_pk_add_f32 v[54:55], v[54:55], v[132:133] neg_lo:[0,1] neg_hi:[0,1]
	v_mov_b32_e32 v131, v64
	v_pk_add_f32 v[54:55], v[130:131], v[54:55] neg_lo:[0,1] neg_hi:[0,1]
	v_mov_b32_e32 v146, v134
	v_pk_add_f32 v[64:65], v[146:147], v[54:55]
	s_mov_b32 s13, 0x33800000
	v_mov_b32_e32 v130, v65
	v_pk_add_f32 v[130:131], v[64:65], v[130:131]
	v_cmp_lt_f32_e64 s[66:67], |v129|, s13
	v_pk_add_f32 v[66:67], v[66:67], v[130:131]
	v_mov_b32_e32 v55, v130
	v_mov_b32_e32 v65, v66
	v_pk_add_f32 v[132:133], v[64:65], v[134:135] neg_lo:[0,1] neg_hi:[0,1]
	s_or_b64 s[54:55], s[54:55], s[66:67]
	v_sub_f32_e32 v64, v64, v132
	v_pk_add_f32 v[54:55], v[54:55], v[132:133] neg_lo:[0,1] neg_hi:[0,1]
	v_sub_f32_e32 v64, v134, v64
	v_add_f32_e32 v54, v54, v64
	v_add_f32_e32 v54, v54, v55
	;; [unrolled: 1-line block ×3, first 2 shown]
	v_cndmask_b32_e64 v54, v54, v129, s[54:55]
	v_add_f32_e32 v54, v53, v54
.LBB141_109:
	s_or_b64 exec, exec, s[56:57]
	v_mov_b32_e32 v53, v54
.LBB141_110:
	s_or_b64 exec, exec, s[64:65]
	s_nop 0
	v_mov_b32_dpp v54, v53 row_shr:2 row_mask:0xf bank_mask:0xf
	v_cmp_lt_u32_e64 s[54:55], 1, v52
	s_and_saveexec_b64 s[64:65], s[54:55]
	s_cbranch_execz .LBB141_114
; %bb.111:
	v_max_f32_e32 v64, v53, v53
	v_max_f32_e32 v65, v54, v54
	v_min_f32_e32 v55, v65, v64
	v_cmp_u_f32_e64 s[54:55], v54, v54
	v_max_f32_e32 v64, v65, v64
	v_cmp_u_f32_e64 s[56:57], v53, v53
	v_cndmask_b32_e64 v55, v55, v54, s[54:55]
	v_cndmask_b32_e64 v64, v64, v54, s[54:55]
	;; [unrolled: 1-line block ×4, first 2 shown]
	s_movk_i32 s13, 0x1f8
	v_cmp_neq_f32_e64 s[54:55], v55, v53
	v_cmp_class_f32_e64 s[56:57], v55, s13
	s_or_b64 s[54:55], s[54:55], s[56:57]
	s_and_saveexec_b64 s[56:57], s[54:55]
	s_cbranch_execz .LBB141_113
; %bb.112:
	v_sub_f32_e32 v54, v55, v53
	s_mov_b32 s13, 0x3fb8aa3b
	v_mul_f32_e32 v55, 0x3fb8aa3b, v54
	v_fma_f32 v64, v54, s13, -v55
	v_rndne_f32_e32 v65, v55
	v_fmamk_f32 v64, v54, 0x32a5705f, v64
	v_sub_f32_e32 v55, v55, v65
	v_add_f32_e32 v55, v55, v64
	v_exp_f32_e32 v55, v55
	v_cvt_i32_f32_e32 v64, v65
	s_mov_b32 s13, 0xc2ce8ed0
	v_cmp_ngt_f32_e64 s[54:55], s13, v54
	s_mov_b32 s13, 0x42b17218
	v_ldexp_f32 v55, v55, v64
	v_cndmask_b32_e64 v55, 0, v55, s[54:55]
	v_mov_b32_e32 v64, 0x7f800000
	v_cmp_nlt_f32_e64 s[54:55], s13, v54
	s_mov_b32 s13, 0x3f2aaaab
	s_mov_b32 s66, 0x7f800000
	v_cndmask_b32_e64 v129, v64, v55, s[54:55]
	v_add_f32_e32 v64, 1.0, v129
	v_add_f32_e32 v54, -1.0, v64
	v_sub_f32_e32 v55, v54, v64
	v_add_f32_e32 v55, 1.0, v55
	v_sub_f32_e32 v54, v129, v54
	v_add_f32_e32 v65, v54, v55
	v_frexp_mant_f32_e32 v66, v64
	v_cvt_f64_f32_e32 v[54:55], v64
	v_frexp_exp_i32_f64_e32 v54, v[54:55]
	v_cmp_gt_f32_e64 s[54:55], s13, v66
	s_mov_b32 s13, 0x3f317218
	s_nop 0
	v_subbrev_co_u32_e64 v132, s[54:55], 0, v54, s[54:55]
	v_sub_u32_e32 v54, 0, v132
	v_ldexp_f32 v55, v64, v54
	v_add_f32_e32 v64, -1.0, v55
	v_add_f32_e32 v66, 1.0, v55
	v_ldexp_f32 v54, v65, v54
	v_add_f32_e32 v65, 1.0, v64
	v_add_f32_e32 v67, -1.0, v66
	v_sub_f32_e32 v65, v55, v65
	v_sub_f32_e32 v55, v55, v67
	v_add_f32_e32 v65, v54, v65
	v_add_f32_e32 v54, v54, v55
	;; [unrolled: 1-line block ×3, first 2 shown]
	v_rcp_f32_e32 v135, v133
	v_sub_f32_e32 v55, v66, v133
	v_add_f32_e32 v134, v54, v55
	v_add_f32_e32 v55, v64, v65
	v_mul_f32_e32 v145, v55, v135
	v_sub_f32_e32 v54, v64, v55
	v_mul_f32_e32 v64, v133, v145
	v_fma_f32 v66, v145, v133, -v64
	v_fmac_f32_e32 v66, v145, v134
	v_add_f32_e32 v144, v65, v54
	v_add_f32_e32 v54, v64, v66
	v_sub_f32_e32 v65, v55, v54
	v_pk_add_f32 v[130:131], v[54:55], v[64:65] neg_lo:[0,1] neg_hi:[0,1]
	v_mov_b32_e32 v67, v54
	v_pk_add_f32 v[54:55], v[130:131], v[66:67] neg_lo:[0,1] neg_hi:[0,1]
	v_cmp_eq_f32_e64 s[54:55], s66, v129
	v_add_f32_e32 v55, v144, v55
	v_add_f32_e32 v54, v54, v55
	;; [unrolled: 1-line block ×3, first 2 shown]
	v_mul_f32_e32 v144, v135, v55
	v_mul_f32_e32 v64, v133, v144
	v_fma_f32 v66, v144, v133, -v64
	v_fmac_f32_e32 v66, v144, v134
	v_sub_f32_e32 v65, v65, v55
	v_add_f32_e32 v133, v54, v65
	v_add_f32_e32 v54, v64, v66
	v_sub_f32_e32 v65, v55, v54
	v_pk_add_f32 v[130:131], v[54:55], v[64:65] neg_lo:[0,1] neg_hi:[0,1]
	v_mov_b32_e32 v67, v54
	v_pk_add_f32 v[54:55], v[130:131], v[66:67] neg_lo:[0,1] neg_hi:[0,1]
	v_cvt_f32_i32_e32 v64, v132
	v_add_f32_e32 v55, v133, v55
	v_add_f32_e32 v54, v54, v55
	;; [unrolled: 1-line block ×4, first 2 shown]
	v_sub_f32_e32 v55, v65, v145
	v_mul_f32_e32 v54, v135, v54
	v_sub_f32_e32 v55, v144, v55
	v_add_f32_e32 v54, v55, v54
	v_add_f32_e32 v66, v65, v54
	v_mul_f32_e32 v130, v66, v66
	v_mov_b32_e32 v55, 0x3ecc95a3
	v_sub_f32_e32 v65, v66, v65
	v_fmac_f32_e32 v55, 0x3e9b6dac, v130
	v_sub_f32_e32 v54, v54, v65
	v_fmaak_f32 v55, v130, v55, 0x3f2aaada
	v_ldexp_f32 v131, v54, 1
	v_mul_f32_e32 v65, v66, v130
	v_mov_b32_e32 v54, 0x3f317218
	v_pk_mul_f32 v[54:55], v[64:65], v[54:55]
	v_ldexp_f32 v67, v66, 1
	v_fma_f32 v65, v64, s13, -v54
	v_fmamk_f32 v66, v64, 0xb102e308, v65
	v_pk_add_f32 v[64:65], v[54:55], v[66:67]
	v_mov_b32_e32 v130, v54
	v_sub_f32_e32 v67, v65, v67
	v_sub_f32_e32 v67, v55, v67
	v_add_f32_e32 v131, v131, v67
	v_pk_add_f32 v[54:55], v[64:65], v[54:55] neg_lo:[0,1] neg_hi:[0,1]
	v_pk_add_f32 v[132:133], v[64:65], v[130:131]
	v_mov_b32_e32 v67, v64
	v_mov_b32_e32 v55, v133
	v_pk_add_f32 v[134:135], v[66:67], v[54:55] neg_lo:[0,1] neg_hi:[0,1]
	v_pk_add_f32 v[54:55], v[66:67], v[54:55]
	v_mov_b32_e32 v130, v131
	v_mov_b32_e32 v66, v55
	v_pk_add_f32 v[144:145], v[66:67], v[64:65] neg_lo:[0,1] neg_hi:[0,1]
	v_mov_b32_e32 v54, v133
	v_mov_b32_e32 v67, v144
	v_pk_add_f32 v[146:147], v[132:133], v[66:67] neg_lo:[0,1] neg_hi:[0,1]
	v_mov_b32_e32 v132, v65
	v_mov_b32_e32 v133, v144
	;; [unrolled: 1-line block ×3, first 2 shown]
	v_pk_add_f32 v[54:55], v[54:55], v[132:133] neg_lo:[0,1] neg_hi:[0,1]
	v_mov_b32_e32 v131, v64
	v_pk_add_f32 v[54:55], v[130:131], v[54:55] neg_lo:[0,1] neg_hi:[0,1]
	v_mov_b32_e32 v146, v134
	v_pk_add_f32 v[64:65], v[146:147], v[54:55]
	s_mov_b32 s13, 0x33800000
	v_mov_b32_e32 v130, v65
	v_pk_add_f32 v[130:131], v[64:65], v[130:131]
	v_cmp_lt_f32_e64 s[66:67], |v129|, s13
	v_pk_add_f32 v[66:67], v[66:67], v[130:131]
	v_mov_b32_e32 v55, v130
	v_mov_b32_e32 v65, v66
	v_pk_add_f32 v[132:133], v[64:65], v[134:135] neg_lo:[0,1] neg_hi:[0,1]
	s_or_b64 s[54:55], s[54:55], s[66:67]
	v_sub_f32_e32 v64, v64, v132
	v_pk_add_f32 v[54:55], v[54:55], v[132:133] neg_lo:[0,1] neg_hi:[0,1]
	v_sub_f32_e32 v64, v134, v64
	v_add_f32_e32 v54, v54, v64
	v_add_f32_e32 v54, v54, v55
	;; [unrolled: 1-line block ×3, first 2 shown]
	v_cndmask_b32_e64 v54, v54, v129, s[54:55]
	v_add_f32_e32 v54, v53, v54
.LBB141_113:
	s_or_b64 exec, exec, s[56:57]
	v_mov_b32_e32 v53, v54
.LBB141_114:
	s_or_b64 exec, exec, s[64:65]
	s_nop 0
	v_mov_b32_dpp v54, v53 row_shr:4 row_mask:0xf bank_mask:0xf
	v_cmp_lt_u32_e64 s[54:55], 3, v52
	s_and_saveexec_b64 s[64:65], s[54:55]
	s_cbranch_execz .LBB141_118
; %bb.115:
	v_max_f32_e32 v64, v53, v53
	v_max_f32_e32 v65, v54, v54
	v_min_f32_e32 v55, v65, v64
	v_cmp_u_f32_e64 s[54:55], v54, v54
	v_max_f32_e32 v64, v65, v64
	v_cmp_u_f32_e64 s[56:57], v53, v53
	v_cndmask_b32_e64 v55, v55, v54, s[54:55]
	v_cndmask_b32_e64 v64, v64, v54, s[54:55]
	;; [unrolled: 1-line block ×4, first 2 shown]
	s_movk_i32 s13, 0x1f8
	v_cmp_neq_f32_e64 s[54:55], v55, v53
	v_cmp_class_f32_e64 s[56:57], v55, s13
	s_or_b64 s[54:55], s[54:55], s[56:57]
	s_and_saveexec_b64 s[56:57], s[54:55]
	s_cbranch_execz .LBB141_117
; %bb.116:
	v_sub_f32_e32 v54, v55, v53
	s_mov_b32 s13, 0x3fb8aa3b
	v_mul_f32_e32 v55, 0x3fb8aa3b, v54
	v_fma_f32 v64, v54, s13, -v55
	v_rndne_f32_e32 v65, v55
	v_fmamk_f32 v64, v54, 0x32a5705f, v64
	v_sub_f32_e32 v55, v55, v65
	v_add_f32_e32 v55, v55, v64
	v_exp_f32_e32 v55, v55
	v_cvt_i32_f32_e32 v64, v65
	s_mov_b32 s13, 0xc2ce8ed0
	v_cmp_ngt_f32_e64 s[54:55], s13, v54
	s_mov_b32 s13, 0x42b17218
	v_ldexp_f32 v55, v55, v64
	v_cndmask_b32_e64 v55, 0, v55, s[54:55]
	v_mov_b32_e32 v64, 0x7f800000
	v_cmp_nlt_f32_e64 s[54:55], s13, v54
	s_mov_b32 s13, 0x3f2aaaab
	s_mov_b32 s66, 0x7f800000
	v_cndmask_b32_e64 v129, v64, v55, s[54:55]
	v_add_f32_e32 v64, 1.0, v129
	v_add_f32_e32 v54, -1.0, v64
	v_sub_f32_e32 v55, v54, v64
	v_add_f32_e32 v55, 1.0, v55
	v_sub_f32_e32 v54, v129, v54
	v_add_f32_e32 v65, v54, v55
	v_frexp_mant_f32_e32 v66, v64
	v_cvt_f64_f32_e32 v[54:55], v64
	v_frexp_exp_i32_f64_e32 v54, v[54:55]
	v_cmp_gt_f32_e64 s[54:55], s13, v66
	s_mov_b32 s13, 0x3f317218
	s_nop 0
	v_subbrev_co_u32_e64 v132, s[54:55], 0, v54, s[54:55]
	v_sub_u32_e32 v54, 0, v132
	v_ldexp_f32 v55, v64, v54
	v_add_f32_e32 v64, -1.0, v55
	v_add_f32_e32 v66, 1.0, v55
	v_ldexp_f32 v54, v65, v54
	v_add_f32_e32 v65, 1.0, v64
	v_add_f32_e32 v67, -1.0, v66
	v_sub_f32_e32 v65, v55, v65
	v_sub_f32_e32 v55, v55, v67
	v_add_f32_e32 v65, v54, v65
	v_add_f32_e32 v54, v54, v55
	;; [unrolled: 1-line block ×3, first 2 shown]
	v_rcp_f32_e32 v135, v133
	v_sub_f32_e32 v55, v66, v133
	v_add_f32_e32 v134, v54, v55
	v_add_f32_e32 v55, v64, v65
	v_mul_f32_e32 v145, v55, v135
	v_sub_f32_e32 v54, v64, v55
	v_mul_f32_e32 v64, v133, v145
	v_fma_f32 v66, v145, v133, -v64
	v_fmac_f32_e32 v66, v145, v134
	v_add_f32_e32 v144, v65, v54
	v_add_f32_e32 v54, v64, v66
	v_sub_f32_e32 v65, v55, v54
	v_pk_add_f32 v[130:131], v[54:55], v[64:65] neg_lo:[0,1] neg_hi:[0,1]
	v_mov_b32_e32 v67, v54
	v_pk_add_f32 v[54:55], v[130:131], v[66:67] neg_lo:[0,1] neg_hi:[0,1]
	v_cmp_eq_f32_e64 s[54:55], s66, v129
	v_add_f32_e32 v55, v144, v55
	v_add_f32_e32 v54, v54, v55
	;; [unrolled: 1-line block ×3, first 2 shown]
	v_mul_f32_e32 v144, v135, v55
	v_mul_f32_e32 v64, v133, v144
	v_fma_f32 v66, v144, v133, -v64
	v_fmac_f32_e32 v66, v144, v134
	v_sub_f32_e32 v65, v65, v55
	v_add_f32_e32 v133, v54, v65
	v_add_f32_e32 v54, v64, v66
	v_sub_f32_e32 v65, v55, v54
	v_pk_add_f32 v[130:131], v[54:55], v[64:65] neg_lo:[0,1] neg_hi:[0,1]
	v_mov_b32_e32 v67, v54
	v_pk_add_f32 v[54:55], v[130:131], v[66:67] neg_lo:[0,1] neg_hi:[0,1]
	v_cvt_f32_i32_e32 v64, v132
	v_add_f32_e32 v55, v133, v55
	v_add_f32_e32 v54, v54, v55
	;; [unrolled: 1-line block ×4, first 2 shown]
	v_sub_f32_e32 v55, v65, v145
	v_mul_f32_e32 v54, v135, v54
	v_sub_f32_e32 v55, v144, v55
	v_add_f32_e32 v54, v55, v54
	v_add_f32_e32 v66, v65, v54
	v_mul_f32_e32 v130, v66, v66
	v_mov_b32_e32 v55, 0x3ecc95a3
	v_sub_f32_e32 v65, v66, v65
	v_fmac_f32_e32 v55, 0x3e9b6dac, v130
	v_sub_f32_e32 v54, v54, v65
	v_fmaak_f32 v55, v130, v55, 0x3f2aaada
	v_ldexp_f32 v131, v54, 1
	v_mul_f32_e32 v65, v66, v130
	v_mov_b32_e32 v54, 0x3f317218
	v_pk_mul_f32 v[54:55], v[64:65], v[54:55]
	v_ldexp_f32 v67, v66, 1
	v_fma_f32 v65, v64, s13, -v54
	v_fmamk_f32 v66, v64, 0xb102e308, v65
	v_pk_add_f32 v[64:65], v[54:55], v[66:67]
	v_mov_b32_e32 v130, v54
	v_sub_f32_e32 v67, v65, v67
	v_sub_f32_e32 v67, v55, v67
	v_add_f32_e32 v131, v131, v67
	v_pk_add_f32 v[54:55], v[64:65], v[54:55] neg_lo:[0,1] neg_hi:[0,1]
	v_pk_add_f32 v[132:133], v[64:65], v[130:131]
	v_mov_b32_e32 v67, v64
	v_mov_b32_e32 v55, v133
	v_pk_add_f32 v[134:135], v[66:67], v[54:55] neg_lo:[0,1] neg_hi:[0,1]
	v_pk_add_f32 v[54:55], v[66:67], v[54:55]
	v_mov_b32_e32 v130, v131
	v_mov_b32_e32 v66, v55
	v_pk_add_f32 v[144:145], v[66:67], v[64:65] neg_lo:[0,1] neg_hi:[0,1]
	v_mov_b32_e32 v54, v133
	v_mov_b32_e32 v67, v144
	v_pk_add_f32 v[146:147], v[132:133], v[66:67] neg_lo:[0,1] neg_hi:[0,1]
	v_mov_b32_e32 v132, v65
	v_mov_b32_e32 v133, v144
	;; [unrolled: 1-line block ×3, first 2 shown]
	v_pk_add_f32 v[54:55], v[54:55], v[132:133] neg_lo:[0,1] neg_hi:[0,1]
	v_mov_b32_e32 v131, v64
	v_pk_add_f32 v[54:55], v[130:131], v[54:55] neg_lo:[0,1] neg_hi:[0,1]
	v_mov_b32_e32 v146, v134
	v_pk_add_f32 v[64:65], v[146:147], v[54:55]
	s_mov_b32 s13, 0x33800000
	v_mov_b32_e32 v130, v65
	v_pk_add_f32 v[130:131], v[64:65], v[130:131]
	v_cmp_lt_f32_e64 s[66:67], |v129|, s13
	v_pk_add_f32 v[66:67], v[66:67], v[130:131]
	v_mov_b32_e32 v55, v130
	v_mov_b32_e32 v65, v66
	v_pk_add_f32 v[132:133], v[64:65], v[134:135] neg_lo:[0,1] neg_hi:[0,1]
	s_or_b64 s[54:55], s[54:55], s[66:67]
	v_sub_f32_e32 v64, v64, v132
	v_pk_add_f32 v[54:55], v[54:55], v[132:133] neg_lo:[0,1] neg_hi:[0,1]
	v_sub_f32_e32 v64, v134, v64
	v_add_f32_e32 v54, v54, v64
	v_add_f32_e32 v54, v54, v55
	;; [unrolled: 1-line block ×3, first 2 shown]
	v_cndmask_b32_e64 v54, v54, v129, s[54:55]
	v_add_f32_e32 v54, v53, v54
.LBB141_117:
	s_or_b64 exec, exec, s[56:57]
	v_mov_b32_e32 v53, v54
.LBB141_118:
	s_or_b64 exec, exec, s[64:65]
	s_nop 0
	v_mov_b32_dpp v54, v53 row_shr:8 row_mask:0xf bank_mask:0xf
	v_cmp_lt_u32_e64 s[54:55], 7, v52
	s_and_saveexec_b64 s[64:65], s[54:55]
	s_cbranch_execz .LBB141_122
; %bb.119:
	v_max_f32_e32 v52, v53, v53
	v_max_f32_e32 v64, v54, v54
	v_min_f32_e32 v55, v64, v52
	v_cmp_u_f32_e64 s[54:55], v54, v54
	v_max_f32_e32 v52, v64, v52
	v_cmp_u_f32_e64 s[56:57], v53, v53
	v_cndmask_b32_e64 v55, v55, v54, s[54:55]
	v_cndmask_b32_e64 v52, v52, v54, s[54:55]
	;; [unrolled: 1-line block ×4, first 2 shown]
	s_movk_i32 s13, 0x1f8
	v_cmp_neq_f32_e64 s[54:55], v55, v52
	v_cmp_class_f32_e64 s[56:57], v55, s13
	s_or_b64 s[54:55], s[54:55], s[56:57]
	s_and_saveexec_b64 s[56:57], s[54:55]
	s_cbranch_execz .LBB141_121
; %bb.120:
	v_sub_f32_e32 v53, v55, v52
	s_mov_b32 s13, 0x3fb8aa3b
	v_mul_f32_e32 v54, 0x3fb8aa3b, v53
	v_fma_f32 v55, v53, s13, -v54
	v_rndne_f32_e32 v64, v54
	v_fmamk_f32 v55, v53, 0x32a5705f, v55
	v_sub_f32_e32 v54, v54, v64
	v_add_f32_e32 v54, v54, v55
	v_exp_f32_e32 v54, v54
	v_cvt_i32_f32_e32 v55, v64
	s_mov_b32 s13, 0xc2ce8ed0
	v_cmp_ngt_f32_e64 s[54:55], s13, v53
	s_mov_b32 s13, 0x42b17218
	v_ldexp_f32 v54, v54, v55
	v_cndmask_b32_e64 v54, 0, v54, s[54:55]
	v_mov_b32_e32 v55, 0x7f800000
	v_cmp_nlt_f32_e64 s[54:55], s13, v53
	s_mov_b32 s13, 0x3f2aaaab
	s_mov_b32 s66, 0x7f800000
	v_cndmask_b32_e64 v129, v55, v54, s[54:55]
	v_add_f32_e32 v53, 1.0, v129
	v_add_f32_e32 v54, -1.0, v53
	v_sub_f32_e32 v55, v54, v53
	v_add_f32_e32 v55, 1.0, v55
	v_sub_f32_e32 v54, v129, v54
	v_add_f32_e32 v64, v54, v55
	v_frexp_mant_f32_e32 v65, v53
	v_cvt_f64_f32_e32 v[54:55], v53
	v_frexp_exp_i32_f64_e32 v54, v[54:55]
	v_cmp_gt_f32_e64 s[54:55], s13, v65
	s_mov_b32 s13, 0x3f317218
	s_nop 0
	v_subbrev_co_u32_e64 v132, s[54:55], 0, v54, s[54:55]
	v_sub_u32_e32 v54, 0, v132
	v_ldexp_f32 v53, v53, v54
	v_ldexp_f32 v54, v64, v54
	v_add_f32_e32 v64, -1.0, v53
	v_add_f32_e32 v55, 1.0, v64
	v_sub_f32_e32 v55, v53, v55
	v_add_f32_e32 v65, v54, v55
	v_add_f32_e32 v55, 1.0, v53
	v_add_f32_e32 v66, -1.0, v55
	v_sub_f32_e32 v53, v53, v66
	v_add_f32_e32 v53, v54, v53
	v_add_f32_e32 v133, v55, v53
	v_rcp_f32_e32 v134, v133
	v_sub_f32_e32 v54, v55, v133
	v_add_f32_e32 v55, v64, v65
	v_add_f32_e32 v53, v53, v54
	v_mul_f32_e32 v144, v55, v134
	v_sub_f32_e32 v54, v64, v55
	v_mul_f32_e32 v64, v133, v144
	v_fma_f32 v66, v144, v133, -v64
	v_fmac_f32_e32 v66, v144, v53
	v_add_f32_e32 v135, v65, v54
	v_add_f32_e32 v54, v64, v66
	v_sub_f32_e32 v65, v55, v54
	v_pk_add_f32 v[130:131], v[54:55], v[64:65] neg_lo:[0,1] neg_hi:[0,1]
	v_mov_b32_e32 v67, v54
	v_pk_add_f32 v[54:55], v[130:131], v[66:67] neg_lo:[0,1] neg_hi:[0,1]
	v_cmp_eq_f32_e64 s[54:55], s66, v129
	v_add_f32_e32 v55, v135, v55
	v_add_f32_e32 v54, v54, v55
	;; [unrolled: 1-line block ×3, first 2 shown]
	v_mul_f32_e32 v135, v134, v55
	v_mul_f32_e32 v64, v133, v135
	v_fma_f32 v66, v135, v133, -v64
	v_fmac_f32_e32 v66, v135, v53
	v_sub_f32_e32 v53, v65, v55
	v_add_f32_e32 v53, v54, v53
	v_add_f32_e32 v54, v64, v66
	v_sub_f32_e32 v65, v55, v54
	v_pk_add_f32 v[130:131], v[54:55], v[64:65] neg_lo:[0,1] neg_hi:[0,1]
	v_mov_b32_e32 v67, v54
	v_pk_add_f32 v[54:55], v[130:131], v[66:67] neg_lo:[0,1] neg_hi:[0,1]
	v_cvt_f32_i32_e32 v64, v132
	v_add_f32_e32 v53, v53, v55
	v_add_f32_e32 v53, v54, v53
	v_add_f32_e32 v54, v144, v135
	v_add_f32_e32 v53, v65, v53
	v_sub_f32_e32 v55, v54, v144
	v_mul_f32_e32 v53, v134, v53
	v_sub_f32_e32 v55, v135, v55
	v_add_f32_e32 v53, v55, v53
	v_add_f32_e32 v65, v54, v53
	v_mul_f32_e32 v66, v65, v65
	v_mov_b32_e32 v55, 0x3ecc95a3
	v_fmac_f32_e32 v55, 0x3e9b6dac, v66
	v_sub_f32_e32 v54, v65, v54
	v_fmaak_f32 v55, v66, v55, 0x3f2aaada
	v_sub_f32_e32 v53, v53, v54
	v_ldexp_f32 v67, v65, 1
	v_mul_f32_e32 v65, v65, v66
	v_mov_b32_e32 v54, 0x3f317218
	v_pk_mul_f32 v[54:55], v[64:65], v[54:55]
	v_ldexp_f32 v53, v53, 1
	v_fma_f32 v65, v64, s13, -v54
	v_fmamk_f32 v66, v64, 0xb102e308, v65
	v_pk_add_f32 v[64:65], v[54:55], v[66:67]
	v_mov_b32_e32 v130, v54
	v_sub_f32_e32 v67, v65, v67
	v_sub_f32_e32 v67, v55, v67
	v_add_f32_e32 v131, v53, v67
	v_pk_add_f32 v[54:55], v[64:65], v[54:55] neg_lo:[0,1] neg_hi:[0,1]
	v_pk_add_f32 v[132:133], v[64:65], v[130:131]
	v_mov_b32_e32 v67, v64
	v_mov_b32_e32 v55, v133
	v_pk_add_f32 v[134:135], v[66:67], v[54:55] neg_lo:[0,1] neg_hi:[0,1]
	v_pk_add_f32 v[54:55], v[66:67], v[54:55]
	v_mov_b32_e32 v130, v131
	v_mov_b32_e32 v66, v55
	v_pk_add_f32 v[144:145], v[66:67], v[64:65] neg_lo:[0,1] neg_hi:[0,1]
	v_mov_b32_e32 v54, v133
	v_mov_b32_e32 v53, v144
	v_pk_add_f32 v[146:147], v[132:133], v[52:53] neg_lo:[0,1] neg_hi:[0,1]
	v_mov_b32_e32 v132, v65
	v_mov_b32_e32 v133, v144
	;; [unrolled: 1-line block ×3, first 2 shown]
	v_pk_add_f32 v[54:55], v[54:55], v[132:133] neg_lo:[0,1] neg_hi:[0,1]
	v_mov_b32_e32 v131, v64
	v_pk_add_f32 v[54:55], v[130:131], v[54:55] neg_lo:[0,1] neg_hi:[0,1]
	v_mov_b32_e32 v146, v134
	v_pk_add_f32 v[64:65], v[146:147], v[54:55]
	s_mov_b32 s13, 0x33800000
	v_mov_b32_e32 v130, v65
	v_pk_add_f32 v[130:131], v[64:65], v[130:131]
	v_cmp_lt_f32_e64 s[66:67], |v129|, s13
	v_pk_add_f32 v[66:67], v[66:67], v[130:131]
	v_mov_b32_e32 v55, v130
	v_mov_b32_e32 v65, v66
	v_pk_add_f32 v[132:133], v[64:65], v[134:135] neg_lo:[0,1] neg_hi:[0,1]
	s_or_b64 s[54:55], s[54:55], s[66:67]
	v_sub_f32_e32 v53, v64, v132
	v_pk_add_f32 v[54:55], v[54:55], v[132:133] neg_lo:[0,1] neg_hi:[0,1]
	v_sub_f32_e32 v53, v134, v53
	v_add_f32_e32 v53, v54, v53
	v_add_f32_e32 v53, v53, v55
	v_add_f32_e32 v53, v66, v53
	v_cndmask_b32_e64 v53, v53, v129, s[54:55]
	v_add_f32_e32 v54, v52, v53
.LBB141_121:
	s_or_b64 exec, exec, s[56:57]
	v_mov_b32_e32 v53, v54
.LBB141_122:
	s_or_b64 exec, exec, s[64:65]
	v_and_b32_e32 v52, 16, v49
	v_mov_b32_dpp v54, v53 row_bcast:15 row_mask:0xf bank_mask:0xf
	v_cmp_ne_u32_e64 s[54:55], 0, v52
	s_and_saveexec_b64 s[64:65], s[54:55]
	s_cbranch_execz .LBB141_126
; %bb.123:
	v_max_f32_e32 v52, v53, v53
	v_max_f32_e32 v64, v54, v54
	v_min_f32_e32 v55, v64, v52
	v_cmp_u_f32_e64 s[54:55], v54, v54
	v_max_f32_e32 v52, v64, v52
	v_cmp_u_f32_e64 s[56:57], v53, v53
	v_cndmask_b32_e64 v55, v55, v54, s[54:55]
	v_cndmask_b32_e64 v52, v52, v54, s[54:55]
	;; [unrolled: 1-line block ×4, first 2 shown]
	s_movk_i32 s13, 0x1f8
	v_cmp_neq_f32_e64 s[54:55], v55, v52
	v_cmp_class_f32_e64 s[56:57], v55, s13
	s_or_b64 s[54:55], s[54:55], s[56:57]
	s_and_saveexec_b64 s[56:57], s[54:55]
	s_cbranch_execz .LBB141_125
; %bb.124:
	v_sub_f32_e32 v53, v55, v52
	s_mov_b32 s13, 0x3fb8aa3b
	v_mul_f32_e32 v54, 0x3fb8aa3b, v53
	v_fma_f32 v55, v53, s13, -v54
	v_rndne_f32_e32 v64, v54
	v_fmamk_f32 v55, v53, 0x32a5705f, v55
	v_sub_f32_e32 v54, v54, v64
	v_add_f32_e32 v54, v54, v55
	v_exp_f32_e32 v54, v54
	v_cvt_i32_f32_e32 v55, v64
	s_mov_b32 s13, 0xc2ce8ed0
	v_cmp_ngt_f32_e64 s[54:55], s13, v53
	s_mov_b32 s13, 0x42b17218
	v_ldexp_f32 v54, v54, v55
	v_cndmask_b32_e64 v54, 0, v54, s[54:55]
	v_mov_b32_e32 v55, 0x7f800000
	v_cmp_nlt_f32_e64 s[54:55], s13, v53
	s_mov_b32 s13, 0x3f2aaaab
	s_mov_b32 s66, 0x7f800000
	v_cndmask_b32_e64 v129, v55, v54, s[54:55]
	v_add_f32_e32 v53, 1.0, v129
	v_add_f32_e32 v54, -1.0, v53
	v_sub_f32_e32 v55, v54, v53
	v_add_f32_e32 v55, 1.0, v55
	v_sub_f32_e32 v54, v129, v54
	v_add_f32_e32 v64, v54, v55
	v_frexp_mant_f32_e32 v65, v53
	v_cvt_f64_f32_e32 v[54:55], v53
	v_frexp_exp_i32_f64_e32 v54, v[54:55]
	v_cmp_gt_f32_e64 s[54:55], s13, v65
	s_mov_b32 s13, 0x3f317218
	s_nop 0
	v_subbrev_co_u32_e64 v132, s[54:55], 0, v54, s[54:55]
	v_sub_u32_e32 v54, 0, v132
	v_ldexp_f32 v53, v53, v54
	v_ldexp_f32 v54, v64, v54
	v_add_f32_e32 v64, -1.0, v53
	v_add_f32_e32 v55, 1.0, v64
	v_sub_f32_e32 v55, v53, v55
	v_add_f32_e32 v65, v54, v55
	v_add_f32_e32 v55, 1.0, v53
	v_add_f32_e32 v66, -1.0, v55
	v_sub_f32_e32 v53, v53, v66
	v_add_f32_e32 v53, v54, v53
	v_add_f32_e32 v133, v55, v53
	v_rcp_f32_e32 v134, v133
	v_sub_f32_e32 v54, v55, v133
	v_add_f32_e32 v55, v64, v65
	v_add_f32_e32 v53, v53, v54
	v_mul_f32_e32 v144, v55, v134
	v_sub_f32_e32 v54, v64, v55
	v_mul_f32_e32 v64, v133, v144
	v_fma_f32 v66, v144, v133, -v64
	v_fmac_f32_e32 v66, v144, v53
	v_add_f32_e32 v135, v65, v54
	v_add_f32_e32 v54, v64, v66
	v_sub_f32_e32 v65, v55, v54
	v_pk_add_f32 v[130:131], v[54:55], v[64:65] neg_lo:[0,1] neg_hi:[0,1]
	v_mov_b32_e32 v67, v54
	v_pk_add_f32 v[54:55], v[130:131], v[66:67] neg_lo:[0,1] neg_hi:[0,1]
	v_cmp_eq_f32_e64 s[54:55], s66, v129
	v_add_f32_e32 v55, v135, v55
	v_add_f32_e32 v54, v54, v55
	;; [unrolled: 1-line block ×3, first 2 shown]
	v_mul_f32_e32 v135, v134, v55
	v_mul_f32_e32 v64, v133, v135
	v_fma_f32 v66, v135, v133, -v64
	v_fmac_f32_e32 v66, v135, v53
	v_sub_f32_e32 v53, v65, v55
	v_add_f32_e32 v53, v54, v53
	v_add_f32_e32 v54, v64, v66
	v_sub_f32_e32 v65, v55, v54
	v_pk_add_f32 v[130:131], v[54:55], v[64:65] neg_lo:[0,1] neg_hi:[0,1]
	v_mov_b32_e32 v67, v54
	v_pk_add_f32 v[54:55], v[130:131], v[66:67] neg_lo:[0,1] neg_hi:[0,1]
	v_cvt_f32_i32_e32 v64, v132
	v_add_f32_e32 v53, v53, v55
	v_add_f32_e32 v53, v54, v53
	;; [unrolled: 1-line block ×4, first 2 shown]
	v_sub_f32_e32 v55, v54, v144
	v_mul_f32_e32 v53, v134, v53
	v_sub_f32_e32 v55, v135, v55
	v_add_f32_e32 v53, v55, v53
	v_add_f32_e32 v65, v54, v53
	v_mul_f32_e32 v66, v65, v65
	v_mov_b32_e32 v55, 0x3ecc95a3
	v_fmac_f32_e32 v55, 0x3e9b6dac, v66
	v_sub_f32_e32 v54, v65, v54
	v_fmaak_f32 v55, v66, v55, 0x3f2aaada
	v_sub_f32_e32 v53, v53, v54
	v_ldexp_f32 v67, v65, 1
	v_mul_f32_e32 v65, v65, v66
	v_mov_b32_e32 v54, 0x3f317218
	v_pk_mul_f32 v[54:55], v[64:65], v[54:55]
	v_ldexp_f32 v53, v53, 1
	v_fma_f32 v65, v64, s13, -v54
	v_fmamk_f32 v66, v64, 0xb102e308, v65
	v_pk_add_f32 v[64:65], v[54:55], v[66:67]
	v_mov_b32_e32 v130, v54
	v_sub_f32_e32 v67, v65, v67
	v_sub_f32_e32 v67, v55, v67
	v_add_f32_e32 v131, v53, v67
	v_pk_add_f32 v[54:55], v[64:65], v[54:55] neg_lo:[0,1] neg_hi:[0,1]
	v_pk_add_f32 v[132:133], v[64:65], v[130:131]
	v_mov_b32_e32 v67, v64
	v_mov_b32_e32 v55, v133
	v_pk_add_f32 v[134:135], v[66:67], v[54:55] neg_lo:[0,1] neg_hi:[0,1]
	v_pk_add_f32 v[54:55], v[66:67], v[54:55]
	v_mov_b32_e32 v130, v131
	v_mov_b32_e32 v66, v55
	v_pk_add_f32 v[144:145], v[66:67], v[64:65] neg_lo:[0,1] neg_hi:[0,1]
	v_mov_b32_e32 v54, v133
	v_mov_b32_e32 v53, v144
	v_pk_add_f32 v[146:147], v[132:133], v[52:53] neg_lo:[0,1] neg_hi:[0,1]
	v_mov_b32_e32 v132, v65
	v_mov_b32_e32 v133, v144
	;; [unrolled: 1-line block ×3, first 2 shown]
	v_pk_add_f32 v[54:55], v[54:55], v[132:133] neg_lo:[0,1] neg_hi:[0,1]
	v_mov_b32_e32 v131, v64
	v_pk_add_f32 v[54:55], v[130:131], v[54:55] neg_lo:[0,1] neg_hi:[0,1]
	v_mov_b32_e32 v146, v134
	v_pk_add_f32 v[64:65], v[146:147], v[54:55]
	s_mov_b32 s13, 0x33800000
	v_mov_b32_e32 v130, v65
	v_pk_add_f32 v[130:131], v[64:65], v[130:131]
	v_cmp_lt_f32_e64 s[66:67], |v129|, s13
	v_pk_add_f32 v[66:67], v[66:67], v[130:131]
	v_mov_b32_e32 v55, v130
	v_mov_b32_e32 v65, v66
	v_pk_add_f32 v[132:133], v[64:65], v[134:135] neg_lo:[0,1] neg_hi:[0,1]
	s_or_b64 s[54:55], s[54:55], s[66:67]
	v_sub_f32_e32 v53, v64, v132
	v_pk_add_f32 v[54:55], v[54:55], v[132:133] neg_lo:[0,1] neg_hi:[0,1]
	v_sub_f32_e32 v53, v134, v53
	v_add_f32_e32 v53, v54, v53
	v_add_f32_e32 v53, v53, v55
	;; [unrolled: 1-line block ×3, first 2 shown]
	v_cndmask_b32_e64 v53, v53, v129, s[54:55]
	v_add_f32_e32 v54, v52, v53
.LBB141_125:
	s_or_b64 exec, exec, s[56:57]
	v_mov_b32_e32 v53, v54
.LBB141_126:
	s_or_b64 exec, exec, s[64:65]
	s_nop 0
	v_mov_b32_dpp v54, v53 row_bcast:31 row_mask:0xf bank_mask:0xf
	v_cmp_lt_u32_e64 s[54:55], 31, v49
	s_and_saveexec_b64 s[64:65], s[54:55]
	s_cbranch_execz .LBB141_130
; %bb.127:
	v_max_f32_e32 v52, v53, v53
	v_max_f32_e32 v64, v54, v54
	v_min_f32_e32 v55, v64, v52
	v_cmp_u_f32_e64 s[54:55], v54, v54
	v_max_f32_e32 v52, v64, v52
	v_cmp_u_f32_e64 s[56:57], v53, v53
	v_cndmask_b32_e64 v55, v55, v54, s[54:55]
	v_cndmask_b32_e64 v52, v52, v54, s[54:55]
	v_cndmask_b32_e64 v55, v55, v53, s[56:57]
	v_cndmask_b32_e64 v52, v52, v53, s[56:57]
	s_movk_i32 s13, 0x1f8
	v_cmp_neq_f32_e64 s[54:55], v55, v52
	v_cmp_class_f32_e64 s[56:57], v55, s13
	s_or_b64 s[54:55], s[54:55], s[56:57]
	s_and_saveexec_b64 s[56:57], s[54:55]
	s_cbranch_execz .LBB141_129
; %bb.128:
	v_sub_f32_e32 v53, v55, v52
	s_mov_b32 s13, 0x3fb8aa3b
	v_mul_f32_e32 v54, 0x3fb8aa3b, v53
	v_fma_f32 v55, v53, s13, -v54
	v_rndne_f32_e32 v64, v54
	v_fmamk_f32 v55, v53, 0x32a5705f, v55
	v_sub_f32_e32 v54, v54, v64
	v_add_f32_e32 v54, v54, v55
	v_exp_f32_e32 v54, v54
	v_cvt_i32_f32_e32 v55, v64
	s_mov_b32 s13, 0xc2ce8ed0
	v_cmp_ngt_f32_e64 s[54:55], s13, v53
	s_mov_b32 s13, 0x42b17218
	v_ldexp_f32 v54, v54, v55
	v_cndmask_b32_e64 v54, 0, v54, s[54:55]
	v_mov_b32_e32 v55, 0x7f800000
	v_cmp_nlt_f32_e64 s[54:55], s13, v53
	s_mov_b32 s13, 0x3f2aaaab
	s_mov_b32 s66, 0x7f800000
	v_cndmask_b32_e64 v129, v55, v54, s[54:55]
	v_add_f32_e32 v53, 1.0, v129
	v_add_f32_e32 v54, -1.0, v53
	v_sub_f32_e32 v55, v54, v53
	v_add_f32_e32 v55, 1.0, v55
	v_sub_f32_e32 v54, v129, v54
	v_add_f32_e32 v64, v54, v55
	v_frexp_mant_f32_e32 v65, v53
	v_cvt_f64_f32_e32 v[54:55], v53
	v_frexp_exp_i32_f64_e32 v54, v[54:55]
	v_cmp_gt_f32_e64 s[54:55], s13, v65
	s_mov_b32 s13, 0x3f317218
	s_nop 0
	v_subbrev_co_u32_e64 v132, s[54:55], 0, v54, s[54:55]
	v_sub_u32_e32 v54, 0, v132
	v_ldexp_f32 v53, v53, v54
	v_ldexp_f32 v54, v64, v54
	v_add_f32_e32 v64, -1.0, v53
	v_add_f32_e32 v55, 1.0, v64
	v_sub_f32_e32 v55, v53, v55
	v_add_f32_e32 v65, v54, v55
	v_add_f32_e32 v55, 1.0, v53
	v_add_f32_e32 v66, -1.0, v55
	v_sub_f32_e32 v53, v53, v66
	v_add_f32_e32 v53, v54, v53
	v_add_f32_e32 v133, v55, v53
	v_rcp_f32_e32 v134, v133
	v_sub_f32_e32 v54, v55, v133
	v_add_f32_e32 v55, v64, v65
	v_add_f32_e32 v53, v53, v54
	v_mul_f32_e32 v144, v55, v134
	v_sub_f32_e32 v54, v64, v55
	v_mul_f32_e32 v64, v133, v144
	v_fma_f32 v66, v144, v133, -v64
	v_fmac_f32_e32 v66, v144, v53
	v_add_f32_e32 v135, v65, v54
	v_add_f32_e32 v54, v64, v66
	v_sub_f32_e32 v65, v55, v54
	v_pk_add_f32 v[130:131], v[54:55], v[64:65] neg_lo:[0,1] neg_hi:[0,1]
	v_mov_b32_e32 v67, v54
	v_pk_add_f32 v[54:55], v[130:131], v[66:67] neg_lo:[0,1] neg_hi:[0,1]
	v_cmp_eq_f32_e64 s[54:55], s66, v129
	v_add_f32_e32 v55, v135, v55
	v_add_f32_e32 v54, v54, v55
	v_add_f32_e32 v55, v65, v54
	v_mul_f32_e32 v135, v134, v55
	v_mul_f32_e32 v64, v133, v135
	v_fma_f32 v66, v135, v133, -v64
	v_fmac_f32_e32 v66, v135, v53
	v_sub_f32_e32 v53, v65, v55
	v_add_f32_e32 v53, v54, v53
	v_add_f32_e32 v54, v64, v66
	v_sub_f32_e32 v65, v55, v54
	v_pk_add_f32 v[130:131], v[54:55], v[64:65] neg_lo:[0,1] neg_hi:[0,1]
	v_mov_b32_e32 v67, v54
	v_pk_add_f32 v[54:55], v[130:131], v[66:67] neg_lo:[0,1] neg_hi:[0,1]
	v_cvt_f32_i32_e32 v64, v132
	v_add_f32_e32 v53, v53, v55
	v_add_f32_e32 v53, v54, v53
	;; [unrolled: 1-line block ×4, first 2 shown]
	v_sub_f32_e32 v55, v54, v144
	v_mul_f32_e32 v53, v134, v53
	v_sub_f32_e32 v55, v135, v55
	v_add_f32_e32 v53, v55, v53
	v_add_f32_e32 v65, v54, v53
	v_mul_f32_e32 v66, v65, v65
	v_mov_b32_e32 v55, 0x3ecc95a3
	v_fmac_f32_e32 v55, 0x3e9b6dac, v66
	v_sub_f32_e32 v54, v65, v54
	v_fmaak_f32 v55, v66, v55, 0x3f2aaada
	v_sub_f32_e32 v53, v53, v54
	v_ldexp_f32 v67, v65, 1
	v_mul_f32_e32 v65, v65, v66
	v_mov_b32_e32 v54, 0x3f317218
	v_pk_mul_f32 v[54:55], v[64:65], v[54:55]
	v_ldexp_f32 v53, v53, 1
	v_fma_f32 v65, v64, s13, -v54
	v_fmamk_f32 v66, v64, 0xb102e308, v65
	v_pk_add_f32 v[64:65], v[54:55], v[66:67]
	v_mov_b32_e32 v130, v54
	v_sub_f32_e32 v67, v65, v67
	v_sub_f32_e32 v67, v55, v67
	v_add_f32_e32 v131, v53, v67
	v_pk_add_f32 v[54:55], v[64:65], v[54:55] neg_lo:[0,1] neg_hi:[0,1]
	v_pk_add_f32 v[132:133], v[64:65], v[130:131]
	v_mov_b32_e32 v67, v64
	v_mov_b32_e32 v55, v133
	v_pk_add_f32 v[134:135], v[66:67], v[54:55] neg_lo:[0,1] neg_hi:[0,1]
	v_pk_add_f32 v[54:55], v[66:67], v[54:55]
	v_mov_b32_e32 v130, v131
	v_mov_b32_e32 v66, v55
	v_pk_add_f32 v[144:145], v[66:67], v[64:65] neg_lo:[0,1] neg_hi:[0,1]
	v_mov_b32_e32 v54, v133
	v_mov_b32_e32 v53, v144
	v_pk_add_f32 v[146:147], v[132:133], v[52:53] neg_lo:[0,1] neg_hi:[0,1]
	v_mov_b32_e32 v132, v65
	v_mov_b32_e32 v133, v144
	;; [unrolled: 1-line block ×3, first 2 shown]
	v_pk_add_f32 v[54:55], v[54:55], v[132:133] neg_lo:[0,1] neg_hi:[0,1]
	v_mov_b32_e32 v131, v64
	v_pk_add_f32 v[54:55], v[130:131], v[54:55] neg_lo:[0,1] neg_hi:[0,1]
	v_mov_b32_e32 v146, v134
	v_pk_add_f32 v[64:65], v[146:147], v[54:55]
	s_mov_b32 s13, 0x33800000
	v_mov_b32_e32 v130, v65
	v_pk_add_f32 v[130:131], v[64:65], v[130:131]
	v_cmp_lt_f32_e64 s[66:67], |v129|, s13
	v_pk_add_f32 v[66:67], v[66:67], v[130:131]
	v_mov_b32_e32 v55, v130
	v_mov_b32_e32 v65, v66
	v_pk_add_f32 v[132:133], v[64:65], v[134:135] neg_lo:[0,1] neg_hi:[0,1]
	s_or_b64 s[54:55], s[54:55], s[66:67]
	v_sub_f32_e32 v53, v64, v132
	v_pk_add_f32 v[54:55], v[54:55], v[132:133] neg_lo:[0,1] neg_hi:[0,1]
	v_sub_f32_e32 v53, v134, v53
	v_add_f32_e32 v53, v54, v53
	v_add_f32_e32 v53, v53, v55
	;; [unrolled: 1-line block ×3, first 2 shown]
	v_cndmask_b32_e64 v53, v53, v129, s[54:55]
	v_add_f32_e32 v54, v52, v53
.LBB141_129:
	s_or_b64 exec, exec, s[56:57]
	v_mov_b32_e32 v53, v54
.LBB141_130:
	s_or_b64 exec, exec, s[64:65]
	v_add_u32_e32 v52, -1, v49
	v_and_b32_e32 v54, 64, v49
	v_cmp_lt_i32_e64 s[54:55], v52, v54
	s_movk_i32 s13, 0x1f8
	s_nop 0
	v_cndmask_b32_e64 v49, v52, v49, s[54:55]
	v_lshlrev_b32_e32 v49, 2, v49
	ds_bpermute_b32 v49, v49, v53
	s_waitcnt lgkmcnt(0)
	v_max_f32_e32 v52, v49, v49
	v_min_f32_e32 v53, v52, v51
	v_max_f32_e32 v52, v52, v51
	v_cmp_u_f32_e64 s[54:55], v49, v49
	s_nop 1
	v_cndmask_b32_e64 v51, v53, v49, s[54:55]
	v_cndmask_b32_e64 v52, v52, v49, s[54:55]
	;; [unrolled: 1-line block ×4, first 2 shown]
	v_cmp_neq_f32_e64 s[52:53], v51, v48
	v_cmp_class_f32_e64 s[54:55], v51, s13
	s_or_b64 s[52:53], s[52:53], s[54:55]
	s_and_saveexec_b64 s[54:55], s[52:53]
	s_cbranch_execz .LBB141_132
; %bb.131:
	v_sub_f32_e32 v49, v51, v48
	s_mov_b32 s52, 0x3fb8aa3b
	v_mul_f32_e32 v51, 0x3fb8aa3b, v49
	v_fma_f32 v52, v49, s52, -v51
	v_rndne_f32_e32 v53, v51
	v_fmamk_f32 v52, v49, 0x32a5705f, v52
	v_sub_f32_e32 v51, v51, v53
	v_add_f32_e32 v51, v51, v52
	v_exp_f32_e32 v51, v51
	v_cvt_i32_f32_e32 v52, v53
	s_mov_b32 s52, 0xc2ce8ed0
	v_cmp_ngt_f32_e64 s[52:53], s52, v49
	s_mov_b32 s56, 0x7f800000
	v_ldexp_f32 v51, v51, v52
	v_cndmask_b32_e64 v51, 0, v51, s[52:53]
	s_mov_b32 s52, 0x42b17218
	v_mov_b32_e32 v52, 0x7f800000
	v_cmp_nlt_f32_e64 s[52:53], s52, v49
	s_nop 1
	v_cndmask_b32_e64 v51, v52, v51, s[52:53]
	v_add_f32_e32 v49, 1.0, v51
	v_add_f32_e32 v52, -1.0, v49
	v_sub_f32_e32 v53, v52, v49
	v_add_f32_e32 v53, 1.0, v53
	v_sub_f32_e32 v52, v51, v52
	v_add_f32_e32 v54, v52, v53
	v_frexp_mant_f32_e32 v55, v49
	s_mov_b32 s52, 0x3f2aaaab
	v_cvt_f64_f32_e32 v[52:53], v49
	v_frexp_exp_i32_f64_e32 v52, v[52:53]
	v_cmp_gt_f32_e64 s[52:53], s52, v55
	s_nop 1
	v_subbrev_co_u32_e64 v129, s[52:53], 0, v52, s[52:53]
	v_sub_u32_e32 v52, 0, v129
	v_ldexp_f32 v49, v49, v52
	v_ldexp_f32 v52, v54, v52
	v_add_f32_e32 v54, -1.0, v49
	v_add_f32_e32 v53, 1.0, v54
	v_sub_f32_e32 v53, v49, v53
	v_add_f32_e32 v55, v52, v53
	v_add_f32_e32 v53, 1.0, v49
	v_add_f32_e32 v64, -1.0, v53
	v_sub_f32_e32 v49, v49, v64
	v_add_f32_e32 v49, v52, v49
	v_add_f32_e32 v130, v53, v49
	v_rcp_f32_e32 v131, v130
	v_sub_f32_e32 v52, v53, v130
	v_add_f32_e32 v53, v54, v55
	v_add_f32_e32 v49, v49, v52
	v_mul_f32_e32 v133, v53, v131
	v_sub_f32_e32 v52, v54, v53
	v_mul_f32_e32 v54, v130, v133
	v_fma_f32 v64, v133, v130, -v54
	v_fmac_f32_e32 v64, v133, v49
	v_add_f32_e32 v132, v55, v52
	v_add_f32_e32 v52, v54, v64
	v_sub_f32_e32 v55, v53, v52
	v_pk_add_f32 v[66:67], v[52:53], v[54:55] neg_lo:[0,1] neg_hi:[0,1]
	v_mov_b32_e32 v65, v52
	v_pk_add_f32 v[52:53], v[66:67], v[64:65] neg_lo:[0,1] neg_hi:[0,1]
	s_mov_b32 s52, 0x3f317218
	v_add_f32_e32 v53, v132, v53
	v_add_f32_e32 v52, v52, v53
	;; [unrolled: 1-line block ×3, first 2 shown]
	v_mul_f32_e32 v132, v131, v53
	v_mul_f32_e32 v54, v130, v132
	v_fma_f32 v64, v132, v130, -v54
	v_fmac_f32_e32 v64, v132, v49
	v_sub_f32_e32 v49, v55, v53
	v_add_f32_e32 v49, v52, v49
	v_add_f32_e32 v52, v54, v64
	v_sub_f32_e32 v55, v53, v52
	v_pk_add_f32 v[66:67], v[52:53], v[54:55] neg_lo:[0,1] neg_hi:[0,1]
	v_mov_b32_e32 v65, v52
	v_pk_add_f32 v[52:53], v[66:67], v[64:65] neg_lo:[0,1] neg_hi:[0,1]
	v_cvt_f32_i32_e32 v54, v129
	v_add_f32_e32 v49, v49, v53
	v_add_f32_e32 v49, v52, v49
	;; [unrolled: 1-line block ×4, first 2 shown]
	v_sub_f32_e32 v53, v52, v133
	v_mul_f32_e32 v49, v131, v49
	v_sub_f32_e32 v53, v132, v53
	v_add_f32_e32 v49, v53, v49
	v_add_f32_e32 v55, v52, v49
	v_mul_f32_e32 v64, v55, v55
	v_mov_b32_e32 v53, 0x3ecc95a3
	v_fmac_f32_e32 v53, 0x3e9b6dac, v64
	v_sub_f32_e32 v52, v55, v52
	v_fmaak_f32 v53, v64, v53, 0x3f2aaada
	v_sub_f32_e32 v49, v49, v52
	v_ldexp_f32 v65, v55, 1
	v_mul_f32_e32 v55, v55, v64
	v_mov_b32_e32 v52, 0x3f317218
	v_pk_mul_f32 v[52:53], v[54:55], v[52:53]
	v_ldexp_f32 v49, v49, 1
	v_fma_f32 v55, v54, s52, -v52
	v_fmamk_f32 v64, v54, 0xb102e308, v55
	v_pk_add_f32 v[54:55], v[52:53], v[64:65]
	v_mov_b32_e32 v66, v52
	v_sub_f32_e32 v65, v55, v65
	v_sub_f32_e32 v65, v53, v65
	v_add_f32_e32 v67, v49, v65
	v_pk_add_f32 v[52:53], v[54:55], v[52:53] neg_lo:[0,1] neg_hi:[0,1]
	v_pk_add_f32 v[130:131], v[54:55], v[66:67]
	v_mov_b32_e32 v65, v54
	v_mov_b32_e32 v53, v131
	v_pk_add_f32 v[132:133], v[64:65], v[52:53] neg_lo:[0,1] neg_hi:[0,1]
	v_pk_add_f32 v[52:53], v[64:65], v[52:53]
	v_mov_b32_e32 v66, v67
	v_mov_b32_e32 v64, v53
	v_pk_add_f32 v[134:135], v[64:65], v[54:55] neg_lo:[0,1] neg_hi:[0,1]
	v_mov_b32_e32 v52, v131
	v_mov_b32_e32 v49, v134
	v_pk_add_f32 v[144:145], v[130:131], v[48:49] neg_lo:[0,1] neg_hi:[0,1]
	v_mov_b32_e32 v130, v55
	v_mov_b32_e32 v131, v134
	;; [unrolled: 1-line block ×3, first 2 shown]
	v_pk_add_f32 v[52:53], v[52:53], v[130:131] neg_lo:[0,1] neg_hi:[0,1]
	v_mov_b32_e32 v67, v54
	v_pk_add_f32 v[52:53], v[66:67], v[52:53] neg_lo:[0,1] neg_hi:[0,1]
	v_mov_b32_e32 v144, v132
	v_pk_add_f32 v[54:55], v[144:145], v[52:53]
	v_cmp_eq_f32_e64 s[52:53], s56, v51
	v_mov_b32_e32 v66, v55
	v_pk_add_f32 v[66:67], v[54:55], v[66:67]
	s_mov_b32 s56, 0x33800000
	v_pk_add_f32 v[64:65], v[64:65], v[66:67]
	v_mov_b32_e32 v53, v66
	v_mov_b32_e32 v55, v64
	v_pk_add_f32 v[130:131], v[54:55], v[132:133] neg_lo:[0,1] neg_hi:[0,1]
	v_cmp_lt_f32_e64 s[56:57], |v51|, s56
	v_sub_f32_e32 v49, v54, v130
	v_pk_add_f32 v[52:53], v[52:53], v[130:131] neg_lo:[0,1] neg_hi:[0,1]
	v_sub_f32_e32 v49, v132, v49
	v_add_f32_e32 v49, v52, v49
	v_add_f32_e32 v49, v49, v53
	;; [unrolled: 1-line block ×3, first 2 shown]
	s_or_b64 s[52:53], s[52:53], s[56:57]
	v_cndmask_b32_e64 v49, v49, v51, s[52:53]
	v_add_f32_e32 v49, v48, v49
.LBB141_132:
	s_or_b64 exec, exec, s[54:55]
	v_cmp_eq_u32_e64 s[52:53], 0, v0
	; wave barrier
	s_nop 1
	v_cndmask_b32_e64 v49, v49, v128, s[52:53]
	ds_write_b32 v50, v49
	; wave barrier
	ds_read_b32 v48, v50 offset:4
	v_max_f32_e32 v52, v49, v49
	v_cmp_u_f32_e64 s[52:53], v49, v49
	s_waitcnt lgkmcnt(0)
	v_max_f32_e32 v53, v48, v48
	v_min_f32_e32 v51, v52, v53
	v_max_f32_e32 v52, v52, v53
	v_cndmask_b32_e64 v51, v51, v49, s[52:53]
	v_cmp_u_f32_e64 s[54:55], v48, v48
	v_cndmask_b32_e64 v52, v52, v49, s[52:53]
	s_nop 0
	v_cndmask_b32_e64 v51, v51, v48, s[54:55]
	v_cndmask_b32_e64 v48, v52, v48, s[54:55]
	v_cmp_neq_f32_e64 s[52:53], v51, v48
	v_cmp_class_f32_e64 s[54:55], v51, s13
	s_or_b64 s[52:53], s[52:53], s[54:55]
	s_and_saveexec_b64 s[54:55], s[52:53]
	s_cbranch_execz .LBB141_134
; %bb.133:
	v_sub_f32_e32 v49, v51, v48
	s_mov_b32 s13, 0x3fb8aa3b
	v_mul_f32_e32 v51, 0x3fb8aa3b, v49
	v_fma_f32 v52, v49, s13, -v51
	v_rndne_f32_e32 v53, v51
	v_fmamk_f32 v52, v49, 0x32a5705f, v52
	v_sub_f32_e32 v51, v51, v53
	v_add_f32_e32 v51, v51, v52
	v_exp_f32_e32 v51, v51
	v_cvt_i32_f32_e32 v52, v53
	s_mov_b32 s13, 0xc2ce8ed0
	v_cmp_ngt_f32_e64 s[52:53], s13, v49
	s_mov_b32 s13, 0x42b17218
	v_ldexp_f32 v51, v51, v52
	v_cndmask_b32_e64 v51, 0, v51, s[52:53]
	v_mov_b32_e32 v52, 0x7f800000
	v_cmp_nlt_f32_e64 s[52:53], s13, v49
	s_mov_b32 s13, 0x3f2aaaab
	s_mov_b32 s56, 0x7f800000
	v_cndmask_b32_e64 v51, v52, v51, s[52:53]
	v_add_f32_e32 v49, 1.0, v51
	v_add_f32_e32 v52, -1.0, v49
	v_sub_f32_e32 v53, v52, v49
	v_add_f32_e32 v53, 1.0, v53
	v_sub_f32_e32 v52, v51, v52
	v_add_f32_e32 v54, v52, v53
	v_frexp_mant_f32_e32 v55, v49
	v_cvt_f64_f32_e32 v[52:53], v49
	v_frexp_exp_i32_f64_e32 v52, v[52:53]
	v_cmp_gt_f32_e64 s[52:53], s13, v55
	s_mov_b32 s13, 0x3f317218
	s_nop 0
	v_subbrev_co_u32_e64 v129, s[52:53], 0, v52, s[52:53]
	v_sub_u32_e32 v52, 0, v129
	v_ldexp_f32 v49, v49, v52
	v_ldexp_f32 v52, v54, v52
	v_add_f32_e32 v54, -1.0, v49
	v_add_f32_e32 v53, 1.0, v54
	v_sub_f32_e32 v53, v49, v53
	v_add_f32_e32 v55, v52, v53
	v_add_f32_e32 v53, 1.0, v49
	v_add_f32_e32 v64, -1.0, v53
	v_sub_f32_e32 v49, v49, v64
	v_add_f32_e32 v49, v52, v49
	v_add_f32_e32 v130, v53, v49
	v_rcp_f32_e32 v131, v130
	v_sub_f32_e32 v52, v53, v130
	v_add_f32_e32 v53, v54, v55
	v_add_f32_e32 v49, v49, v52
	v_mul_f32_e32 v133, v53, v131
	v_sub_f32_e32 v52, v54, v53
	v_mul_f32_e32 v54, v130, v133
	v_fma_f32 v64, v133, v130, -v54
	v_fmac_f32_e32 v64, v133, v49
	v_add_f32_e32 v132, v55, v52
	v_add_f32_e32 v52, v54, v64
	v_sub_f32_e32 v55, v53, v52
	v_pk_add_f32 v[66:67], v[52:53], v[54:55] neg_lo:[0,1] neg_hi:[0,1]
	v_mov_b32_e32 v65, v52
	v_pk_add_f32 v[52:53], v[66:67], v[64:65] neg_lo:[0,1] neg_hi:[0,1]
	v_cmp_eq_f32_e64 s[52:53], s56, v51
	v_add_f32_e32 v53, v132, v53
	v_add_f32_e32 v52, v52, v53
	;; [unrolled: 1-line block ×3, first 2 shown]
	v_mul_f32_e32 v132, v131, v53
	v_mul_f32_e32 v54, v130, v132
	v_fma_f32 v64, v132, v130, -v54
	v_fmac_f32_e32 v64, v132, v49
	v_sub_f32_e32 v49, v55, v53
	v_add_f32_e32 v49, v52, v49
	v_add_f32_e32 v52, v54, v64
	v_sub_f32_e32 v55, v53, v52
	v_pk_add_f32 v[66:67], v[52:53], v[54:55] neg_lo:[0,1] neg_hi:[0,1]
	v_mov_b32_e32 v65, v52
	v_pk_add_f32 v[52:53], v[66:67], v[64:65] neg_lo:[0,1] neg_hi:[0,1]
	v_cvt_f32_i32_e32 v54, v129
	v_add_f32_e32 v49, v49, v53
	v_add_f32_e32 v49, v52, v49
	;; [unrolled: 1-line block ×4, first 2 shown]
	v_sub_f32_e32 v53, v52, v133
	v_mul_f32_e32 v49, v131, v49
	v_sub_f32_e32 v53, v132, v53
	v_add_f32_e32 v49, v53, v49
	v_add_f32_e32 v55, v52, v49
	v_mul_f32_e32 v64, v55, v55
	v_mov_b32_e32 v53, 0x3ecc95a3
	v_fmac_f32_e32 v53, 0x3e9b6dac, v64
	v_sub_f32_e32 v52, v55, v52
	v_fmaak_f32 v53, v64, v53, 0x3f2aaada
	v_sub_f32_e32 v49, v49, v52
	v_ldexp_f32 v65, v55, 1
	v_mul_f32_e32 v55, v55, v64
	v_mov_b32_e32 v52, 0x3f317218
	v_pk_mul_f32 v[52:53], v[54:55], v[52:53]
	v_ldexp_f32 v49, v49, 1
	v_fma_f32 v55, v54, s13, -v52
	v_fmamk_f32 v64, v54, 0xb102e308, v55
	v_pk_add_f32 v[54:55], v[52:53], v[64:65]
	v_mov_b32_e32 v66, v52
	v_sub_f32_e32 v65, v55, v65
	v_sub_f32_e32 v65, v53, v65
	v_add_f32_e32 v67, v49, v65
	v_pk_add_f32 v[52:53], v[54:55], v[52:53] neg_lo:[0,1] neg_hi:[0,1]
	v_pk_add_f32 v[130:131], v[54:55], v[66:67]
	v_mov_b32_e32 v65, v54
	v_mov_b32_e32 v53, v131
	v_pk_add_f32 v[132:133], v[64:65], v[52:53] neg_lo:[0,1] neg_hi:[0,1]
	v_pk_add_f32 v[52:53], v[64:65], v[52:53]
	v_mov_b32_e32 v66, v67
	v_mov_b32_e32 v64, v53
	v_pk_add_f32 v[134:135], v[64:65], v[54:55] neg_lo:[0,1] neg_hi:[0,1]
	v_mov_b32_e32 v52, v131
	v_mov_b32_e32 v49, v134
	v_pk_add_f32 v[144:145], v[130:131], v[48:49] neg_lo:[0,1] neg_hi:[0,1]
	v_mov_b32_e32 v130, v55
	v_mov_b32_e32 v131, v134
	;; [unrolled: 1-line block ×3, first 2 shown]
	v_pk_add_f32 v[52:53], v[52:53], v[130:131] neg_lo:[0,1] neg_hi:[0,1]
	v_mov_b32_e32 v67, v54
	v_pk_add_f32 v[52:53], v[66:67], v[52:53] neg_lo:[0,1] neg_hi:[0,1]
	v_mov_b32_e32 v144, v132
	v_pk_add_f32 v[54:55], v[144:145], v[52:53]
	s_mov_b32 s13, 0x33800000
	v_mov_b32_e32 v66, v55
	v_pk_add_f32 v[66:67], v[54:55], v[66:67]
	v_cmp_lt_f32_e64 s[56:57], |v51|, s13
	v_pk_add_f32 v[64:65], v[64:65], v[66:67]
	v_mov_b32_e32 v53, v66
	v_mov_b32_e32 v55, v64
	v_pk_add_f32 v[130:131], v[54:55], v[132:133] neg_lo:[0,1] neg_hi:[0,1]
	s_or_b64 s[52:53], s[52:53], s[56:57]
	v_sub_f32_e32 v49, v54, v130
	v_pk_add_f32 v[52:53], v[52:53], v[130:131] neg_lo:[0,1] neg_hi:[0,1]
	v_sub_f32_e32 v49, v132, v49
	v_add_f32_e32 v49, v52, v49
	v_add_f32_e32 v49, v49, v53
	;; [unrolled: 1-line block ×3, first 2 shown]
	v_cndmask_b32_e64 v49, v49, v51, s[52:53]
	v_add_f32_e32 v49, v48, v49
.LBB141_134:
	s_or_b64 exec, exec, s[54:55]
	ds_read_b32 v48, v50 offset:8
	v_max_f32_e32 v52, v49, v49
	v_cmp_u_f32_e64 s[52:53], v49, v49
	s_movk_i32 s13, 0x1f8
	ds_write_b32 v50, v49 offset:4
	s_waitcnt lgkmcnt(1)
	v_max_f32_e32 v53, v48, v48
	v_min_f32_e32 v51, v52, v53
	v_max_f32_e32 v52, v52, v53
	v_cndmask_b32_e64 v51, v51, v49, s[52:53]
	v_cmp_u_f32_e64 s[54:55], v48, v48
	v_cndmask_b32_e64 v52, v52, v49, s[52:53]
	s_nop 0
	v_cndmask_b32_e64 v51, v51, v48, s[54:55]
	v_cndmask_b32_e64 v48, v52, v48, s[54:55]
	v_cmp_neq_f32_e64 s[52:53], v51, v48
	v_cmp_class_f32_e64 s[54:55], v51, s13
	s_or_b64 s[52:53], s[52:53], s[54:55]
	s_and_saveexec_b64 s[54:55], s[52:53]
	s_cbranch_execz .LBB141_136
; %bb.135:
	v_sub_f32_e32 v49, v51, v48
	s_mov_b32 s52, 0x3fb8aa3b
	v_mul_f32_e32 v51, 0x3fb8aa3b, v49
	v_fma_f32 v52, v49, s52, -v51
	v_rndne_f32_e32 v53, v51
	v_fmamk_f32 v52, v49, 0x32a5705f, v52
	v_sub_f32_e32 v51, v51, v53
	v_add_f32_e32 v51, v51, v52
	v_exp_f32_e32 v51, v51
	v_cvt_i32_f32_e32 v52, v53
	s_mov_b32 s52, 0xc2ce8ed0
	v_cmp_ngt_f32_e64 s[52:53], s52, v49
	s_mov_b32 s56, 0x7f800000
	v_ldexp_f32 v51, v51, v52
	v_cndmask_b32_e64 v51, 0, v51, s[52:53]
	s_mov_b32 s52, 0x42b17218
	v_mov_b32_e32 v52, 0x7f800000
	v_cmp_nlt_f32_e64 s[52:53], s52, v49
	s_nop 1
	v_cndmask_b32_e64 v51, v52, v51, s[52:53]
	v_add_f32_e32 v49, 1.0, v51
	v_add_f32_e32 v52, -1.0, v49
	v_sub_f32_e32 v53, v52, v49
	v_add_f32_e32 v53, 1.0, v53
	v_sub_f32_e32 v52, v51, v52
	v_add_f32_e32 v54, v52, v53
	v_frexp_mant_f32_e32 v55, v49
	s_mov_b32 s52, 0x3f2aaaab
	v_cvt_f64_f32_e32 v[52:53], v49
	v_frexp_exp_i32_f64_e32 v52, v[52:53]
	v_cmp_gt_f32_e64 s[52:53], s52, v55
	s_nop 1
	v_subbrev_co_u32_e64 v129, s[52:53], 0, v52, s[52:53]
	v_sub_u32_e32 v52, 0, v129
	v_ldexp_f32 v49, v49, v52
	v_ldexp_f32 v52, v54, v52
	v_add_f32_e32 v54, -1.0, v49
	v_add_f32_e32 v53, 1.0, v54
	v_sub_f32_e32 v53, v49, v53
	v_add_f32_e32 v55, v52, v53
	v_add_f32_e32 v53, 1.0, v49
	v_add_f32_e32 v64, -1.0, v53
	v_sub_f32_e32 v49, v49, v64
	v_add_f32_e32 v49, v52, v49
	v_add_f32_e32 v130, v53, v49
	v_rcp_f32_e32 v131, v130
	v_sub_f32_e32 v52, v53, v130
	v_add_f32_e32 v53, v54, v55
	v_add_f32_e32 v49, v49, v52
	v_mul_f32_e32 v133, v53, v131
	v_sub_f32_e32 v52, v54, v53
	v_mul_f32_e32 v54, v130, v133
	v_fma_f32 v64, v133, v130, -v54
	v_fmac_f32_e32 v64, v133, v49
	v_add_f32_e32 v132, v55, v52
	v_add_f32_e32 v52, v54, v64
	v_sub_f32_e32 v55, v53, v52
	v_pk_add_f32 v[66:67], v[52:53], v[54:55] neg_lo:[0,1] neg_hi:[0,1]
	v_mov_b32_e32 v65, v52
	v_pk_add_f32 v[52:53], v[66:67], v[64:65] neg_lo:[0,1] neg_hi:[0,1]
	s_mov_b32 s52, 0x3f317218
	v_add_f32_e32 v53, v132, v53
	v_add_f32_e32 v52, v52, v53
	;; [unrolled: 1-line block ×3, first 2 shown]
	v_mul_f32_e32 v132, v131, v53
	v_mul_f32_e32 v54, v130, v132
	v_fma_f32 v64, v132, v130, -v54
	v_fmac_f32_e32 v64, v132, v49
	v_sub_f32_e32 v49, v55, v53
	v_add_f32_e32 v49, v52, v49
	v_add_f32_e32 v52, v54, v64
	v_sub_f32_e32 v55, v53, v52
	v_pk_add_f32 v[66:67], v[52:53], v[54:55] neg_lo:[0,1] neg_hi:[0,1]
	v_mov_b32_e32 v65, v52
	v_pk_add_f32 v[52:53], v[66:67], v[64:65] neg_lo:[0,1] neg_hi:[0,1]
	v_cvt_f32_i32_e32 v54, v129
	v_add_f32_e32 v49, v49, v53
	v_add_f32_e32 v49, v52, v49
	;; [unrolled: 1-line block ×4, first 2 shown]
	v_sub_f32_e32 v53, v52, v133
	v_mul_f32_e32 v49, v131, v49
	v_sub_f32_e32 v53, v132, v53
	v_add_f32_e32 v49, v53, v49
	v_add_f32_e32 v55, v52, v49
	v_mul_f32_e32 v64, v55, v55
	v_mov_b32_e32 v53, 0x3ecc95a3
	v_fmac_f32_e32 v53, 0x3e9b6dac, v64
	v_sub_f32_e32 v52, v55, v52
	v_fmaak_f32 v53, v64, v53, 0x3f2aaada
	v_sub_f32_e32 v49, v49, v52
	v_ldexp_f32 v65, v55, 1
	v_mul_f32_e32 v55, v55, v64
	v_mov_b32_e32 v52, 0x3f317218
	v_pk_mul_f32 v[52:53], v[54:55], v[52:53]
	v_ldexp_f32 v49, v49, 1
	v_fma_f32 v55, v54, s52, -v52
	v_fmamk_f32 v64, v54, 0xb102e308, v55
	v_pk_add_f32 v[54:55], v[52:53], v[64:65]
	v_mov_b32_e32 v66, v52
	v_sub_f32_e32 v65, v55, v65
	v_sub_f32_e32 v65, v53, v65
	v_add_f32_e32 v67, v49, v65
	v_pk_add_f32 v[52:53], v[54:55], v[52:53] neg_lo:[0,1] neg_hi:[0,1]
	v_pk_add_f32 v[130:131], v[54:55], v[66:67]
	v_mov_b32_e32 v65, v54
	v_mov_b32_e32 v53, v131
	v_pk_add_f32 v[132:133], v[64:65], v[52:53] neg_lo:[0,1] neg_hi:[0,1]
	v_pk_add_f32 v[52:53], v[64:65], v[52:53]
	v_mov_b32_e32 v66, v67
	v_mov_b32_e32 v64, v53
	v_pk_add_f32 v[134:135], v[64:65], v[54:55] neg_lo:[0,1] neg_hi:[0,1]
	v_mov_b32_e32 v52, v131
	v_mov_b32_e32 v49, v134
	v_pk_add_f32 v[144:145], v[130:131], v[48:49] neg_lo:[0,1] neg_hi:[0,1]
	v_mov_b32_e32 v130, v55
	v_mov_b32_e32 v131, v134
	;; [unrolled: 1-line block ×3, first 2 shown]
	v_pk_add_f32 v[52:53], v[52:53], v[130:131] neg_lo:[0,1] neg_hi:[0,1]
	v_mov_b32_e32 v67, v54
	v_pk_add_f32 v[52:53], v[66:67], v[52:53] neg_lo:[0,1] neg_hi:[0,1]
	v_mov_b32_e32 v144, v132
	v_pk_add_f32 v[54:55], v[144:145], v[52:53]
	v_cmp_eq_f32_e64 s[52:53], s56, v51
	v_mov_b32_e32 v66, v55
	v_pk_add_f32 v[66:67], v[54:55], v[66:67]
	s_mov_b32 s56, 0x33800000
	v_pk_add_f32 v[64:65], v[64:65], v[66:67]
	v_mov_b32_e32 v53, v66
	v_mov_b32_e32 v55, v64
	v_pk_add_f32 v[130:131], v[54:55], v[132:133] neg_lo:[0,1] neg_hi:[0,1]
	v_cmp_lt_f32_e64 s[56:57], |v51|, s56
	v_sub_f32_e32 v49, v54, v130
	v_pk_add_f32 v[52:53], v[52:53], v[130:131] neg_lo:[0,1] neg_hi:[0,1]
	v_sub_f32_e32 v49, v132, v49
	v_add_f32_e32 v49, v52, v49
	v_add_f32_e32 v49, v49, v53
	;; [unrolled: 1-line block ×3, first 2 shown]
	s_or_b64 s[52:53], s[52:53], s[56:57]
	v_cndmask_b32_e64 v49, v49, v51, s[52:53]
	v_add_f32_e32 v49, v48, v49
.LBB141_136:
	s_or_b64 exec, exec, s[54:55]
	ds_read_b32 v48, v50 offset:12
	v_max_f32_e32 v52, v49, v49
	v_cmp_u_f32_e64 s[52:53], v49, v49
	ds_write_b32 v50, v49 offset:8
	s_waitcnt lgkmcnt(1)
	v_max_f32_e32 v53, v48, v48
	v_min_f32_e32 v51, v52, v53
	v_max_f32_e32 v52, v52, v53
	v_cndmask_b32_e64 v51, v51, v49, s[52:53]
	v_cmp_u_f32_e64 s[54:55], v48, v48
	v_cndmask_b32_e64 v52, v52, v49, s[52:53]
	s_nop 0
	v_cndmask_b32_e64 v51, v51, v48, s[54:55]
	v_cndmask_b32_e64 v48, v52, v48, s[54:55]
	v_cmp_neq_f32_e64 s[52:53], v51, v48
	v_cmp_class_f32_e64 s[54:55], v51, s13
	s_or_b64 s[52:53], s[52:53], s[54:55]
	s_and_saveexec_b64 s[54:55], s[52:53]
	s_cbranch_execz .LBB141_138
; %bb.137:
	v_sub_f32_e32 v49, v51, v48
	s_mov_b32 s13, 0x3fb8aa3b
	v_mul_f32_e32 v51, 0x3fb8aa3b, v49
	v_fma_f32 v52, v49, s13, -v51
	v_rndne_f32_e32 v53, v51
	v_fmamk_f32 v52, v49, 0x32a5705f, v52
	v_sub_f32_e32 v51, v51, v53
	v_add_f32_e32 v51, v51, v52
	v_exp_f32_e32 v51, v51
	v_cvt_i32_f32_e32 v52, v53
	s_mov_b32 s13, 0xc2ce8ed0
	v_cmp_ngt_f32_e64 s[52:53], s13, v49
	s_mov_b32 s13, 0x42b17218
	v_ldexp_f32 v51, v51, v52
	v_cndmask_b32_e64 v51, 0, v51, s[52:53]
	v_mov_b32_e32 v52, 0x7f800000
	v_cmp_nlt_f32_e64 s[52:53], s13, v49
	s_mov_b32 s13, 0x3f2aaaab
	s_mov_b32 s56, 0x7f800000
	v_cndmask_b32_e64 v51, v52, v51, s[52:53]
	v_add_f32_e32 v49, 1.0, v51
	v_add_f32_e32 v52, -1.0, v49
	v_sub_f32_e32 v53, v52, v49
	v_add_f32_e32 v53, 1.0, v53
	v_sub_f32_e32 v52, v51, v52
	v_add_f32_e32 v54, v52, v53
	v_frexp_mant_f32_e32 v55, v49
	v_cvt_f64_f32_e32 v[52:53], v49
	v_frexp_exp_i32_f64_e32 v52, v[52:53]
	v_cmp_gt_f32_e64 s[52:53], s13, v55
	s_mov_b32 s13, 0x3f317218
	s_nop 0
	v_subbrev_co_u32_e64 v129, s[52:53], 0, v52, s[52:53]
	v_sub_u32_e32 v52, 0, v129
	v_ldexp_f32 v49, v49, v52
	v_ldexp_f32 v52, v54, v52
	v_add_f32_e32 v54, -1.0, v49
	v_add_f32_e32 v53, 1.0, v54
	v_sub_f32_e32 v53, v49, v53
	v_add_f32_e32 v55, v52, v53
	v_add_f32_e32 v53, 1.0, v49
	v_add_f32_e32 v64, -1.0, v53
	v_sub_f32_e32 v49, v49, v64
	v_add_f32_e32 v49, v52, v49
	v_add_f32_e32 v130, v53, v49
	v_rcp_f32_e32 v131, v130
	v_sub_f32_e32 v52, v53, v130
	v_add_f32_e32 v53, v54, v55
	v_add_f32_e32 v49, v49, v52
	v_mul_f32_e32 v133, v53, v131
	v_sub_f32_e32 v52, v54, v53
	v_mul_f32_e32 v54, v130, v133
	v_fma_f32 v64, v133, v130, -v54
	v_fmac_f32_e32 v64, v133, v49
	v_add_f32_e32 v132, v55, v52
	v_add_f32_e32 v52, v54, v64
	v_sub_f32_e32 v55, v53, v52
	v_pk_add_f32 v[66:67], v[52:53], v[54:55] neg_lo:[0,1] neg_hi:[0,1]
	v_mov_b32_e32 v65, v52
	v_pk_add_f32 v[52:53], v[66:67], v[64:65] neg_lo:[0,1] neg_hi:[0,1]
	v_cmp_eq_f32_e64 s[52:53], s56, v51
	v_add_f32_e32 v53, v132, v53
	v_add_f32_e32 v52, v52, v53
	;; [unrolled: 1-line block ×3, first 2 shown]
	v_mul_f32_e32 v132, v131, v53
	v_mul_f32_e32 v54, v130, v132
	v_fma_f32 v64, v132, v130, -v54
	v_fmac_f32_e32 v64, v132, v49
	v_sub_f32_e32 v49, v55, v53
	v_add_f32_e32 v49, v52, v49
	v_add_f32_e32 v52, v54, v64
	v_sub_f32_e32 v55, v53, v52
	v_pk_add_f32 v[66:67], v[52:53], v[54:55] neg_lo:[0,1] neg_hi:[0,1]
	v_mov_b32_e32 v65, v52
	v_pk_add_f32 v[52:53], v[66:67], v[64:65] neg_lo:[0,1] neg_hi:[0,1]
	v_cvt_f32_i32_e32 v54, v129
	v_add_f32_e32 v49, v49, v53
	v_add_f32_e32 v49, v52, v49
	;; [unrolled: 1-line block ×4, first 2 shown]
	v_sub_f32_e32 v53, v52, v133
	v_mul_f32_e32 v49, v131, v49
	v_sub_f32_e32 v53, v132, v53
	v_add_f32_e32 v49, v53, v49
	v_add_f32_e32 v55, v52, v49
	v_mul_f32_e32 v64, v55, v55
	v_mov_b32_e32 v53, 0x3ecc95a3
	v_fmac_f32_e32 v53, 0x3e9b6dac, v64
	v_sub_f32_e32 v52, v55, v52
	v_fmaak_f32 v53, v64, v53, 0x3f2aaada
	v_sub_f32_e32 v49, v49, v52
	v_ldexp_f32 v65, v55, 1
	v_mul_f32_e32 v55, v55, v64
	v_mov_b32_e32 v52, 0x3f317218
	v_pk_mul_f32 v[52:53], v[54:55], v[52:53]
	v_ldexp_f32 v49, v49, 1
	v_fma_f32 v55, v54, s13, -v52
	v_fmamk_f32 v64, v54, 0xb102e308, v55
	v_pk_add_f32 v[54:55], v[52:53], v[64:65]
	v_mov_b32_e32 v66, v52
	v_sub_f32_e32 v65, v55, v65
	v_sub_f32_e32 v65, v53, v65
	v_add_f32_e32 v67, v49, v65
	v_pk_add_f32 v[52:53], v[54:55], v[52:53] neg_lo:[0,1] neg_hi:[0,1]
	v_pk_add_f32 v[130:131], v[54:55], v[66:67]
	v_mov_b32_e32 v65, v54
	v_mov_b32_e32 v53, v131
	v_pk_add_f32 v[132:133], v[64:65], v[52:53] neg_lo:[0,1] neg_hi:[0,1]
	v_pk_add_f32 v[52:53], v[64:65], v[52:53]
	v_mov_b32_e32 v66, v67
	v_mov_b32_e32 v64, v53
	v_pk_add_f32 v[134:135], v[64:65], v[54:55] neg_lo:[0,1] neg_hi:[0,1]
	v_mov_b32_e32 v52, v131
	v_mov_b32_e32 v49, v134
	v_pk_add_f32 v[144:145], v[130:131], v[48:49] neg_lo:[0,1] neg_hi:[0,1]
	v_mov_b32_e32 v130, v55
	v_mov_b32_e32 v131, v134
	;; [unrolled: 1-line block ×3, first 2 shown]
	v_pk_add_f32 v[52:53], v[52:53], v[130:131] neg_lo:[0,1] neg_hi:[0,1]
	v_mov_b32_e32 v67, v54
	v_pk_add_f32 v[52:53], v[66:67], v[52:53] neg_lo:[0,1] neg_hi:[0,1]
	v_mov_b32_e32 v144, v132
	v_pk_add_f32 v[54:55], v[144:145], v[52:53]
	s_mov_b32 s13, 0x33800000
	v_mov_b32_e32 v66, v55
	v_pk_add_f32 v[66:67], v[54:55], v[66:67]
	v_cmp_lt_f32_e64 s[56:57], |v51|, s13
	v_pk_add_f32 v[64:65], v[64:65], v[66:67]
	v_mov_b32_e32 v53, v66
	v_mov_b32_e32 v55, v64
	v_pk_add_f32 v[130:131], v[54:55], v[132:133] neg_lo:[0,1] neg_hi:[0,1]
	s_or_b64 s[52:53], s[52:53], s[56:57]
	v_sub_f32_e32 v49, v54, v130
	v_pk_add_f32 v[52:53], v[52:53], v[130:131] neg_lo:[0,1] neg_hi:[0,1]
	v_sub_f32_e32 v49, v132, v49
	v_add_f32_e32 v49, v52, v49
	v_add_f32_e32 v49, v49, v53
	;; [unrolled: 1-line block ×3, first 2 shown]
	v_cndmask_b32_e64 v49, v49, v51, s[52:53]
	v_add_f32_e32 v49, v48, v49
.LBB141_138:
	s_or_b64 exec, exec, s[54:55]
	ds_write_b32 v50, v49 offset:12
.LBB141_139:
	s_or_b64 exec, exec, s[60:61]
	v_cmp_eq_u32_e64 s[54:55], 0, v0
	v_cmp_ne_u32_e64 s[52:53], 0, v0
	s_waitcnt lgkmcnt(0)
	s_barrier
	s_and_saveexec_b64 s[56:57], s[52:53]
	s_cbranch_execz .LBB141_141
; %bb.140:
	v_add_u32_e32 v48, -1, v0
	v_lshrrev_b32_e32 v49, 5, v48
	v_add_lshl_u32 v48, v49, v48, 2
	ds_read_b32 v128, v48
.LBB141_141:
	s_or_b64 exec, exec, s[56:57]
	s_and_saveexec_b64 s[64:65], vcc
	s_cbranch_execz .LBB141_216
; %bb.142:
	v_mov_b32_e32 v65, 0
	ds_read_b32 v48, v65 offset:1048
	v_mbcnt_lo_u32_b32 v49, -1, 0
	v_mbcnt_hi_u32_b32 v51, -1, v49
	s_mov_b32 s61, 0
	v_cmp_eq_u32_e64 s[56:57], 0, v51
	s_and_saveexec_b64 vcc, s[56:57]
	s_cbranch_execz .LBB141_144
; %bb.143:
	s_add_i32 s60, s12, 64
	v_lshl_add_u64 v[52:53], s[60:61], 3, v[96:97]
	v_mov_b32_e32 v49, 1
	s_waitcnt lgkmcnt(0)
	flat_store_dwordx2 v[52:53], v[48:49] sc1
.LBB141_144:
	s_or_b64 exec, exec, vcc
	v_xad_u32 v50, v51, -1, s12
	v_add_u32_e32 v64, 64, v50
	v_lshl_add_u64 v[52:53], v[64:65], 3, v[96:97]
	flat_load_dwordx2 v[54:55], v[52:53] sc1
	s_waitcnt vmcnt(0) lgkmcnt(0)
	v_cmp_eq_u16_sdwa s[60:61], v55, v65 src0_sel:BYTE_0 src1_sel:DWORD
	s_and_saveexec_b64 vcc, s[60:61]
	s_cbranch_execz .LBB141_150
; %bb.145:
	s_mov_b32 s13, 1
	s_mov_b64 s[60:61], 0
	v_mov_b32_e32 v49, 0
.LBB141_146:                            ; =>This Loop Header: Depth=1
                                        ;     Child Loop BB141_147 Depth 2
	s_max_u32 s66, s13, 1
.LBB141_147:                            ;   Parent Loop BB141_146 Depth=1
                                        ; =>  This Inner Loop Header: Depth=2
	s_add_i32 s66, s66, -1
	s_cmp_eq_u32 s66, 0
	s_sleep 1
	s_cbranch_scc0 .LBB141_147
; %bb.148:                              ;   in Loop: Header=BB141_146 Depth=1
	flat_load_dwordx2 v[54:55], v[52:53] sc1
	s_cmp_lt_u32 s13, 32
	s_cselect_b64 s[66:67], -1, 0
	s_cmp_lg_u64 s[66:67], 0
	s_addc_u32 s13, s13, 0
	s_waitcnt vmcnt(0) lgkmcnt(0)
	v_cmp_ne_u16_sdwa s[66:67], v55, v49 src0_sel:BYTE_0 src1_sel:DWORD
	s_or_b64 s[60:61], s[66:67], s[60:61]
	s_andn2_b64 exec, exec, s[60:61]
	s_cbranch_execnz .LBB141_146
; %bb.149:
	s_or_b64 exec, exec, s[60:61]
.LBB141_150:
	s_or_b64 exec, exec, vcc
	v_mov_b32_e32 v49, 2
	v_cmp_eq_u16_sdwa vcc, v55, v49 src0_sel:BYTE_0 src1_sel:DWORD
	v_lshlrev_b64 v[52:53], v51, -1
	s_nop 0
	v_and_b32_e32 v49, vcc_hi, v53
	v_or_b32_e32 v49, 0x80000000, v49
	v_ffbl_b32_e32 v49, v49
	v_add_u32_e32 v65, 32, v49
	v_and_b32_e32 v49, 63, v51
	v_and_b32_e32 v64, vcc_lo, v52
	v_cmp_ne_u32_e32 vcc, 63, v49
	v_ffbl_b32_e32 v64, v64
	v_min_u32_e32 v64, v64, v65
	v_addc_co_u32_e32 v66, vcc, 0, v51, vcc
	v_lshlrev_b32_e32 v129, 2, v66
	ds_bpermute_b32 v66, v129, v54
	v_cmp_lt_u32_e32 vcc, v49, v64
	v_mov_b32_e32 v65, v54
	s_and_saveexec_b64 s[66:67], vcc
	s_cbranch_execz .LBB141_154
; %bb.151:
	v_max_f32_e32 v67, v54, v54
	s_waitcnt lgkmcnt(0)
	v_max_f32_e32 v130, v66, v66
	v_min_f32_e32 v65, v130, v67
	v_cmp_u_f32_e32 vcc, v66, v66
	v_max_f32_e32 v67, v130, v67
	v_cmp_u_f32_e64 s[60:61], v54, v54
	v_cndmask_b32_e32 v65, v65, v66, vcc
	v_cndmask_b32_e32 v67, v67, v66, vcc
	v_cndmask_b32_e64 v65, v65, v54, s[60:61]
	v_cndmask_b32_e64 v54, v67, v54, s[60:61]
	s_movk_i32 s13, 0x1f8
	v_cmp_neq_f32_e32 vcc, v65, v54
	v_cmp_class_f32_e64 s[60:61], v65, s13
	s_or_b64 vcc, vcc, s[60:61]
	s_and_saveexec_b64 s[60:61], vcc
	s_cbranch_execz .LBB141_153
; %bb.152:
	v_sub_f32_e32 v65, v65, v54
	s_mov_b32 s13, 0x3fb8aa3b
	v_mul_f32_e32 v66, 0x3fb8aa3b, v65
	v_fma_f32 v67, v65, s13, -v66
	v_rndne_f32_e32 v130, v66
	v_fmamk_f32 v67, v65, 0x32a5705f, v67
	v_sub_f32_e32 v66, v66, v130
	v_add_f32_e32 v66, v66, v67
	v_exp_f32_e32 v66, v66
	v_cvt_i32_f32_e32 v67, v130
	s_mov_b32 s13, 0xc2ce8ed0
	v_cmp_ngt_f32_e32 vcc, s13, v65
	s_mov_b32 s13, 0x42b17218
	v_ldexp_f32 v66, v66, v67
	v_cndmask_b32_e32 v66, 0, v66, vcc
	v_mov_b32_e32 v67, 0x7f800000
	v_cmp_nlt_f32_e32 vcc, s13, v65
	s_mov_b32 s13, 0x3f2aaaab
	s_mov_b32 s68, 0x7f800000
	v_cndmask_b32_e32 v160, v67, v66, vcc
	v_add_f32_e32 v65, 1.0, v160
	v_add_f32_e32 v66, -1.0, v65
	v_sub_f32_e32 v67, v66, v65
	v_add_f32_e32 v67, 1.0, v67
	v_sub_f32_e32 v66, v160, v66
	v_add_f32_e32 v130, v66, v67
	v_frexp_mant_f32_e32 v131, v65
	v_cvt_f64_f32_e32 v[66:67], v65
	v_frexp_exp_i32_f64_e32 v66, v[66:67]
	v_cmp_gt_f32_e32 vcc, s13, v131
	s_mov_b32 s13, 0x3f317218
	s_nop 0
	v_subbrev_co_u32_e32 v144, vcc, 0, v66, vcc
	v_sub_u32_e32 v66, 0, v144
	v_ldexp_f32 v65, v65, v66
	v_ldexp_f32 v66, v130, v66
	v_add_f32_e32 v130, -1.0, v65
	v_add_f32_e32 v67, 1.0, v130
	v_sub_f32_e32 v67, v65, v67
	v_add_f32_e32 v131, v66, v67
	v_add_f32_e32 v67, 1.0, v65
	v_add_f32_e32 v132, -1.0, v67
	v_sub_f32_e32 v65, v65, v132
	v_add_f32_e32 v65, v66, v65
	v_add_f32_e32 v145, v67, v65
	v_rcp_f32_e32 v146, v145
	v_sub_f32_e32 v66, v67, v145
	v_add_f32_e32 v67, v130, v131
	v_add_f32_e32 v65, v65, v66
	v_mul_f32_e32 v148, v67, v146
	v_sub_f32_e32 v66, v130, v67
	v_mul_f32_e32 v130, v145, v148
	v_fma_f32 v132, v148, v145, -v130
	v_fmac_f32_e32 v132, v148, v65
	v_add_f32_e32 v147, v131, v66
	v_add_f32_e32 v66, v130, v132
	v_sub_f32_e32 v131, v67, v66
	v_pk_add_f32 v[134:135], v[66:67], v[130:131] neg_lo:[0,1] neg_hi:[0,1]
	v_mov_b32_e32 v133, v66
	v_pk_add_f32 v[66:67], v[134:135], v[132:133] neg_lo:[0,1] neg_hi:[0,1]
	v_cmp_eq_f32_e32 vcc, s68, v160
	v_add_f32_e32 v67, v147, v67
	v_add_f32_e32 v66, v66, v67
	;; [unrolled: 1-line block ×3, first 2 shown]
	v_mul_f32_e32 v147, v146, v67
	v_mul_f32_e32 v130, v145, v147
	v_fma_f32 v132, v147, v145, -v130
	v_fmac_f32_e32 v132, v147, v65
	v_sub_f32_e32 v65, v131, v67
	v_add_f32_e32 v65, v66, v65
	v_add_f32_e32 v66, v130, v132
	v_sub_f32_e32 v131, v67, v66
	v_pk_add_f32 v[134:135], v[66:67], v[130:131] neg_lo:[0,1] neg_hi:[0,1]
	v_mov_b32_e32 v133, v66
	v_pk_add_f32 v[66:67], v[134:135], v[132:133] neg_lo:[0,1] neg_hi:[0,1]
	v_cvt_f32_i32_e32 v130, v144
	v_add_f32_e32 v65, v65, v67
	v_add_f32_e32 v65, v66, v65
	;; [unrolled: 1-line block ×4, first 2 shown]
	v_sub_f32_e32 v67, v66, v148
	v_mul_f32_e32 v65, v146, v65
	v_sub_f32_e32 v67, v147, v67
	v_add_f32_e32 v65, v67, v65
	v_add_f32_e32 v131, v66, v65
	v_mul_f32_e32 v132, v131, v131
	v_mov_b32_e32 v67, 0x3ecc95a3
	v_fmac_f32_e32 v67, 0x3e9b6dac, v132
	v_sub_f32_e32 v66, v131, v66
	v_fmaak_f32 v67, v132, v67, 0x3f2aaada
	v_sub_f32_e32 v65, v65, v66
	v_ldexp_f32 v133, v131, 1
	v_mul_f32_e32 v131, v131, v132
	v_mov_b32_e32 v66, 0x3f317218
	v_pk_mul_f32 v[66:67], v[130:131], v[66:67]
	v_ldexp_f32 v65, v65, 1
	v_fma_f32 v131, v130, s13, -v66
	v_fmamk_f32 v132, v130, 0xb102e308, v131
	v_pk_add_f32 v[130:131], v[66:67], v[132:133]
	v_mov_b32_e32 v134, v66
	v_sub_f32_e32 v133, v131, v133
	v_sub_f32_e32 v133, v67, v133
	v_add_f32_e32 v135, v65, v133
	v_pk_add_f32 v[66:67], v[130:131], v[66:67] neg_lo:[0,1] neg_hi:[0,1]
	v_pk_add_f32 v[144:145], v[130:131], v[134:135]
	v_mov_b32_e32 v133, v130
	v_mov_b32_e32 v67, v145
	v_pk_add_f32 v[146:147], v[132:133], v[66:67] neg_lo:[0,1] neg_hi:[0,1]
	v_pk_add_f32 v[66:67], v[132:133], v[66:67]
	v_mov_b32_e32 v134, v135
	v_mov_b32_e32 v132, v67
	v_pk_add_f32 v[148:149], v[132:133], v[130:131] neg_lo:[0,1] neg_hi:[0,1]
	v_mov_b32_e32 v66, v145
	v_mov_b32_e32 v65, v148
	v_pk_add_f32 v[150:151], v[144:145], v[64:65] neg_lo:[0,1] neg_hi:[0,1]
	v_mov_b32_e32 v144, v131
	v_mov_b32_e32 v145, v148
	;; [unrolled: 1-line block ×3, first 2 shown]
	v_pk_add_f32 v[66:67], v[66:67], v[144:145] neg_lo:[0,1] neg_hi:[0,1]
	v_mov_b32_e32 v135, v130
	v_pk_add_f32 v[66:67], v[134:135], v[66:67] neg_lo:[0,1] neg_hi:[0,1]
	v_mov_b32_e32 v150, v146
	v_pk_add_f32 v[130:131], v[150:151], v[66:67]
	s_mov_b32 s13, 0x33800000
	v_mov_b32_e32 v134, v131
	v_pk_add_f32 v[134:135], v[130:131], v[134:135]
	v_cmp_lt_f32_e64 s[68:69], |v160|, s13
	v_pk_add_f32 v[132:133], v[132:133], v[134:135]
	v_mov_b32_e32 v67, v134
	v_mov_b32_e32 v131, v132
	v_pk_add_f32 v[144:145], v[130:131], v[146:147] neg_lo:[0,1] neg_hi:[0,1]
	s_or_b64 vcc, vcc, s[68:69]
	v_sub_f32_e32 v65, v130, v144
	v_pk_add_f32 v[66:67], v[66:67], v[144:145] neg_lo:[0,1] neg_hi:[0,1]
	v_sub_f32_e32 v65, v146, v65
	v_add_f32_e32 v65, v66, v65
	v_add_f32_e32 v65, v65, v67
	;; [unrolled: 1-line block ×3, first 2 shown]
	v_cndmask_b32_e32 v65, v65, v160, vcc
	v_add_f32_e32 v66, v54, v65
.LBB141_153:
	s_or_b64 exec, exec, s[60:61]
	v_mov_b32_e32 v54, v66
	v_mov_b32_e32 v65, v66
.LBB141_154:
	s_or_b64 exec, exec, s[66:67]
	v_cmp_gt_u32_e32 vcc, 62, v49
	v_add_u32_e32 v131, 2, v49
	s_waitcnt lgkmcnt(0)
	v_cndmask_b32_e64 v66, 0, 1, vcc
	v_lshlrev_b32_e32 v66, 1, v66
	v_add_lshl_u32 v130, v66, v51, 2
	ds_bpermute_b32 v66, v130, v54
	v_cmp_le_u32_e32 vcc, v131, v64
	s_and_saveexec_b64 s[66:67], vcc
	s_cbranch_execz .LBB141_158
; %bb.155:
	v_max_f32_e32 v54, v65, v65
	s_waitcnt lgkmcnt(0)
	v_max_f32_e32 v132, v66, v66
	v_min_f32_e32 v67, v132, v54
	v_cmp_u_f32_e32 vcc, v66, v66
	v_max_f32_e32 v54, v132, v54
	v_cmp_u_f32_e64 s[60:61], v65, v65
	v_cndmask_b32_e32 v67, v67, v66, vcc
	v_cndmask_b32_e32 v54, v54, v66, vcc
	v_cndmask_b32_e64 v67, v67, v65, s[60:61]
	v_cndmask_b32_e64 v54, v54, v65, s[60:61]
	s_movk_i32 s13, 0x1f8
	v_cmp_neq_f32_e32 vcc, v67, v54
	v_cmp_class_f32_e64 s[60:61], v67, s13
	s_or_b64 vcc, vcc, s[60:61]
	s_and_saveexec_b64 s[60:61], vcc
	s_cbranch_execz .LBB141_157
; %bb.156:
	v_sub_f32_e32 v65, v67, v54
	s_mov_b32 s13, 0x3fb8aa3b
	v_mul_f32_e32 v66, 0x3fb8aa3b, v65
	v_fma_f32 v67, v65, s13, -v66
	v_rndne_f32_e32 v132, v66
	v_fmamk_f32 v67, v65, 0x32a5705f, v67
	v_sub_f32_e32 v66, v66, v132
	v_add_f32_e32 v66, v66, v67
	v_exp_f32_e32 v66, v66
	v_cvt_i32_f32_e32 v67, v132
	s_mov_b32 s13, 0xc2ce8ed0
	v_cmp_ngt_f32_e32 vcc, s13, v65
	s_mov_b32 s13, 0x42b17218
	v_ldexp_f32 v66, v66, v67
	v_cndmask_b32_e32 v66, 0, v66, vcc
	v_mov_b32_e32 v67, 0x7f800000
	v_cmp_nlt_f32_e32 vcc, s13, v65
	s_mov_b32 s13, 0x3f2aaaab
	s_mov_b32 s68, 0x7f800000
	v_cndmask_b32_e32 v162, v67, v66, vcc
	v_add_f32_e32 v65, 1.0, v162
	v_add_f32_e32 v66, -1.0, v65
	v_sub_f32_e32 v67, v66, v65
	v_add_f32_e32 v67, 1.0, v67
	v_sub_f32_e32 v66, v162, v66
	v_add_f32_e32 v132, v66, v67
	v_frexp_mant_f32_e32 v133, v65
	v_cvt_f64_f32_e32 v[66:67], v65
	v_frexp_exp_i32_f64_e32 v66, v[66:67]
	v_cmp_gt_f32_e32 vcc, s13, v133
	s_mov_b32 s13, 0x3f317218
	s_nop 0
	v_subbrev_co_u32_e32 v146, vcc, 0, v66, vcc
	v_sub_u32_e32 v66, 0, v146
	v_ldexp_f32 v65, v65, v66
	v_ldexp_f32 v66, v132, v66
	v_add_f32_e32 v132, -1.0, v65
	v_add_f32_e32 v67, 1.0, v132
	v_sub_f32_e32 v67, v65, v67
	v_add_f32_e32 v133, v66, v67
	v_add_f32_e32 v67, 1.0, v65
	v_add_f32_e32 v134, -1.0, v67
	v_sub_f32_e32 v65, v65, v134
	v_add_f32_e32 v65, v66, v65
	v_add_f32_e32 v147, v67, v65
	v_rcp_f32_e32 v148, v147
	v_sub_f32_e32 v66, v67, v147
	v_add_f32_e32 v67, v132, v133
	v_add_f32_e32 v65, v65, v66
	v_mul_f32_e32 v150, v67, v148
	v_sub_f32_e32 v66, v132, v67
	v_mul_f32_e32 v132, v147, v150
	v_fma_f32 v134, v150, v147, -v132
	v_fmac_f32_e32 v134, v150, v65
	v_add_f32_e32 v149, v133, v66
	v_add_f32_e32 v66, v132, v134
	v_sub_f32_e32 v133, v67, v66
	v_pk_add_f32 v[144:145], v[66:67], v[132:133] neg_lo:[0,1] neg_hi:[0,1]
	v_mov_b32_e32 v135, v66
	v_pk_add_f32 v[66:67], v[144:145], v[134:135] neg_lo:[0,1] neg_hi:[0,1]
	v_cmp_eq_f32_e32 vcc, s68, v162
	v_add_f32_e32 v67, v149, v67
	v_add_f32_e32 v66, v66, v67
	;; [unrolled: 1-line block ×3, first 2 shown]
	v_mul_f32_e32 v149, v148, v67
	v_mul_f32_e32 v132, v147, v149
	v_fma_f32 v134, v149, v147, -v132
	v_fmac_f32_e32 v134, v149, v65
	v_sub_f32_e32 v65, v133, v67
	v_add_f32_e32 v65, v66, v65
	v_add_f32_e32 v66, v132, v134
	v_sub_f32_e32 v133, v67, v66
	v_pk_add_f32 v[144:145], v[66:67], v[132:133] neg_lo:[0,1] neg_hi:[0,1]
	v_mov_b32_e32 v135, v66
	v_pk_add_f32 v[66:67], v[144:145], v[134:135] neg_lo:[0,1] neg_hi:[0,1]
	v_cvt_f32_i32_e32 v132, v146
	v_add_f32_e32 v65, v65, v67
	v_add_f32_e32 v65, v66, v65
	;; [unrolled: 1-line block ×4, first 2 shown]
	v_sub_f32_e32 v67, v66, v150
	v_mul_f32_e32 v65, v148, v65
	v_sub_f32_e32 v67, v149, v67
	v_add_f32_e32 v65, v67, v65
	v_add_f32_e32 v133, v66, v65
	v_mul_f32_e32 v134, v133, v133
	v_mov_b32_e32 v67, 0x3ecc95a3
	v_fmac_f32_e32 v67, 0x3e9b6dac, v134
	v_sub_f32_e32 v66, v133, v66
	v_fmaak_f32 v67, v134, v67, 0x3f2aaada
	v_sub_f32_e32 v65, v65, v66
	v_ldexp_f32 v135, v133, 1
	v_mul_f32_e32 v133, v133, v134
	v_mov_b32_e32 v66, 0x3f317218
	v_pk_mul_f32 v[66:67], v[132:133], v[66:67]
	v_ldexp_f32 v65, v65, 1
	v_fma_f32 v133, v132, s13, -v66
	v_fmamk_f32 v134, v132, 0xb102e308, v133
	v_pk_add_f32 v[132:133], v[66:67], v[134:135]
	v_mov_b32_e32 v144, v66
	v_sub_f32_e32 v135, v133, v135
	v_sub_f32_e32 v135, v67, v135
	v_add_f32_e32 v145, v65, v135
	v_pk_add_f32 v[66:67], v[132:133], v[66:67] neg_lo:[0,1] neg_hi:[0,1]
	v_pk_add_f32 v[146:147], v[132:133], v[144:145]
	v_mov_b32_e32 v135, v132
	v_mov_b32_e32 v67, v147
	v_pk_add_f32 v[148:149], v[134:135], v[66:67] neg_lo:[0,1] neg_hi:[0,1]
	v_pk_add_f32 v[66:67], v[134:135], v[66:67]
	v_mov_b32_e32 v144, v145
	v_mov_b32_e32 v134, v67
	v_pk_add_f32 v[150:151], v[134:135], v[132:133] neg_lo:[0,1] neg_hi:[0,1]
	v_mov_b32_e32 v66, v147
	v_mov_b32_e32 v65, v150
	v_pk_add_f32 v[160:161], v[146:147], v[64:65] neg_lo:[0,1] neg_hi:[0,1]
	v_mov_b32_e32 v146, v133
	v_mov_b32_e32 v147, v150
	;; [unrolled: 1-line block ×3, first 2 shown]
	v_pk_add_f32 v[66:67], v[66:67], v[146:147] neg_lo:[0,1] neg_hi:[0,1]
	v_mov_b32_e32 v145, v132
	v_pk_add_f32 v[66:67], v[144:145], v[66:67] neg_lo:[0,1] neg_hi:[0,1]
	v_mov_b32_e32 v160, v148
	v_pk_add_f32 v[132:133], v[160:161], v[66:67]
	s_mov_b32 s13, 0x33800000
	v_mov_b32_e32 v144, v133
	v_pk_add_f32 v[144:145], v[132:133], v[144:145]
	v_cmp_lt_f32_e64 s[68:69], |v162|, s13
	v_pk_add_f32 v[134:135], v[134:135], v[144:145]
	v_mov_b32_e32 v67, v144
	v_mov_b32_e32 v133, v134
	v_pk_add_f32 v[146:147], v[132:133], v[148:149] neg_lo:[0,1] neg_hi:[0,1]
	s_or_b64 vcc, vcc, s[68:69]
	v_sub_f32_e32 v65, v132, v146
	v_pk_add_f32 v[66:67], v[66:67], v[146:147] neg_lo:[0,1] neg_hi:[0,1]
	v_sub_f32_e32 v65, v148, v65
	v_add_f32_e32 v65, v66, v65
	v_add_f32_e32 v65, v65, v67
	;; [unrolled: 1-line block ×3, first 2 shown]
	v_cndmask_b32_e32 v65, v65, v162, vcc
	v_add_f32_e32 v66, v54, v65
.LBB141_157:
	s_or_b64 exec, exec, s[60:61]
	v_mov_b32_e32 v54, v66
	v_mov_b32_e32 v65, v66
.LBB141_158:
	s_or_b64 exec, exec, s[66:67]
	v_cmp_gt_u32_e32 vcc, 60, v49
	v_add_u32_e32 v133, 4, v49
	s_waitcnt lgkmcnt(0)
	v_cndmask_b32_e64 v66, 0, 1, vcc
	v_lshlrev_b32_e32 v66, 2, v66
	v_add_lshl_u32 v132, v66, v51, 2
	ds_bpermute_b32 v66, v132, v54
	v_cmp_le_u32_e32 vcc, v133, v64
	s_and_saveexec_b64 s[66:67], vcc
	s_cbranch_execz .LBB141_162
; %bb.159:
	v_max_f32_e32 v54, v65, v65
	s_waitcnt lgkmcnt(0)
	v_max_f32_e32 v134, v66, v66
	v_min_f32_e32 v67, v134, v54
	v_cmp_u_f32_e32 vcc, v66, v66
	v_max_f32_e32 v54, v134, v54
	v_cmp_u_f32_e64 s[60:61], v65, v65
	v_cndmask_b32_e32 v67, v67, v66, vcc
	v_cndmask_b32_e32 v54, v54, v66, vcc
	v_cndmask_b32_e64 v67, v67, v65, s[60:61]
	v_cndmask_b32_e64 v54, v54, v65, s[60:61]
	s_movk_i32 s13, 0x1f8
	v_cmp_neq_f32_e32 vcc, v67, v54
	v_cmp_class_f32_e64 s[60:61], v67, s13
	s_or_b64 vcc, vcc, s[60:61]
	s_and_saveexec_b64 s[60:61], vcc
	s_cbranch_execz .LBB141_161
; %bb.160:
	v_sub_f32_e32 v65, v67, v54
	s_mov_b32 s13, 0x3fb8aa3b
	v_mul_f32_e32 v66, 0x3fb8aa3b, v65
	v_fma_f32 v67, v65, s13, -v66
	v_rndne_f32_e32 v134, v66
	v_fmamk_f32 v67, v65, 0x32a5705f, v67
	v_sub_f32_e32 v66, v66, v134
	v_add_f32_e32 v66, v66, v67
	v_exp_f32_e32 v66, v66
	v_cvt_i32_f32_e32 v67, v134
	s_mov_b32 s13, 0xc2ce8ed0
	v_cmp_ngt_f32_e32 vcc, s13, v65
	s_mov_b32 s13, 0x42b17218
	v_ldexp_f32 v66, v66, v67
	v_cndmask_b32_e32 v66, 0, v66, vcc
	v_mov_b32_e32 v67, 0x7f800000
	v_cmp_nlt_f32_e32 vcc, s13, v65
	s_mov_b32 s13, 0x3f2aaaab
	s_mov_b32 s68, 0x7f800000
	v_cndmask_b32_e32 v164, v67, v66, vcc
	v_add_f32_e32 v65, 1.0, v164
	v_add_f32_e32 v66, -1.0, v65
	v_sub_f32_e32 v67, v66, v65
	v_add_f32_e32 v67, 1.0, v67
	v_sub_f32_e32 v66, v164, v66
	v_add_f32_e32 v134, v66, v67
	v_frexp_mant_f32_e32 v135, v65
	v_cvt_f64_f32_e32 v[66:67], v65
	v_frexp_exp_i32_f64_e32 v66, v[66:67]
	v_cmp_gt_f32_e32 vcc, s13, v135
	s_mov_b32 s13, 0x3f317218
	s_nop 0
	v_subbrev_co_u32_e32 v148, vcc, 0, v66, vcc
	v_sub_u32_e32 v66, 0, v148
	v_ldexp_f32 v65, v65, v66
	v_ldexp_f32 v66, v134, v66
	v_add_f32_e32 v134, -1.0, v65
	v_add_f32_e32 v67, 1.0, v134
	v_sub_f32_e32 v67, v65, v67
	v_add_f32_e32 v135, v66, v67
	v_add_f32_e32 v67, 1.0, v65
	v_add_f32_e32 v144, -1.0, v67
	v_sub_f32_e32 v65, v65, v144
	v_add_f32_e32 v65, v66, v65
	v_add_f32_e32 v149, v67, v65
	v_rcp_f32_e32 v150, v149
	v_sub_f32_e32 v66, v67, v149
	v_add_f32_e32 v67, v134, v135
	v_add_f32_e32 v65, v65, v66
	v_mul_f32_e32 v160, v67, v150
	v_sub_f32_e32 v66, v134, v67
	v_mul_f32_e32 v134, v149, v160
	v_fma_f32 v144, v160, v149, -v134
	v_fmac_f32_e32 v144, v160, v65
	v_add_f32_e32 v151, v135, v66
	v_add_f32_e32 v66, v134, v144
	v_sub_f32_e32 v135, v67, v66
	v_pk_add_f32 v[146:147], v[66:67], v[134:135] neg_lo:[0,1] neg_hi:[0,1]
	v_mov_b32_e32 v145, v66
	v_pk_add_f32 v[66:67], v[146:147], v[144:145] neg_lo:[0,1] neg_hi:[0,1]
	v_cmp_eq_f32_e32 vcc, s68, v164
	v_add_f32_e32 v67, v151, v67
	v_add_f32_e32 v66, v66, v67
	;; [unrolled: 1-line block ×3, first 2 shown]
	v_mul_f32_e32 v151, v150, v67
	v_mul_f32_e32 v134, v149, v151
	v_fma_f32 v144, v151, v149, -v134
	v_fmac_f32_e32 v144, v151, v65
	v_sub_f32_e32 v65, v135, v67
	v_add_f32_e32 v65, v66, v65
	v_add_f32_e32 v66, v134, v144
	v_sub_f32_e32 v135, v67, v66
	v_pk_add_f32 v[146:147], v[66:67], v[134:135] neg_lo:[0,1] neg_hi:[0,1]
	v_mov_b32_e32 v145, v66
	v_pk_add_f32 v[66:67], v[146:147], v[144:145] neg_lo:[0,1] neg_hi:[0,1]
	v_cvt_f32_i32_e32 v134, v148
	v_add_f32_e32 v65, v65, v67
	v_add_f32_e32 v65, v66, v65
	;; [unrolled: 1-line block ×4, first 2 shown]
	v_sub_f32_e32 v67, v66, v160
	v_mul_f32_e32 v65, v150, v65
	v_sub_f32_e32 v67, v151, v67
	v_add_f32_e32 v65, v67, v65
	v_add_f32_e32 v135, v66, v65
	v_mul_f32_e32 v144, v135, v135
	v_mov_b32_e32 v67, 0x3ecc95a3
	v_fmac_f32_e32 v67, 0x3e9b6dac, v144
	v_sub_f32_e32 v66, v135, v66
	v_fmaak_f32 v67, v144, v67, 0x3f2aaada
	v_sub_f32_e32 v65, v65, v66
	v_ldexp_f32 v145, v135, 1
	v_mul_f32_e32 v135, v135, v144
	v_mov_b32_e32 v66, 0x3f317218
	v_pk_mul_f32 v[66:67], v[134:135], v[66:67]
	v_ldexp_f32 v65, v65, 1
	v_fma_f32 v135, v134, s13, -v66
	v_fmamk_f32 v144, v134, 0xb102e308, v135
	v_pk_add_f32 v[134:135], v[66:67], v[144:145]
	v_mov_b32_e32 v146, v66
	v_sub_f32_e32 v145, v135, v145
	v_sub_f32_e32 v145, v67, v145
	v_add_f32_e32 v147, v65, v145
	v_pk_add_f32 v[66:67], v[134:135], v[66:67] neg_lo:[0,1] neg_hi:[0,1]
	v_pk_add_f32 v[148:149], v[134:135], v[146:147]
	v_mov_b32_e32 v145, v134
	v_mov_b32_e32 v67, v149
	v_pk_add_f32 v[150:151], v[144:145], v[66:67] neg_lo:[0,1] neg_hi:[0,1]
	v_pk_add_f32 v[66:67], v[144:145], v[66:67]
	v_mov_b32_e32 v146, v147
	v_mov_b32_e32 v144, v67
	v_pk_add_f32 v[160:161], v[144:145], v[134:135] neg_lo:[0,1] neg_hi:[0,1]
	v_mov_b32_e32 v66, v149
	v_mov_b32_e32 v65, v160
	v_pk_add_f32 v[162:163], v[148:149], v[64:65] neg_lo:[0,1] neg_hi:[0,1]
	v_mov_b32_e32 v148, v135
	v_mov_b32_e32 v149, v160
	;; [unrolled: 1-line block ×3, first 2 shown]
	v_pk_add_f32 v[66:67], v[66:67], v[148:149] neg_lo:[0,1] neg_hi:[0,1]
	v_mov_b32_e32 v147, v134
	v_pk_add_f32 v[66:67], v[146:147], v[66:67] neg_lo:[0,1] neg_hi:[0,1]
	v_mov_b32_e32 v162, v150
	v_pk_add_f32 v[134:135], v[162:163], v[66:67]
	s_mov_b32 s13, 0x33800000
	v_mov_b32_e32 v146, v135
	v_pk_add_f32 v[146:147], v[134:135], v[146:147]
	v_cmp_lt_f32_e64 s[68:69], |v164|, s13
	v_pk_add_f32 v[144:145], v[144:145], v[146:147]
	v_mov_b32_e32 v67, v146
	v_mov_b32_e32 v135, v144
	v_pk_add_f32 v[148:149], v[134:135], v[150:151] neg_lo:[0,1] neg_hi:[0,1]
	s_or_b64 vcc, vcc, s[68:69]
	v_sub_f32_e32 v65, v134, v148
	v_pk_add_f32 v[66:67], v[66:67], v[148:149] neg_lo:[0,1] neg_hi:[0,1]
	v_sub_f32_e32 v65, v150, v65
	v_add_f32_e32 v65, v66, v65
	v_add_f32_e32 v65, v65, v67
	;; [unrolled: 1-line block ×3, first 2 shown]
	v_cndmask_b32_e32 v65, v65, v164, vcc
	v_add_f32_e32 v66, v54, v65
.LBB141_161:
	s_or_b64 exec, exec, s[60:61]
	v_mov_b32_e32 v54, v66
	v_mov_b32_e32 v65, v66
.LBB141_162:
	s_or_b64 exec, exec, s[66:67]
	v_cmp_gt_u32_e32 vcc, 56, v49
	v_add_u32_e32 v135, 8, v49
	s_waitcnt lgkmcnt(0)
	v_cndmask_b32_e64 v66, 0, 1, vcc
	v_lshlrev_b32_e32 v66, 3, v66
	v_add_lshl_u32 v134, v66, v51, 2
	ds_bpermute_b32 v66, v134, v54
	v_cmp_le_u32_e32 vcc, v135, v64
	s_and_saveexec_b64 s[66:67], vcc
	s_cbranch_execz .LBB141_166
; %bb.163:
	v_max_f32_e32 v54, v65, v65
	s_waitcnt lgkmcnt(0)
	v_max_f32_e32 v144, v66, v66
	v_min_f32_e32 v67, v144, v54
	v_cmp_u_f32_e32 vcc, v66, v66
	v_max_f32_e32 v54, v144, v54
	v_cmp_u_f32_e64 s[60:61], v65, v65
	v_cndmask_b32_e32 v67, v67, v66, vcc
	v_cndmask_b32_e32 v54, v54, v66, vcc
	v_cndmask_b32_e64 v67, v67, v65, s[60:61]
	v_cndmask_b32_e64 v54, v54, v65, s[60:61]
	s_movk_i32 s13, 0x1f8
	v_cmp_neq_f32_e32 vcc, v67, v54
	v_cmp_class_f32_e64 s[60:61], v67, s13
	s_or_b64 vcc, vcc, s[60:61]
	s_and_saveexec_b64 s[60:61], vcc
	s_cbranch_execz .LBB141_165
; %bb.164:
	v_sub_f32_e32 v65, v67, v54
	s_mov_b32 s13, 0x3fb8aa3b
	v_mul_f32_e32 v66, 0x3fb8aa3b, v65
	v_fma_f32 v67, v65, s13, -v66
	v_rndne_f32_e32 v144, v66
	v_fmamk_f32 v67, v65, 0x32a5705f, v67
	v_sub_f32_e32 v66, v66, v144
	v_add_f32_e32 v66, v66, v67
	v_exp_f32_e32 v66, v66
	v_cvt_i32_f32_e32 v67, v144
	s_mov_b32 s13, 0xc2ce8ed0
	v_cmp_ngt_f32_e32 vcc, s13, v65
	s_mov_b32 s13, 0x42b17218
	v_ldexp_f32 v66, v66, v67
	v_cndmask_b32_e32 v66, 0, v66, vcc
	v_mov_b32_e32 v67, 0x7f800000
	v_cmp_nlt_f32_e32 vcc, s13, v65
	s_mov_b32 s13, 0x3f2aaaab
	s_mov_b32 s68, 0x7f800000
	v_cndmask_b32_e32 v166, v67, v66, vcc
	v_add_f32_e32 v65, 1.0, v166
	v_add_f32_e32 v66, -1.0, v65
	v_sub_f32_e32 v67, v66, v65
	v_add_f32_e32 v67, 1.0, v67
	v_sub_f32_e32 v66, v166, v66
	v_add_f32_e32 v144, v66, v67
	v_frexp_mant_f32_e32 v145, v65
	v_cvt_f64_f32_e32 v[66:67], v65
	v_frexp_exp_i32_f64_e32 v66, v[66:67]
	v_cmp_gt_f32_e32 vcc, s13, v145
	s_mov_b32 s13, 0x3f317218
	s_nop 0
	v_subbrev_co_u32_e32 v150, vcc, 0, v66, vcc
	v_sub_u32_e32 v66, 0, v150
	v_ldexp_f32 v65, v65, v66
	v_ldexp_f32 v66, v144, v66
	v_add_f32_e32 v144, -1.0, v65
	v_add_f32_e32 v67, 1.0, v144
	v_sub_f32_e32 v67, v65, v67
	v_add_f32_e32 v145, v66, v67
	v_add_f32_e32 v67, 1.0, v65
	v_add_f32_e32 v146, -1.0, v67
	v_sub_f32_e32 v65, v65, v146
	v_add_f32_e32 v65, v66, v65
	v_add_f32_e32 v151, v67, v65
	v_rcp_f32_e32 v160, v151
	v_sub_f32_e32 v66, v67, v151
	v_add_f32_e32 v67, v144, v145
	v_add_f32_e32 v65, v65, v66
	v_mul_f32_e32 v162, v67, v160
	v_sub_f32_e32 v66, v144, v67
	v_mul_f32_e32 v144, v151, v162
	v_fma_f32 v146, v162, v151, -v144
	v_fmac_f32_e32 v146, v162, v65
	v_add_f32_e32 v161, v145, v66
	v_add_f32_e32 v66, v144, v146
	v_sub_f32_e32 v145, v67, v66
	v_pk_add_f32 v[148:149], v[66:67], v[144:145] neg_lo:[0,1] neg_hi:[0,1]
	v_mov_b32_e32 v147, v66
	v_pk_add_f32 v[66:67], v[148:149], v[146:147] neg_lo:[0,1] neg_hi:[0,1]
	v_cmp_eq_f32_e32 vcc, s68, v166
	v_add_f32_e32 v67, v161, v67
	v_add_f32_e32 v66, v66, v67
	;; [unrolled: 1-line block ×3, first 2 shown]
	v_mul_f32_e32 v161, v160, v67
	v_mul_f32_e32 v144, v151, v161
	v_fma_f32 v146, v161, v151, -v144
	v_fmac_f32_e32 v146, v161, v65
	v_sub_f32_e32 v65, v145, v67
	v_add_f32_e32 v65, v66, v65
	v_add_f32_e32 v66, v144, v146
	v_sub_f32_e32 v145, v67, v66
	v_pk_add_f32 v[148:149], v[66:67], v[144:145] neg_lo:[0,1] neg_hi:[0,1]
	v_mov_b32_e32 v147, v66
	v_pk_add_f32 v[66:67], v[148:149], v[146:147] neg_lo:[0,1] neg_hi:[0,1]
	v_cvt_f32_i32_e32 v144, v150
	v_add_f32_e32 v65, v65, v67
	v_add_f32_e32 v65, v66, v65
	;; [unrolled: 1-line block ×4, first 2 shown]
	v_sub_f32_e32 v67, v66, v162
	v_mul_f32_e32 v65, v160, v65
	v_sub_f32_e32 v67, v161, v67
	v_add_f32_e32 v65, v67, v65
	v_add_f32_e32 v145, v66, v65
	v_mul_f32_e32 v146, v145, v145
	v_mov_b32_e32 v67, 0x3ecc95a3
	v_fmac_f32_e32 v67, 0x3e9b6dac, v146
	v_sub_f32_e32 v66, v145, v66
	v_fmaak_f32 v67, v146, v67, 0x3f2aaada
	v_sub_f32_e32 v65, v65, v66
	v_ldexp_f32 v147, v145, 1
	v_mul_f32_e32 v145, v145, v146
	v_mov_b32_e32 v66, 0x3f317218
	v_pk_mul_f32 v[66:67], v[144:145], v[66:67]
	v_ldexp_f32 v65, v65, 1
	v_fma_f32 v145, v144, s13, -v66
	v_fmamk_f32 v146, v144, 0xb102e308, v145
	v_pk_add_f32 v[144:145], v[66:67], v[146:147]
	v_mov_b32_e32 v148, v66
	v_sub_f32_e32 v147, v145, v147
	v_sub_f32_e32 v147, v67, v147
	v_add_f32_e32 v149, v65, v147
	v_pk_add_f32 v[66:67], v[144:145], v[66:67] neg_lo:[0,1] neg_hi:[0,1]
	v_pk_add_f32 v[150:151], v[144:145], v[148:149]
	v_mov_b32_e32 v147, v144
	v_mov_b32_e32 v67, v151
	v_pk_add_f32 v[160:161], v[146:147], v[66:67] neg_lo:[0,1] neg_hi:[0,1]
	v_pk_add_f32 v[66:67], v[146:147], v[66:67]
	v_mov_b32_e32 v148, v149
	v_mov_b32_e32 v146, v67
	v_pk_add_f32 v[162:163], v[146:147], v[144:145] neg_lo:[0,1] neg_hi:[0,1]
	v_mov_b32_e32 v66, v151
	v_mov_b32_e32 v65, v162
	v_pk_add_f32 v[164:165], v[150:151], v[64:65] neg_lo:[0,1] neg_hi:[0,1]
	v_mov_b32_e32 v150, v145
	v_mov_b32_e32 v151, v162
	;; [unrolled: 1-line block ×3, first 2 shown]
	v_pk_add_f32 v[66:67], v[66:67], v[150:151] neg_lo:[0,1] neg_hi:[0,1]
	v_mov_b32_e32 v149, v144
	v_pk_add_f32 v[66:67], v[148:149], v[66:67] neg_lo:[0,1] neg_hi:[0,1]
	v_mov_b32_e32 v164, v160
	v_pk_add_f32 v[144:145], v[164:165], v[66:67]
	s_mov_b32 s13, 0x33800000
	v_mov_b32_e32 v148, v145
	v_pk_add_f32 v[148:149], v[144:145], v[148:149]
	v_cmp_lt_f32_e64 s[68:69], |v166|, s13
	v_pk_add_f32 v[146:147], v[146:147], v[148:149]
	v_mov_b32_e32 v67, v148
	v_mov_b32_e32 v145, v146
	v_pk_add_f32 v[150:151], v[144:145], v[160:161] neg_lo:[0,1] neg_hi:[0,1]
	s_or_b64 vcc, vcc, s[68:69]
	v_sub_f32_e32 v65, v144, v150
	v_pk_add_f32 v[66:67], v[66:67], v[150:151] neg_lo:[0,1] neg_hi:[0,1]
	v_sub_f32_e32 v65, v160, v65
	v_add_f32_e32 v65, v66, v65
	v_add_f32_e32 v65, v65, v67
	;; [unrolled: 1-line block ×3, first 2 shown]
	v_cndmask_b32_e32 v65, v65, v166, vcc
	v_add_f32_e32 v66, v54, v65
.LBB141_165:
	s_or_b64 exec, exec, s[60:61]
	v_mov_b32_e32 v54, v66
	v_mov_b32_e32 v65, v66
.LBB141_166:
	s_or_b64 exec, exec, s[66:67]
	v_cmp_gt_u32_e32 vcc, 48, v49
	v_add_u32_e32 v145, 16, v49
	s_waitcnt lgkmcnt(0)
	v_cndmask_b32_e64 v66, 0, 1, vcc
	v_lshlrev_b32_e32 v66, 4, v66
	v_add_lshl_u32 v144, v66, v51, 2
	ds_bpermute_b32 v66, v144, v54
	v_cmp_le_u32_e32 vcc, v145, v64
	s_and_saveexec_b64 s[66:67], vcc
	s_cbranch_execz .LBB141_170
; %bb.167:
	v_max_f32_e32 v54, v65, v65
	s_waitcnt lgkmcnt(0)
	v_max_f32_e32 v146, v66, v66
	v_min_f32_e32 v67, v146, v54
	v_cmp_u_f32_e32 vcc, v66, v66
	v_max_f32_e32 v54, v146, v54
	v_cmp_u_f32_e64 s[60:61], v65, v65
	v_cndmask_b32_e32 v67, v67, v66, vcc
	v_cndmask_b32_e32 v54, v54, v66, vcc
	v_cndmask_b32_e64 v67, v67, v65, s[60:61]
	v_cndmask_b32_e64 v54, v54, v65, s[60:61]
	s_movk_i32 s13, 0x1f8
	v_cmp_neq_f32_e32 vcc, v67, v54
	v_cmp_class_f32_e64 s[60:61], v67, s13
	s_or_b64 vcc, vcc, s[60:61]
	s_and_saveexec_b64 s[60:61], vcc
	s_cbranch_execz .LBB141_169
; %bb.168:
	v_sub_f32_e32 v65, v67, v54
	s_mov_b32 s13, 0x3fb8aa3b
	v_mul_f32_e32 v66, 0x3fb8aa3b, v65
	v_fma_f32 v67, v65, s13, -v66
	v_rndne_f32_e32 v146, v66
	v_fmamk_f32 v67, v65, 0x32a5705f, v67
	v_sub_f32_e32 v66, v66, v146
	v_add_f32_e32 v66, v66, v67
	v_exp_f32_e32 v66, v66
	v_cvt_i32_f32_e32 v67, v146
	s_mov_b32 s13, 0xc2ce8ed0
	v_cmp_ngt_f32_e32 vcc, s13, v65
	s_mov_b32 s13, 0x42b17218
	v_ldexp_f32 v66, v66, v67
	v_cndmask_b32_e32 v66, 0, v66, vcc
	v_mov_b32_e32 v67, 0x7f800000
	v_cmp_nlt_f32_e32 vcc, s13, v65
	s_mov_b32 s13, 0x3f2aaaab
	s_mov_b32 s68, 0x7f800000
	v_cndmask_b32_e32 v176, v67, v66, vcc
	v_add_f32_e32 v65, 1.0, v176
	v_add_f32_e32 v66, -1.0, v65
	v_sub_f32_e32 v67, v66, v65
	v_add_f32_e32 v67, 1.0, v67
	v_sub_f32_e32 v66, v176, v66
	v_add_f32_e32 v146, v66, v67
	v_frexp_mant_f32_e32 v147, v65
	v_cvt_f64_f32_e32 v[66:67], v65
	v_frexp_exp_i32_f64_e32 v66, v[66:67]
	v_cmp_gt_f32_e32 vcc, s13, v147
	s_mov_b32 s13, 0x3f317218
	s_nop 0
	v_subbrev_co_u32_e32 v160, vcc, 0, v66, vcc
	v_sub_u32_e32 v66, 0, v160
	v_ldexp_f32 v65, v65, v66
	v_ldexp_f32 v66, v146, v66
	v_add_f32_e32 v146, -1.0, v65
	v_add_f32_e32 v67, 1.0, v146
	v_sub_f32_e32 v67, v65, v67
	v_add_f32_e32 v147, v66, v67
	v_add_f32_e32 v67, 1.0, v65
	v_add_f32_e32 v148, -1.0, v67
	v_sub_f32_e32 v65, v65, v148
	v_add_f32_e32 v65, v66, v65
	v_add_f32_e32 v161, v67, v65
	v_rcp_f32_e32 v162, v161
	v_sub_f32_e32 v66, v67, v161
	v_add_f32_e32 v67, v146, v147
	v_add_f32_e32 v65, v65, v66
	v_mul_f32_e32 v164, v67, v162
	v_sub_f32_e32 v66, v146, v67
	v_mul_f32_e32 v146, v161, v164
	v_fma_f32 v148, v164, v161, -v146
	v_fmac_f32_e32 v148, v164, v65
	v_add_f32_e32 v163, v147, v66
	v_add_f32_e32 v66, v146, v148
	v_sub_f32_e32 v147, v67, v66
	v_pk_add_f32 v[150:151], v[66:67], v[146:147] neg_lo:[0,1] neg_hi:[0,1]
	v_mov_b32_e32 v149, v66
	v_pk_add_f32 v[66:67], v[150:151], v[148:149] neg_lo:[0,1] neg_hi:[0,1]
	v_cmp_eq_f32_e32 vcc, s68, v176
	v_add_f32_e32 v67, v163, v67
	v_add_f32_e32 v66, v66, v67
	v_add_f32_e32 v67, v147, v66
	v_mul_f32_e32 v163, v162, v67
	v_mul_f32_e32 v146, v161, v163
	v_fma_f32 v148, v163, v161, -v146
	v_fmac_f32_e32 v148, v163, v65
	v_sub_f32_e32 v65, v147, v67
	v_add_f32_e32 v65, v66, v65
	v_add_f32_e32 v66, v146, v148
	v_sub_f32_e32 v147, v67, v66
	v_pk_add_f32 v[150:151], v[66:67], v[146:147] neg_lo:[0,1] neg_hi:[0,1]
	v_mov_b32_e32 v149, v66
	v_pk_add_f32 v[66:67], v[150:151], v[148:149] neg_lo:[0,1] neg_hi:[0,1]
	v_cvt_f32_i32_e32 v146, v160
	v_add_f32_e32 v65, v65, v67
	v_add_f32_e32 v65, v66, v65
	v_add_f32_e32 v66, v164, v163
	v_add_f32_e32 v65, v147, v65
	v_sub_f32_e32 v67, v66, v164
	v_mul_f32_e32 v65, v162, v65
	v_sub_f32_e32 v67, v163, v67
	v_add_f32_e32 v65, v67, v65
	v_add_f32_e32 v147, v66, v65
	v_mul_f32_e32 v148, v147, v147
	v_mov_b32_e32 v67, 0x3ecc95a3
	v_fmac_f32_e32 v67, 0x3e9b6dac, v148
	v_sub_f32_e32 v66, v147, v66
	v_fmaak_f32 v67, v148, v67, 0x3f2aaada
	v_sub_f32_e32 v65, v65, v66
	v_ldexp_f32 v149, v147, 1
	v_mul_f32_e32 v147, v147, v148
	v_mov_b32_e32 v66, 0x3f317218
	v_pk_mul_f32 v[66:67], v[146:147], v[66:67]
	v_ldexp_f32 v65, v65, 1
	v_fma_f32 v147, v146, s13, -v66
	v_fmamk_f32 v148, v146, 0xb102e308, v147
	v_pk_add_f32 v[146:147], v[66:67], v[148:149]
	v_mov_b32_e32 v150, v66
	v_sub_f32_e32 v149, v147, v149
	v_sub_f32_e32 v149, v67, v149
	v_add_f32_e32 v151, v65, v149
	v_pk_add_f32 v[66:67], v[146:147], v[66:67] neg_lo:[0,1] neg_hi:[0,1]
	v_pk_add_f32 v[160:161], v[146:147], v[150:151]
	v_mov_b32_e32 v149, v146
	v_mov_b32_e32 v67, v161
	v_pk_add_f32 v[162:163], v[148:149], v[66:67] neg_lo:[0,1] neg_hi:[0,1]
	v_pk_add_f32 v[66:67], v[148:149], v[66:67]
	v_mov_b32_e32 v150, v151
	v_mov_b32_e32 v148, v67
	v_pk_add_f32 v[164:165], v[148:149], v[146:147] neg_lo:[0,1] neg_hi:[0,1]
	v_mov_b32_e32 v66, v161
	v_mov_b32_e32 v65, v164
	v_pk_add_f32 v[166:167], v[160:161], v[64:65] neg_lo:[0,1] neg_hi:[0,1]
	v_mov_b32_e32 v160, v147
	v_mov_b32_e32 v161, v164
	;; [unrolled: 1-line block ×3, first 2 shown]
	v_pk_add_f32 v[66:67], v[66:67], v[160:161] neg_lo:[0,1] neg_hi:[0,1]
	v_mov_b32_e32 v151, v146
	v_pk_add_f32 v[66:67], v[150:151], v[66:67] neg_lo:[0,1] neg_hi:[0,1]
	v_mov_b32_e32 v166, v162
	v_pk_add_f32 v[146:147], v[166:167], v[66:67]
	s_mov_b32 s13, 0x33800000
	v_mov_b32_e32 v150, v147
	v_pk_add_f32 v[150:151], v[146:147], v[150:151]
	v_cmp_lt_f32_e64 s[68:69], |v176|, s13
	v_pk_add_f32 v[148:149], v[148:149], v[150:151]
	v_mov_b32_e32 v67, v150
	v_mov_b32_e32 v147, v148
	v_pk_add_f32 v[160:161], v[146:147], v[162:163] neg_lo:[0,1] neg_hi:[0,1]
	s_or_b64 vcc, vcc, s[68:69]
	v_sub_f32_e32 v65, v146, v160
	v_pk_add_f32 v[66:67], v[66:67], v[160:161] neg_lo:[0,1] neg_hi:[0,1]
	v_sub_f32_e32 v65, v162, v65
	v_add_f32_e32 v65, v66, v65
	v_add_f32_e32 v65, v65, v67
	;; [unrolled: 1-line block ×3, first 2 shown]
	v_cndmask_b32_e32 v65, v65, v176, vcc
	v_add_f32_e32 v66, v54, v65
.LBB141_169:
	s_or_b64 exec, exec, s[60:61]
	v_mov_b32_e32 v54, v66
	v_mov_b32_e32 v65, v66
.LBB141_170:
	s_or_b64 exec, exec, s[66:67]
	v_cmp_gt_u32_e32 vcc, 32, v49
	v_add_u32_e32 v147, 32, v49
	s_waitcnt lgkmcnt(0)
	v_cndmask_b32_e64 v66, 0, 1, vcc
	v_lshlrev_b32_e32 v66, 5, v66
	v_add_lshl_u32 v146, v66, v51, 2
	ds_bpermute_b32 v54, v146, v54
	v_cmp_le_u32_e32 vcc, v147, v64
	s_and_saveexec_b64 s[66:67], vcc
	s_cbranch_execz .LBB141_174
; %bb.171:
	v_max_f32_e32 v51, v65, v65
	s_waitcnt lgkmcnt(0)
	v_max_f32_e32 v66, v54, v54
	v_min_f32_e32 v64, v66, v51
	v_cmp_u_f32_e32 vcc, v54, v54
	v_max_f32_e32 v51, v66, v51
	v_cmp_u_f32_e64 s[60:61], v65, v65
	v_cndmask_b32_e32 v64, v64, v54, vcc
	v_cndmask_b32_e32 v51, v51, v54, vcc
	v_cndmask_b32_e64 v64, v64, v65, s[60:61]
	v_cndmask_b32_e64 v51, v51, v65, s[60:61]
	s_movk_i32 s13, 0x1f8
	v_cmp_neq_f32_e32 vcc, v64, v51
	v_cmp_class_f32_e64 s[60:61], v64, s13
	s_or_b64 vcc, vcc, s[60:61]
	s_and_saveexec_b64 s[60:61], vcc
	s_cbranch_execz .LBB141_173
; %bb.172:
	v_sub_f32_e32 v54, v64, v51
	s_mov_b32 s13, 0x3fb8aa3b
	v_mul_f32_e32 v64, 0x3fb8aa3b, v54
	v_fma_f32 v65, v54, s13, -v64
	v_rndne_f32_e32 v66, v64
	v_fmamk_f32 v65, v54, 0x32a5705f, v65
	v_sub_f32_e32 v64, v64, v66
	v_add_f32_e32 v64, v64, v65
	v_exp_f32_e32 v64, v64
	v_cvt_i32_f32_e32 v65, v66
	s_mov_b32 s13, 0xc2ce8ed0
	v_cmp_ngt_f32_e32 vcc, s13, v54
	s_mov_b32 s13, 0x42b17218
	v_ldexp_f32 v64, v64, v65
	v_cndmask_b32_e32 v64, 0, v64, vcc
	v_mov_b32_e32 v65, 0x7f800000
	v_cmp_nlt_f32_e32 vcc, s13, v54
	s_mov_b32 s13, 0x3f2aaaab
	s_mov_b32 s68, 0x7f800000
	v_cndmask_b32_e32 v166, v65, v64, vcc
	v_add_f32_e32 v54, 1.0, v166
	v_add_f32_e32 v64, -1.0, v54
	v_sub_f32_e32 v65, v64, v54
	v_add_f32_e32 v65, 1.0, v65
	v_sub_f32_e32 v64, v166, v64
	v_add_f32_e32 v66, v64, v65
	v_frexp_mant_f32_e32 v67, v54
	v_cvt_f64_f32_e32 v[64:65], v54
	v_frexp_exp_i32_f64_e32 v64, v[64:65]
	v_cmp_gt_f32_e32 vcc, s13, v67
	s_mov_b32 s13, 0x3f317218
	s_nop 0
	v_subbrev_co_u32_e32 v160, vcc, 0, v64, vcc
	v_sub_u32_e32 v64, 0, v160
	v_ldexp_f32 v54, v54, v64
	v_ldexp_f32 v64, v66, v64
	v_add_f32_e32 v66, -1.0, v54
	v_add_f32_e32 v65, 1.0, v66
	v_sub_f32_e32 v65, v54, v65
	v_add_f32_e32 v67, v64, v65
	v_add_f32_e32 v65, 1.0, v54
	v_add_f32_e32 v148, -1.0, v65
	v_sub_f32_e32 v54, v54, v148
	v_add_f32_e32 v54, v64, v54
	v_add_f32_e32 v161, v65, v54
	v_rcp_f32_e32 v162, v161
	v_sub_f32_e32 v64, v65, v161
	v_add_f32_e32 v65, v66, v67
	v_add_f32_e32 v54, v54, v64
	v_mul_f32_e32 v164, v65, v162
	v_sub_f32_e32 v64, v66, v65
	v_mul_f32_e32 v66, v161, v164
	v_fma_f32 v148, v164, v161, -v66
	v_fmac_f32_e32 v148, v164, v54
	v_add_f32_e32 v163, v67, v64
	v_add_f32_e32 v64, v66, v148
	v_sub_f32_e32 v67, v65, v64
	v_pk_add_f32 v[150:151], v[64:65], v[66:67] neg_lo:[0,1] neg_hi:[0,1]
	v_mov_b32_e32 v149, v64
	v_pk_add_f32 v[64:65], v[150:151], v[148:149] neg_lo:[0,1] neg_hi:[0,1]
	v_cmp_eq_f32_e32 vcc, s68, v166
	v_add_f32_e32 v65, v163, v65
	v_add_f32_e32 v64, v64, v65
	;; [unrolled: 1-line block ×3, first 2 shown]
	v_mul_f32_e32 v163, v162, v65
	v_mul_f32_e32 v66, v161, v163
	v_fma_f32 v148, v163, v161, -v66
	v_fmac_f32_e32 v148, v163, v54
	v_sub_f32_e32 v54, v67, v65
	v_add_f32_e32 v54, v64, v54
	v_add_f32_e32 v64, v66, v148
	v_sub_f32_e32 v67, v65, v64
	v_pk_add_f32 v[150:151], v[64:65], v[66:67] neg_lo:[0,1] neg_hi:[0,1]
	v_mov_b32_e32 v149, v64
	v_pk_add_f32 v[64:65], v[150:151], v[148:149] neg_lo:[0,1] neg_hi:[0,1]
	v_cvt_f32_i32_e32 v66, v160
	v_add_f32_e32 v54, v54, v65
	v_add_f32_e32 v54, v64, v54
	;; [unrolled: 1-line block ×4, first 2 shown]
	v_sub_f32_e32 v65, v64, v164
	v_mul_f32_e32 v54, v162, v54
	v_sub_f32_e32 v65, v163, v65
	v_add_f32_e32 v54, v65, v54
	v_add_f32_e32 v67, v64, v54
	v_mul_f32_e32 v148, v67, v67
	v_mov_b32_e32 v65, 0x3ecc95a3
	v_fmac_f32_e32 v65, 0x3e9b6dac, v148
	v_sub_f32_e32 v64, v67, v64
	v_fmaak_f32 v65, v148, v65, 0x3f2aaada
	v_sub_f32_e32 v54, v54, v64
	v_ldexp_f32 v149, v67, 1
	v_mul_f32_e32 v67, v67, v148
	v_mov_b32_e32 v64, 0x3f317218
	v_pk_mul_f32 v[64:65], v[66:67], v[64:65]
	v_ldexp_f32 v54, v54, 1
	v_fma_f32 v67, v66, s13, -v64
	v_fmamk_f32 v148, v66, 0xb102e308, v67
	v_pk_add_f32 v[66:67], v[64:65], v[148:149]
	v_mov_b32_e32 v150, v64
	v_sub_f32_e32 v149, v67, v149
	v_sub_f32_e32 v149, v65, v149
	v_add_f32_e32 v151, v54, v149
	v_pk_add_f32 v[64:65], v[66:67], v[64:65] neg_lo:[0,1] neg_hi:[0,1]
	v_pk_add_f32 v[160:161], v[66:67], v[150:151]
	v_mov_b32_e32 v149, v66
	v_mov_b32_e32 v65, v161
	v_pk_add_f32 v[162:163], v[148:149], v[64:65] neg_lo:[0,1] neg_hi:[0,1]
	v_pk_add_f32 v[64:65], v[148:149], v[64:65]
	s_mov_b32 s13, 0x33800000
	v_mov_b32_e32 v54, v65
	v_pk_add_f32 v[148:149], v[54:55], v[66:67] neg_lo:[0,1] neg_hi:[0,1]
	v_mov_b32_e32 v64, v161
	v_mov_b32_e32 v149, v148
	v_pk_add_f32 v[164:165], v[160:161], v[148:149] neg_lo:[0,1] neg_hi:[0,1]
	v_mov_b32_e32 v160, v67
	v_mov_b32_e32 v161, v148
	;; [unrolled: 1-line block ×3, first 2 shown]
	v_pk_add_f32 v[64:65], v[64:65], v[160:161] neg_lo:[0,1] neg_hi:[0,1]
	v_mov_b32_e32 v148, v151
	v_mov_b32_e32 v149, v66
	v_pk_add_f32 v[64:65], v[148:149], v[64:65] neg_lo:[0,1] neg_hi:[0,1]
	v_mov_b32_e32 v164, v162
	v_pk_add_f32 v[66:67], v[164:165], v[64:65]
	v_cmp_lt_f32_e64 s[68:69], |v166|, s13
	v_mov_b32_e32 v148, v67
	v_pk_add_f32 v[148:149], v[66:67], v[148:149]
	s_or_b64 vcc, vcc, s[68:69]
	v_pk_add_f32 v[150:151], v[54:55], v[148:149]
	v_mov_b32_e32 v65, v148
	v_mov_b32_e32 v67, v150
	v_pk_add_f32 v[160:161], v[66:67], v[162:163] neg_lo:[0,1] neg_hi:[0,1]
	s_nop 0
	v_sub_f32_e32 v54, v66, v160
	v_pk_add_f32 v[64:65], v[64:65], v[160:161] neg_lo:[0,1] neg_hi:[0,1]
	v_sub_f32_e32 v54, v162, v54
	v_add_f32_e32 v54, v64, v54
	v_add_f32_e32 v54, v54, v65
	;; [unrolled: 1-line block ×3, first 2 shown]
	v_cndmask_b32_e32 v54, v54, v166, vcc
	v_add_f32_e32 v54, v51, v54
.LBB141_173:
	s_or_b64 exec, exec, s[60:61]
	v_mov_b32_e32 v65, v54
.LBB141_174:
	s_or_b64 exec, exec, s[66:67]
	v_mov_b32_e32 v51, 0
	s_movk_i32 s13, 0x1f8
	s_mov_b32 s68, 0x3fb8aa3b
	s_mov_b32 s69, 0xc2ce8ed0
	;; [unrolled: 1-line block ×5, first 2 shown]
	v_mov_b32_e32 v149, 0x3ecc95a3
	s_mov_b32 s73, 0x3f317218
	s_mov_b32 s74, 0x33800000
	v_mov_b32_e32 v150, 2
	v_mov_b32_e32 v151, 0x7f800000
	;; [unrolled: 1-line block ×3, first 2 shown]
                                        ; implicit-def: $vgpr54
	s_branch .LBB141_176
.LBB141_175:                            ;   in Loop: Header=BB141_176 Depth=1
	s_or_b64 exec, exec, s[60:61]
	v_subrev_u32_e32 v50, 64, v50
.LBB141_176:                            ; =>This Loop Header: Depth=1
                                        ;     Child Loop BB141_179 Depth 2
                                        ;       Child Loop BB141_180 Depth 3
	v_cmp_ne_u16_sdwa vcc, v55, v150 src0_sel:BYTE_0 src1_sel:DWORD
	v_mov_b32_e32 v148, v65
	s_waitcnt lgkmcnt(0)
	v_cndmask_b32_e64 v54, 0, 1, vcc
	;;#ASMSTART
	;;#ASMEND
	s_nop 0
	v_cmp_ne_u32_e32 vcc, 0, v54
	s_cmp_lg_u64 vcc, exec
	s_cbranch_scc1 .LBB141_209
; %bb.177:                              ;   in Loop: Header=BB141_176 Depth=1
	v_lshl_add_u64 v[66:67], v[50:51], 3, v[96:97]
	flat_load_dwordx2 v[54:55], v[66:67] sc1
	s_waitcnt vmcnt(0) lgkmcnt(0)
	v_cmp_eq_u16_sdwa s[60:61], v55, v51 src0_sel:BYTE_0 src1_sel:DWORD
	s_and_saveexec_b64 vcc, s[60:61]
	s_cbranch_execz .LBB141_183
; %bb.178:                              ;   in Loop: Header=BB141_176 Depth=1
	s_mov_b32 s66, 1
	s_mov_b64 s[60:61], 0
.LBB141_179:                            ;   Parent Loop BB141_176 Depth=1
                                        ; =>  This Loop Header: Depth=2
                                        ;       Child Loop BB141_180 Depth 3
	s_max_u32 s67, s66, 1
.LBB141_180:                            ;   Parent Loop BB141_176 Depth=1
                                        ;     Parent Loop BB141_179 Depth=2
                                        ; =>    This Inner Loop Header: Depth=3
	s_add_i32 s67, s67, -1
	s_cmp_eq_u32 s67, 0
	s_sleep 1
	s_cbranch_scc0 .LBB141_180
; %bb.181:                              ;   in Loop: Header=BB141_179 Depth=2
	flat_load_dwordx2 v[54:55], v[66:67] sc1
	s_cmp_lt_u32 s66, 32
	s_cselect_b64 s[76:77], -1, 0
	s_cmp_lg_u64 s[76:77], 0
	s_addc_u32 s66, s66, 0
	s_waitcnt vmcnt(0) lgkmcnt(0)
	v_cmp_ne_u16_sdwa s[76:77], v55, v51 src0_sel:BYTE_0 src1_sel:DWORD
	s_or_b64 s[60:61], s[76:77], s[60:61]
	s_andn2_b64 exec, exec, s[60:61]
	s_cbranch_execnz .LBB141_179
; %bb.182:                              ;   in Loop: Header=BB141_176 Depth=1
	s_or_b64 exec, exec, s[60:61]
.LBB141_183:                            ;   in Loop: Header=BB141_176 Depth=1
	s_or_b64 exec, exec, vcc
	v_cmp_eq_u16_sdwa vcc, v55, v150 src0_sel:BYTE_0 src1_sel:DWORD
	ds_bpermute_b32 v67, v129, v54
	s_nop 0
	v_and_b32_e32 v65, vcc_hi, v53
	v_or_b32_e32 v65, 0x80000000, v65
	v_and_b32_e32 v66, vcc_lo, v52
	v_ffbl_b32_e32 v65, v65
	v_add_u32_e32 v65, 32, v65
	v_ffbl_b32_e32 v66, v66
	v_min_u32_e32 v66, v66, v65
	v_cmp_lt_u32_e32 vcc, v49, v66
	v_mov_b32_e32 v65, v54
	s_and_saveexec_b64 s[66:67], vcc
	s_cbranch_execz .LBB141_187
; %bb.184:                              ;   in Loop: Header=BB141_176 Depth=1
	v_max_f32_e32 v160, v54, v54
	s_waitcnt lgkmcnt(0)
	v_max_f32_e32 v161, v67, v67
	v_min_f32_e32 v65, v161, v160
	v_cmp_u_f32_e32 vcc, v67, v67
	v_max_f32_e32 v160, v161, v160
	v_cmp_u_f32_e64 s[60:61], v54, v54
	v_cndmask_b32_e32 v65, v65, v67, vcc
	v_cndmask_b32_e32 v160, v160, v67, vcc
	v_cndmask_b32_e64 v65, v65, v54, s[60:61]
	v_cndmask_b32_e64 v54, v160, v54, s[60:61]
	v_cmp_neq_f32_e32 vcc, v65, v54
	v_cmp_class_f32_e64 s[60:61], v65, s13
	s_or_b64 vcc, vcc, s[60:61]
	s_and_saveexec_b64 s[60:61], vcc
	s_cbranch_execz .LBB141_186
; %bb.185:                              ;   in Loop: Header=BB141_176 Depth=1
	v_sub_f32_e32 v65, v65, v54
	v_mul_f32_e32 v67, 0x3fb8aa3b, v65
	v_fma_f32 v160, v65, s68, -v67
	v_rndne_f32_e32 v161, v67
	v_fmac_f32_e32 v160, 0x32a5705f, v65
	v_sub_f32_e32 v67, v67, v161
	v_add_f32_e32 v67, v67, v160
	v_cvt_i32_f32_e32 v160, v161
	v_exp_f32_e32 v67, v67
	v_cmp_ngt_f32_e32 vcc, s69, v65
	v_ldexp_f32 v67, v67, v160
	s_nop 0
	v_cndmask_b32_e32 v67, 0, v67, vcc
	v_cmp_nlt_f32_e32 vcc, s70, v65
	s_nop 1
	v_cndmask_b32_e32 v67, v151, v67, vcc
	v_add_f32_e32 v65, 1.0, v67
	v_add_f32_e32 v160, -1.0, v65
	v_sub_f32_e32 v161, v160, v65
	v_add_f32_e32 v161, 1.0, v161
	v_sub_f32_e32 v160, v67, v160
	v_add_f32_e32 v162, v160, v161
	v_frexp_mant_f32_e32 v163, v65
	v_cvt_f64_f32_e32 v[160:161], v65
	v_frexp_exp_i32_f64_e32 v160, v[160:161]
	v_cmp_gt_f32_e32 vcc, s72, v163
	v_cmp_lt_f32_e64 s[76:77], |v67|, s74
	s_nop 0
	v_subbrev_co_u32_e32 v176, vcc, 0, v160, vcc
	v_sub_u32_e32 v160, 0, v176
	v_ldexp_f32 v65, v65, v160
	v_ldexp_f32 v160, v162, v160
	v_add_f32_e32 v162, -1.0, v65
	v_add_f32_e32 v161, 1.0, v162
	v_sub_f32_e32 v161, v65, v161
	v_add_f32_e32 v163, v160, v161
	v_add_f32_e32 v161, 1.0, v65
	v_add_f32_e32 v164, -1.0, v161
	v_sub_f32_e32 v65, v65, v164
	v_add_f32_e32 v65, v160, v65
	v_add_f32_e32 v177, v161, v65
	v_rcp_f32_e32 v178, v177
	v_sub_f32_e32 v160, v161, v177
	v_add_f32_e32 v161, v162, v163
	v_add_f32_e32 v65, v65, v160
	v_mul_f32_e32 v180, v161, v178
	v_sub_f32_e32 v160, v162, v161
	v_mul_f32_e32 v162, v177, v180
	v_fma_f32 v164, v180, v177, -v162
	v_fmac_f32_e32 v164, v180, v65
	v_add_f32_e32 v179, v163, v160
	v_add_f32_e32 v160, v162, v164
	v_sub_f32_e32 v163, v161, v160
	v_pk_add_f32 v[166:167], v[160:161], v[162:163] neg_lo:[0,1] neg_hi:[0,1]
	v_mov_b32_e32 v165, v160
	v_pk_add_f32 v[160:161], v[166:167], v[164:165] neg_lo:[0,1] neg_hi:[0,1]
	v_cmp_eq_f32_e32 vcc, s71, v67
	v_add_f32_e32 v161, v179, v161
	v_add_f32_e32 v160, v160, v161
	;; [unrolled: 1-line block ×3, first 2 shown]
	v_mul_f32_e32 v179, v178, v161
	v_mul_f32_e32 v162, v177, v179
	v_fma_f32 v164, v179, v177, -v162
	v_fmac_f32_e32 v164, v179, v65
	v_sub_f32_e32 v65, v163, v161
	v_add_f32_e32 v65, v160, v65
	v_add_f32_e32 v160, v162, v164
	v_sub_f32_e32 v163, v161, v160
	v_pk_add_f32 v[166:167], v[160:161], v[162:163] neg_lo:[0,1] neg_hi:[0,1]
	v_mov_b32_e32 v165, v160
	v_pk_add_f32 v[160:161], v[166:167], v[164:165] neg_lo:[0,1] neg_hi:[0,1]
	s_or_b64 vcc, vcc, s[76:77]
	v_add_f32_e32 v65, v65, v161
	v_add_f32_e32 v65, v160, v65
	;; [unrolled: 1-line block ×4, first 2 shown]
	v_sub_f32_e32 v160, v161, v180
	v_mul_f32_e32 v65, v178, v65
	v_sub_f32_e32 v160, v179, v160
	v_add_f32_e32 v162, v160, v65
	v_add_f32_e32 v164, v161, v162
	v_cvt_f32_i32_e32 v160, v176
	v_mul_f32_e32 v165, v164, v164
	v_sub_f32_e32 v161, v164, v161
	v_fmamk_f32 v65, v165, 0x3e9b6dac, v149
	v_sub_f32_e32 v161, v162, v161
	v_fmaak_f32 v65, v165, v65, 0x3f2aaada
	v_ldexp_f32 v166, v161, 1
	v_mul_f32_e32 v161, v164, v165
	v_ldexp_f32 v163, v164, 1
	v_pk_mul_f32 v[164:165], v[160:161], v[64:65]
	s_nop 0
	v_fma_f32 v162, v160, s73, -v164
	v_fmac_f32_e32 v162, 0xb102e308, v160
	v_pk_add_f32 v[160:161], v[164:165], v[162:163]
	s_nop 0
	v_sub_f32_e32 v65, v161, v163
	v_sub_f32_e32 v65, v165, v65
	v_add_f32_e32 v167, v166, v65
	v_mov_b32_e32 v166, v164
	v_pk_add_f32 v[164:165], v[160:161], v[164:165] neg_lo:[0,1] neg_hi:[0,1]
	v_pk_add_f32 v[176:177], v[160:161], v[166:167]
	v_mov_b32_e32 v163, v160
	v_mov_b32_e32 v165, v177
	v_pk_add_f32 v[178:179], v[162:163], v[164:165] neg_lo:[0,1] neg_hi:[0,1]
	v_pk_add_f32 v[162:163], v[162:163], v[164:165]
	v_mov_b32_e32 v166, v167
	v_mov_b32_e32 v164, v163
	v_pk_add_f32 v[180:181], v[164:165], v[160:161] neg_lo:[0,1] neg_hi:[0,1]
	v_mov_b32_e32 v162, v177
	v_mov_b32_e32 v65, v180
	v_pk_add_f32 v[182:183], v[176:177], v[64:65] neg_lo:[0,1] neg_hi:[0,1]
	v_mov_b32_e32 v176, v161
	v_mov_b32_e32 v177, v180
	;; [unrolled: 1-line block ×3, first 2 shown]
	v_pk_add_f32 v[162:163], v[162:163], v[176:177] neg_lo:[0,1] neg_hi:[0,1]
	v_mov_b32_e32 v167, v160
	v_pk_add_f32 v[160:161], v[166:167], v[162:163] neg_lo:[0,1] neg_hi:[0,1]
	v_mov_b32_e32 v182, v178
	v_pk_add_f32 v[162:163], v[182:183], v[160:161]
	s_nop 0
	v_mov_b32_e32 v166, v163
	v_pk_add_f32 v[166:167], v[162:163], v[166:167]
	s_nop 0
	v_pk_add_f32 v[164:165], v[164:165], v[166:167]
	v_mov_b32_e32 v161, v166
	v_mov_b32_e32 v163, v164
	v_pk_add_f32 v[176:177], v[162:163], v[178:179] neg_lo:[0,1] neg_hi:[0,1]
	s_nop 0
	v_sub_f32_e32 v65, v162, v176
	v_pk_add_f32 v[160:161], v[160:161], v[176:177] neg_lo:[0,1] neg_hi:[0,1]
	v_sub_f32_e32 v65, v178, v65
	v_add_f32_e32 v65, v160, v65
	v_add_f32_e32 v65, v65, v161
	;; [unrolled: 1-line block ×3, first 2 shown]
	v_cndmask_b32_e32 v65, v65, v67, vcc
	v_add_f32_e32 v67, v54, v65
.LBB141_186:                            ;   in Loop: Header=BB141_176 Depth=1
	s_or_b64 exec, exec, s[60:61]
	v_mov_b32_e32 v54, v67
	v_mov_b32_e32 v65, v67
.LBB141_187:                            ;   in Loop: Header=BB141_176 Depth=1
	s_or_b64 exec, exec, s[66:67]
	s_waitcnt lgkmcnt(0)
	ds_bpermute_b32 v67, v130, v54
	v_cmp_le_u32_e32 vcc, v131, v66
	s_and_saveexec_b64 s[66:67], vcc
	s_cbranch_execz .LBB141_191
; %bb.188:                              ;   in Loop: Header=BB141_176 Depth=1
	v_max_f32_e32 v54, v65, v65
	s_waitcnt lgkmcnt(0)
	v_max_f32_e32 v161, v67, v67
	v_min_f32_e32 v160, v161, v54
	v_cmp_u_f32_e32 vcc, v67, v67
	v_max_f32_e32 v54, v161, v54
	v_cmp_u_f32_e64 s[60:61], v65, v65
	v_cndmask_b32_e32 v160, v160, v67, vcc
	v_cndmask_b32_e32 v54, v54, v67, vcc
	v_cndmask_b32_e64 v160, v160, v65, s[60:61]
	v_cndmask_b32_e64 v54, v54, v65, s[60:61]
	v_cmp_neq_f32_e32 vcc, v160, v54
	v_cmp_class_f32_e64 s[60:61], v160, s13
	s_or_b64 vcc, vcc, s[60:61]
	s_and_saveexec_b64 s[60:61], vcc
	s_cbranch_execz .LBB141_190
; %bb.189:                              ;   in Loop: Header=BB141_176 Depth=1
	v_sub_f32_e32 v65, v160, v54
	v_mul_f32_e32 v67, 0x3fb8aa3b, v65
	v_fma_f32 v160, v65, s68, -v67
	v_rndne_f32_e32 v161, v67
	v_fmac_f32_e32 v160, 0x32a5705f, v65
	v_sub_f32_e32 v67, v67, v161
	v_add_f32_e32 v67, v67, v160
	v_cvt_i32_f32_e32 v160, v161
	v_exp_f32_e32 v67, v67
	v_cmp_ngt_f32_e32 vcc, s69, v65
	v_ldexp_f32 v67, v67, v160
	s_nop 0
	v_cndmask_b32_e32 v67, 0, v67, vcc
	v_cmp_nlt_f32_e32 vcc, s70, v65
	s_nop 1
	v_cndmask_b32_e32 v67, v151, v67, vcc
	v_add_f32_e32 v65, 1.0, v67
	v_add_f32_e32 v160, -1.0, v65
	v_sub_f32_e32 v161, v160, v65
	v_add_f32_e32 v161, 1.0, v161
	v_sub_f32_e32 v160, v67, v160
	v_add_f32_e32 v162, v160, v161
	v_frexp_mant_f32_e32 v163, v65
	v_cvt_f64_f32_e32 v[160:161], v65
	v_frexp_exp_i32_f64_e32 v160, v[160:161]
	v_cmp_gt_f32_e32 vcc, s72, v163
	v_cmp_lt_f32_e64 s[76:77], |v67|, s74
	s_nop 0
	v_subbrev_co_u32_e32 v176, vcc, 0, v160, vcc
	v_sub_u32_e32 v160, 0, v176
	v_ldexp_f32 v65, v65, v160
	v_ldexp_f32 v160, v162, v160
	v_add_f32_e32 v162, -1.0, v65
	v_add_f32_e32 v161, 1.0, v162
	v_sub_f32_e32 v161, v65, v161
	v_add_f32_e32 v163, v160, v161
	v_add_f32_e32 v161, 1.0, v65
	v_add_f32_e32 v164, -1.0, v161
	v_sub_f32_e32 v65, v65, v164
	v_add_f32_e32 v65, v160, v65
	v_add_f32_e32 v177, v161, v65
	v_rcp_f32_e32 v178, v177
	v_sub_f32_e32 v160, v161, v177
	v_add_f32_e32 v161, v162, v163
	v_add_f32_e32 v65, v65, v160
	v_mul_f32_e32 v180, v161, v178
	v_sub_f32_e32 v160, v162, v161
	v_mul_f32_e32 v162, v177, v180
	v_fma_f32 v164, v180, v177, -v162
	v_fmac_f32_e32 v164, v180, v65
	v_add_f32_e32 v179, v163, v160
	v_add_f32_e32 v160, v162, v164
	v_sub_f32_e32 v163, v161, v160
	v_pk_add_f32 v[166:167], v[160:161], v[162:163] neg_lo:[0,1] neg_hi:[0,1]
	v_mov_b32_e32 v165, v160
	v_pk_add_f32 v[160:161], v[166:167], v[164:165] neg_lo:[0,1] neg_hi:[0,1]
	v_cmp_eq_f32_e32 vcc, s71, v67
	v_add_f32_e32 v161, v179, v161
	v_add_f32_e32 v160, v160, v161
	v_add_f32_e32 v161, v163, v160
	v_mul_f32_e32 v179, v178, v161
	v_mul_f32_e32 v162, v177, v179
	v_fma_f32 v164, v179, v177, -v162
	v_fmac_f32_e32 v164, v179, v65
	v_sub_f32_e32 v65, v163, v161
	v_add_f32_e32 v65, v160, v65
	v_add_f32_e32 v160, v162, v164
	v_sub_f32_e32 v163, v161, v160
	v_pk_add_f32 v[166:167], v[160:161], v[162:163] neg_lo:[0,1] neg_hi:[0,1]
	v_mov_b32_e32 v165, v160
	v_pk_add_f32 v[160:161], v[166:167], v[164:165] neg_lo:[0,1] neg_hi:[0,1]
	s_or_b64 vcc, vcc, s[76:77]
	v_add_f32_e32 v65, v65, v161
	v_add_f32_e32 v65, v160, v65
	;; [unrolled: 1-line block ×4, first 2 shown]
	v_sub_f32_e32 v160, v161, v180
	v_mul_f32_e32 v65, v178, v65
	v_sub_f32_e32 v160, v179, v160
	v_add_f32_e32 v162, v160, v65
	v_add_f32_e32 v164, v161, v162
	v_cvt_f32_i32_e32 v160, v176
	v_mul_f32_e32 v165, v164, v164
	v_sub_f32_e32 v161, v164, v161
	v_fmamk_f32 v65, v165, 0x3e9b6dac, v149
	v_sub_f32_e32 v161, v162, v161
	v_fmaak_f32 v65, v165, v65, 0x3f2aaada
	v_ldexp_f32 v166, v161, 1
	v_mul_f32_e32 v161, v164, v165
	v_ldexp_f32 v163, v164, 1
	v_pk_mul_f32 v[164:165], v[160:161], v[64:65]
	s_nop 0
	v_fma_f32 v162, v160, s73, -v164
	v_fmac_f32_e32 v162, 0xb102e308, v160
	v_pk_add_f32 v[160:161], v[164:165], v[162:163]
	s_nop 0
	v_sub_f32_e32 v65, v161, v163
	v_sub_f32_e32 v65, v165, v65
	v_add_f32_e32 v167, v166, v65
	v_mov_b32_e32 v166, v164
	v_pk_add_f32 v[164:165], v[160:161], v[164:165] neg_lo:[0,1] neg_hi:[0,1]
	v_pk_add_f32 v[176:177], v[160:161], v[166:167]
	v_mov_b32_e32 v163, v160
	v_mov_b32_e32 v165, v177
	v_pk_add_f32 v[178:179], v[162:163], v[164:165] neg_lo:[0,1] neg_hi:[0,1]
	v_pk_add_f32 v[162:163], v[162:163], v[164:165]
	v_mov_b32_e32 v166, v167
	v_mov_b32_e32 v164, v163
	v_pk_add_f32 v[180:181], v[164:165], v[160:161] neg_lo:[0,1] neg_hi:[0,1]
	v_mov_b32_e32 v162, v177
	v_mov_b32_e32 v65, v180
	v_pk_add_f32 v[182:183], v[176:177], v[64:65] neg_lo:[0,1] neg_hi:[0,1]
	v_mov_b32_e32 v176, v161
	v_mov_b32_e32 v177, v180
	;; [unrolled: 1-line block ×3, first 2 shown]
	v_pk_add_f32 v[162:163], v[162:163], v[176:177] neg_lo:[0,1] neg_hi:[0,1]
	v_mov_b32_e32 v167, v160
	v_pk_add_f32 v[160:161], v[166:167], v[162:163] neg_lo:[0,1] neg_hi:[0,1]
	v_mov_b32_e32 v182, v178
	v_pk_add_f32 v[162:163], v[182:183], v[160:161]
	s_nop 0
	v_mov_b32_e32 v166, v163
	v_pk_add_f32 v[166:167], v[162:163], v[166:167]
	s_nop 0
	v_pk_add_f32 v[164:165], v[164:165], v[166:167]
	v_mov_b32_e32 v161, v166
	v_mov_b32_e32 v163, v164
	v_pk_add_f32 v[176:177], v[162:163], v[178:179] neg_lo:[0,1] neg_hi:[0,1]
	s_nop 0
	v_sub_f32_e32 v65, v162, v176
	v_pk_add_f32 v[160:161], v[160:161], v[176:177] neg_lo:[0,1] neg_hi:[0,1]
	v_sub_f32_e32 v65, v178, v65
	v_add_f32_e32 v65, v160, v65
	v_add_f32_e32 v65, v65, v161
	;; [unrolled: 1-line block ×3, first 2 shown]
	v_cndmask_b32_e32 v65, v65, v67, vcc
	v_add_f32_e32 v67, v54, v65
.LBB141_190:                            ;   in Loop: Header=BB141_176 Depth=1
	s_or_b64 exec, exec, s[60:61]
	v_mov_b32_e32 v54, v67
	v_mov_b32_e32 v65, v67
.LBB141_191:                            ;   in Loop: Header=BB141_176 Depth=1
	s_or_b64 exec, exec, s[66:67]
	s_waitcnt lgkmcnt(0)
	ds_bpermute_b32 v67, v132, v54
	v_cmp_le_u32_e32 vcc, v133, v66
	s_and_saveexec_b64 s[66:67], vcc
	s_cbranch_execz .LBB141_195
; %bb.192:                              ;   in Loop: Header=BB141_176 Depth=1
	v_max_f32_e32 v54, v65, v65
	s_waitcnt lgkmcnt(0)
	v_max_f32_e32 v161, v67, v67
	v_min_f32_e32 v160, v161, v54
	v_cmp_u_f32_e32 vcc, v67, v67
	v_max_f32_e32 v54, v161, v54
	v_cmp_u_f32_e64 s[60:61], v65, v65
	v_cndmask_b32_e32 v160, v160, v67, vcc
	v_cndmask_b32_e32 v54, v54, v67, vcc
	v_cndmask_b32_e64 v160, v160, v65, s[60:61]
	v_cndmask_b32_e64 v54, v54, v65, s[60:61]
	v_cmp_neq_f32_e32 vcc, v160, v54
	v_cmp_class_f32_e64 s[60:61], v160, s13
	s_or_b64 vcc, vcc, s[60:61]
	s_and_saveexec_b64 s[60:61], vcc
	s_cbranch_execz .LBB141_194
; %bb.193:                              ;   in Loop: Header=BB141_176 Depth=1
	v_sub_f32_e32 v65, v160, v54
	v_mul_f32_e32 v67, 0x3fb8aa3b, v65
	v_fma_f32 v160, v65, s68, -v67
	v_rndne_f32_e32 v161, v67
	v_fmac_f32_e32 v160, 0x32a5705f, v65
	v_sub_f32_e32 v67, v67, v161
	v_add_f32_e32 v67, v67, v160
	v_cvt_i32_f32_e32 v160, v161
	v_exp_f32_e32 v67, v67
	v_cmp_ngt_f32_e32 vcc, s69, v65
	v_ldexp_f32 v67, v67, v160
	s_nop 0
	v_cndmask_b32_e32 v67, 0, v67, vcc
	v_cmp_nlt_f32_e32 vcc, s70, v65
	s_nop 1
	v_cndmask_b32_e32 v67, v151, v67, vcc
	v_add_f32_e32 v65, 1.0, v67
	v_add_f32_e32 v160, -1.0, v65
	v_sub_f32_e32 v161, v160, v65
	v_add_f32_e32 v161, 1.0, v161
	v_sub_f32_e32 v160, v67, v160
	v_add_f32_e32 v162, v160, v161
	v_frexp_mant_f32_e32 v163, v65
	v_cvt_f64_f32_e32 v[160:161], v65
	v_frexp_exp_i32_f64_e32 v160, v[160:161]
	v_cmp_gt_f32_e32 vcc, s72, v163
	v_cmp_lt_f32_e64 s[76:77], |v67|, s74
	s_nop 0
	v_subbrev_co_u32_e32 v176, vcc, 0, v160, vcc
	v_sub_u32_e32 v160, 0, v176
	v_ldexp_f32 v65, v65, v160
	v_ldexp_f32 v160, v162, v160
	v_add_f32_e32 v162, -1.0, v65
	v_add_f32_e32 v161, 1.0, v162
	v_sub_f32_e32 v161, v65, v161
	v_add_f32_e32 v163, v160, v161
	v_add_f32_e32 v161, 1.0, v65
	v_add_f32_e32 v164, -1.0, v161
	v_sub_f32_e32 v65, v65, v164
	v_add_f32_e32 v65, v160, v65
	v_add_f32_e32 v177, v161, v65
	v_rcp_f32_e32 v178, v177
	v_sub_f32_e32 v160, v161, v177
	v_add_f32_e32 v161, v162, v163
	v_add_f32_e32 v65, v65, v160
	v_mul_f32_e32 v180, v161, v178
	v_sub_f32_e32 v160, v162, v161
	v_mul_f32_e32 v162, v177, v180
	v_fma_f32 v164, v180, v177, -v162
	v_fmac_f32_e32 v164, v180, v65
	v_add_f32_e32 v179, v163, v160
	v_add_f32_e32 v160, v162, v164
	v_sub_f32_e32 v163, v161, v160
	v_pk_add_f32 v[166:167], v[160:161], v[162:163] neg_lo:[0,1] neg_hi:[0,1]
	v_mov_b32_e32 v165, v160
	v_pk_add_f32 v[160:161], v[166:167], v[164:165] neg_lo:[0,1] neg_hi:[0,1]
	v_cmp_eq_f32_e32 vcc, s71, v67
	v_add_f32_e32 v161, v179, v161
	v_add_f32_e32 v160, v160, v161
	;; [unrolled: 1-line block ×3, first 2 shown]
	v_mul_f32_e32 v179, v178, v161
	v_mul_f32_e32 v162, v177, v179
	v_fma_f32 v164, v179, v177, -v162
	v_fmac_f32_e32 v164, v179, v65
	v_sub_f32_e32 v65, v163, v161
	v_add_f32_e32 v65, v160, v65
	v_add_f32_e32 v160, v162, v164
	v_sub_f32_e32 v163, v161, v160
	v_pk_add_f32 v[166:167], v[160:161], v[162:163] neg_lo:[0,1] neg_hi:[0,1]
	v_mov_b32_e32 v165, v160
	v_pk_add_f32 v[160:161], v[166:167], v[164:165] neg_lo:[0,1] neg_hi:[0,1]
	s_or_b64 vcc, vcc, s[76:77]
	v_add_f32_e32 v65, v65, v161
	v_add_f32_e32 v65, v160, v65
	;; [unrolled: 1-line block ×4, first 2 shown]
	v_sub_f32_e32 v160, v161, v180
	v_mul_f32_e32 v65, v178, v65
	v_sub_f32_e32 v160, v179, v160
	v_add_f32_e32 v162, v160, v65
	v_add_f32_e32 v164, v161, v162
	v_cvt_f32_i32_e32 v160, v176
	v_mul_f32_e32 v165, v164, v164
	v_sub_f32_e32 v161, v164, v161
	v_fmamk_f32 v65, v165, 0x3e9b6dac, v149
	v_sub_f32_e32 v161, v162, v161
	v_fmaak_f32 v65, v165, v65, 0x3f2aaada
	v_ldexp_f32 v166, v161, 1
	v_mul_f32_e32 v161, v164, v165
	v_ldexp_f32 v163, v164, 1
	v_pk_mul_f32 v[164:165], v[160:161], v[64:65]
	s_nop 0
	v_fma_f32 v162, v160, s73, -v164
	v_fmac_f32_e32 v162, 0xb102e308, v160
	v_pk_add_f32 v[160:161], v[164:165], v[162:163]
	s_nop 0
	v_sub_f32_e32 v65, v161, v163
	v_sub_f32_e32 v65, v165, v65
	v_add_f32_e32 v167, v166, v65
	v_mov_b32_e32 v166, v164
	v_pk_add_f32 v[164:165], v[160:161], v[164:165] neg_lo:[0,1] neg_hi:[0,1]
	v_pk_add_f32 v[176:177], v[160:161], v[166:167]
	v_mov_b32_e32 v163, v160
	v_mov_b32_e32 v165, v177
	v_pk_add_f32 v[178:179], v[162:163], v[164:165] neg_lo:[0,1] neg_hi:[0,1]
	v_pk_add_f32 v[162:163], v[162:163], v[164:165]
	v_mov_b32_e32 v166, v167
	v_mov_b32_e32 v164, v163
	v_pk_add_f32 v[180:181], v[164:165], v[160:161] neg_lo:[0,1] neg_hi:[0,1]
	v_mov_b32_e32 v162, v177
	v_mov_b32_e32 v65, v180
	v_pk_add_f32 v[182:183], v[176:177], v[64:65] neg_lo:[0,1] neg_hi:[0,1]
	v_mov_b32_e32 v176, v161
	v_mov_b32_e32 v177, v180
	;; [unrolled: 1-line block ×3, first 2 shown]
	v_pk_add_f32 v[162:163], v[162:163], v[176:177] neg_lo:[0,1] neg_hi:[0,1]
	v_mov_b32_e32 v167, v160
	v_pk_add_f32 v[160:161], v[166:167], v[162:163] neg_lo:[0,1] neg_hi:[0,1]
	v_mov_b32_e32 v182, v178
	v_pk_add_f32 v[162:163], v[182:183], v[160:161]
	s_nop 0
	v_mov_b32_e32 v166, v163
	v_pk_add_f32 v[166:167], v[162:163], v[166:167]
	s_nop 0
	v_pk_add_f32 v[164:165], v[164:165], v[166:167]
	v_mov_b32_e32 v161, v166
	v_mov_b32_e32 v163, v164
	v_pk_add_f32 v[176:177], v[162:163], v[178:179] neg_lo:[0,1] neg_hi:[0,1]
	s_nop 0
	v_sub_f32_e32 v65, v162, v176
	v_pk_add_f32 v[160:161], v[160:161], v[176:177] neg_lo:[0,1] neg_hi:[0,1]
	v_sub_f32_e32 v65, v178, v65
	v_add_f32_e32 v65, v160, v65
	v_add_f32_e32 v65, v65, v161
	;; [unrolled: 1-line block ×3, first 2 shown]
	v_cndmask_b32_e32 v65, v65, v67, vcc
	v_add_f32_e32 v67, v54, v65
.LBB141_194:                            ;   in Loop: Header=BB141_176 Depth=1
	s_or_b64 exec, exec, s[60:61]
	v_mov_b32_e32 v54, v67
	v_mov_b32_e32 v65, v67
.LBB141_195:                            ;   in Loop: Header=BB141_176 Depth=1
	s_or_b64 exec, exec, s[66:67]
	s_waitcnt lgkmcnt(0)
	ds_bpermute_b32 v67, v134, v54
	v_cmp_le_u32_e32 vcc, v135, v66
	s_and_saveexec_b64 s[66:67], vcc
	s_cbranch_execz .LBB141_199
; %bb.196:                              ;   in Loop: Header=BB141_176 Depth=1
	v_max_f32_e32 v54, v65, v65
	s_waitcnt lgkmcnt(0)
	v_max_f32_e32 v161, v67, v67
	v_min_f32_e32 v160, v161, v54
	v_cmp_u_f32_e32 vcc, v67, v67
	v_max_f32_e32 v54, v161, v54
	v_cmp_u_f32_e64 s[60:61], v65, v65
	v_cndmask_b32_e32 v160, v160, v67, vcc
	v_cndmask_b32_e32 v54, v54, v67, vcc
	v_cndmask_b32_e64 v160, v160, v65, s[60:61]
	v_cndmask_b32_e64 v54, v54, v65, s[60:61]
	v_cmp_neq_f32_e32 vcc, v160, v54
	v_cmp_class_f32_e64 s[60:61], v160, s13
	s_or_b64 vcc, vcc, s[60:61]
	s_and_saveexec_b64 s[60:61], vcc
	s_cbranch_execz .LBB141_198
; %bb.197:                              ;   in Loop: Header=BB141_176 Depth=1
	v_sub_f32_e32 v65, v160, v54
	v_mul_f32_e32 v67, 0x3fb8aa3b, v65
	v_fma_f32 v160, v65, s68, -v67
	v_rndne_f32_e32 v161, v67
	v_fmac_f32_e32 v160, 0x32a5705f, v65
	v_sub_f32_e32 v67, v67, v161
	v_add_f32_e32 v67, v67, v160
	v_cvt_i32_f32_e32 v160, v161
	v_exp_f32_e32 v67, v67
	v_cmp_ngt_f32_e32 vcc, s69, v65
	v_ldexp_f32 v67, v67, v160
	s_nop 0
	v_cndmask_b32_e32 v67, 0, v67, vcc
	v_cmp_nlt_f32_e32 vcc, s70, v65
	s_nop 1
	v_cndmask_b32_e32 v67, v151, v67, vcc
	v_add_f32_e32 v65, 1.0, v67
	v_add_f32_e32 v160, -1.0, v65
	v_sub_f32_e32 v161, v160, v65
	v_add_f32_e32 v161, 1.0, v161
	v_sub_f32_e32 v160, v67, v160
	v_add_f32_e32 v162, v160, v161
	v_frexp_mant_f32_e32 v163, v65
	v_cvt_f64_f32_e32 v[160:161], v65
	v_frexp_exp_i32_f64_e32 v160, v[160:161]
	v_cmp_gt_f32_e32 vcc, s72, v163
	v_cmp_lt_f32_e64 s[76:77], |v67|, s74
	s_nop 0
	v_subbrev_co_u32_e32 v176, vcc, 0, v160, vcc
	v_sub_u32_e32 v160, 0, v176
	v_ldexp_f32 v65, v65, v160
	v_ldexp_f32 v160, v162, v160
	v_add_f32_e32 v162, -1.0, v65
	v_add_f32_e32 v161, 1.0, v162
	v_sub_f32_e32 v161, v65, v161
	v_add_f32_e32 v163, v160, v161
	v_add_f32_e32 v161, 1.0, v65
	v_add_f32_e32 v164, -1.0, v161
	v_sub_f32_e32 v65, v65, v164
	v_add_f32_e32 v65, v160, v65
	v_add_f32_e32 v177, v161, v65
	v_rcp_f32_e32 v178, v177
	v_sub_f32_e32 v160, v161, v177
	v_add_f32_e32 v161, v162, v163
	v_add_f32_e32 v65, v65, v160
	v_mul_f32_e32 v180, v161, v178
	v_sub_f32_e32 v160, v162, v161
	v_mul_f32_e32 v162, v177, v180
	v_fma_f32 v164, v180, v177, -v162
	v_fmac_f32_e32 v164, v180, v65
	v_add_f32_e32 v179, v163, v160
	v_add_f32_e32 v160, v162, v164
	v_sub_f32_e32 v163, v161, v160
	v_pk_add_f32 v[166:167], v[160:161], v[162:163] neg_lo:[0,1] neg_hi:[0,1]
	v_mov_b32_e32 v165, v160
	v_pk_add_f32 v[160:161], v[166:167], v[164:165] neg_lo:[0,1] neg_hi:[0,1]
	v_cmp_eq_f32_e32 vcc, s71, v67
	v_add_f32_e32 v161, v179, v161
	v_add_f32_e32 v160, v160, v161
	;; [unrolled: 1-line block ×3, first 2 shown]
	v_mul_f32_e32 v179, v178, v161
	v_mul_f32_e32 v162, v177, v179
	v_fma_f32 v164, v179, v177, -v162
	v_fmac_f32_e32 v164, v179, v65
	v_sub_f32_e32 v65, v163, v161
	v_add_f32_e32 v65, v160, v65
	v_add_f32_e32 v160, v162, v164
	v_sub_f32_e32 v163, v161, v160
	v_pk_add_f32 v[166:167], v[160:161], v[162:163] neg_lo:[0,1] neg_hi:[0,1]
	v_mov_b32_e32 v165, v160
	v_pk_add_f32 v[160:161], v[166:167], v[164:165] neg_lo:[0,1] neg_hi:[0,1]
	s_or_b64 vcc, vcc, s[76:77]
	v_add_f32_e32 v65, v65, v161
	v_add_f32_e32 v65, v160, v65
	;; [unrolled: 1-line block ×4, first 2 shown]
	v_sub_f32_e32 v160, v161, v180
	v_mul_f32_e32 v65, v178, v65
	v_sub_f32_e32 v160, v179, v160
	v_add_f32_e32 v162, v160, v65
	v_add_f32_e32 v164, v161, v162
	v_cvt_f32_i32_e32 v160, v176
	v_mul_f32_e32 v165, v164, v164
	v_sub_f32_e32 v161, v164, v161
	v_fmamk_f32 v65, v165, 0x3e9b6dac, v149
	v_sub_f32_e32 v161, v162, v161
	v_fmaak_f32 v65, v165, v65, 0x3f2aaada
	v_ldexp_f32 v166, v161, 1
	v_mul_f32_e32 v161, v164, v165
	v_ldexp_f32 v163, v164, 1
	v_pk_mul_f32 v[164:165], v[160:161], v[64:65]
	s_nop 0
	v_fma_f32 v162, v160, s73, -v164
	v_fmac_f32_e32 v162, 0xb102e308, v160
	v_pk_add_f32 v[160:161], v[164:165], v[162:163]
	s_nop 0
	v_sub_f32_e32 v65, v161, v163
	v_sub_f32_e32 v65, v165, v65
	v_add_f32_e32 v167, v166, v65
	v_mov_b32_e32 v166, v164
	v_pk_add_f32 v[164:165], v[160:161], v[164:165] neg_lo:[0,1] neg_hi:[0,1]
	v_pk_add_f32 v[176:177], v[160:161], v[166:167]
	v_mov_b32_e32 v163, v160
	v_mov_b32_e32 v165, v177
	v_pk_add_f32 v[178:179], v[162:163], v[164:165] neg_lo:[0,1] neg_hi:[0,1]
	v_pk_add_f32 v[162:163], v[162:163], v[164:165]
	v_mov_b32_e32 v166, v167
	v_mov_b32_e32 v164, v163
	v_pk_add_f32 v[180:181], v[164:165], v[160:161] neg_lo:[0,1] neg_hi:[0,1]
	v_mov_b32_e32 v162, v177
	v_mov_b32_e32 v65, v180
	v_pk_add_f32 v[182:183], v[176:177], v[64:65] neg_lo:[0,1] neg_hi:[0,1]
	v_mov_b32_e32 v176, v161
	v_mov_b32_e32 v177, v180
	v_mov_b32_e32 v179, v163
	v_pk_add_f32 v[162:163], v[162:163], v[176:177] neg_lo:[0,1] neg_hi:[0,1]
	v_mov_b32_e32 v167, v160
	v_pk_add_f32 v[160:161], v[166:167], v[162:163] neg_lo:[0,1] neg_hi:[0,1]
	v_mov_b32_e32 v182, v178
	v_pk_add_f32 v[162:163], v[182:183], v[160:161]
	s_nop 0
	v_mov_b32_e32 v166, v163
	v_pk_add_f32 v[166:167], v[162:163], v[166:167]
	s_nop 0
	v_pk_add_f32 v[164:165], v[164:165], v[166:167]
	v_mov_b32_e32 v161, v166
	v_mov_b32_e32 v163, v164
	v_pk_add_f32 v[176:177], v[162:163], v[178:179] neg_lo:[0,1] neg_hi:[0,1]
	s_nop 0
	v_sub_f32_e32 v65, v162, v176
	v_pk_add_f32 v[160:161], v[160:161], v[176:177] neg_lo:[0,1] neg_hi:[0,1]
	v_sub_f32_e32 v65, v178, v65
	v_add_f32_e32 v65, v160, v65
	v_add_f32_e32 v65, v65, v161
	v_add_f32_e32 v65, v164, v65
	v_cndmask_b32_e32 v65, v65, v67, vcc
	v_add_f32_e32 v67, v54, v65
.LBB141_198:                            ;   in Loop: Header=BB141_176 Depth=1
	s_or_b64 exec, exec, s[60:61]
	v_mov_b32_e32 v54, v67
	v_mov_b32_e32 v65, v67
.LBB141_199:                            ;   in Loop: Header=BB141_176 Depth=1
	s_or_b64 exec, exec, s[66:67]
	s_waitcnt lgkmcnt(0)
	ds_bpermute_b32 v67, v144, v54
	v_cmp_le_u32_e32 vcc, v145, v66
	s_and_saveexec_b64 s[66:67], vcc
	s_cbranch_execz .LBB141_203
; %bb.200:                              ;   in Loop: Header=BB141_176 Depth=1
	v_max_f32_e32 v54, v65, v65
	s_waitcnt lgkmcnt(0)
	v_max_f32_e32 v161, v67, v67
	v_min_f32_e32 v160, v161, v54
	v_cmp_u_f32_e32 vcc, v67, v67
	v_max_f32_e32 v54, v161, v54
	v_cmp_u_f32_e64 s[60:61], v65, v65
	v_cndmask_b32_e32 v160, v160, v67, vcc
	v_cndmask_b32_e32 v54, v54, v67, vcc
	v_cndmask_b32_e64 v160, v160, v65, s[60:61]
	v_cndmask_b32_e64 v54, v54, v65, s[60:61]
	v_cmp_neq_f32_e32 vcc, v160, v54
	v_cmp_class_f32_e64 s[60:61], v160, s13
	s_or_b64 vcc, vcc, s[60:61]
	s_and_saveexec_b64 s[60:61], vcc
	s_cbranch_execz .LBB141_202
; %bb.201:                              ;   in Loop: Header=BB141_176 Depth=1
	v_sub_f32_e32 v65, v160, v54
	v_mul_f32_e32 v67, 0x3fb8aa3b, v65
	v_fma_f32 v160, v65, s68, -v67
	v_rndne_f32_e32 v161, v67
	v_fmac_f32_e32 v160, 0x32a5705f, v65
	v_sub_f32_e32 v67, v67, v161
	v_add_f32_e32 v67, v67, v160
	v_cvt_i32_f32_e32 v160, v161
	v_exp_f32_e32 v67, v67
	v_cmp_ngt_f32_e32 vcc, s69, v65
	v_ldexp_f32 v67, v67, v160
	s_nop 0
	v_cndmask_b32_e32 v67, 0, v67, vcc
	v_cmp_nlt_f32_e32 vcc, s70, v65
	s_nop 1
	v_cndmask_b32_e32 v67, v151, v67, vcc
	v_add_f32_e32 v65, 1.0, v67
	v_add_f32_e32 v160, -1.0, v65
	v_sub_f32_e32 v161, v160, v65
	v_add_f32_e32 v161, 1.0, v161
	v_sub_f32_e32 v160, v67, v160
	v_add_f32_e32 v162, v160, v161
	v_frexp_mant_f32_e32 v163, v65
	v_cvt_f64_f32_e32 v[160:161], v65
	v_frexp_exp_i32_f64_e32 v160, v[160:161]
	v_cmp_gt_f32_e32 vcc, s72, v163
	v_cmp_lt_f32_e64 s[76:77], |v67|, s74
	s_nop 0
	v_subbrev_co_u32_e32 v176, vcc, 0, v160, vcc
	v_sub_u32_e32 v160, 0, v176
	v_ldexp_f32 v65, v65, v160
	v_ldexp_f32 v160, v162, v160
	v_add_f32_e32 v162, -1.0, v65
	v_add_f32_e32 v161, 1.0, v162
	v_sub_f32_e32 v161, v65, v161
	v_add_f32_e32 v163, v160, v161
	v_add_f32_e32 v161, 1.0, v65
	v_add_f32_e32 v164, -1.0, v161
	v_sub_f32_e32 v65, v65, v164
	v_add_f32_e32 v65, v160, v65
	v_add_f32_e32 v177, v161, v65
	v_rcp_f32_e32 v178, v177
	v_sub_f32_e32 v160, v161, v177
	v_add_f32_e32 v161, v162, v163
	v_add_f32_e32 v65, v65, v160
	v_mul_f32_e32 v180, v161, v178
	v_sub_f32_e32 v160, v162, v161
	v_mul_f32_e32 v162, v177, v180
	v_fma_f32 v164, v180, v177, -v162
	v_fmac_f32_e32 v164, v180, v65
	v_add_f32_e32 v179, v163, v160
	v_add_f32_e32 v160, v162, v164
	v_sub_f32_e32 v163, v161, v160
	v_pk_add_f32 v[166:167], v[160:161], v[162:163] neg_lo:[0,1] neg_hi:[0,1]
	v_mov_b32_e32 v165, v160
	v_pk_add_f32 v[160:161], v[166:167], v[164:165] neg_lo:[0,1] neg_hi:[0,1]
	v_cmp_eq_f32_e32 vcc, s71, v67
	v_add_f32_e32 v161, v179, v161
	v_add_f32_e32 v160, v160, v161
	;; [unrolled: 1-line block ×3, first 2 shown]
	v_mul_f32_e32 v179, v178, v161
	v_mul_f32_e32 v162, v177, v179
	v_fma_f32 v164, v179, v177, -v162
	v_fmac_f32_e32 v164, v179, v65
	v_sub_f32_e32 v65, v163, v161
	v_add_f32_e32 v65, v160, v65
	v_add_f32_e32 v160, v162, v164
	v_sub_f32_e32 v163, v161, v160
	v_pk_add_f32 v[166:167], v[160:161], v[162:163] neg_lo:[0,1] neg_hi:[0,1]
	v_mov_b32_e32 v165, v160
	v_pk_add_f32 v[160:161], v[166:167], v[164:165] neg_lo:[0,1] neg_hi:[0,1]
	s_or_b64 vcc, vcc, s[76:77]
	v_add_f32_e32 v65, v65, v161
	v_add_f32_e32 v65, v160, v65
	;; [unrolled: 1-line block ×4, first 2 shown]
	v_sub_f32_e32 v160, v161, v180
	v_mul_f32_e32 v65, v178, v65
	v_sub_f32_e32 v160, v179, v160
	v_add_f32_e32 v162, v160, v65
	v_add_f32_e32 v164, v161, v162
	v_cvt_f32_i32_e32 v160, v176
	v_mul_f32_e32 v165, v164, v164
	v_sub_f32_e32 v161, v164, v161
	v_fmamk_f32 v65, v165, 0x3e9b6dac, v149
	v_sub_f32_e32 v161, v162, v161
	v_fmaak_f32 v65, v165, v65, 0x3f2aaada
	v_ldexp_f32 v166, v161, 1
	v_mul_f32_e32 v161, v164, v165
	v_ldexp_f32 v163, v164, 1
	v_pk_mul_f32 v[164:165], v[160:161], v[64:65]
	s_nop 0
	v_fma_f32 v162, v160, s73, -v164
	v_fmac_f32_e32 v162, 0xb102e308, v160
	v_pk_add_f32 v[160:161], v[164:165], v[162:163]
	s_nop 0
	v_sub_f32_e32 v65, v161, v163
	v_sub_f32_e32 v65, v165, v65
	v_add_f32_e32 v167, v166, v65
	v_mov_b32_e32 v166, v164
	v_pk_add_f32 v[164:165], v[160:161], v[164:165] neg_lo:[0,1] neg_hi:[0,1]
	v_pk_add_f32 v[176:177], v[160:161], v[166:167]
	v_mov_b32_e32 v163, v160
	v_mov_b32_e32 v165, v177
	v_pk_add_f32 v[178:179], v[162:163], v[164:165] neg_lo:[0,1] neg_hi:[0,1]
	v_pk_add_f32 v[162:163], v[162:163], v[164:165]
	v_mov_b32_e32 v166, v167
	v_mov_b32_e32 v164, v163
	v_pk_add_f32 v[180:181], v[164:165], v[160:161] neg_lo:[0,1] neg_hi:[0,1]
	v_mov_b32_e32 v162, v177
	v_mov_b32_e32 v65, v180
	v_pk_add_f32 v[182:183], v[176:177], v[64:65] neg_lo:[0,1] neg_hi:[0,1]
	v_mov_b32_e32 v176, v161
	v_mov_b32_e32 v177, v180
	;; [unrolled: 1-line block ×3, first 2 shown]
	v_pk_add_f32 v[162:163], v[162:163], v[176:177] neg_lo:[0,1] neg_hi:[0,1]
	v_mov_b32_e32 v167, v160
	v_pk_add_f32 v[160:161], v[166:167], v[162:163] neg_lo:[0,1] neg_hi:[0,1]
	v_mov_b32_e32 v182, v178
	v_pk_add_f32 v[162:163], v[182:183], v[160:161]
	s_nop 0
	v_mov_b32_e32 v166, v163
	v_pk_add_f32 v[166:167], v[162:163], v[166:167]
	s_nop 0
	v_pk_add_f32 v[164:165], v[164:165], v[166:167]
	v_mov_b32_e32 v161, v166
	v_mov_b32_e32 v163, v164
	v_pk_add_f32 v[176:177], v[162:163], v[178:179] neg_lo:[0,1] neg_hi:[0,1]
	s_nop 0
	v_sub_f32_e32 v65, v162, v176
	v_pk_add_f32 v[160:161], v[160:161], v[176:177] neg_lo:[0,1] neg_hi:[0,1]
	v_sub_f32_e32 v65, v178, v65
	v_add_f32_e32 v65, v160, v65
	v_add_f32_e32 v65, v65, v161
	;; [unrolled: 1-line block ×3, first 2 shown]
	v_cndmask_b32_e32 v65, v65, v67, vcc
	v_add_f32_e32 v67, v54, v65
.LBB141_202:                            ;   in Loop: Header=BB141_176 Depth=1
	s_or_b64 exec, exec, s[60:61]
	v_mov_b32_e32 v54, v67
	v_mov_b32_e32 v65, v67
.LBB141_203:                            ;   in Loop: Header=BB141_176 Depth=1
	s_or_b64 exec, exec, s[66:67]
	s_waitcnt lgkmcnt(0)
	ds_bpermute_b32 v67, v146, v54
	v_cmp_le_u32_e32 vcc, v147, v66
	s_and_saveexec_b64 s[66:67], vcc
	s_cbranch_execz .LBB141_207
; %bb.204:                              ;   in Loop: Header=BB141_176 Depth=1
	v_max_f32_e32 v54, v65, v65
	s_waitcnt lgkmcnt(0)
	v_max_f32_e32 v160, v67, v67
	v_min_f32_e32 v66, v160, v54
	v_cmp_u_f32_e32 vcc, v67, v67
	v_max_f32_e32 v54, v160, v54
	v_cmp_u_f32_e64 s[60:61], v65, v65
	v_cndmask_b32_e32 v66, v66, v67, vcc
	v_cndmask_b32_e32 v54, v54, v67, vcc
	v_cndmask_b32_e64 v66, v66, v65, s[60:61]
	v_cndmask_b32_e64 v54, v54, v65, s[60:61]
	v_cmp_neq_f32_e32 vcc, v66, v54
	v_cmp_class_f32_e64 s[60:61], v66, s13
	s_or_b64 vcc, vcc, s[60:61]
	s_and_saveexec_b64 s[60:61], vcc
	s_cbranch_execz .LBB141_206
; %bb.205:                              ;   in Loop: Header=BB141_176 Depth=1
	v_sub_f32_e32 v65, v66, v54
	v_mul_f32_e32 v66, 0x3fb8aa3b, v65
	v_fma_f32 v67, v65, s68, -v66
	v_rndne_f32_e32 v160, v66
	v_fmac_f32_e32 v67, 0x32a5705f, v65
	v_sub_f32_e32 v66, v66, v160
	v_add_f32_e32 v66, v66, v67
	v_cvt_i32_f32_e32 v67, v160
	v_exp_f32_e32 v66, v66
	v_cmp_ngt_f32_e32 vcc, s69, v65
	v_ldexp_f32 v66, v66, v67
	s_nop 0
	v_cndmask_b32_e32 v66, 0, v66, vcc
	v_cmp_nlt_f32_e32 vcc, s70, v65
	s_nop 1
	v_cndmask_b32_e32 v182, v151, v66, vcc
	v_add_f32_e32 v65, 1.0, v182
	v_add_f32_e32 v66, -1.0, v65
	v_sub_f32_e32 v67, v66, v65
	v_add_f32_e32 v67, 1.0, v67
	v_sub_f32_e32 v66, v182, v66
	v_add_f32_e32 v160, v66, v67
	v_frexp_mant_f32_e32 v161, v65
	v_cvt_f64_f32_e32 v[66:67], v65
	v_frexp_exp_i32_f64_e32 v66, v[66:67]
	v_cmp_gt_f32_e32 vcc, s72, v161
	v_cmp_lt_f32_e64 s[76:77], |v182|, s74
	s_nop 0
	v_subbrev_co_u32_e32 v166, vcc, 0, v66, vcc
	v_sub_u32_e32 v66, 0, v166
	v_ldexp_f32 v65, v65, v66
	v_ldexp_f32 v66, v160, v66
	v_add_f32_e32 v160, -1.0, v65
	v_add_f32_e32 v67, 1.0, v160
	v_sub_f32_e32 v67, v65, v67
	v_add_f32_e32 v161, v66, v67
	v_add_f32_e32 v67, 1.0, v65
	v_add_f32_e32 v162, -1.0, v67
	v_sub_f32_e32 v65, v65, v162
	v_add_f32_e32 v65, v66, v65
	v_add_f32_e32 v167, v67, v65
	v_rcp_f32_e32 v176, v167
	v_sub_f32_e32 v66, v67, v167
	v_add_f32_e32 v67, v160, v161
	v_add_f32_e32 v65, v65, v66
	v_mul_f32_e32 v178, v67, v176
	v_sub_f32_e32 v66, v160, v67
	v_mul_f32_e32 v160, v167, v178
	v_fma_f32 v162, v178, v167, -v160
	v_fmac_f32_e32 v162, v178, v65
	v_add_f32_e32 v177, v161, v66
	v_add_f32_e32 v66, v160, v162
	v_sub_f32_e32 v161, v67, v66
	v_pk_add_f32 v[164:165], v[66:67], v[160:161] neg_lo:[0,1] neg_hi:[0,1]
	v_mov_b32_e32 v163, v66
	v_pk_add_f32 v[66:67], v[164:165], v[162:163] neg_lo:[0,1] neg_hi:[0,1]
	v_cmp_eq_f32_e32 vcc, s71, v182
	v_add_f32_e32 v67, v177, v67
	v_add_f32_e32 v66, v66, v67
	;; [unrolled: 1-line block ×3, first 2 shown]
	v_mul_f32_e32 v177, v176, v67
	v_mul_f32_e32 v160, v167, v177
	v_fma_f32 v162, v177, v167, -v160
	v_fmac_f32_e32 v162, v177, v65
	v_sub_f32_e32 v65, v161, v67
	v_add_f32_e32 v65, v66, v65
	v_add_f32_e32 v66, v160, v162
	v_sub_f32_e32 v161, v67, v66
	v_pk_add_f32 v[164:165], v[66:67], v[160:161] neg_lo:[0,1] neg_hi:[0,1]
	v_mov_b32_e32 v163, v66
	v_pk_add_f32 v[66:67], v[164:165], v[162:163] neg_lo:[0,1] neg_hi:[0,1]
	s_or_b64 vcc, vcc, s[76:77]
	v_add_f32_e32 v65, v65, v67
	v_add_f32_e32 v65, v66, v65
	;; [unrolled: 1-line block ×4, first 2 shown]
	v_sub_f32_e32 v66, v67, v178
	v_mul_f32_e32 v65, v176, v65
	v_sub_f32_e32 v66, v177, v66
	v_add_f32_e32 v160, v66, v65
	v_add_f32_e32 v162, v67, v160
	v_cvt_f32_i32_e32 v66, v166
	v_mul_f32_e32 v163, v162, v162
	v_sub_f32_e32 v67, v162, v67
	v_fmamk_f32 v65, v163, 0x3e9b6dac, v149
	v_sub_f32_e32 v67, v160, v67
	v_fmaak_f32 v65, v163, v65, 0x3f2aaada
	v_ldexp_f32 v164, v67, 1
	v_mul_f32_e32 v67, v162, v163
	v_ldexp_f32 v161, v162, 1
	v_pk_mul_f32 v[162:163], v[66:67], v[64:65]
	s_nop 0
	v_fma_f32 v160, v66, s73, -v162
	v_fmac_f32_e32 v160, 0xb102e308, v66
	v_pk_add_f32 v[66:67], v[162:163], v[160:161]
	s_nop 0
	v_sub_f32_e32 v65, v67, v161
	v_sub_f32_e32 v65, v163, v65
	v_add_f32_e32 v165, v164, v65
	v_mov_b32_e32 v164, v162
	v_pk_add_f32 v[162:163], v[66:67], v[162:163] neg_lo:[0,1] neg_hi:[0,1]
	v_pk_add_f32 v[166:167], v[66:67], v[164:165]
	v_mov_b32_e32 v161, v66
	v_mov_b32_e32 v163, v167
	v_pk_add_f32 v[176:177], v[160:161], v[162:163] neg_lo:[0,1] neg_hi:[0,1]
	v_pk_add_f32 v[160:161], v[160:161], v[162:163]
	v_mov_b32_e32 v164, v165
	v_mov_b32_e32 v162, v161
	v_pk_add_f32 v[178:179], v[162:163], v[66:67] neg_lo:[0,1] neg_hi:[0,1]
	v_mov_b32_e32 v160, v167
	v_mov_b32_e32 v65, v178
	v_pk_add_f32 v[180:181], v[166:167], v[64:65] neg_lo:[0,1] neg_hi:[0,1]
	v_mov_b32_e32 v166, v67
	v_mov_b32_e32 v167, v178
	;; [unrolled: 1-line block ×3, first 2 shown]
	v_pk_add_f32 v[160:161], v[160:161], v[166:167] neg_lo:[0,1] neg_hi:[0,1]
	v_mov_b32_e32 v165, v66
	v_pk_add_f32 v[66:67], v[164:165], v[160:161] neg_lo:[0,1] neg_hi:[0,1]
	v_mov_b32_e32 v180, v176
	v_pk_add_f32 v[160:161], v[180:181], v[66:67]
	s_nop 0
	v_mov_b32_e32 v164, v161
	v_pk_add_f32 v[164:165], v[160:161], v[164:165]
	s_nop 0
	v_pk_add_f32 v[162:163], v[162:163], v[164:165]
	v_mov_b32_e32 v67, v164
	v_mov_b32_e32 v161, v162
	v_pk_add_f32 v[166:167], v[160:161], v[176:177] neg_lo:[0,1] neg_hi:[0,1]
	s_nop 0
	v_sub_f32_e32 v65, v160, v166
	v_pk_add_f32 v[66:67], v[66:67], v[166:167] neg_lo:[0,1] neg_hi:[0,1]
	v_sub_f32_e32 v65, v176, v65
	v_add_f32_e32 v65, v66, v65
	v_add_f32_e32 v65, v65, v67
	;; [unrolled: 1-line block ×3, first 2 shown]
	v_cndmask_b32_e32 v65, v65, v182, vcc
	v_add_f32_e32 v67, v54, v65
.LBB141_206:                            ;   in Loop: Header=BB141_176 Depth=1
	s_or_b64 exec, exec, s[60:61]
	v_mov_b32_e32 v65, v67
.LBB141_207:                            ;   in Loop: Header=BB141_176 Depth=1
	s_or_b64 exec, exec, s[66:67]
	v_max_f32_e32 v54, v148, v148
	s_waitcnt lgkmcnt(0)
	v_max_f32_e32 v67, v65, v65
	v_min_f32_e32 v66, v67, v54
	v_cmp_u_f32_e32 vcc, v65, v65
	v_max_f32_e32 v54, v67, v54
	v_cmp_u_f32_e64 s[60:61], v148, v148
	v_cndmask_b32_e32 v66, v66, v65, vcc
	v_cndmask_b32_e32 v54, v54, v65, vcc
	v_cndmask_b32_e64 v66, v66, v148, s[60:61]
	v_cndmask_b32_e64 v54, v54, v148, s[60:61]
	v_cmp_neq_f32_e32 vcc, v66, v54
	v_cmp_class_f32_e64 s[60:61], v66, s13
	s_or_b64 vcc, vcc, s[60:61]
	s_and_saveexec_b64 s[60:61], vcc
	s_xor_b64 s[60:61], exec, s[60:61]
	s_cbranch_execz .LBB141_175
; %bb.208:                              ;   in Loop: Header=BB141_176 Depth=1
	v_sub_f32_e32 v65, v66, v54
	v_mul_f32_e32 v66, 0x3fb8aa3b, v65
	v_fma_f32 v67, v65, s68, -v66
	v_rndne_f32_e32 v160, v66
	v_fmac_f32_e32 v67, 0x32a5705f, v65
	v_sub_f32_e32 v66, v66, v160
	v_add_f32_e32 v66, v66, v67
	v_cvt_i32_f32_e32 v67, v160
	v_exp_f32_e32 v66, v66
	v_cmp_ngt_f32_e32 vcc, s69, v65
	v_ldexp_f32 v66, v66, v67
	s_nop 0
	v_cndmask_b32_e32 v66, 0, v66, vcc
	v_cmp_nlt_f32_e32 vcc, s70, v65
	s_nop 1
	v_cndmask_b32_e32 v182, v151, v66, vcc
	v_add_f32_e32 v65, 1.0, v182
	v_add_f32_e32 v66, -1.0, v65
	v_sub_f32_e32 v67, v66, v65
	v_add_f32_e32 v67, 1.0, v67
	v_sub_f32_e32 v66, v182, v66
	v_add_f32_e32 v160, v66, v67
	v_frexp_mant_f32_e32 v161, v65
	v_cvt_f64_f32_e32 v[66:67], v65
	v_frexp_exp_i32_f64_e32 v66, v[66:67]
	v_cmp_gt_f32_e32 vcc, s72, v161
	v_cmp_lt_f32_e64 s[66:67], |v182|, s74
	s_nop 0
	v_subbrev_co_u32_e32 v66, vcc, 0, v66, vcc
	v_sub_u32_e32 v67, 0, v66
	v_ldexp_f32 v65, v65, v67
	v_ldexp_f32 v67, v160, v67
	v_add_f32_e32 v160, -1.0, v65
	v_add_f32_e32 v163, 1.0, v65
	v_add_f32_e32 v161, 1.0, v160
	v_add_f32_e32 v164, -1.0, v163
	v_sub_f32_e32 v161, v65, v161
	v_sub_f32_e32 v65, v65, v164
	v_add_f32_e32 v65, v67, v65
	v_add_f32_e32 v161, v67, v161
	;; [unrolled: 1-line block ×3, first 2 shown]
	v_rcp_f32_e32 v164, v67
	v_add_f32_e32 v162, v160, v161
	v_sub_f32_e32 v160, v160, v162
	v_add_f32_e32 v160, v161, v160
	v_sub_f32_e32 v161, v163, v67
	v_add_f32_e32 v65, v65, v161
	v_mul_f32_e32 v161, v162, v164
	v_mul_f32_e32 v163, v67, v161
	v_fma_f32 v165, v161, v67, -v163
	v_fmac_f32_e32 v165, v161, v65
	v_add_f32_e32 v166, v163, v165
	v_sub_f32_e32 v167, v162, v166
	v_sub_f32_e32 v162, v162, v167
	;; [unrolled: 1-line block ×4, first 2 shown]
	v_add_f32_e32 v160, v160, v162
	v_sub_f32_e32 v162, v163, v165
	v_add_f32_e32 v160, v162, v160
	v_add_f32_e32 v162, v167, v160
	v_mul_f32_e32 v163, v164, v162
	v_mul_f32_e32 v165, v67, v163
	v_fma_f32 v67, v163, v67, -v165
	v_fmac_f32_e32 v67, v163, v65
	v_sub_f32_e32 v65, v167, v162
	v_add_f32_e32 v65, v160, v65
	v_add_f32_e32 v160, v165, v67
	v_sub_f32_e32 v166, v162, v160
	v_sub_f32_e32 v162, v162, v166
	;; [unrolled: 1-line block ×4, first 2 shown]
	v_add_f32_e32 v65, v65, v160
	v_sub_f32_e32 v67, v165, v67
	v_add_f32_e32 v65, v67, v65
	v_add_f32_e32 v67, v161, v163
	;; [unrolled: 1-line block ×3, first 2 shown]
	v_sub_f32_e32 v160, v67, v161
	v_mul_f32_e32 v65, v164, v65
	v_sub_f32_e32 v160, v163, v160
	v_add_f32_e32 v160, v160, v65
	v_add_f32_e32 v162, v67, v160
	v_cvt_f32_i32_e32 v66, v66
	v_mul_f32_e32 v163, v162, v162
	v_sub_f32_e32 v67, v162, v67
	v_fmamk_f32 v65, v163, 0x3e9b6dac, v149
	v_sub_f32_e32 v67, v160, v67
	v_fmaak_f32 v65, v163, v65, 0x3f2aaada
	v_ldexp_f32 v164, v67, 1
	v_mul_f32_e32 v67, v162, v163
	v_ldexp_f32 v161, v162, 1
	v_pk_mul_f32 v[162:163], v[66:67], v[64:65]
	v_cmp_eq_f32_e32 vcc, s71, v182
	v_fma_f32 v160, v66, s73, -v162
	v_fmac_f32_e32 v160, 0xb102e308, v66
	v_pk_add_f32 v[66:67], v[162:163], v[160:161]
	s_or_b64 vcc, vcc, s[66:67]
	v_sub_f32_e32 v65, v67, v161
	v_sub_f32_e32 v65, v163, v65
	v_add_f32_e32 v165, v164, v65
	v_mov_b32_e32 v164, v162
	v_pk_add_f32 v[162:163], v[66:67], v[162:163] neg_lo:[0,1] neg_hi:[0,1]
	v_pk_add_f32 v[166:167], v[66:67], v[164:165]
	v_mov_b32_e32 v161, v66
	v_mov_b32_e32 v163, v167
	v_pk_add_f32 v[176:177], v[160:161], v[162:163] neg_lo:[0,1] neg_hi:[0,1]
	v_pk_add_f32 v[160:161], v[160:161], v[162:163]
	v_mov_b32_e32 v164, v165
	v_mov_b32_e32 v162, v161
	v_pk_add_f32 v[178:179], v[162:163], v[66:67] neg_lo:[0,1] neg_hi:[0,1]
	v_mov_b32_e32 v160, v167
	v_mov_b32_e32 v65, v178
	v_pk_add_f32 v[180:181], v[166:167], v[64:65] neg_lo:[0,1] neg_hi:[0,1]
	v_mov_b32_e32 v166, v67
	v_mov_b32_e32 v167, v178
	;; [unrolled: 1-line block ×3, first 2 shown]
	v_pk_add_f32 v[160:161], v[160:161], v[166:167] neg_lo:[0,1] neg_hi:[0,1]
	v_mov_b32_e32 v165, v66
	v_pk_add_f32 v[66:67], v[164:165], v[160:161] neg_lo:[0,1] neg_hi:[0,1]
	v_mov_b32_e32 v180, v176
	v_pk_add_f32 v[160:161], v[180:181], v[66:67]
	s_nop 0
	v_mov_b32_e32 v164, v161
	v_pk_add_f32 v[164:165], v[160:161], v[164:165]
	s_nop 0
	v_pk_add_f32 v[162:163], v[162:163], v[164:165]
	v_mov_b32_e32 v67, v164
	v_mov_b32_e32 v161, v162
	v_pk_add_f32 v[166:167], v[160:161], v[176:177] neg_lo:[0,1] neg_hi:[0,1]
	s_nop 0
	v_sub_f32_e32 v65, v160, v166
	v_pk_add_f32 v[66:67], v[66:67], v[166:167] neg_lo:[0,1] neg_hi:[0,1]
	v_sub_f32_e32 v65, v176, v65
	v_add_f32_e32 v65, v66, v65
	v_add_f32_e32 v65, v65, v67
	;; [unrolled: 1-line block ×3, first 2 shown]
	v_cndmask_b32_e32 v65, v65, v182, vcc
	v_add_f32_e32 v65, v54, v65
	s_branch .LBB141_175
.LBB141_209:                            ;   in Loop: Header=BB141_176 Depth=1
                                        ; implicit-def: $vgpr65
                                        ; implicit-def: $vgpr55
	s_cbranch_execz .LBB141_176
; %bb.210:
	s_and_saveexec_b64 s[60:61], s[56:57]
	s_cbranch_execz .LBB141_214
; %bb.211:
	v_max_f32_e32 v49, v48, v48
	v_max_f32_e32 v51, v148, v148
	v_min_f32_e32 v50, v51, v49
	v_cmp_u_f32_e32 vcc, v148, v148
	v_max_f32_e32 v49, v51, v49
	v_cmp_u_f32_e64 s[56:57], v48, v48
	v_cndmask_b32_e32 v50, v50, v148, vcc
	v_cndmask_b32_e32 v49, v49, v148, vcc
	v_cndmask_b32_e64 v50, v50, v48, s[56:57]
	v_cndmask_b32_e64 v49, v49, v48, s[56:57]
	s_movk_i32 s13, 0x1f8
	v_cmp_neq_f32_e32 vcc, v50, v49
	v_cmp_class_f32_e64 s[56:57], v50, s13
	s_or_b64 vcc, vcc, s[56:57]
	v_mov_b32_e32 v48, v148
	s_and_saveexec_b64 s[56:57], vcc
	s_cbranch_execz .LBB141_213
; %bb.212:
	v_sub_f32_e32 v48, v50, v49
	s_mov_b32 s13, 0x3fb8aa3b
	v_mul_f32_e32 v50, 0x3fb8aa3b, v48
	v_fma_f32 v51, v48, s13, -v50
	v_rndne_f32_e32 v52, v50
	v_fmamk_f32 v51, v48, 0x32a5705f, v51
	v_sub_f32_e32 v50, v50, v52
	v_add_f32_e32 v50, v50, v51
	v_exp_f32_e32 v50, v50
	v_cvt_i32_f32_e32 v51, v52
	s_mov_b32 s13, 0xc2ce8ed0
	v_cmp_ngt_f32_e32 vcc, s13, v48
	s_mov_b32 s13, 0x42b17218
	v_ldexp_f32 v50, v50, v51
	v_cndmask_b32_e32 v50, 0, v50, vcc
	v_mov_b32_e32 v51, 0x7f800000
	v_cmp_nlt_f32_e32 vcc, s13, v48
	s_mov_b32 s13, 0x3f2aaaab
	s_mov_b32 s66, 0x7f800000
	v_cndmask_b32_e32 v129, v51, v50, vcc
	v_add_f32_e32 v48, 1.0, v129
	v_add_f32_e32 v50, -1.0, v48
	v_sub_f32_e32 v51, v50, v48
	v_add_f32_e32 v51, 1.0, v51
	v_sub_f32_e32 v50, v129, v50
	v_add_f32_e32 v52, v50, v51
	v_frexp_mant_f32_e32 v53, v48
	v_cvt_f64_f32_e32 v[50:51], v48
	v_frexp_exp_i32_f64_e32 v50, v[50:51]
	v_cmp_gt_f32_e32 vcc, s13, v53
	s_mov_b32 s13, 0x3f317218
	s_nop 0
	v_subbrev_co_u32_e32 v66, vcc, 0, v50, vcc
	v_sub_u32_e32 v50, 0, v66
	v_ldexp_f32 v48, v48, v50
	v_ldexp_f32 v50, v52, v50
	v_add_f32_e32 v52, -1.0, v48
	v_add_f32_e32 v51, 1.0, v52
	v_sub_f32_e32 v51, v48, v51
	v_add_f32_e32 v53, v50, v51
	v_add_f32_e32 v51, 1.0, v48
	v_add_f32_e32 v54, -1.0, v51
	v_sub_f32_e32 v48, v48, v54
	v_add_f32_e32 v48, v50, v48
	v_add_f32_e32 v67, v51, v48
	v_rcp_f32_e32 v130, v67
	v_sub_f32_e32 v50, v51, v67
	v_add_f32_e32 v51, v52, v53
	v_add_f32_e32 v48, v48, v50
	v_mul_f32_e32 v132, v51, v130
	v_sub_f32_e32 v50, v52, v51
	v_mul_f32_e32 v52, v67, v132
	v_fma_f32 v54, v132, v67, -v52
	v_fmac_f32_e32 v54, v132, v48
	v_add_f32_e32 v131, v53, v50
	v_add_f32_e32 v50, v52, v54
	v_sub_f32_e32 v53, v51, v50
	v_pk_add_f32 v[64:65], v[50:51], v[52:53] neg_lo:[0,1] neg_hi:[0,1]
	v_mov_b32_e32 v55, v50
	v_pk_add_f32 v[50:51], v[64:65], v[54:55] neg_lo:[0,1] neg_hi:[0,1]
	v_cmp_eq_f32_e32 vcc, s66, v129
	v_add_f32_e32 v51, v131, v51
	v_add_f32_e32 v50, v50, v51
	;; [unrolled: 1-line block ×3, first 2 shown]
	v_mul_f32_e32 v131, v130, v51
	v_mul_f32_e32 v52, v67, v131
	v_fma_f32 v54, v131, v67, -v52
	v_fmac_f32_e32 v54, v131, v48
	v_sub_f32_e32 v48, v53, v51
	v_add_f32_e32 v48, v50, v48
	v_add_f32_e32 v50, v52, v54
	v_sub_f32_e32 v53, v51, v50
	v_pk_add_f32 v[64:65], v[50:51], v[52:53] neg_lo:[0,1] neg_hi:[0,1]
	v_mov_b32_e32 v55, v50
	v_pk_add_f32 v[50:51], v[64:65], v[54:55] neg_lo:[0,1] neg_hi:[0,1]
	v_cvt_f32_i32_e32 v52, v66
	v_add_f32_e32 v48, v48, v51
	v_add_f32_e32 v48, v50, v48
	;; [unrolled: 1-line block ×4, first 2 shown]
	v_sub_f32_e32 v51, v50, v132
	v_mul_f32_e32 v48, v130, v48
	v_sub_f32_e32 v51, v131, v51
	v_add_f32_e32 v48, v51, v48
	v_add_f32_e32 v53, v50, v48
	v_mul_f32_e32 v54, v53, v53
	v_mov_b32_e32 v51, 0x3ecc95a3
	v_fmac_f32_e32 v51, 0x3e9b6dac, v54
	v_sub_f32_e32 v50, v53, v50
	v_fmaak_f32 v51, v54, v51, 0x3f2aaada
	v_sub_f32_e32 v48, v48, v50
	v_ldexp_f32 v55, v53, 1
	v_mul_f32_e32 v53, v53, v54
	v_mov_b32_e32 v50, 0x3f317218
	v_pk_mul_f32 v[50:51], v[52:53], v[50:51]
	v_ldexp_f32 v48, v48, 1
	v_fma_f32 v53, v52, s13, -v50
	v_fmamk_f32 v54, v52, 0xb102e308, v53
	v_pk_add_f32 v[52:53], v[50:51], v[54:55]
	v_mov_b32_e32 v64, v50
	v_sub_f32_e32 v55, v53, v55
	v_sub_f32_e32 v55, v51, v55
	v_add_f32_e32 v65, v48, v55
	v_pk_add_f32 v[50:51], v[52:53], v[50:51] neg_lo:[0,1] neg_hi:[0,1]
	v_pk_add_f32 v[66:67], v[52:53], v[64:65]
	v_mov_b32_e32 v55, v52
	v_mov_b32_e32 v51, v67
	v_pk_add_f32 v[130:131], v[54:55], v[50:51] neg_lo:[0,1] neg_hi:[0,1]
	v_pk_add_f32 v[50:51], v[54:55], v[50:51]
	s_mov_b32 s13, 0x33800000
	v_mov_b32_e32 v48, v51
	v_pk_add_f32 v[54:55], v[48:49], v[52:53] neg_lo:[0,1] neg_hi:[0,1]
	v_mov_b32_e32 v50, v67
	v_mov_b32_e32 v55, v54
	v_pk_add_f32 v[132:133], v[66:67], v[54:55] neg_lo:[0,1] neg_hi:[0,1]
	v_mov_b32_e32 v66, v53
	v_mov_b32_e32 v67, v54
	;; [unrolled: 1-line block ×3, first 2 shown]
	v_pk_add_f32 v[50:51], v[50:51], v[66:67] neg_lo:[0,1] neg_hi:[0,1]
	v_mov_b32_e32 v54, v65
	v_mov_b32_e32 v55, v52
	v_pk_add_f32 v[50:51], v[54:55], v[50:51] neg_lo:[0,1] neg_hi:[0,1]
	v_mov_b32_e32 v132, v130
	v_pk_add_f32 v[52:53], v[132:133], v[50:51]
	v_cmp_lt_f32_e64 s[66:67], |v129|, s13
	v_mov_b32_e32 v54, v53
	v_pk_add_f32 v[54:55], v[52:53], v[54:55]
	s_or_b64 vcc, vcc, s[66:67]
	v_pk_add_f32 v[64:65], v[48:49], v[54:55]
	v_mov_b32_e32 v51, v54
	v_mov_b32_e32 v53, v64
	v_pk_add_f32 v[66:67], v[52:53], v[130:131] neg_lo:[0,1] neg_hi:[0,1]
	s_nop 0
	v_sub_f32_e32 v48, v52, v66
	v_pk_add_f32 v[50:51], v[50:51], v[66:67] neg_lo:[0,1] neg_hi:[0,1]
	v_sub_f32_e32 v48, v130, v48
	v_add_f32_e32 v48, v50, v48
	v_add_f32_e32 v48, v48, v51
	;; [unrolled: 1-line block ×3, first 2 shown]
	v_cndmask_b32_e32 v48, v48, v129, vcc
	v_add_f32_e32 v48, v49, v48
.LBB141_213:
	s_or_b64 exec, exec, s[56:57]
	s_add_i32 s12, s12, 64
	s_mov_b32 s13, 0
	v_lshl_add_u64 v[50:51], s[12:13], 3, v[96:97]
	v_mov_b32_e32 v49, 2
	flat_store_dwordx2 v[50:51], v[48:49] sc1
.LBB141_214:
	s_or_b64 exec, exec, s[60:61]
	s_and_b64 exec, exec, s[54:55]
	s_cbranch_execz .LBB141_216
; %bb.215:
	v_mov_b32_e32 v48, 0
	ds_write_b32 v48, v148
.LBB141_216:
	s_or_b64 exec, exec, s[64:65]
	v_mov_b32_e32 v48, 0
	s_waitcnt lgkmcnt(0)
	s_barrier
	ds_read_b32 v48, v48
	v_mov_b32_e32 v49, v16
	s_and_saveexec_b64 s[12:13], s[52:53]
	s_cbranch_execz .LBB141_220
; %bb.217:
	v_max_f32_e32 v49, v128, v128
	v_min_f32_e32 v50, v49, v119
	v_cmp_u_f32_e32 vcc, v128, v128
	v_max_f32_e32 v49, v49, v119
	s_nop 0
	v_cndmask_b32_e32 v50, v50, v128, vcc
	v_cndmask_b32_e32 v49, v49, v128, vcc
	v_cndmask_b32_e64 v50, v50, v16, s[50:51]
	v_cndmask_b32_e64 v49, v49, v16, s[50:51]
	s_movk_i32 s50, 0x1f8
	v_cmp_neq_f32_e32 vcc, v50, v49
	v_cmp_class_f32_e64 s[50:51], v50, s50
	s_or_b64 vcc, vcc, s[50:51]
	s_and_saveexec_b64 s[50:51], vcc
	s_cbranch_execz .LBB141_219
; %bb.218:
	v_sub_f32_e32 v50, v50, v49
	s_mov_b32 s52, 0x3fb8aa3b
	v_mul_f32_e32 v51, 0x3fb8aa3b, v50
	v_fma_f32 v52, v50, s52, -v51
	v_rndne_f32_e32 v53, v51
	v_fmamk_f32 v52, v50, 0x32a5705f, v52
	v_sub_f32_e32 v51, v51, v53
	v_add_f32_e32 v51, v51, v52
	v_exp_f32_e32 v51, v51
	v_cvt_i32_f32_e32 v52, v53
	s_mov_b32 s52, 0xc2ce8ed0
	v_cmp_ngt_f32_e32 vcc, s52, v50
	s_mov_b32 s52, 0x42b17218
	v_ldexp_f32 v51, v51, v52
	v_cndmask_b32_e32 v51, 0, v51, vcc
	v_mov_b32_e32 v52, 0x7f800000
	v_cmp_nlt_f32_e32 vcc, s52, v50
	s_mov_b32 s52, 0x3f2aaaab
	s_mov_b32 s53, 0x7f800000
	v_cndmask_b32_e32 v119, v52, v51, vcc
	v_add_f32_e32 v52, 1.0, v119
	v_add_f32_e32 v50, -1.0, v52
	v_sub_f32_e32 v51, v50, v52
	v_add_f32_e32 v51, 1.0, v51
	v_sub_f32_e32 v50, v119, v50
	v_add_f32_e32 v53, v50, v51
	v_frexp_mant_f32_e32 v54, v52
	v_cvt_f64_f32_e32 v[50:51], v52
	v_frexp_exp_i32_f64_e32 v50, v[50:51]
	v_cmp_gt_f32_e32 vcc, s52, v54
	s_mov_b32 s52, 0x3f317218
	s_nop 0
	v_subbrev_co_u32_e32 v66, vcc, 0, v50, vcc
	v_sub_u32_e32 v50, 0, v66
	v_ldexp_f32 v51, v52, v50
	v_add_f32_e32 v52, -1.0, v51
	v_add_f32_e32 v54, 1.0, v51
	v_ldexp_f32 v50, v53, v50
	v_add_f32_e32 v53, 1.0, v52
	v_add_f32_e32 v55, -1.0, v54
	v_sub_f32_e32 v53, v51, v53
	v_sub_f32_e32 v51, v51, v55
	v_add_f32_e32 v53, v50, v53
	v_add_f32_e32 v50, v50, v51
	;; [unrolled: 1-line block ×3, first 2 shown]
	v_rcp_f32_e32 v129, v67
	v_sub_f32_e32 v51, v54, v67
	v_add_f32_e32 v128, v50, v51
	v_add_f32_e32 v51, v52, v53
	v_mul_f32_e32 v131, v51, v129
	v_sub_f32_e32 v50, v52, v51
	v_mul_f32_e32 v52, v67, v131
	v_fma_f32 v54, v131, v67, -v52
	v_fmac_f32_e32 v54, v131, v128
	v_add_f32_e32 v130, v53, v50
	v_add_f32_e32 v50, v52, v54
	v_sub_f32_e32 v53, v51, v50
	v_pk_add_f32 v[64:65], v[50:51], v[52:53] neg_lo:[0,1] neg_hi:[0,1]
	v_mov_b32_e32 v55, v50
	v_pk_add_f32 v[50:51], v[64:65], v[54:55] neg_lo:[0,1] neg_hi:[0,1]
	v_cmp_eq_f32_e32 vcc, s53, v119
	v_add_f32_e32 v51, v130, v51
	v_add_f32_e32 v50, v50, v51
	;; [unrolled: 1-line block ×3, first 2 shown]
	v_mul_f32_e32 v130, v129, v51
	v_mul_f32_e32 v52, v67, v130
	v_fma_f32 v54, v130, v67, -v52
	v_fmac_f32_e32 v54, v130, v128
	v_sub_f32_e32 v53, v53, v51
	v_add_f32_e32 v67, v50, v53
	v_add_f32_e32 v50, v52, v54
	v_sub_f32_e32 v53, v51, v50
	v_pk_add_f32 v[64:65], v[50:51], v[52:53] neg_lo:[0,1] neg_hi:[0,1]
	v_mov_b32_e32 v55, v50
	v_pk_add_f32 v[50:51], v[64:65], v[54:55] neg_lo:[0,1] neg_hi:[0,1]
	v_cvt_f32_i32_e32 v52, v66
	v_add_f32_e32 v51, v67, v51
	v_add_f32_e32 v50, v50, v51
	;; [unrolled: 1-line block ×4, first 2 shown]
	v_sub_f32_e32 v51, v53, v131
	v_mul_f32_e32 v50, v129, v50
	v_sub_f32_e32 v51, v130, v51
	v_add_f32_e32 v50, v51, v50
	v_add_f32_e32 v54, v53, v50
	v_mul_f32_e32 v64, v54, v54
	v_mov_b32_e32 v51, 0x3ecc95a3
	v_sub_f32_e32 v53, v54, v53
	v_fmac_f32_e32 v51, 0x3e9b6dac, v64
	v_sub_f32_e32 v50, v50, v53
	v_fmaak_f32 v51, v64, v51, 0x3f2aaada
	v_ldexp_f32 v65, v50, 1
	v_mul_f32_e32 v53, v54, v64
	v_mov_b32_e32 v50, 0x3f317218
	v_pk_mul_f32 v[50:51], v[52:53], v[50:51]
	v_ldexp_f32 v55, v54, 1
	v_fma_f32 v53, v52, s52, -v50
	v_fmamk_f32 v54, v52, 0xb102e308, v53
	v_pk_add_f32 v[52:53], v[50:51], v[54:55]
	v_mov_b32_e32 v64, v50
	v_sub_f32_e32 v55, v53, v55
	v_sub_f32_e32 v55, v51, v55
	v_add_f32_e32 v65, v65, v55
	v_pk_add_f32 v[50:51], v[52:53], v[50:51] neg_lo:[0,1] neg_hi:[0,1]
	v_pk_add_f32 v[66:67], v[52:53], v[64:65]
	v_mov_b32_e32 v55, v52
	v_mov_b32_e32 v51, v67
	v_pk_add_f32 v[128:129], v[54:55], v[50:51] neg_lo:[0,1] neg_hi:[0,1]
	v_pk_add_f32 v[50:51], v[54:55], v[50:51]
	v_mov_b32_e32 v64, v65
	v_mov_b32_e32 v54, v51
	v_pk_add_f32 v[130:131], v[54:55], v[52:53] neg_lo:[0,1] neg_hi:[0,1]
	v_mov_b32_e32 v50, v67
	v_mov_b32_e32 v55, v130
	v_pk_add_f32 v[132:133], v[66:67], v[54:55] neg_lo:[0,1] neg_hi:[0,1]
	v_mov_b32_e32 v66, v53
	v_mov_b32_e32 v67, v130
	;; [unrolled: 1-line block ×3, first 2 shown]
	v_pk_add_f32 v[50:51], v[50:51], v[66:67] neg_lo:[0,1] neg_hi:[0,1]
	v_mov_b32_e32 v65, v52
	v_pk_add_f32 v[50:51], v[64:65], v[50:51] neg_lo:[0,1] neg_hi:[0,1]
	v_mov_b32_e32 v132, v128
	v_pk_add_f32 v[52:53], v[132:133], v[50:51]
	s_mov_b32 s52, 0x33800000
	v_mov_b32_e32 v64, v53
	v_pk_add_f32 v[64:65], v[52:53], v[64:65]
	v_cmp_lt_f32_e64 s[52:53], |v119|, s52
	v_pk_add_f32 v[54:55], v[54:55], v[64:65]
	v_mov_b32_e32 v51, v64
	v_mov_b32_e32 v53, v54
	v_pk_add_f32 v[66:67], v[52:53], v[128:129] neg_lo:[0,1] neg_hi:[0,1]
	s_or_b64 vcc, vcc, s[52:53]
	v_sub_f32_e32 v52, v52, v66
	v_pk_add_f32 v[50:51], v[50:51], v[66:67] neg_lo:[0,1] neg_hi:[0,1]
	v_sub_f32_e32 v52, v128, v52
	v_add_f32_e32 v50, v50, v52
	v_add_f32_e32 v50, v50, v51
	;; [unrolled: 1-line block ×3, first 2 shown]
	v_cndmask_b32_e32 v50, v50, v119, vcc
	v_add_f32_e32 v128, v49, v50
.LBB141_219:
	s_or_b64 exec, exec, s[50:51]
	v_mov_b32_e32 v49, v128
.LBB141_220:
	s_or_b64 exec, exec, s[12:13]
	v_max_f32_e32 v51, v49, v49
	s_waitcnt lgkmcnt(0)
	v_max_f32_e32 v52, v48, v48
	v_min_f32_e32 v50, v52, v51
	v_cmp_u_f32_e32 vcc, v48, v48
	v_max_f32_e32 v51, v52, v51
	v_cmp_u_f32_e64 s[12:13], v49, v49
	v_cndmask_b32_e32 v50, v50, v48, vcc
	v_cndmask_b32_e32 v51, v51, v48, vcc
	v_cndmask_b32_e64 v50, v50, v49, s[12:13]
	v_cndmask_b32_e64 v49, v51, v49, s[12:13]
	s_movk_i32 s50, 0x1f8
	v_cmp_neq_f32_e32 vcc, v50, v49
	v_cmp_class_f32_e64 s[12:13], v50, s50
	s_or_b64 vcc, vcc, s[12:13]
	s_and_saveexec_b64 s[12:13], vcc
	s_cbranch_execz .LBB141_222
; %bb.221:
	v_sub_f32_e32 v48, v50, v49
	s_mov_b32 s51, 0x3fb8aa3b
	v_mul_f32_e32 v50, 0x3fb8aa3b, v48
	v_fma_f32 v51, v48, s51, -v50
	v_rndne_f32_e32 v52, v50
	v_fmamk_f32 v51, v48, 0x32a5705f, v51
	v_sub_f32_e32 v50, v50, v52
	v_add_f32_e32 v50, v50, v51
	v_exp_f32_e32 v50, v50
	v_cvt_i32_f32_e32 v51, v52
	s_mov_b32 s51, 0xc2ce8ed0
	v_cmp_ngt_f32_e32 vcc, s51, v48
	s_mov_b32 s51, 0x42b17218
	v_ldexp_f32 v50, v50, v51
	v_cndmask_b32_e32 v50, 0, v50, vcc
	v_mov_b32_e32 v51, 0x7f800000
	v_cmp_nlt_f32_e32 vcc, s51, v48
	s_mov_b32 s51, 0x3f2aaaab
	s_mov_b32 s52, 0x7f800000
	v_cndmask_b32_e32 v119, v51, v50, vcc
	v_add_f32_e32 v48, 1.0, v119
	v_add_f32_e32 v50, -1.0, v48
	v_sub_f32_e32 v51, v50, v48
	v_add_f32_e32 v51, 1.0, v51
	v_sub_f32_e32 v50, v119, v50
	v_add_f32_e32 v52, v50, v51
	v_frexp_mant_f32_e32 v53, v48
	v_cvt_f64_f32_e32 v[50:51], v48
	v_frexp_exp_i32_f64_e32 v50, v[50:51]
	v_cmp_gt_f32_e32 vcc, s51, v53
	s_mov_b32 s51, 0x3f317218
	s_nop 0
	v_subbrev_co_u32_e32 v66, vcc, 0, v50, vcc
	v_sub_u32_e32 v50, 0, v66
	v_ldexp_f32 v48, v48, v50
	v_ldexp_f32 v50, v52, v50
	v_add_f32_e32 v52, -1.0, v48
	v_add_f32_e32 v51, 1.0, v52
	v_sub_f32_e32 v51, v48, v51
	v_add_f32_e32 v53, v50, v51
	v_add_f32_e32 v51, 1.0, v48
	v_add_f32_e32 v54, -1.0, v51
	v_sub_f32_e32 v48, v48, v54
	v_add_f32_e32 v48, v50, v48
	v_add_f32_e32 v67, v51, v48
	v_rcp_f32_e32 v128, v67
	v_sub_f32_e32 v50, v51, v67
	v_add_f32_e32 v51, v52, v53
	v_add_f32_e32 v48, v48, v50
	v_mul_f32_e32 v130, v51, v128
	v_sub_f32_e32 v50, v52, v51
	v_mul_f32_e32 v52, v67, v130
	v_fma_f32 v54, v130, v67, -v52
	v_fmac_f32_e32 v54, v130, v48
	v_add_f32_e32 v129, v53, v50
	v_add_f32_e32 v50, v52, v54
	v_sub_f32_e32 v53, v51, v50
	v_pk_add_f32 v[64:65], v[50:51], v[52:53] neg_lo:[0,1] neg_hi:[0,1]
	v_mov_b32_e32 v55, v50
	v_pk_add_f32 v[50:51], v[64:65], v[54:55] neg_lo:[0,1] neg_hi:[0,1]
	v_cmp_eq_f32_e32 vcc, s52, v119
	v_add_f32_e32 v51, v129, v51
	v_add_f32_e32 v50, v50, v51
	;; [unrolled: 1-line block ×3, first 2 shown]
	v_mul_f32_e32 v129, v128, v51
	v_mul_f32_e32 v52, v67, v129
	v_fma_f32 v54, v129, v67, -v52
	v_fmac_f32_e32 v54, v129, v48
	v_sub_f32_e32 v48, v53, v51
	v_add_f32_e32 v48, v50, v48
	v_add_f32_e32 v50, v52, v54
	v_sub_f32_e32 v53, v51, v50
	v_pk_add_f32 v[64:65], v[50:51], v[52:53] neg_lo:[0,1] neg_hi:[0,1]
	v_mov_b32_e32 v55, v50
	v_pk_add_f32 v[50:51], v[64:65], v[54:55] neg_lo:[0,1] neg_hi:[0,1]
	v_cvt_f32_i32_e32 v52, v66
	v_add_f32_e32 v48, v48, v51
	v_add_f32_e32 v48, v50, v48
	;; [unrolled: 1-line block ×4, first 2 shown]
	v_sub_f32_e32 v51, v50, v130
	v_mul_f32_e32 v48, v128, v48
	v_sub_f32_e32 v51, v129, v51
	v_add_f32_e32 v48, v51, v48
	v_add_f32_e32 v53, v50, v48
	v_mul_f32_e32 v54, v53, v53
	v_mov_b32_e32 v51, 0x3ecc95a3
	v_fmac_f32_e32 v51, 0x3e9b6dac, v54
	v_sub_f32_e32 v50, v53, v50
	v_fmaak_f32 v51, v54, v51, 0x3f2aaada
	v_sub_f32_e32 v48, v48, v50
	v_ldexp_f32 v55, v53, 1
	v_mul_f32_e32 v53, v53, v54
	v_mov_b32_e32 v50, 0x3f317218
	v_pk_mul_f32 v[50:51], v[52:53], v[50:51]
	v_ldexp_f32 v48, v48, 1
	v_fma_f32 v53, v52, s51, -v50
	v_fmamk_f32 v54, v52, 0xb102e308, v53
	v_pk_add_f32 v[52:53], v[50:51], v[54:55]
	v_mov_b32_e32 v64, v50
	v_sub_f32_e32 v55, v53, v55
	v_sub_f32_e32 v55, v51, v55
	v_add_f32_e32 v65, v48, v55
	v_pk_add_f32 v[50:51], v[52:53], v[50:51] neg_lo:[0,1] neg_hi:[0,1]
	v_pk_add_f32 v[66:67], v[52:53], v[64:65]
	v_mov_b32_e32 v55, v52
	v_mov_b32_e32 v51, v67
	v_pk_add_f32 v[128:129], v[54:55], v[50:51] neg_lo:[0,1] neg_hi:[0,1]
	v_pk_add_f32 v[50:51], v[54:55], v[50:51]
	s_mov_b32 s51, 0x33800000
	v_mov_b32_e32 v48, v51
	v_pk_add_f32 v[54:55], v[48:49], v[52:53] neg_lo:[0,1] neg_hi:[0,1]
	v_mov_b32_e32 v50, v67
	v_mov_b32_e32 v55, v54
	v_pk_add_f32 v[130:131], v[66:67], v[54:55] neg_lo:[0,1] neg_hi:[0,1]
	v_mov_b32_e32 v66, v53
	v_mov_b32_e32 v67, v54
	v_mov_b32_e32 v129, v51
	v_pk_add_f32 v[50:51], v[50:51], v[66:67] neg_lo:[0,1] neg_hi:[0,1]
	v_mov_b32_e32 v54, v65
	v_mov_b32_e32 v55, v52
	v_pk_add_f32 v[50:51], v[54:55], v[50:51] neg_lo:[0,1] neg_hi:[0,1]
	v_mov_b32_e32 v130, v128
	v_pk_add_f32 v[52:53], v[130:131], v[50:51]
	v_cmp_lt_f32_e64 s[52:53], |v119|, s51
	v_mov_b32_e32 v54, v53
	v_pk_add_f32 v[54:55], v[52:53], v[54:55]
	s_or_b64 vcc, vcc, s[52:53]
	v_pk_add_f32 v[64:65], v[48:49], v[54:55]
	v_mov_b32_e32 v51, v54
	v_mov_b32_e32 v53, v64
	v_pk_add_f32 v[66:67], v[52:53], v[128:129] neg_lo:[0,1] neg_hi:[0,1]
	s_nop 0
	v_sub_f32_e32 v48, v52, v66
	v_pk_add_f32 v[50:51], v[50:51], v[66:67] neg_lo:[0,1] neg_hi:[0,1]
	v_sub_f32_e32 v48, v128, v48
	v_add_f32_e32 v48, v50, v48
	v_add_f32_e32 v48, v48, v51
	;; [unrolled: 1-line block ×3, first 2 shown]
	v_cndmask_b32_e32 v48, v48, v119, vcc
	v_add_f32_e32 v48, v49, v48
.LBB141_222:
	s_or_b64 exec, exec, s[12:13]
	v_max_f32_e32 v49, v48, v48
	v_min_f32_e32 v50, v49, v11
	v_cmp_u_f32_e32 vcc, v48, v48
	v_max_f32_e32 v49, v49, v11
	s_nop 0
	v_cndmask_b32_e32 v50, v50, v48, vcc
	v_cndmask_b32_e32 v49, v49, v48, vcc
	v_cndmask_b32_e64 v51, v50, v17, s[2:3]
	v_cndmask_b32_e64 v50, v49, v17, s[2:3]
	v_cmp_neq_f32_e32 vcc, v51, v50
	v_cmp_class_f32_e64 s[2:3], v51, s50
	s_or_b64 s[12:13], vcc, s[2:3]
	v_mov_b32_e32 v49, v48
	s_and_saveexec_b64 s[2:3], s[12:13]
	s_cbranch_execz .LBB141_224
; %bb.223:
	v_sub_f32_e32 v49, v51, v50
	s_mov_b32 s12, 0x3fb8aa3b
	v_mul_f32_e32 v51, 0x3fb8aa3b, v49
	v_fma_f32 v52, v49, s12, -v51
	v_rndne_f32_e32 v53, v51
	v_fmamk_f32 v52, v49, 0x32a5705f, v52
	v_sub_f32_e32 v51, v51, v53
	v_add_f32_e32 v51, v51, v52
	v_exp_f32_e32 v51, v51
	v_cvt_i32_f32_e32 v52, v53
	s_mov_b32 s12, 0xc2ce8ed0
	v_cmp_ngt_f32_e32 vcc, s12, v49
	s_mov_b32 s12, 0x42b17218
	v_ldexp_f32 v51, v51, v52
	v_cndmask_b32_e32 v51, 0, v51, vcc
	v_mov_b32_e32 v52, 0x7f800000
	v_cmp_nlt_f32_e32 vcc, s12, v49
	s_mov_b32 s12, 0x3f2aaaab
	s_mov_b32 s13, 0x7f800000
	v_cndmask_b32_e32 v51, v52, v51, vcc
	v_add_f32_e32 v49, 1.0, v51
	v_add_f32_e32 v52, -1.0, v49
	v_sub_f32_e32 v53, v52, v49
	v_add_f32_e32 v53, 1.0, v53
	v_sub_f32_e32 v52, v51, v52
	v_add_f32_e32 v54, v52, v53
	v_frexp_mant_f32_e32 v55, v49
	v_cvt_f64_f32_e32 v[52:53], v49
	v_frexp_exp_i32_f64_e32 v52, v[52:53]
	v_cmp_gt_f32_e32 vcc, s12, v55
	s_mov_b32 s12, 0x3f317218
	s_nop 0
	v_subbrev_co_u32_e32 v119, vcc, 0, v52, vcc
	v_sub_u32_e32 v52, 0, v119
	v_ldexp_f32 v49, v49, v52
	v_ldexp_f32 v52, v54, v52
	v_add_f32_e32 v54, -1.0, v49
	v_add_f32_e32 v53, 1.0, v54
	v_sub_f32_e32 v53, v49, v53
	v_add_f32_e32 v55, v52, v53
	v_add_f32_e32 v53, 1.0, v49
	v_add_f32_e32 v64, -1.0, v53
	v_sub_f32_e32 v49, v49, v64
	v_add_f32_e32 v49, v52, v49
	v_add_f32_e32 v128, v53, v49
	v_rcp_f32_e32 v129, v128
	v_sub_f32_e32 v52, v53, v128
	v_add_f32_e32 v53, v54, v55
	v_add_f32_e32 v49, v49, v52
	v_mul_f32_e32 v131, v53, v129
	v_sub_f32_e32 v52, v54, v53
	v_mul_f32_e32 v54, v128, v131
	v_fma_f32 v64, v131, v128, -v54
	v_fmac_f32_e32 v64, v131, v49
	v_add_f32_e32 v130, v55, v52
	v_add_f32_e32 v52, v54, v64
	v_sub_f32_e32 v55, v53, v52
	v_pk_add_f32 v[66:67], v[52:53], v[54:55] neg_lo:[0,1] neg_hi:[0,1]
	v_mov_b32_e32 v65, v52
	v_pk_add_f32 v[52:53], v[66:67], v[64:65] neg_lo:[0,1] neg_hi:[0,1]
	v_cmp_eq_f32_e32 vcc, s13, v51
	v_add_f32_e32 v53, v130, v53
	v_add_f32_e32 v52, v52, v53
	;; [unrolled: 1-line block ×3, first 2 shown]
	v_mul_f32_e32 v130, v129, v53
	v_mul_f32_e32 v54, v128, v130
	v_fma_f32 v64, v130, v128, -v54
	v_fmac_f32_e32 v64, v130, v49
	v_sub_f32_e32 v49, v55, v53
	v_add_f32_e32 v49, v52, v49
	v_add_f32_e32 v52, v54, v64
	v_sub_f32_e32 v55, v53, v52
	v_pk_add_f32 v[66:67], v[52:53], v[54:55] neg_lo:[0,1] neg_hi:[0,1]
	v_mov_b32_e32 v65, v52
	v_pk_add_f32 v[52:53], v[66:67], v[64:65] neg_lo:[0,1] neg_hi:[0,1]
	v_cvt_f32_i32_e32 v54, v119
	v_add_f32_e32 v49, v49, v53
	v_add_f32_e32 v49, v52, v49
	v_add_f32_e32 v52, v131, v130
	v_add_f32_e32 v49, v55, v49
	v_sub_f32_e32 v53, v52, v131
	v_mul_f32_e32 v49, v129, v49
	v_sub_f32_e32 v53, v130, v53
	v_add_f32_e32 v49, v53, v49
	v_add_f32_e32 v55, v52, v49
	v_mul_f32_e32 v64, v55, v55
	v_mov_b32_e32 v53, 0x3ecc95a3
	v_fmac_f32_e32 v53, 0x3e9b6dac, v64
	v_sub_f32_e32 v52, v55, v52
	v_fmaak_f32 v53, v64, v53, 0x3f2aaada
	v_sub_f32_e32 v49, v49, v52
	v_ldexp_f32 v65, v55, 1
	v_mul_f32_e32 v55, v55, v64
	v_mov_b32_e32 v52, 0x3f317218
	v_pk_mul_f32 v[52:53], v[54:55], v[52:53]
	v_ldexp_f32 v49, v49, 1
	v_fma_f32 v55, v54, s12, -v52
	v_fmamk_f32 v64, v54, 0xb102e308, v55
	v_pk_add_f32 v[54:55], v[52:53], v[64:65]
	v_mov_b32_e32 v66, v52
	v_sub_f32_e32 v65, v55, v65
	v_sub_f32_e32 v65, v53, v65
	v_add_f32_e32 v67, v49, v65
	v_pk_add_f32 v[52:53], v[54:55], v[52:53] neg_lo:[0,1] neg_hi:[0,1]
	v_pk_add_f32 v[128:129], v[54:55], v[66:67]
	v_mov_b32_e32 v65, v54
	v_mov_b32_e32 v53, v129
	v_pk_add_f32 v[130:131], v[64:65], v[52:53] neg_lo:[0,1] neg_hi:[0,1]
	v_pk_add_f32 v[52:53], v[64:65], v[52:53]
	v_mov_b32_e32 v66, v67
	v_mov_b32_e32 v64, v53
	v_pk_add_f32 v[132:133], v[64:65], v[54:55] neg_lo:[0,1] neg_hi:[0,1]
	v_mov_b32_e32 v52, v129
	v_mov_b32_e32 v49, v132
	v_pk_add_f32 v[134:135], v[128:129], v[48:49] neg_lo:[0,1] neg_hi:[0,1]
	v_mov_b32_e32 v128, v55
	v_mov_b32_e32 v129, v132
	;; [unrolled: 1-line block ×3, first 2 shown]
	v_pk_add_f32 v[52:53], v[52:53], v[128:129] neg_lo:[0,1] neg_hi:[0,1]
	v_mov_b32_e32 v67, v54
	v_pk_add_f32 v[52:53], v[66:67], v[52:53] neg_lo:[0,1] neg_hi:[0,1]
	v_mov_b32_e32 v134, v130
	v_pk_add_f32 v[54:55], v[134:135], v[52:53]
	s_mov_b32 s12, 0x33800000
	v_mov_b32_e32 v66, v55
	v_pk_add_f32 v[66:67], v[54:55], v[66:67]
	v_cmp_lt_f32_e64 s[12:13], |v51|, s12
	v_pk_add_f32 v[64:65], v[64:65], v[66:67]
	v_mov_b32_e32 v53, v66
	v_mov_b32_e32 v55, v64
	v_pk_add_f32 v[128:129], v[54:55], v[130:131] neg_lo:[0,1] neg_hi:[0,1]
	s_or_b64 vcc, vcc, s[12:13]
	v_sub_f32_e32 v49, v54, v128
	v_pk_add_f32 v[52:53], v[52:53], v[128:129] neg_lo:[0,1] neg_hi:[0,1]
	v_sub_f32_e32 v49, v130, v49
	v_add_f32_e32 v49, v52, v49
	v_add_f32_e32 v49, v49, v53
	;; [unrolled: 1-line block ×3, first 2 shown]
	v_cndmask_b32_e32 v49, v49, v51, vcc
	v_add_f32_e32 v49, v50, v49
.LBB141_224:
	s_or_b64 exec, exec, s[2:3]
	v_max_f32_e32 v50, v49, v49
	v_min_f32_e32 v51, v50, v68
	v_cmp_u_f32_e32 vcc, v49, v49
	v_max_f32_e32 v50, v50, v68
	s_nop 0
	v_cndmask_b32_e32 v51, v51, v49, vcc
	v_cndmask_b32_e32 v50, v50, v49, vcc
	v_cndmask_b32_e64 v52, v51, v18, s[4:5]
	v_cndmask_b32_e64 v51, v50, v18, s[4:5]
	s_movk_i32 s4, 0x1f8
	v_cmp_neq_f32_e32 vcc, v52, v51
	v_cmp_class_f32_e64 s[2:3], v52, s4
	s_or_b64 s[12:13], vcc, s[2:3]
	v_mov_b32_e32 v50, v49
	s_and_saveexec_b64 s[2:3], s[12:13]
	s_cbranch_execz .LBB141_226
; %bb.225:
	v_sub_f32_e32 v50, v52, v51
	s_mov_b32 s5, 0x3fb8aa3b
	v_mul_f32_e32 v52, 0x3fb8aa3b, v50
	v_fma_f32 v53, v50, s5, -v52
	v_rndne_f32_e32 v54, v52
	v_fmamk_f32 v53, v50, 0x32a5705f, v53
	v_sub_f32_e32 v52, v52, v54
	v_add_f32_e32 v52, v52, v53
	v_exp_f32_e32 v52, v52
	v_cvt_i32_f32_e32 v53, v54
	s_mov_b32 s5, 0xc2ce8ed0
	v_cmp_ngt_f32_e32 vcc, s5, v50
	s_mov_b32 s5, 0x42b17218
	v_ldexp_f32 v52, v52, v53
	v_cndmask_b32_e32 v52, 0, v52, vcc
	v_mov_b32_e32 v53, 0x7f800000
	v_cmp_nlt_f32_e32 vcc, s5, v50
	s_mov_b32 s5, 0x3f2aaaab
	s_mov_b32 s12, 0x7f800000
	v_cndmask_b32_e32 v68, v53, v52, vcc
	v_add_f32_e32 v50, 1.0, v68
	v_add_f32_e32 v52, -1.0, v50
	v_sub_f32_e32 v53, v52, v50
	v_add_f32_e32 v53, 1.0, v53
	v_sub_f32_e32 v52, v68, v52
	v_add_f32_e32 v54, v52, v53
	v_frexp_mant_f32_e32 v55, v50
	v_cvt_f64_f32_e32 v[52:53], v50
	v_frexp_exp_i32_f64_e32 v52, v[52:53]
	v_cmp_gt_f32_e32 vcc, s5, v55
	s_mov_b32 s5, 0x3f317218
	s_nop 0
	v_subbrev_co_u32_e32 v119, vcc, 0, v52, vcc
	v_sub_u32_e32 v52, 0, v119
	v_ldexp_f32 v50, v50, v52
	v_ldexp_f32 v52, v54, v52
	v_add_f32_e32 v54, -1.0, v50
	v_add_f32_e32 v53, 1.0, v54
	v_sub_f32_e32 v53, v50, v53
	v_add_f32_e32 v55, v52, v53
	v_add_f32_e32 v53, 1.0, v50
	v_add_f32_e32 v64, -1.0, v53
	v_sub_f32_e32 v50, v50, v64
	v_add_f32_e32 v50, v52, v50
	v_add_f32_e32 v128, v53, v50
	v_rcp_f32_e32 v129, v128
	v_sub_f32_e32 v52, v53, v128
	v_add_f32_e32 v53, v54, v55
	v_add_f32_e32 v50, v50, v52
	v_mul_f32_e32 v131, v53, v129
	v_sub_f32_e32 v52, v54, v53
	v_mul_f32_e32 v54, v128, v131
	v_fma_f32 v64, v131, v128, -v54
	v_fmac_f32_e32 v64, v131, v50
	v_add_f32_e32 v130, v55, v52
	v_add_f32_e32 v52, v54, v64
	v_sub_f32_e32 v55, v53, v52
	v_pk_add_f32 v[66:67], v[52:53], v[54:55] neg_lo:[0,1] neg_hi:[0,1]
	v_mov_b32_e32 v65, v52
	v_pk_add_f32 v[52:53], v[66:67], v[64:65] neg_lo:[0,1] neg_hi:[0,1]
	v_cmp_eq_f32_e32 vcc, s12, v68
	v_add_f32_e32 v53, v130, v53
	v_add_f32_e32 v52, v52, v53
	v_add_f32_e32 v53, v55, v52
	v_mul_f32_e32 v130, v129, v53
	v_mul_f32_e32 v54, v128, v130
	v_fma_f32 v64, v130, v128, -v54
	v_fmac_f32_e32 v64, v130, v50
	v_sub_f32_e32 v50, v55, v53
	v_add_f32_e32 v50, v52, v50
	v_add_f32_e32 v52, v54, v64
	v_sub_f32_e32 v55, v53, v52
	v_pk_add_f32 v[66:67], v[52:53], v[54:55] neg_lo:[0,1] neg_hi:[0,1]
	v_mov_b32_e32 v65, v52
	v_pk_add_f32 v[52:53], v[66:67], v[64:65] neg_lo:[0,1] neg_hi:[0,1]
	v_cvt_f32_i32_e32 v54, v119
	v_add_f32_e32 v50, v50, v53
	v_add_f32_e32 v50, v52, v50
	;; [unrolled: 1-line block ×4, first 2 shown]
	v_sub_f32_e32 v53, v52, v131
	v_mul_f32_e32 v50, v129, v50
	v_sub_f32_e32 v53, v130, v53
	v_add_f32_e32 v50, v53, v50
	v_add_f32_e32 v55, v52, v50
	v_mul_f32_e32 v64, v55, v55
	v_mov_b32_e32 v53, 0x3ecc95a3
	v_fmac_f32_e32 v53, 0x3e9b6dac, v64
	v_sub_f32_e32 v52, v55, v52
	v_fmaak_f32 v53, v64, v53, 0x3f2aaada
	v_sub_f32_e32 v50, v50, v52
	v_ldexp_f32 v65, v55, 1
	v_mul_f32_e32 v55, v55, v64
	v_mov_b32_e32 v52, 0x3f317218
	v_pk_mul_f32 v[52:53], v[54:55], v[52:53]
	v_ldexp_f32 v50, v50, 1
	v_fma_f32 v55, v54, s5, -v52
	v_fmamk_f32 v64, v54, 0xb102e308, v55
	v_pk_add_f32 v[54:55], v[52:53], v[64:65]
	v_mov_b32_e32 v66, v52
	v_sub_f32_e32 v65, v55, v65
	v_sub_f32_e32 v65, v53, v65
	v_add_f32_e32 v67, v50, v65
	v_pk_add_f32 v[52:53], v[54:55], v[52:53] neg_lo:[0,1] neg_hi:[0,1]
	v_pk_add_f32 v[128:129], v[54:55], v[66:67]
	v_mov_b32_e32 v65, v54
	v_mov_b32_e32 v53, v129
	v_pk_add_f32 v[130:131], v[64:65], v[52:53] neg_lo:[0,1] neg_hi:[0,1]
	v_pk_add_f32 v[52:53], v[64:65], v[52:53]
	s_mov_b32 s5, 0x33800000
	v_mov_b32_e32 v50, v53
	v_pk_add_f32 v[64:65], v[50:51], v[54:55] neg_lo:[0,1] neg_hi:[0,1]
	v_mov_b32_e32 v52, v129
	v_mov_b32_e32 v65, v64
	v_pk_add_f32 v[132:133], v[128:129], v[64:65] neg_lo:[0,1] neg_hi:[0,1]
	v_mov_b32_e32 v128, v55
	v_mov_b32_e32 v129, v64
	;; [unrolled: 1-line block ×3, first 2 shown]
	v_pk_add_f32 v[52:53], v[52:53], v[128:129] neg_lo:[0,1] neg_hi:[0,1]
	v_mov_b32_e32 v64, v67
	v_mov_b32_e32 v65, v54
	v_pk_add_f32 v[52:53], v[64:65], v[52:53] neg_lo:[0,1] neg_hi:[0,1]
	v_mov_b32_e32 v132, v130
	v_pk_add_f32 v[54:55], v[132:133], v[52:53]
	v_cmp_lt_f32_e64 s[12:13], |v68|, s5
	v_mov_b32_e32 v64, v55
	v_pk_add_f32 v[64:65], v[54:55], v[64:65]
	s_or_b64 vcc, vcc, s[12:13]
	v_pk_add_f32 v[66:67], v[50:51], v[64:65]
	v_mov_b32_e32 v53, v64
	v_mov_b32_e32 v55, v66
	v_pk_add_f32 v[128:129], v[54:55], v[130:131] neg_lo:[0,1] neg_hi:[0,1]
	s_nop 0
	v_sub_f32_e32 v50, v54, v128
	v_pk_add_f32 v[52:53], v[52:53], v[128:129] neg_lo:[0,1] neg_hi:[0,1]
	v_sub_f32_e32 v50, v130, v50
	v_add_f32_e32 v50, v52, v50
	v_add_f32_e32 v50, v50, v53
	;; [unrolled: 1-line block ×3, first 2 shown]
	v_cndmask_b32_e32 v50, v50, v68, vcc
	v_add_f32_e32 v50, v51, v50
.LBB141_226:
	s_or_b64 exec, exec, s[2:3]
	v_max_f32_e32 v51, v50, v50
	v_min_f32_e32 v52, v51, v69
	v_cmp_u_f32_e32 vcc, v50, v50
	v_max_f32_e32 v51, v51, v69
	s_nop 0
	v_cndmask_b32_e32 v52, v52, v50, vcc
	v_cndmask_b32_e32 v51, v51, v50, vcc
	v_cndmask_b32_e64 v53, v52, v19, s[6:7]
	v_cndmask_b32_e64 v52, v51, v19, s[6:7]
	v_cmp_neq_f32_e32 vcc, v53, v52
	v_cmp_class_f32_e64 s[2:3], v53, s4
	s_or_b64 s[4:5], vcc, s[2:3]
	v_mov_b32_e32 v51, v50
	s_and_saveexec_b64 s[2:3], s[4:5]
	s_cbranch_execz .LBB141_228
; %bb.227:
	v_sub_f32_e32 v51, v53, v52
	s_mov_b32 s4, 0x3fb8aa3b
	v_mul_f32_e32 v53, 0x3fb8aa3b, v51
	v_fma_f32 v54, v51, s4, -v53
	v_rndne_f32_e32 v55, v53
	v_fmamk_f32 v54, v51, 0x32a5705f, v54
	v_sub_f32_e32 v53, v53, v55
	v_add_f32_e32 v53, v53, v54
	v_exp_f32_e32 v53, v53
	v_cvt_i32_f32_e32 v54, v55
	s_mov_b32 s4, 0xc2ce8ed0
	v_cmp_ngt_f32_e32 vcc, s4, v51
	s_mov_b32 s4, 0x42b17218
	v_ldexp_f32 v53, v53, v54
	v_cndmask_b32_e32 v53, 0, v53, vcc
	v_mov_b32_e32 v54, 0x7f800000
	v_cmp_nlt_f32_e32 vcc, s4, v51
	s_mov_b32 s4, 0x3f2aaaab
	s_mov_b32 s5, 0x7f800000
	v_cndmask_b32_e32 v53, v54, v53, vcc
	v_add_f32_e32 v51, 1.0, v53
	v_add_f32_e32 v54, -1.0, v51
	v_sub_f32_e32 v55, v54, v51
	v_add_f32_e32 v55, 1.0, v55
	v_sub_f32_e32 v54, v53, v54
	v_add_f32_e32 v64, v54, v55
	v_frexp_mant_f32_e32 v65, v51
	v_cvt_f64_f32_e32 v[54:55], v51
	v_frexp_exp_i32_f64_e32 v54, v[54:55]
	v_cmp_gt_f32_e32 vcc, s4, v65
	s_mov_b32 s4, 0x3f317218
	s_nop 0
	v_subbrev_co_u32_e32 v119, vcc, 0, v54, vcc
	v_sub_u32_e32 v54, 0, v119
	v_ldexp_f32 v51, v51, v54
	v_ldexp_f32 v54, v64, v54
	v_add_f32_e32 v64, -1.0, v51
	v_add_f32_e32 v55, 1.0, v64
	v_sub_f32_e32 v55, v51, v55
	v_add_f32_e32 v65, v54, v55
	v_add_f32_e32 v55, 1.0, v51
	v_add_f32_e32 v66, -1.0, v55
	v_sub_f32_e32 v51, v51, v66
	v_add_f32_e32 v51, v54, v51
	v_add_f32_e32 v128, v55, v51
	v_rcp_f32_e32 v129, v128
	v_sub_f32_e32 v54, v55, v128
	v_add_f32_e32 v55, v64, v65
	v_add_f32_e32 v51, v51, v54
	v_mul_f32_e32 v131, v55, v129
	v_sub_f32_e32 v54, v64, v55
	v_mul_f32_e32 v64, v128, v131
	v_fma_f32 v66, v131, v128, -v64
	v_fmac_f32_e32 v66, v131, v51
	v_add_f32_e32 v130, v65, v54
	v_add_f32_e32 v54, v64, v66
	v_sub_f32_e32 v65, v55, v54
	v_pk_add_f32 v[68:69], v[54:55], v[64:65] neg_lo:[0,1] neg_hi:[0,1]
	v_mov_b32_e32 v67, v54
	v_pk_add_f32 v[54:55], v[68:69], v[66:67] neg_lo:[0,1] neg_hi:[0,1]
	v_cmp_eq_f32_e32 vcc, s5, v53
	v_add_f32_e32 v55, v130, v55
	v_add_f32_e32 v54, v54, v55
	;; [unrolled: 1-line block ×3, first 2 shown]
	v_mul_f32_e32 v130, v129, v55
	v_mul_f32_e32 v64, v128, v130
	v_fma_f32 v66, v130, v128, -v64
	v_fmac_f32_e32 v66, v130, v51
	v_sub_f32_e32 v51, v65, v55
	v_add_f32_e32 v51, v54, v51
	v_add_f32_e32 v54, v64, v66
	v_sub_f32_e32 v65, v55, v54
	v_pk_add_f32 v[68:69], v[54:55], v[64:65] neg_lo:[0,1] neg_hi:[0,1]
	v_mov_b32_e32 v67, v54
	v_pk_add_f32 v[54:55], v[68:69], v[66:67] neg_lo:[0,1] neg_hi:[0,1]
	v_cvt_f32_i32_e32 v64, v119
	v_add_f32_e32 v51, v51, v55
	v_add_f32_e32 v51, v54, v51
	;; [unrolled: 1-line block ×4, first 2 shown]
	v_sub_f32_e32 v55, v54, v131
	v_mul_f32_e32 v51, v129, v51
	v_sub_f32_e32 v55, v130, v55
	v_add_f32_e32 v51, v55, v51
	v_add_f32_e32 v65, v54, v51
	v_mul_f32_e32 v66, v65, v65
	v_mov_b32_e32 v55, 0x3ecc95a3
	v_fmac_f32_e32 v55, 0x3e9b6dac, v66
	v_sub_f32_e32 v54, v65, v54
	v_fmaak_f32 v55, v66, v55, 0x3f2aaada
	v_sub_f32_e32 v51, v51, v54
	v_ldexp_f32 v67, v65, 1
	v_mul_f32_e32 v65, v65, v66
	v_mov_b32_e32 v54, 0x3f317218
	v_pk_mul_f32 v[54:55], v[64:65], v[54:55]
	v_ldexp_f32 v51, v51, 1
	v_fma_f32 v65, v64, s4, -v54
	v_fmamk_f32 v66, v64, 0xb102e308, v65
	v_pk_add_f32 v[64:65], v[54:55], v[66:67]
	v_mov_b32_e32 v68, v54
	v_sub_f32_e32 v67, v65, v67
	v_sub_f32_e32 v67, v55, v67
	v_add_f32_e32 v69, v51, v67
	v_pk_add_f32 v[54:55], v[64:65], v[54:55] neg_lo:[0,1] neg_hi:[0,1]
	v_pk_add_f32 v[128:129], v[64:65], v[68:69]
	v_mov_b32_e32 v67, v64
	v_mov_b32_e32 v55, v129
	v_pk_add_f32 v[130:131], v[66:67], v[54:55] neg_lo:[0,1] neg_hi:[0,1]
	v_pk_add_f32 v[54:55], v[66:67], v[54:55]
	v_mov_b32_e32 v68, v69
	v_mov_b32_e32 v66, v55
	v_pk_add_f32 v[132:133], v[66:67], v[64:65] neg_lo:[0,1] neg_hi:[0,1]
	v_mov_b32_e32 v54, v129
	v_mov_b32_e32 v51, v132
	v_pk_add_f32 v[134:135], v[128:129], v[50:51] neg_lo:[0,1] neg_hi:[0,1]
	v_mov_b32_e32 v128, v65
	v_mov_b32_e32 v129, v132
	v_mov_b32_e32 v131, v55
	v_pk_add_f32 v[54:55], v[54:55], v[128:129] neg_lo:[0,1] neg_hi:[0,1]
	v_mov_b32_e32 v69, v64
	v_pk_add_f32 v[54:55], v[68:69], v[54:55] neg_lo:[0,1] neg_hi:[0,1]
	v_mov_b32_e32 v134, v130
	v_pk_add_f32 v[64:65], v[134:135], v[54:55]
	s_mov_b32 s4, 0x33800000
	v_mov_b32_e32 v68, v65
	v_pk_add_f32 v[68:69], v[64:65], v[68:69]
	v_cmp_lt_f32_e64 s[4:5], |v53|, s4
	v_pk_add_f32 v[66:67], v[66:67], v[68:69]
	v_mov_b32_e32 v55, v68
	v_mov_b32_e32 v65, v66
	v_pk_add_f32 v[128:129], v[64:65], v[130:131] neg_lo:[0,1] neg_hi:[0,1]
	s_or_b64 vcc, vcc, s[4:5]
	v_sub_f32_e32 v51, v64, v128
	v_pk_add_f32 v[54:55], v[54:55], v[128:129] neg_lo:[0,1] neg_hi:[0,1]
	v_sub_f32_e32 v51, v130, v51
	v_add_f32_e32 v51, v54, v51
	v_add_f32_e32 v51, v51, v55
	;; [unrolled: 1-line block ×3, first 2 shown]
	v_cndmask_b32_e32 v51, v51, v53, vcc
	v_add_f32_e32 v51, v52, v51
.LBB141_228:
	s_or_b64 exec, exec, s[2:3]
	v_max_f32_e32 v52, v51, v51
	v_min_f32_e32 v53, v52, v70
	v_cmp_u_f32_e32 vcc, v51, v51
	v_max_f32_e32 v52, v52, v70
	s_movk_i32 s4, 0x1f8
	v_cndmask_b32_e32 v53, v53, v51, vcc
	v_cndmask_b32_e32 v52, v52, v51, vcc
	v_cndmask_b32_e64 v54, v53, v36, s[8:9]
	v_cndmask_b32_e64 v53, v52, v36, s[8:9]
	v_cmp_neq_f32_e32 vcc, v54, v53
	v_cmp_class_f32_e64 s[2:3], v54, s4
	s_or_b64 s[6:7], vcc, s[2:3]
	v_mov_b32_e32 v52, v51
	s_and_saveexec_b64 s[2:3], s[6:7]
	s_cbranch_execz .LBB141_230
; %bb.229:
	v_sub_f32_e32 v52, v54, v53
	s_mov_b32 s5, 0x3fb8aa3b
	v_mul_f32_e32 v54, 0x3fb8aa3b, v52
	v_fma_f32 v55, v52, s5, -v54
	v_rndne_f32_e32 v64, v54
	v_fmamk_f32 v55, v52, 0x32a5705f, v55
	v_sub_f32_e32 v54, v54, v64
	v_add_f32_e32 v54, v54, v55
	v_exp_f32_e32 v54, v54
	v_cvt_i32_f32_e32 v55, v64
	s_mov_b32 s5, 0xc2ce8ed0
	v_cmp_ngt_f32_e32 vcc, s5, v52
	s_mov_b32 s5, 0x42b17218
	v_ldexp_f32 v54, v54, v55
	v_cndmask_b32_e32 v54, 0, v54, vcc
	v_mov_b32_e32 v55, 0x7f800000
	v_cmp_nlt_f32_e32 vcc, s5, v52
	s_mov_b32 s5, 0x3f2aaaab
	s_mov_b32 s6, 0x7f800000
	v_cndmask_b32_e32 v70, v55, v54, vcc
	v_add_f32_e32 v52, 1.0, v70
	v_add_f32_e32 v54, -1.0, v52
	v_sub_f32_e32 v55, v54, v52
	v_add_f32_e32 v55, 1.0, v55
	v_sub_f32_e32 v54, v70, v54
	v_add_f32_e32 v64, v54, v55
	v_frexp_mant_f32_e32 v65, v52
	v_cvt_f64_f32_e32 v[54:55], v52
	v_frexp_exp_i32_f64_e32 v54, v[54:55]
	v_cmp_gt_f32_e32 vcc, s5, v65
	s_mov_b32 s5, 0x3f317218
	s_nop 0
	v_subbrev_co_u32_e32 v119, vcc, 0, v54, vcc
	v_sub_u32_e32 v54, 0, v119
	v_ldexp_f32 v52, v52, v54
	v_ldexp_f32 v54, v64, v54
	v_add_f32_e32 v64, -1.0, v52
	v_add_f32_e32 v55, 1.0, v64
	v_sub_f32_e32 v55, v52, v55
	v_add_f32_e32 v65, v54, v55
	v_add_f32_e32 v55, 1.0, v52
	v_add_f32_e32 v66, -1.0, v55
	v_sub_f32_e32 v52, v52, v66
	v_add_f32_e32 v52, v54, v52
	v_add_f32_e32 v128, v55, v52
	v_rcp_f32_e32 v129, v128
	v_sub_f32_e32 v54, v55, v128
	v_add_f32_e32 v55, v64, v65
	v_add_f32_e32 v52, v52, v54
	v_mul_f32_e32 v131, v55, v129
	v_sub_f32_e32 v54, v64, v55
	v_mul_f32_e32 v64, v128, v131
	v_fma_f32 v66, v131, v128, -v64
	v_fmac_f32_e32 v66, v131, v52
	v_add_f32_e32 v130, v65, v54
	v_add_f32_e32 v54, v64, v66
	v_sub_f32_e32 v65, v55, v54
	v_pk_add_f32 v[68:69], v[54:55], v[64:65] neg_lo:[0,1] neg_hi:[0,1]
	v_mov_b32_e32 v67, v54
	v_pk_add_f32 v[54:55], v[68:69], v[66:67] neg_lo:[0,1] neg_hi:[0,1]
	v_cmp_eq_f32_e32 vcc, s6, v70
	v_add_f32_e32 v55, v130, v55
	v_add_f32_e32 v54, v54, v55
	;; [unrolled: 1-line block ×3, first 2 shown]
	v_mul_f32_e32 v130, v129, v55
	v_mul_f32_e32 v64, v128, v130
	v_fma_f32 v66, v130, v128, -v64
	v_fmac_f32_e32 v66, v130, v52
	v_sub_f32_e32 v52, v65, v55
	v_add_f32_e32 v52, v54, v52
	v_add_f32_e32 v54, v64, v66
	v_sub_f32_e32 v65, v55, v54
	v_pk_add_f32 v[68:69], v[54:55], v[64:65] neg_lo:[0,1] neg_hi:[0,1]
	v_mov_b32_e32 v67, v54
	v_pk_add_f32 v[54:55], v[68:69], v[66:67] neg_lo:[0,1] neg_hi:[0,1]
	v_cvt_f32_i32_e32 v64, v119
	v_add_f32_e32 v52, v52, v55
	v_add_f32_e32 v52, v54, v52
	;; [unrolled: 1-line block ×4, first 2 shown]
	v_sub_f32_e32 v55, v54, v131
	v_mul_f32_e32 v52, v129, v52
	v_sub_f32_e32 v55, v130, v55
	v_add_f32_e32 v52, v55, v52
	v_add_f32_e32 v65, v54, v52
	v_mul_f32_e32 v66, v65, v65
	v_mov_b32_e32 v55, 0x3ecc95a3
	v_fmac_f32_e32 v55, 0x3e9b6dac, v66
	v_sub_f32_e32 v54, v65, v54
	v_fmaak_f32 v55, v66, v55, 0x3f2aaada
	v_sub_f32_e32 v52, v52, v54
	v_ldexp_f32 v67, v65, 1
	v_mul_f32_e32 v65, v65, v66
	v_mov_b32_e32 v54, 0x3f317218
	v_pk_mul_f32 v[54:55], v[64:65], v[54:55]
	v_ldexp_f32 v52, v52, 1
	v_fma_f32 v65, v64, s5, -v54
	v_fmamk_f32 v66, v64, 0xb102e308, v65
	v_pk_add_f32 v[64:65], v[54:55], v[66:67]
	v_mov_b32_e32 v68, v54
	v_sub_f32_e32 v67, v65, v67
	v_sub_f32_e32 v67, v55, v67
	v_add_f32_e32 v69, v52, v67
	v_pk_add_f32 v[54:55], v[64:65], v[54:55] neg_lo:[0,1] neg_hi:[0,1]
	v_pk_add_f32 v[128:129], v[64:65], v[68:69]
	v_mov_b32_e32 v67, v64
	v_mov_b32_e32 v55, v129
	v_pk_add_f32 v[130:131], v[66:67], v[54:55] neg_lo:[0,1] neg_hi:[0,1]
	v_pk_add_f32 v[54:55], v[66:67], v[54:55]
	s_mov_b32 s5, 0x33800000
	v_mov_b32_e32 v52, v55
	v_pk_add_f32 v[66:67], v[52:53], v[64:65] neg_lo:[0,1] neg_hi:[0,1]
	v_mov_b32_e32 v54, v129
	v_mov_b32_e32 v67, v66
	v_pk_add_f32 v[132:133], v[128:129], v[66:67] neg_lo:[0,1] neg_hi:[0,1]
	v_mov_b32_e32 v128, v65
	v_mov_b32_e32 v129, v66
	;; [unrolled: 1-line block ×3, first 2 shown]
	v_pk_add_f32 v[54:55], v[54:55], v[128:129] neg_lo:[0,1] neg_hi:[0,1]
	v_mov_b32_e32 v66, v69
	v_mov_b32_e32 v67, v64
	v_pk_add_f32 v[54:55], v[66:67], v[54:55] neg_lo:[0,1] neg_hi:[0,1]
	v_mov_b32_e32 v132, v130
	v_pk_add_f32 v[64:65], v[132:133], v[54:55]
	v_cmp_lt_f32_e64 s[6:7], |v70|, s5
	v_mov_b32_e32 v66, v65
	v_pk_add_f32 v[66:67], v[64:65], v[66:67]
	s_or_b64 vcc, vcc, s[6:7]
	v_pk_add_f32 v[68:69], v[52:53], v[66:67]
	v_mov_b32_e32 v55, v66
	v_mov_b32_e32 v65, v68
	v_pk_add_f32 v[128:129], v[64:65], v[130:131] neg_lo:[0,1] neg_hi:[0,1]
	s_nop 0
	v_sub_f32_e32 v52, v64, v128
	v_pk_add_f32 v[54:55], v[54:55], v[128:129] neg_lo:[0,1] neg_hi:[0,1]
	v_sub_f32_e32 v52, v130, v52
	v_add_f32_e32 v52, v54, v52
	v_add_f32_e32 v52, v52, v55
	;; [unrolled: 1-line block ×3, first 2 shown]
	v_cndmask_b32_e32 v52, v52, v70, vcc
	v_add_f32_e32 v52, v53, v52
.LBB141_230:
	s_or_b64 exec, exec, s[2:3]
	v_max_f32_e32 v53, v52, v52
	v_min_f32_e32 v54, v53, v71
	v_cmp_u_f32_e32 vcc, v52, v52
	v_max_f32_e32 v53, v53, v71
	s_nop 0
	v_cndmask_b32_e32 v54, v54, v52, vcc
	v_cndmask_b32_e32 v53, v53, v52, vcc
	v_cndmask_b32_e64 v55, v54, v37, s[10:11]
	v_cndmask_b32_e64 v54, v53, v37, s[10:11]
	v_cmp_neq_f32_e32 vcc, v55, v54
	v_cmp_class_f32_e64 s[2:3], v55, s4
	s_or_b64 s[4:5], vcc, s[2:3]
	v_mov_b32_e32 v53, v52
	s_and_saveexec_b64 s[2:3], s[4:5]
	s_cbranch_execz .LBB141_232
; %bb.231:
	v_sub_f32_e32 v53, v55, v54
	s_mov_b32 s4, 0x3fb8aa3b
	v_mul_f32_e32 v55, 0x3fb8aa3b, v53
	v_fma_f32 v64, v53, s4, -v55
	v_rndne_f32_e32 v65, v55
	v_fmamk_f32 v64, v53, 0x32a5705f, v64
	v_sub_f32_e32 v55, v55, v65
	v_add_f32_e32 v55, v55, v64
	v_exp_f32_e32 v55, v55
	v_cvt_i32_f32_e32 v64, v65
	s_mov_b32 s4, 0xc2ce8ed0
	v_cmp_ngt_f32_e32 vcc, s4, v53
	s_mov_b32 s4, 0x42b17218
	v_ldexp_f32 v55, v55, v64
	v_cndmask_b32_e32 v55, 0, v55, vcc
	v_mov_b32_e32 v64, 0x7f800000
	v_cmp_nlt_f32_e32 vcc, s4, v53
	s_mov_b32 s4, 0x3f2aaaab
	s_mov_b32 s5, 0x7f800000
	v_cndmask_b32_e32 v55, v64, v55, vcc
	v_add_f32_e32 v53, 1.0, v55
	v_add_f32_e32 v64, -1.0, v53
	v_sub_f32_e32 v65, v64, v53
	v_add_f32_e32 v65, 1.0, v65
	v_sub_f32_e32 v64, v55, v64
	v_add_f32_e32 v66, v64, v65
	v_frexp_mant_f32_e32 v67, v53
	v_cvt_f64_f32_e32 v[64:65], v53
	v_frexp_exp_i32_f64_e32 v64, v[64:65]
	v_cmp_gt_f32_e32 vcc, s4, v67
	s_mov_b32 s4, 0x3f317218
	s_nop 0
	v_subbrev_co_u32_e32 v119, vcc, 0, v64, vcc
	v_sub_u32_e32 v64, 0, v119
	v_ldexp_f32 v53, v53, v64
	v_ldexp_f32 v64, v66, v64
	v_add_f32_e32 v66, -1.0, v53
	v_add_f32_e32 v65, 1.0, v66
	v_sub_f32_e32 v65, v53, v65
	v_add_f32_e32 v67, v64, v65
	v_add_f32_e32 v65, 1.0, v53
	v_add_f32_e32 v68, -1.0, v65
	v_sub_f32_e32 v53, v53, v68
	v_add_f32_e32 v53, v64, v53
	v_add_f32_e32 v128, v65, v53
	v_rcp_f32_e32 v129, v128
	v_sub_f32_e32 v64, v65, v128
	v_add_f32_e32 v65, v66, v67
	v_add_f32_e32 v53, v53, v64
	v_mul_f32_e32 v131, v65, v129
	v_sub_f32_e32 v64, v66, v65
	v_mul_f32_e32 v66, v128, v131
	v_fma_f32 v68, v131, v128, -v66
	v_fmac_f32_e32 v68, v131, v53
	v_add_f32_e32 v130, v67, v64
	v_add_f32_e32 v64, v66, v68
	v_sub_f32_e32 v67, v65, v64
	v_pk_add_f32 v[70:71], v[64:65], v[66:67] neg_lo:[0,1] neg_hi:[0,1]
	v_mov_b32_e32 v69, v64
	v_pk_add_f32 v[64:65], v[70:71], v[68:69] neg_lo:[0,1] neg_hi:[0,1]
	v_cmp_eq_f32_e32 vcc, s5, v55
	v_add_f32_e32 v65, v130, v65
	v_add_f32_e32 v64, v64, v65
	;; [unrolled: 1-line block ×3, first 2 shown]
	v_mul_f32_e32 v130, v129, v65
	v_mul_f32_e32 v66, v128, v130
	v_fma_f32 v68, v130, v128, -v66
	v_fmac_f32_e32 v68, v130, v53
	v_sub_f32_e32 v53, v67, v65
	v_add_f32_e32 v53, v64, v53
	v_add_f32_e32 v64, v66, v68
	v_sub_f32_e32 v67, v65, v64
	v_pk_add_f32 v[70:71], v[64:65], v[66:67] neg_lo:[0,1] neg_hi:[0,1]
	v_mov_b32_e32 v69, v64
	v_pk_add_f32 v[64:65], v[70:71], v[68:69] neg_lo:[0,1] neg_hi:[0,1]
	v_cvt_f32_i32_e32 v66, v119
	v_add_f32_e32 v53, v53, v65
	v_add_f32_e32 v53, v64, v53
	;; [unrolled: 1-line block ×4, first 2 shown]
	v_sub_f32_e32 v65, v64, v131
	v_mul_f32_e32 v53, v129, v53
	v_sub_f32_e32 v65, v130, v65
	v_add_f32_e32 v53, v65, v53
	v_add_f32_e32 v67, v64, v53
	v_mul_f32_e32 v68, v67, v67
	v_mov_b32_e32 v65, 0x3ecc95a3
	v_fmac_f32_e32 v65, 0x3e9b6dac, v68
	v_sub_f32_e32 v64, v67, v64
	v_fmaak_f32 v65, v68, v65, 0x3f2aaada
	v_sub_f32_e32 v53, v53, v64
	v_ldexp_f32 v69, v67, 1
	v_mul_f32_e32 v67, v67, v68
	v_mov_b32_e32 v64, 0x3f317218
	v_pk_mul_f32 v[64:65], v[66:67], v[64:65]
	v_ldexp_f32 v53, v53, 1
	v_fma_f32 v67, v66, s4, -v64
	v_fmamk_f32 v68, v66, 0xb102e308, v67
	v_pk_add_f32 v[66:67], v[64:65], v[68:69]
	v_mov_b32_e32 v70, v64
	v_sub_f32_e32 v69, v67, v69
	v_sub_f32_e32 v69, v65, v69
	v_add_f32_e32 v71, v53, v69
	v_pk_add_f32 v[64:65], v[66:67], v[64:65] neg_lo:[0,1] neg_hi:[0,1]
	v_pk_add_f32 v[128:129], v[66:67], v[70:71]
	v_mov_b32_e32 v69, v66
	v_mov_b32_e32 v65, v129
	v_pk_add_f32 v[130:131], v[68:69], v[64:65] neg_lo:[0,1] neg_hi:[0,1]
	v_pk_add_f32 v[64:65], v[68:69], v[64:65]
	v_mov_b32_e32 v70, v71
	v_mov_b32_e32 v68, v65
	v_pk_add_f32 v[132:133], v[68:69], v[66:67] neg_lo:[0,1] neg_hi:[0,1]
	v_mov_b32_e32 v64, v129
	v_mov_b32_e32 v53, v132
	v_pk_add_f32 v[134:135], v[128:129], v[52:53] neg_lo:[0,1] neg_hi:[0,1]
	v_mov_b32_e32 v128, v67
	v_mov_b32_e32 v129, v132
	;; [unrolled: 1-line block ×3, first 2 shown]
	v_pk_add_f32 v[64:65], v[64:65], v[128:129] neg_lo:[0,1] neg_hi:[0,1]
	v_mov_b32_e32 v71, v66
	v_pk_add_f32 v[64:65], v[70:71], v[64:65] neg_lo:[0,1] neg_hi:[0,1]
	v_mov_b32_e32 v134, v130
	v_pk_add_f32 v[66:67], v[134:135], v[64:65]
	s_mov_b32 s4, 0x33800000
	v_mov_b32_e32 v70, v67
	v_pk_add_f32 v[70:71], v[66:67], v[70:71]
	v_cmp_lt_f32_e64 s[4:5], |v55|, s4
	v_pk_add_f32 v[68:69], v[68:69], v[70:71]
	v_mov_b32_e32 v65, v70
	v_mov_b32_e32 v67, v68
	v_pk_add_f32 v[128:129], v[66:67], v[130:131] neg_lo:[0,1] neg_hi:[0,1]
	s_or_b64 vcc, vcc, s[4:5]
	v_sub_f32_e32 v53, v66, v128
	v_pk_add_f32 v[64:65], v[64:65], v[128:129] neg_lo:[0,1] neg_hi:[0,1]
	v_sub_f32_e32 v53, v130, v53
	v_add_f32_e32 v53, v64, v53
	v_add_f32_e32 v53, v53, v65
	;; [unrolled: 1-line block ×3, first 2 shown]
	v_cndmask_b32_e32 v53, v53, v55, vcc
	v_add_f32_e32 v53, v54, v53
.LBB141_232:
	s_or_b64 exec, exec, s[2:3]
	v_max_f32_e32 v54, v53, v53
	v_min_f32_e32 v55, v54, v80
	v_cmp_u_f32_e32 vcc, v53, v53
	v_max_f32_e32 v54, v54, v80
	s_movk_i32 s4, 0x1f8
	v_cndmask_b32_e32 v55, v55, v53, vcc
	v_cndmask_b32_e32 v54, v54, v53, vcc
	v_cndmask_b32_e64 v64, v55, v38, s[58:59]
	v_cndmask_b32_e64 v55, v54, v38, s[58:59]
	v_cmp_neq_f32_e32 vcc, v64, v55
	v_cmp_class_f32_e64 s[2:3], v64, s4
	s_or_b64 s[6:7], vcc, s[2:3]
	v_mov_b32_e32 v54, v53
	s_and_saveexec_b64 s[2:3], s[6:7]
	s_cbranch_execz .LBB141_234
; %bb.233:
	v_sub_f32_e32 v54, v64, v55
	s_mov_b32 s5, 0x3fb8aa3b
	v_mul_f32_e32 v64, 0x3fb8aa3b, v54
	v_fma_f32 v65, v54, s5, -v64
	v_rndne_f32_e32 v66, v64
	v_fmamk_f32 v65, v54, 0x32a5705f, v65
	v_sub_f32_e32 v64, v64, v66
	v_add_f32_e32 v64, v64, v65
	v_exp_f32_e32 v64, v64
	v_cvt_i32_f32_e32 v65, v66
	s_mov_b32 s5, 0xc2ce8ed0
	v_cmp_ngt_f32_e32 vcc, s5, v54
	s_mov_b32 s5, 0x42b17218
	v_ldexp_f32 v64, v64, v65
	v_cndmask_b32_e32 v64, 0, v64, vcc
	v_mov_b32_e32 v65, 0x7f800000
	v_cmp_nlt_f32_e32 vcc, s5, v54
	s_mov_b32 s5, 0x3f2aaaab
	s_mov_b32 s6, 0x7f800000
	v_cndmask_b32_e32 v80, v65, v64, vcc
	v_add_f32_e32 v54, 1.0, v80
	v_add_f32_e32 v64, -1.0, v54
	v_sub_f32_e32 v65, v64, v54
	v_add_f32_e32 v65, 1.0, v65
	v_sub_f32_e32 v64, v80, v64
	v_add_f32_e32 v66, v64, v65
	v_frexp_mant_f32_e32 v67, v54
	v_cvt_f64_f32_e32 v[64:65], v54
	v_frexp_exp_i32_f64_e32 v64, v[64:65]
	v_cmp_gt_f32_e32 vcc, s5, v67
	s_mov_b32 s5, 0x3f317218
	s_nop 0
	v_subbrev_co_u32_e32 v119, vcc, 0, v64, vcc
	v_sub_u32_e32 v64, 0, v119
	v_ldexp_f32 v54, v54, v64
	v_ldexp_f32 v64, v66, v64
	v_add_f32_e32 v66, -1.0, v54
	v_add_f32_e32 v65, 1.0, v66
	v_sub_f32_e32 v65, v54, v65
	v_add_f32_e32 v67, v64, v65
	v_add_f32_e32 v65, 1.0, v54
	v_add_f32_e32 v68, -1.0, v65
	v_sub_f32_e32 v54, v54, v68
	v_add_f32_e32 v54, v64, v54
	v_add_f32_e32 v128, v65, v54
	v_rcp_f32_e32 v129, v128
	v_sub_f32_e32 v64, v65, v128
	v_add_f32_e32 v65, v66, v67
	v_add_f32_e32 v54, v54, v64
	v_mul_f32_e32 v131, v65, v129
	v_sub_f32_e32 v64, v66, v65
	v_mul_f32_e32 v66, v128, v131
	v_fma_f32 v68, v131, v128, -v66
	v_fmac_f32_e32 v68, v131, v54
	v_add_f32_e32 v130, v67, v64
	v_add_f32_e32 v64, v66, v68
	v_sub_f32_e32 v67, v65, v64
	v_pk_add_f32 v[70:71], v[64:65], v[66:67] neg_lo:[0,1] neg_hi:[0,1]
	v_mov_b32_e32 v69, v64
	v_pk_add_f32 v[64:65], v[70:71], v[68:69] neg_lo:[0,1] neg_hi:[0,1]
	v_cmp_eq_f32_e32 vcc, s6, v80
	v_add_f32_e32 v65, v130, v65
	v_add_f32_e32 v64, v64, v65
	;; [unrolled: 1-line block ×3, first 2 shown]
	v_mul_f32_e32 v130, v129, v65
	v_mul_f32_e32 v66, v128, v130
	v_fma_f32 v68, v130, v128, -v66
	v_fmac_f32_e32 v68, v130, v54
	v_sub_f32_e32 v54, v67, v65
	v_add_f32_e32 v54, v64, v54
	v_add_f32_e32 v64, v66, v68
	v_sub_f32_e32 v67, v65, v64
	v_pk_add_f32 v[70:71], v[64:65], v[66:67] neg_lo:[0,1] neg_hi:[0,1]
	v_mov_b32_e32 v69, v64
	v_pk_add_f32 v[64:65], v[70:71], v[68:69] neg_lo:[0,1] neg_hi:[0,1]
	v_cvt_f32_i32_e32 v66, v119
	v_add_f32_e32 v54, v54, v65
	v_add_f32_e32 v54, v64, v54
	v_add_f32_e32 v64, v131, v130
	v_add_f32_e32 v54, v67, v54
	v_sub_f32_e32 v65, v64, v131
	v_mul_f32_e32 v54, v129, v54
	v_sub_f32_e32 v65, v130, v65
	v_add_f32_e32 v54, v65, v54
	v_add_f32_e32 v67, v64, v54
	v_mul_f32_e32 v68, v67, v67
	v_mov_b32_e32 v65, 0x3ecc95a3
	v_fmac_f32_e32 v65, 0x3e9b6dac, v68
	v_sub_f32_e32 v64, v67, v64
	v_fmaak_f32 v65, v68, v65, 0x3f2aaada
	v_sub_f32_e32 v54, v54, v64
	v_ldexp_f32 v69, v67, 1
	v_mul_f32_e32 v67, v67, v68
	v_mov_b32_e32 v64, 0x3f317218
	v_pk_mul_f32 v[64:65], v[66:67], v[64:65]
	v_ldexp_f32 v54, v54, 1
	v_fma_f32 v67, v66, s5, -v64
	v_fmamk_f32 v68, v66, 0xb102e308, v67
	v_pk_add_f32 v[66:67], v[64:65], v[68:69]
	v_mov_b32_e32 v70, v64
	v_sub_f32_e32 v69, v67, v69
	v_sub_f32_e32 v69, v65, v69
	v_add_f32_e32 v71, v54, v69
	v_pk_add_f32 v[64:65], v[66:67], v[64:65] neg_lo:[0,1] neg_hi:[0,1]
	v_pk_add_f32 v[128:129], v[66:67], v[70:71]
	v_mov_b32_e32 v69, v66
	v_mov_b32_e32 v65, v129
	v_pk_add_f32 v[130:131], v[68:69], v[64:65] neg_lo:[0,1] neg_hi:[0,1]
	v_pk_add_f32 v[64:65], v[68:69], v[64:65]
	s_mov_b32 s5, 0x33800000
	v_mov_b32_e32 v54, v65
	v_pk_add_f32 v[68:69], v[54:55], v[66:67] neg_lo:[0,1] neg_hi:[0,1]
	v_mov_b32_e32 v64, v129
	v_mov_b32_e32 v69, v68
	v_pk_add_f32 v[132:133], v[128:129], v[68:69] neg_lo:[0,1] neg_hi:[0,1]
	v_mov_b32_e32 v128, v67
	v_mov_b32_e32 v129, v68
	;; [unrolled: 1-line block ×3, first 2 shown]
	v_pk_add_f32 v[64:65], v[64:65], v[128:129] neg_lo:[0,1] neg_hi:[0,1]
	v_mov_b32_e32 v68, v71
	v_mov_b32_e32 v69, v66
	v_pk_add_f32 v[64:65], v[68:69], v[64:65] neg_lo:[0,1] neg_hi:[0,1]
	v_mov_b32_e32 v132, v130
	v_pk_add_f32 v[66:67], v[132:133], v[64:65]
	v_cmp_lt_f32_e64 s[6:7], |v80|, s5
	v_mov_b32_e32 v68, v67
	v_pk_add_f32 v[68:69], v[66:67], v[68:69]
	s_or_b64 vcc, vcc, s[6:7]
	v_pk_add_f32 v[70:71], v[54:55], v[68:69]
	v_mov_b32_e32 v65, v68
	v_mov_b32_e32 v67, v70
	v_pk_add_f32 v[128:129], v[66:67], v[130:131] neg_lo:[0,1] neg_hi:[0,1]
	s_nop 0
	v_sub_f32_e32 v54, v66, v128
	v_pk_add_f32 v[64:65], v[64:65], v[128:129] neg_lo:[0,1] neg_hi:[0,1]
	v_sub_f32_e32 v54, v130, v54
	v_add_f32_e32 v54, v64, v54
	v_add_f32_e32 v54, v54, v65
	;; [unrolled: 1-line block ×3, first 2 shown]
	v_cndmask_b32_e32 v54, v54, v80, vcc
	v_add_f32_e32 v54, v55, v54
.LBB141_234:
	s_or_b64 exec, exec, s[2:3]
	v_max_f32_e32 v55, v54, v54
	v_min_f32_e32 v64, v55, v81
	v_cmp_u_f32_e32 vcc, v54, v54
	v_max_f32_e32 v55, v55, v81
	s_nop 0
	v_cndmask_b32_e32 v64, v64, v54, vcc
	v_cndmask_b32_e32 v55, v55, v54, vcc
	v_cndmask_b32_e64 v65, v64, v39, s[14:15]
	v_cndmask_b32_e64 v64, v55, v39, s[14:15]
	v_cmp_neq_f32_e32 vcc, v65, v64
	v_cmp_class_f32_e64 s[2:3], v65, s4
	s_or_b64 s[4:5], vcc, s[2:3]
	v_mov_b32_e32 v55, v54
	s_and_saveexec_b64 s[2:3], s[4:5]
	s_cbranch_execz .LBB141_236
; %bb.235:
	v_sub_f32_e32 v55, v65, v64
	s_mov_b32 s4, 0x3fb8aa3b
	v_mul_f32_e32 v65, 0x3fb8aa3b, v55
	v_fma_f32 v66, v55, s4, -v65
	v_rndne_f32_e32 v67, v65
	v_fmamk_f32 v66, v55, 0x32a5705f, v66
	v_sub_f32_e32 v65, v65, v67
	v_add_f32_e32 v65, v65, v66
	v_exp_f32_e32 v65, v65
	v_cvt_i32_f32_e32 v66, v67
	s_mov_b32 s4, 0xc2ce8ed0
	v_cmp_ngt_f32_e32 vcc, s4, v55
	s_mov_b32 s4, 0x42b17218
	v_ldexp_f32 v65, v65, v66
	v_cndmask_b32_e32 v65, 0, v65, vcc
	v_mov_b32_e32 v66, 0x7f800000
	v_cmp_nlt_f32_e32 vcc, s4, v55
	s_mov_b32 s4, 0x3f2aaaab
	s_mov_b32 s5, 0x7f800000
	v_cndmask_b32_e32 v65, v66, v65, vcc
	v_add_f32_e32 v55, 1.0, v65
	v_add_f32_e32 v66, -1.0, v55
	v_sub_f32_e32 v67, v66, v55
	v_add_f32_e32 v67, 1.0, v67
	v_sub_f32_e32 v66, v65, v66
	v_add_f32_e32 v68, v66, v67
	v_frexp_mant_f32_e32 v69, v55
	v_cvt_f64_f32_e32 v[66:67], v55
	v_frexp_exp_i32_f64_e32 v66, v[66:67]
	v_cmp_gt_f32_e32 vcc, s4, v69
	s_mov_b32 s4, 0x3f317218
	s_nop 0
	v_subbrev_co_u32_e32 v119, vcc, 0, v66, vcc
	v_sub_u32_e32 v66, 0, v119
	v_ldexp_f32 v55, v55, v66
	v_ldexp_f32 v66, v68, v66
	v_add_f32_e32 v68, -1.0, v55
	v_add_f32_e32 v67, 1.0, v68
	v_sub_f32_e32 v67, v55, v67
	v_add_f32_e32 v69, v66, v67
	v_add_f32_e32 v67, 1.0, v55
	v_add_f32_e32 v70, -1.0, v67
	v_sub_f32_e32 v55, v55, v70
	v_add_f32_e32 v55, v66, v55
	v_add_f32_e32 v128, v67, v55
	v_rcp_f32_e32 v129, v128
	v_sub_f32_e32 v66, v67, v128
	v_add_f32_e32 v67, v68, v69
	v_add_f32_e32 v55, v55, v66
	v_mul_f32_e32 v131, v67, v129
	v_sub_f32_e32 v66, v68, v67
	v_mul_f32_e32 v68, v128, v131
	v_fma_f32 v70, v131, v128, -v68
	v_fmac_f32_e32 v70, v131, v55
	v_add_f32_e32 v130, v69, v66
	v_add_f32_e32 v66, v68, v70
	v_sub_f32_e32 v69, v67, v66
	v_pk_add_f32 v[80:81], v[66:67], v[68:69] neg_lo:[0,1] neg_hi:[0,1]
	v_mov_b32_e32 v71, v66
	v_pk_add_f32 v[66:67], v[80:81], v[70:71] neg_lo:[0,1] neg_hi:[0,1]
	v_cmp_eq_f32_e32 vcc, s5, v65
	v_add_f32_e32 v67, v130, v67
	v_add_f32_e32 v66, v66, v67
	;; [unrolled: 1-line block ×3, first 2 shown]
	v_mul_f32_e32 v130, v129, v67
	v_mul_f32_e32 v68, v128, v130
	v_fma_f32 v70, v130, v128, -v68
	v_fmac_f32_e32 v70, v130, v55
	v_sub_f32_e32 v55, v69, v67
	v_add_f32_e32 v55, v66, v55
	v_add_f32_e32 v66, v68, v70
	v_sub_f32_e32 v69, v67, v66
	v_pk_add_f32 v[80:81], v[66:67], v[68:69] neg_lo:[0,1] neg_hi:[0,1]
	v_mov_b32_e32 v71, v66
	v_pk_add_f32 v[66:67], v[80:81], v[70:71] neg_lo:[0,1] neg_hi:[0,1]
	v_cvt_f32_i32_e32 v68, v119
	v_add_f32_e32 v55, v55, v67
	v_add_f32_e32 v55, v66, v55
	;; [unrolled: 1-line block ×4, first 2 shown]
	v_sub_f32_e32 v67, v66, v131
	v_mul_f32_e32 v55, v129, v55
	v_sub_f32_e32 v67, v130, v67
	v_add_f32_e32 v55, v67, v55
	v_add_f32_e32 v69, v66, v55
	v_mul_f32_e32 v70, v69, v69
	v_mov_b32_e32 v67, 0x3ecc95a3
	v_fmac_f32_e32 v67, 0x3e9b6dac, v70
	v_sub_f32_e32 v66, v69, v66
	v_fmaak_f32 v67, v70, v67, 0x3f2aaada
	v_sub_f32_e32 v55, v55, v66
	v_ldexp_f32 v71, v69, 1
	v_mul_f32_e32 v69, v69, v70
	v_mov_b32_e32 v66, 0x3f317218
	v_pk_mul_f32 v[66:67], v[68:69], v[66:67]
	v_ldexp_f32 v55, v55, 1
	v_fma_f32 v69, v68, s4, -v66
	v_fmamk_f32 v70, v68, 0xb102e308, v69
	v_pk_add_f32 v[68:69], v[66:67], v[70:71]
	v_mov_b32_e32 v80, v66
	v_sub_f32_e32 v71, v69, v71
	v_sub_f32_e32 v71, v67, v71
	v_add_f32_e32 v81, v55, v71
	v_pk_add_f32 v[66:67], v[68:69], v[66:67] neg_lo:[0,1] neg_hi:[0,1]
	v_pk_add_f32 v[128:129], v[68:69], v[80:81]
	v_mov_b32_e32 v71, v68
	v_mov_b32_e32 v67, v129
	v_pk_add_f32 v[130:131], v[70:71], v[66:67] neg_lo:[0,1] neg_hi:[0,1]
	v_pk_add_f32 v[66:67], v[70:71], v[66:67]
	v_mov_b32_e32 v80, v81
	v_mov_b32_e32 v70, v67
	v_pk_add_f32 v[132:133], v[70:71], v[68:69] neg_lo:[0,1] neg_hi:[0,1]
	v_mov_b32_e32 v66, v129
	v_mov_b32_e32 v55, v132
	v_pk_add_f32 v[134:135], v[128:129], v[54:55] neg_lo:[0,1] neg_hi:[0,1]
	v_mov_b32_e32 v128, v69
	v_mov_b32_e32 v129, v132
	;; [unrolled: 1-line block ×3, first 2 shown]
	v_pk_add_f32 v[66:67], v[66:67], v[128:129] neg_lo:[0,1] neg_hi:[0,1]
	v_mov_b32_e32 v81, v68
	v_pk_add_f32 v[66:67], v[80:81], v[66:67] neg_lo:[0,1] neg_hi:[0,1]
	v_mov_b32_e32 v134, v130
	v_pk_add_f32 v[68:69], v[134:135], v[66:67]
	s_mov_b32 s4, 0x33800000
	v_mov_b32_e32 v80, v69
	v_pk_add_f32 v[80:81], v[68:69], v[80:81]
	v_cmp_lt_f32_e64 s[4:5], |v65|, s4
	v_pk_add_f32 v[70:71], v[70:71], v[80:81]
	v_mov_b32_e32 v67, v80
	v_mov_b32_e32 v69, v70
	v_pk_add_f32 v[128:129], v[68:69], v[130:131] neg_lo:[0,1] neg_hi:[0,1]
	s_or_b64 vcc, vcc, s[4:5]
	v_sub_f32_e32 v55, v68, v128
	v_pk_add_f32 v[66:67], v[66:67], v[128:129] neg_lo:[0,1] neg_hi:[0,1]
	v_sub_f32_e32 v55, v130, v55
	v_add_f32_e32 v55, v66, v55
	v_add_f32_e32 v55, v55, v67
	v_add_f32_e32 v55, v70, v55
	v_cndmask_b32_e32 v55, v55, v65, vcc
	v_add_f32_e32 v55, v64, v55
.LBB141_236:
	s_or_b64 exec, exec, s[2:3]
	v_max_f32_e32 v64, v55, v55
	v_min_f32_e32 v65, v64, v82
	v_cmp_u_f32_e32 vcc, v55, v55
	v_max_f32_e32 v64, v64, v82
	s_movk_i32 s4, 0x1f8
	v_cndmask_b32_e32 v65, v65, v55, vcc
	v_cndmask_b32_e32 v64, v64, v55, vcc
	v_cndmask_b32_e64 v66, v65, v32, s[16:17]
	v_cndmask_b32_e64 v65, v64, v32, s[16:17]
	v_cmp_neq_f32_e32 vcc, v66, v65
	v_cmp_class_f32_e64 s[2:3], v66, s4
	s_or_b64 s[6:7], vcc, s[2:3]
	v_mov_b32_e32 v64, v55
	s_and_saveexec_b64 s[2:3], s[6:7]
	s_cbranch_execz .LBB141_238
; %bb.237:
	v_sub_f32_e32 v64, v66, v65
	s_mov_b32 s5, 0x3fb8aa3b
	v_mul_f32_e32 v66, 0x3fb8aa3b, v64
	v_fma_f32 v67, v64, s5, -v66
	v_rndne_f32_e32 v68, v66
	v_fmamk_f32 v67, v64, 0x32a5705f, v67
	v_sub_f32_e32 v66, v66, v68
	v_add_f32_e32 v66, v66, v67
	v_exp_f32_e32 v66, v66
	v_cvt_i32_f32_e32 v67, v68
	s_mov_b32 s5, 0xc2ce8ed0
	v_cmp_ngt_f32_e32 vcc, s5, v64
	s_mov_b32 s5, 0x42b17218
	v_ldexp_f32 v66, v66, v67
	v_cndmask_b32_e32 v66, 0, v66, vcc
	v_mov_b32_e32 v67, 0x7f800000
	v_cmp_nlt_f32_e32 vcc, s5, v64
	s_mov_b32 s5, 0x3f2aaaab
	s_mov_b32 s6, 0x7f800000
	v_cndmask_b32_e32 v82, v67, v66, vcc
	v_add_f32_e32 v64, 1.0, v82
	v_add_f32_e32 v66, -1.0, v64
	v_sub_f32_e32 v67, v66, v64
	v_add_f32_e32 v67, 1.0, v67
	v_sub_f32_e32 v66, v82, v66
	v_add_f32_e32 v68, v66, v67
	v_frexp_mant_f32_e32 v69, v64
	v_cvt_f64_f32_e32 v[66:67], v64
	v_frexp_exp_i32_f64_e32 v66, v[66:67]
	v_cmp_gt_f32_e32 vcc, s5, v69
	s_mov_b32 s5, 0x3f317218
	s_nop 0
	v_subbrev_co_u32_e32 v119, vcc, 0, v66, vcc
	v_sub_u32_e32 v66, 0, v119
	v_ldexp_f32 v64, v64, v66
	v_ldexp_f32 v66, v68, v66
	v_add_f32_e32 v68, -1.0, v64
	v_add_f32_e32 v67, 1.0, v68
	v_sub_f32_e32 v67, v64, v67
	v_add_f32_e32 v69, v66, v67
	v_add_f32_e32 v67, 1.0, v64
	v_add_f32_e32 v70, -1.0, v67
	v_sub_f32_e32 v64, v64, v70
	v_add_f32_e32 v64, v66, v64
	v_add_f32_e32 v128, v67, v64
	v_rcp_f32_e32 v129, v128
	v_sub_f32_e32 v66, v67, v128
	v_add_f32_e32 v67, v68, v69
	v_add_f32_e32 v64, v64, v66
	v_mul_f32_e32 v131, v67, v129
	v_sub_f32_e32 v66, v68, v67
	v_mul_f32_e32 v68, v128, v131
	v_fma_f32 v70, v131, v128, -v68
	v_fmac_f32_e32 v70, v131, v64
	v_add_f32_e32 v130, v69, v66
	v_add_f32_e32 v66, v68, v70
	v_sub_f32_e32 v69, v67, v66
	v_pk_add_f32 v[80:81], v[66:67], v[68:69] neg_lo:[0,1] neg_hi:[0,1]
	v_mov_b32_e32 v71, v66
	v_pk_add_f32 v[66:67], v[80:81], v[70:71] neg_lo:[0,1] neg_hi:[0,1]
	v_cmp_eq_f32_e32 vcc, s6, v82
	v_add_f32_e32 v67, v130, v67
	v_add_f32_e32 v66, v66, v67
	;; [unrolled: 1-line block ×3, first 2 shown]
	v_mul_f32_e32 v130, v129, v67
	v_mul_f32_e32 v68, v128, v130
	v_fma_f32 v70, v130, v128, -v68
	v_fmac_f32_e32 v70, v130, v64
	v_sub_f32_e32 v64, v69, v67
	v_add_f32_e32 v64, v66, v64
	v_add_f32_e32 v66, v68, v70
	v_sub_f32_e32 v69, v67, v66
	v_pk_add_f32 v[80:81], v[66:67], v[68:69] neg_lo:[0,1] neg_hi:[0,1]
	v_mov_b32_e32 v71, v66
	v_pk_add_f32 v[66:67], v[80:81], v[70:71] neg_lo:[0,1] neg_hi:[0,1]
	v_cvt_f32_i32_e32 v68, v119
	v_add_f32_e32 v64, v64, v67
	v_add_f32_e32 v64, v66, v64
	;; [unrolled: 1-line block ×4, first 2 shown]
	v_sub_f32_e32 v67, v66, v131
	v_mul_f32_e32 v64, v129, v64
	v_sub_f32_e32 v67, v130, v67
	v_add_f32_e32 v64, v67, v64
	v_add_f32_e32 v69, v66, v64
	v_mul_f32_e32 v70, v69, v69
	v_mov_b32_e32 v67, 0x3ecc95a3
	v_fmac_f32_e32 v67, 0x3e9b6dac, v70
	v_sub_f32_e32 v66, v69, v66
	v_fmaak_f32 v67, v70, v67, 0x3f2aaada
	v_sub_f32_e32 v64, v64, v66
	v_ldexp_f32 v71, v69, 1
	v_mul_f32_e32 v69, v69, v70
	v_mov_b32_e32 v66, 0x3f317218
	v_pk_mul_f32 v[66:67], v[68:69], v[66:67]
	v_ldexp_f32 v64, v64, 1
	v_fma_f32 v69, v68, s5, -v66
	v_fmamk_f32 v70, v68, 0xb102e308, v69
	v_pk_add_f32 v[68:69], v[66:67], v[70:71]
	v_mov_b32_e32 v80, v66
	v_sub_f32_e32 v71, v69, v71
	v_sub_f32_e32 v71, v67, v71
	v_add_f32_e32 v81, v64, v71
	v_pk_add_f32 v[66:67], v[68:69], v[66:67] neg_lo:[0,1] neg_hi:[0,1]
	v_pk_add_f32 v[128:129], v[68:69], v[80:81]
	v_mov_b32_e32 v71, v68
	v_mov_b32_e32 v67, v129
	v_pk_add_f32 v[130:131], v[70:71], v[66:67] neg_lo:[0,1] neg_hi:[0,1]
	v_pk_add_f32 v[66:67], v[70:71], v[66:67]
	s_mov_b32 s5, 0x33800000
	v_mov_b32_e32 v64, v67
	v_pk_add_f32 v[70:71], v[64:65], v[68:69] neg_lo:[0,1] neg_hi:[0,1]
	v_mov_b32_e32 v66, v129
	v_mov_b32_e32 v71, v70
	v_pk_add_f32 v[132:133], v[128:129], v[70:71] neg_lo:[0,1] neg_hi:[0,1]
	v_mov_b32_e32 v128, v69
	v_mov_b32_e32 v129, v70
	;; [unrolled: 1-line block ×3, first 2 shown]
	v_pk_add_f32 v[66:67], v[66:67], v[128:129] neg_lo:[0,1] neg_hi:[0,1]
	v_mov_b32_e32 v70, v81
	v_mov_b32_e32 v71, v68
	v_pk_add_f32 v[66:67], v[70:71], v[66:67] neg_lo:[0,1] neg_hi:[0,1]
	v_mov_b32_e32 v132, v130
	v_pk_add_f32 v[68:69], v[132:133], v[66:67]
	v_cmp_lt_f32_e64 s[6:7], |v82|, s5
	v_mov_b32_e32 v70, v69
	v_pk_add_f32 v[70:71], v[68:69], v[70:71]
	s_or_b64 vcc, vcc, s[6:7]
	v_pk_add_f32 v[80:81], v[64:65], v[70:71]
	v_mov_b32_e32 v67, v70
	v_mov_b32_e32 v69, v80
	v_pk_add_f32 v[128:129], v[68:69], v[130:131] neg_lo:[0,1] neg_hi:[0,1]
	s_nop 0
	v_sub_f32_e32 v64, v68, v128
	v_pk_add_f32 v[66:67], v[66:67], v[128:129] neg_lo:[0,1] neg_hi:[0,1]
	v_sub_f32_e32 v64, v130, v64
	v_add_f32_e32 v64, v66, v64
	v_add_f32_e32 v64, v64, v67
	;; [unrolled: 1-line block ×3, first 2 shown]
	v_cndmask_b32_e32 v64, v64, v82, vcc
	v_add_f32_e32 v64, v65, v64
.LBB141_238:
	s_or_b64 exec, exec, s[2:3]
	v_max_f32_e32 v65, v64, v64
	v_min_f32_e32 v66, v65, v83
	v_cmp_u_f32_e32 vcc, v64, v64
	v_max_f32_e32 v65, v65, v83
	s_nop 0
	v_cndmask_b32_e32 v66, v66, v64, vcc
	v_cndmask_b32_e32 v65, v65, v64, vcc
	v_cndmask_b32_e64 v67, v66, v33, s[18:19]
	v_cndmask_b32_e64 v66, v65, v33, s[18:19]
	v_cmp_neq_f32_e32 vcc, v67, v66
	v_cmp_class_f32_e64 s[2:3], v67, s4
	s_or_b64 s[4:5], vcc, s[2:3]
	v_mov_b32_e32 v65, v64
	s_and_saveexec_b64 s[2:3], s[4:5]
	s_cbranch_execz .LBB141_240
; %bb.239:
	v_sub_f32_e32 v65, v67, v66
	s_mov_b32 s4, 0x3fb8aa3b
	v_mul_f32_e32 v67, 0x3fb8aa3b, v65
	v_fma_f32 v68, v65, s4, -v67
	v_rndne_f32_e32 v69, v67
	v_fmamk_f32 v68, v65, 0x32a5705f, v68
	v_sub_f32_e32 v67, v67, v69
	v_add_f32_e32 v67, v67, v68
	v_exp_f32_e32 v67, v67
	v_cvt_i32_f32_e32 v68, v69
	s_mov_b32 s4, 0xc2ce8ed0
	v_cmp_ngt_f32_e32 vcc, s4, v65
	s_mov_b32 s4, 0x42b17218
	v_ldexp_f32 v67, v67, v68
	v_cndmask_b32_e32 v67, 0, v67, vcc
	v_mov_b32_e32 v68, 0x7f800000
	v_cmp_nlt_f32_e32 vcc, s4, v65
	s_mov_b32 s4, 0x3f2aaaab
	s_mov_b32 s5, 0x7f800000
	v_cndmask_b32_e32 v67, v68, v67, vcc
	v_add_f32_e32 v65, 1.0, v67
	v_add_f32_e32 v68, -1.0, v65
	v_sub_f32_e32 v69, v68, v65
	v_add_f32_e32 v69, 1.0, v69
	v_sub_f32_e32 v68, v67, v68
	v_add_f32_e32 v70, v68, v69
	v_frexp_mant_f32_e32 v71, v65
	v_cvt_f64_f32_e32 v[68:69], v65
	v_frexp_exp_i32_f64_e32 v68, v[68:69]
	v_cmp_gt_f32_e32 vcc, s4, v71
	s_mov_b32 s4, 0x3f317218
	s_nop 0
	v_subbrev_co_u32_e32 v119, vcc, 0, v68, vcc
	v_sub_u32_e32 v68, 0, v119
	v_ldexp_f32 v65, v65, v68
	v_ldexp_f32 v68, v70, v68
	v_add_f32_e32 v70, -1.0, v65
	v_add_f32_e32 v69, 1.0, v70
	v_sub_f32_e32 v69, v65, v69
	v_add_f32_e32 v71, v68, v69
	v_add_f32_e32 v69, 1.0, v65
	v_add_f32_e32 v80, -1.0, v69
	v_sub_f32_e32 v65, v65, v80
	v_add_f32_e32 v65, v68, v65
	v_add_f32_e32 v128, v69, v65
	v_rcp_f32_e32 v129, v128
	v_sub_f32_e32 v68, v69, v128
	v_add_f32_e32 v69, v70, v71
	v_add_f32_e32 v65, v65, v68
	v_mul_f32_e32 v131, v69, v129
	v_sub_f32_e32 v68, v70, v69
	v_mul_f32_e32 v70, v128, v131
	v_fma_f32 v80, v131, v128, -v70
	v_fmac_f32_e32 v80, v131, v65
	v_add_f32_e32 v130, v71, v68
	v_add_f32_e32 v68, v70, v80
	v_sub_f32_e32 v71, v69, v68
	v_pk_add_f32 v[82:83], v[68:69], v[70:71] neg_lo:[0,1] neg_hi:[0,1]
	v_mov_b32_e32 v81, v68
	v_pk_add_f32 v[68:69], v[82:83], v[80:81] neg_lo:[0,1] neg_hi:[0,1]
	v_cmp_eq_f32_e32 vcc, s5, v67
	v_add_f32_e32 v69, v130, v69
	v_add_f32_e32 v68, v68, v69
	v_add_f32_e32 v69, v71, v68
	v_mul_f32_e32 v130, v129, v69
	v_mul_f32_e32 v70, v128, v130
	v_fma_f32 v80, v130, v128, -v70
	v_fmac_f32_e32 v80, v130, v65
	v_sub_f32_e32 v65, v71, v69
	v_add_f32_e32 v65, v68, v65
	v_add_f32_e32 v68, v70, v80
	v_sub_f32_e32 v71, v69, v68
	v_pk_add_f32 v[82:83], v[68:69], v[70:71] neg_lo:[0,1] neg_hi:[0,1]
	v_mov_b32_e32 v81, v68
	v_pk_add_f32 v[68:69], v[82:83], v[80:81] neg_lo:[0,1] neg_hi:[0,1]
	v_cvt_f32_i32_e32 v70, v119
	v_add_f32_e32 v65, v65, v69
	v_add_f32_e32 v65, v68, v65
	;; [unrolled: 1-line block ×4, first 2 shown]
	v_sub_f32_e32 v69, v68, v131
	v_mul_f32_e32 v65, v129, v65
	v_sub_f32_e32 v69, v130, v69
	v_add_f32_e32 v65, v69, v65
	v_add_f32_e32 v71, v68, v65
	v_mul_f32_e32 v80, v71, v71
	v_mov_b32_e32 v69, 0x3ecc95a3
	v_fmac_f32_e32 v69, 0x3e9b6dac, v80
	v_sub_f32_e32 v68, v71, v68
	v_fmaak_f32 v69, v80, v69, 0x3f2aaada
	v_sub_f32_e32 v65, v65, v68
	v_ldexp_f32 v81, v71, 1
	v_mul_f32_e32 v71, v71, v80
	v_mov_b32_e32 v68, 0x3f317218
	v_pk_mul_f32 v[68:69], v[70:71], v[68:69]
	v_ldexp_f32 v65, v65, 1
	v_fma_f32 v71, v70, s4, -v68
	v_fmamk_f32 v80, v70, 0xb102e308, v71
	v_pk_add_f32 v[70:71], v[68:69], v[80:81]
	v_mov_b32_e32 v82, v68
	v_sub_f32_e32 v81, v71, v81
	v_sub_f32_e32 v81, v69, v81
	v_add_f32_e32 v83, v65, v81
	v_pk_add_f32 v[68:69], v[70:71], v[68:69] neg_lo:[0,1] neg_hi:[0,1]
	v_pk_add_f32 v[128:129], v[70:71], v[82:83]
	v_mov_b32_e32 v81, v70
	v_mov_b32_e32 v69, v129
	v_pk_add_f32 v[130:131], v[80:81], v[68:69] neg_lo:[0,1] neg_hi:[0,1]
	v_pk_add_f32 v[68:69], v[80:81], v[68:69]
	v_mov_b32_e32 v82, v83
	v_mov_b32_e32 v80, v69
	v_pk_add_f32 v[132:133], v[80:81], v[70:71] neg_lo:[0,1] neg_hi:[0,1]
	v_mov_b32_e32 v68, v129
	v_mov_b32_e32 v65, v132
	v_pk_add_f32 v[134:135], v[128:129], v[64:65] neg_lo:[0,1] neg_hi:[0,1]
	v_mov_b32_e32 v128, v71
	v_mov_b32_e32 v129, v132
	;; [unrolled: 1-line block ×3, first 2 shown]
	v_pk_add_f32 v[68:69], v[68:69], v[128:129] neg_lo:[0,1] neg_hi:[0,1]
	v_mov_b32_e32 v83, v70
	v_pk_add_f32 v[68:69], v[82:83], v[68:69] neg_lo:[0,1] neg_hi:[0,1]
	v_mov_b32_e32 v134, v130
	v_pk_add_f32 v[70:71], v[134:135], v[68:69]
	s_mov_b32 s4, 0x33800000
	v_mov_b32_e32 v82, v71
	v_pk_add_f32 v[82:83], v[70:71], v[82:83]
	v_cmp_lt_f32_e64 s[4:5], |v67|, s4
	v_pk_add_f32 v[80:81], v[80:81], v[82:83]
	v_mov_b32_e32 v69, v82
	v_mov_b32_e32 v71, v80
	v_pk_add_f32 v[128:129], v[70:71], v[130:131] neg_lo:[0,1] neg_hi:[0,1]
	s_or_b64 vcc, vcc, s[4:5]
	v_sub_f32_e32 v65, v70, v128
	v_pk_add_f32 v[68:69], v[68:69], v[128:129] neg_lo:[0,1] neg_hi:[0,1]
	v_sub_f32_e32 v65, v130, v65
	v_add_f32_e32 v65, v68, v65
	v_add_f32_e32 v65, v65, v69
	;; [unrolled: 1-line block ×3, first 2 shown]
	v_cndmask_b32_e32 v65, v65, v67, vcc
	v_add_f32_e32 v65, v66, v65
.LBB141_240:
	s_or_b64 exec, exec, s[2:3]
	v_max_f32_e32 v66, v65, v65
	v_min_f32_e32 v67, v66, v84
	v_cmp_u_f32_e32 vcc, v65, v65
	v_max_f32_e32 v66, v66, v84
	s_movk_i32 s4, 0x1f8
	v_cndmask_b32_e32 v67, v67, v65, vcc
	v_cndmask_b32_e32 v66, v66, v65, vcc
	v_cndmask_b32_e64 v68, v67, v34, s[20:21]
	v_cndmask_b32_e64 v67, v66, v34, s[20:21]
	v_cmp_neq_f32_e32 vcc, v68, v67
	v_cmp_class_f32_e64 s[2:3], v68, s4
	s_or_b64 s[6:7], vcc, s[2:3]
	v_mov_b32_e32 v66, v65
	s_and_saveexec_b64 s[2:3], s[6:7]
	s_cbranch_execz .LBB141_242
; %bb.241:
	v_sub_f32_e32 v66, v68, v67
	s_mov_b32 s5, 0x3fb8aa3b
	v_mul_f32_e32 v68, 0x3fb8aa3b, v66
	v_fma_f32 v69, v66, s5, -v68
	v_rndne_f32_e32 v70, v68
	v_fmamk_f32 v69, v66, 0x32a5705f, v69
	v_sub_f32_e32 v68, v68, v70
	v_add_f32_e32 v68, v68, v69
	v_exp_f32_e32 v68, v68
	v_cvt_i32_f32_e32 v69, v70
	s_mov_b32 s5, 0xc2ce8ed0
	v_cmp_ngt_f32_e32 vcc, s5, v66
	s_mov_b32 s5, 0x42b17218
	v_ldexp_f32 v68, v68, v69
	v_cndmask_b32_e32 v68, 0, v68, vcc
	v_mov_b32_e32 v69, 0x7f800000
	v_cmp_nlt_f32_e32 vcc, s5, v66
	s_mov_b32 s5, 0x3f2aaaab
	s_mov_b32 s6, 0x7f800000
	v_cndmask_b32_e32 v84, v69, v68, vcc
	v_add_f32_e32 v66, 1.0, v84
	v_add_f32_e32 v68, -1.0, v66
	v_sub_f32_e32 v69, v68, v66
	v_add_f32_e32 v69, 1.0, v69
	v_sub_f32_e32 v68, v84, v68
	v_add_f32_e32 v70, v68, v69
	v_frexp_mant_f32_e32 v71, v66
	v_cvt_f64_f32_e32 v[68:69], v66
	v_frexp_exp_i32_f64_e32 v68, v[68:69]
	v_cmp_gt_f32_e32 vcc, s5, v71
	s_mov_b32 s5, 0x3f317218
	s_nop 0
	v_subbrev_co_u32_e32 v119, vcc, 0, v68, vcc
	v_sub_u32_e32 v68, 0, v119
	v_ldexp_f32 v66, v66, v68
	v_ldexp_f32 v68, v70, v68
	v_add_f32_e32 v70, -1.0, v66
	v_add_f32_e32 v69, 1.0, v70
	v_sub_f32_e32 v69, v66, v69
	v_add_f32_e32 v71, v68, v69
	v_add_f32_e32 v69, 1.0, v66
	v_add_f32_e32 v80, -1.0, v69
	v_sub_f32_e32 v66, v66, v80
	v_add_f32_e32 v66, v68, v66
	v_add_f32_e32 v128, v69, v66
	v_rcp_f32_e32 v129, v128
	v_sub_f32_e32 v68, v69, v128
	v_add_f32_e32 v69, v70, v71
	v_add_f32_e32 v66, v66, v68
	v_mul_f32_e32 v131, v69, v129
	v_sub_f32_e32 v68, v70, v69
	v_mul_f32_e32 v70, v128, v131
	v_fma_f32 v80, v131, v128, -v70
	v_fmac_f32_e32 v80, v131, v66
	v_add_f32_e32 v130, v71, v68
	v_add_f32_e32 v68, v70, v80
	v_sub_f32_e32 v71, v69, v68
	v_pk_add_f32 v[82:83], v[68:69], v[70:71] neg_lo:[0,1] neg_hi:[0,1]
	v_mov_b32_e32 v81, v68
	v_pk_add_f32 v[68:69], v[82:83], v[80:81] neg_lo:[0,1] neg_hi:[0,1]
	v_cmp_eq_f32_e32 vcc, s6, v84
	v_add_f32_e32 v69, v130, v69
	v_add_f32_e32 v68, v68, v69
	;; [unrolled: 1-line block ×3, first 2 shown]
	v_mul_f32_e32 v130, v129, v69
	v_mul_f32_e32 v70, v128, v130
	v_fma_f32 v80, v130, v128, -v70
	v_fmac_f32_e32 v80, v130, v66
	v_sub_f32_e32 v66, v71, v69
	v_add_f32_e32 v66, v68, v66
	v_add_f32_e32 v68, v70, v80
	v_sub_f32_e32 v71, v69, v68
	v_pk_add_f32 v[82:83], v[68:69], v[70:71] neg_lo:[0,1] neg_hi:[0,1]
	v_mov_b32_e32 v81, v68
	v_pk_add_f32 v[68:69], v[82:83], v[80:81] neg_lo:[0,1] neg_hi:[0,1]
	v_cvt_f32_i32_e32 v70, v119
	v_add_f32_e32 v66, v66, v69
	v_add_f32_e32 v66, v68, v66
	;; [unrolled: 1-line block ×4, first 2 shown]
	v_sub_f32_e32 v69, v68, v131
	v_mul_f32_e32 v66, v129, v66
	v_sub_f32_e32 v69, v130, v69
	v_add_f32_e32 v66, v69, v66
	v_add_f32_e32 v71, v68, v66
	v_mul_f32_e32 v80, v71, v71
	v_mov_b32_e32 v69, 0x3ecc95a3
	v_fmac_f32_e32 v69, 0x3e9b6dac, v80
	v_sub_f32_e32 v68, v71, v68
	v_fmaak_f32 v69, v80, v69, 0x3f2aaada
	v_sub_f32_e32 v66, v66, v68
	v_ldexp_f32 v81, v71, 1
	v_mul_f32_e32 v71, v71, v80
	v_mov_b32_e32 v68, 0x3f317218
	v_pk_mul_f32 v[68:69], v[70:71], v[68:69]
	v_ldexp_f32 v66, v66, 1
	v_fma_f32 v71, v70, s5, -v68
	v_fmamk_f32 v80, v70, 0xb102e308, v71
	v_pk_add_f32 v[70:71], v[68:69], v[80:81]
	v_mov_b32_e32 v82, v68
	v_sub_f32_e32 v81, v71, v81
	v_sub_f32_e32 v81, v69, v81
	v_add_f32_e32 v83, v66, v81
	v_pk_add_f32 v[68:69], v[70:71], v[68:69] neg_lo:[0,1] neg_hi:[0,1]
	v_pk_add_f32 v[128:129], v[70:71], v[82:83]
	v_mov_b32_e32 v81, v70
	v_mov_b32_e32 v69, v129
	v_pk_add_f32 v[130:131], v[80:81], v[68:69] neg_lo:[0,1] neg_hi:[0,1]
	v_pk_add_f32 v[68:69], v[80:81], v[68:69]
	s_mov_b32 s5, 0x33800000
	v_mov_b32_e32 v66, v69
	v_pk_add_f32 v[80:81], v[66:67], v[70:71] neg_lo:[0,1] neg_hi:[0,1]
	v_mov_b32_e32 v68, v129
	v_mov_b32_e32 v81, v80
	v_pk_add_f32 v[132:133], v[128:129], v[80:81] neg_lo:[0,1] neg_hi:[0,1]
	v_mov_b32_e32 v128, v71
	v_mov_b32_e32 v129, v80
	;; [unrolled: 1-line block ×3, first 2 shown]
	v_pk_add_f32 v[68:69], v[68:69], v[128:129] neg_lo:[0,1] neg_hi:[0,1]
	v_mov_b32_e32 v80, v83
	v_mov_b32_e32 v81, v70
	v_pk_add_f32 v[68:69], v[80:81], v[68:69] neg_lo:[0,1] neg_hi:[0,1]
	v_mov_b32_e32 v132, v130
	v_pk_add_f32 v[70:71], v[132:133], v[68:69]
	v_cmp_lt_f32_e64 s[6:7], |v84|, s5
	v_mov_b32_e32 v80, v71
	v_pk_add_f32 v[80:81], v[70:71], v[80:81]
	s_or_b64 vcc, vcc, s[6:7]
	v_pk_add_f32 v[82:83], v[66:67], v[80:81]
	v_mov_b32_e32 v69, v80
	v_mov_b32_e32 v71, v82
	v_pk_add_f32 v[128:129], v[70:71], v[130:131] neg_lo:[0,1] neg_hi:[0,1]
	s_nop 0
	v_sub_f32_e32 v66, v70, v128
	v_pk_add_f32 v[68:69], v[68:69], v[128:129] neg_lo:[0,1] neg_hi:[0,1]
	v_sub_f32_e32 v66, v130, v66
	v_add_f32_e32 v66, v68, v66
	v_add_f32_e32 v66, v66, v69
	;; [unrolled: 1-line block ×3, first 2 shown]
	v_cndmask_b32_e32 v66, v66, v84, vcc
	v_add_f32_e32 v66, v67, v66
.LBB141_242:
	s_or_b64 exec, exec, s[2:3]
	v_max_f32_e32 v67, v66, v66
	v_min_f32_e32 v68, v67, v85
	v_cmp_u_f32_e32 vcc, v66, v66
	v_max_f32_e32 v67, v67, v85
	s_nop 0
	v_cndmask_b32_e32 v68, v68, v66, vcc
	v_cndmask_b32_e32 v67, v67, v66, vcc
	v_cndmask_b32_e64 v69, v68, v35, s[22:23]
	v_cndmask_b32_e64 v68, v67, v35, s[22:23]
	v_cmp_neq_f32_e32 vcc, v69, v68
	v_cmp_class_f32_e64 s[2:3], v69, s4
	s_or_b64 s[4:5], vcc, s[2:3]
	v_mov_b32_e32 v67, v66
	s_and_saveexec_b64 s[2:3], s[4:5]
	s_cbranch_execz .LBB141_244
; %bb.243:
	v_sub_f32_e32 v67, v69, v68
	s_mov_b32 s4, 0x3fb8aa3b
	v_mul_f32_e32 v69, 0x3fb8aa3b, v67
	v_fma_f32 v70, v67, s4, -v69
	v_rndne_f32_e32 v71, v69
	v_fmamk_f32 v70, v67, 0x32a5705f, v70
	v_sub_f32_e32 v69, v69, v71
	v_add_f32_e32 v69, v69, v70
	v_exp_f32_e32 v69, v69
	v_cvt_i32_f32_e32 v70, v71
	s_mov_b32 s4, 0xc2ce8ed0
	v_cmp_ngt_f32_e32 vcc, s4, v67
	s_mov_b32 s4, 0x42b17218
	v_ldexp_f32 v69, v69, v70
	v_cndmask_b32_e32 v69, 0, v69, vcc
	v_mov_b32_e32 v70, 0x7f800000
	v_cmp_nlt_f32_e32 vcc, s4, v67
	s_mov_b32 s4, 0x3f2aaaab
	s_mov_b32 s5, 0x7f800000
	v_cndmask_b32_e32 v69, v70, v69, vcc
	v_add_f32_e32 v67, 1.0, v69
	v_add_f32_e32 v70, -1.0, v67
	v_sub_f32_e32 v71, v70, v67
	v_add_f32_e32 v71, 1.0, v71
	v_sub_f32_e32 v70, v69, v70
	v_add_f32_e32 v80, v70, v71
	v_frexp_mant_f32_e32 v81, v67
	v_cvt_f64_f32_e32 v[70:71], v67
	v_frexp_exp_i32_f64_e32 v70, v[70:71]
	v_cmp_gt_f32_e32 vcc, s4, v81
	s_mov_b32 s4, 0x3f317218
	s_nop 0
	v_subbrev_co_u32_e32 v119, vcc, 0, v70, vcc
	v_sub_u32_e32 v70, 0, v119
	v_ldexp_f32 v67, v67, v70
	v_ldexp_f32 v70, v80, v70
	v_add_f32_e32 v80, -1.0, v67
	v_add_f32_e32 v71, 1.0, v80
	v_sub_f32_e32 v71, v67, v71
	v_add_f32_e32 v81, v70, v71
	v_add_f32_e32 v71, 1.0, v67
	v_add_f32_e32 v82, -1.0, v71
	v_sub_f32_e32 v67, v67, v82
	v_add_f32_e32 v67, v70, v67
	v_add_f32_e32 v128, v71, v67
	v_rcp_f32_e32 v129, v128
	v_sub_f32_e32 v70, v71, v128
	v_add_f32_e32 v71, v80, v81
	v_add_f32_e32 v67, v67, v70
	v_mul_f32_e32 v131, v71, v129
	v_sub_f32_e32 v70, v80, v71
	v_mul_f32_e32 v80, v128, v131
	v_fma_f32 v82, v131, v128, -v80
	v_fmac_f32_e32 v82, v131, v67
	v_add_f32_e32 v130, v81, v70
	v_add_f32_e32 v70, v80, v82
	v_sub_f32_e32 v81, v71, v70
	v_pk_add_f32 v[84:85], v[70:71], v[80:81] neg_lo:[0,1] neg_hi:[0,1]
	v_mov_b32_e32 v83, v70
	v_pk_add_f32 v[70:71], v[84:85], v[82:83] neg_lo:[0,1] neg_hi:[0,1]
	v_cmp_eq_f32_e32 vcc, s5, v69
	v_add_f32_e32 v71, v130, v71
	v_add_f32_e32 v70, v70, v71
	;; [unrolled: 1-line block ×3, first 2 shown]
	v_mul_f32_e32 v130, v129, v71
	v_mul_f32_e32 v80, v128, v130
	v_fma_f32 v82, v130, v128, -v80
	v_fmac_f32_e32 v82, v130, v67
	v_sub_f32_e32 v67, v81, v71
	v_add_f32_e32 v67, v70, v67
	v_add_f32_e32 v70, v80, v82
	v_sub_f32_e32 v81, v71, v70
	v_pk_add_f32 v[84:85], v[70:71], v[80:81] neg_lo:[0,1] neg_hi:[0,1]
	v_mov_b32_e32 v83, v70
	v_pk_add_f32 v[70:71], v[84:85], v[82:83] neg_lo:[0,1] neg_hi:[0,1]
	v_cvt_f32_i32_e32 v80, v119
	v_add_f32_e32 v67, v67, v71
	v_add_f32_e32 v67, v70, v67
	;; [unrolled: 1-line block ×4, first 2 shown]
	v_sub_f32_e32 v71, v70, v131
	v_mul_f32_e32 v67, v129, v67
	v_sub_f32_e32 v71, v130, v71
	v_add_f32_e32 v67, v71, v67
	v_add_f32_e32 v81, v70, v67
	v_mul_f32_e32 v82, v81, v81
	v_mov_b32_e32 v71, 0x3ecc95a3
	v_fmac_f32_e32 v71, 0x3e9b6dac, v82
	v_sub_f32_e32 v70, v81, v70
	v_fmaak_f32 v71, v82, v71, 0x3f2aaada
	v_sub_f32_e32 v67, v67, v70
	v_ldexp_f32 v83, v81, 1
	v_mul_f32_e32 v81, v81, v82
	v_mov_b32_e32 v70, 0x3f317218
	v_pk_mul_f32 v[70:71], v[80:81], v[70:71]
	v_ldexp_f32 v67, v67, 1
	v_fma_f32 v81, v80, s4, -v70
	v_fmamk_f32 v82, v80, 0xb102e308, v81
	v_pk_add_f32 v[80:81], v[70:71], v[82:83]
	v_mov_b32_e32 v84, v70
	v_sub_f32_e32 v83, v81, v83
	v_sub_f32_e32 v83, v71, v83
	v_add_f32_e32 v85, v67, v83
	v_pk_add_f32 v[70:71], v[80:81], v[70:71] neg_lo:[0,1] neg_hi:[0,1]
	v_pk_add_f32 v[128:129], v[80:81], v[84:85]
	v_mov_b32_e32 v83, v80
	v_mov_b32_e32 v71, v129
	v_pk_add_f32 v[130:131], v[82:83], v[70:71] neg_lo:[0,1] neg_hi:[0,1]
	v_pk_add_f32 v[70:71], v[82:83], v[70:71]
	v_mov_b32_e32 v84, v85
	v_mov_b32_e32 v82, v71
	v_pk_add_f32 v[132:133], v[82:83], v[80:81] neg_lo:[0,1] neg_hi:[0,1]
	v_mov_b32_e32 v70, v129
	v_mov_b32_e32 v67, v132
	v_pk_add_f32 v[134:135], v[128:129], v[66:67] neg_lo:[0,1] neg_hi:[0,1]
	v_mov_b32_e32 v128, v81
	v_mov_b32_e32 v129, v132
	;; [unrolled: 1-line block ×3, first 2 shown]
	v_pk_add_f32 v[70:71], v[70:71], v[128:129] neg_lo:[0,1] neg_hi:[0,1]
	v_mov_b32_e32 v85, v80
	v_pk_add_f32 v[70:71], v[84:85], v[70:71] neg_lo:[0,1] neg_hi:[0,1]
	v_mov_b32_e32 v134, v130
	v_pk_add_f32 v[80:81], v[134:135], v[70:71]
	s_mov_b32 s4, 0x33800000
	v_mov_b32_e32 v84, v81
	v_pk_add_f32 v[84:85], v[80:81], v[84:85]
	v_cmp_lt_f32_e64 s[4:5], |v69|, s4
	v_pk_add_f32 v[82:83], v[82:83], v[84:85]
	v_mov_b32_e32 v71, v84
	v_mov_b32_e32 v81, v82
	v_pk_add_f32 v[128:129], v[80:81], v[130:131] neg_lo:[0,1] neg_hi:[0,1]
	s_or_b64 vcc, vcc, s[4:5]
	v_sub_f32_e32 v67, v80, v128
	v_pk_add_f32 v[70:71], v[70:71], v[128:129] neg_lo:[0,1] neg_hi:[0,1]
	v_sub_f32_e32 v67, v130, v67
	v_add_f32_e32 v67, v70, v67
	v_add_f32_e32 v67, v67, v71
	;; [unrolled: 1-line block ×3, first 2 shown]
	v_cndmask_b32_e32 v67, v67, v69, vcc
	v_add_f32_e32 v67, v68, v67
.LBB141_244:
	s_or_b64 exec, exec, s[2:3]
	v_max_f32_e32 v68, v67, v67
	v_min_f32_e32 v69, v68, v86
	v_cmp_u_f32_e32 vcc, v67, v67
	v_max_f32_e32 v68, v68, v86
	s_movk_i32 s4, 0x1f8
	v_cndmask_b32_e32 v69, v69, v67, vcc
	v_cndmask_b32_e32 v68, v68, v67, vcc
	v_cndmask_b32_e64 v70, v69, v28, s[24:25]
	v_cndmask_b32_e64 v69, v68, v28, s[24:25]
	v_cmp_neq_f32_e32 vcc, v70, v69
	v_cmp_class_f32_e64 s[2:3], v70, s4
	s_or_b64 s[6:7], vcc, s[2:3]
	v_mov_b32_e32 v68, v67
	s_and_saveexec_b64 s[2:3], s[6:7]
	s_cbranch_execz .LBB141_246
; %bb.245:
	v_sub_f32_e32 v68, v70, v69
	s_mov_b32 s5, 0x3fb8aa3b
	v_mul_f32_e32 v70, 0x3fb8aa3b, v68
	v_fma_f32 v71, v68, s5, -v70
	v_rndne_f32_e32 v80, v70
	v_fmamk_f32 v71, v68, 0x32a5705f, v71
	v_sub_f32_e32 v70, v70, v80
	v_add_f32_e32 v70, v70, v71
	v_exp_f32_e32 v70, v70
	v_cvt_i32_f32_e32 v71, v80
	s_mov_b32 s5, 0xc2ce8ed0
	v_cmp_ngt_f32_e32 vcc, s5, v68
	s_mov_b32 s5, 0x42b17218
	v_ldexp_f32 v70, v70, v71
	v_cndmask_b32_e32 v70, 0, v70, vcc
	v_mov_b32_e32 v71, 0x7f800000
	v_cmp_nlt_f32_e32 vcc, s5, v68
	s_mov_b32 s5, 0x3f2aaaab
	s_mov_b32 s6, 0x7f800000
	v_cndmask_b32_e32 v86, v71, v70, vcc
	v_add_f32_e32 v68, 1.0, v86
	v_add_f32_e32 v70, -1.0, v68
	v_sub_f32_e32 v71, v70, v68
	v_add_f32_e32 v71, 1.0, v71
	v_sub_f32_e32 v70, v86, v70
	v_add_f32_e32 v80, v70, v71
	v_frexp_mant_f32_e32 v81, v68
	v_cvt_f64_f32_e32 v[70:71], v68
	v_frexp_exp_i32_f64_e32 v70, v[70:71]
	v_cmp_gt_f32_e32 vcc, s5, v81
	s_mov_b32 s5, 0x3f317218
	s_nop 0
	v_subbrev_co_u32_e32 v119, vcc, 0, v70, vcc
	v_sub_u32_e32 v70, 0, v119
	v_ldexp_f32 v68, v68, v70
	v_ldexp_f32 v70, v80, v70
	v_add_f32_e32 v80, -1.0, v68
	v_add_f32_e32 v71, 1.0, v80
	v_sub_f32_e32 v71, v68, v71
	v_add_f32_e32 v81, v70, v71
	v_add_f32_e32 v71, 1.0, v68
	v_add_f32_e32 v82, -1.0, v71
	v_sub_f32_e32 v68, v68, v82
	v_add_f32_e32 v68, v70, v68
	v_add_f32_e32 v128, v71, v68
	v_rcp_f32_e32 v129, v128
	v_sub_f32_e32 v70, v71, v128
	v_add_f32_e32 v71, v80, v81
	v_add_f32_e32 v68, v68, v70
	v_mul_f32_e32 v131, v71, v129
	v_sub_f32_e32 v70, v80, v71
	v_mul_f32_e32 v80, v128, v131
	v_fma_f32 v82, v131, v128, -v80
	v_fmac_f32_e32 v82, v131, v68
	v_add_f32_e32 v130, v81, v70
	v_add_f32_e32 v70, v80, v82
	v_sub_f32_e32 v81, v71, v70
	v_pk_add_f32 v[84:85], v[70:71], v[80:81] neg_lo:[0,1] neg_hi:[0,1]
	v_mov_b32_e32 v83, v70
	v_pk_add_f32 v[70:71], v[84:85], v[82:83] neg_lo:[0,1] neg_hi:[0,1]
	v_cmp_eq_f32_e32 vcc, s6, v86
	v_add_f32_e32 v71, v130, v71
	v_add_f32_e32 v70, v70, v71
	;; [unrolled: 1-line block ×3, first 2 shown]
	v_mul_f32_e32 v130, v129, v71
	v_mul_f32_e32 v80, v128, v130
	v_fma_f32 v82, v130, v128, -v80
	v_fmac_f32_e32 v82, v130, v68
	v_sub_f32_e32 v68, v81, v71
	v_add_f32_e32 v68, v70, v68
	v_add_f32_e32 v70, v80, v82
	v_sub_f32_e32 v81, v71, v70
	v_pk_add_f32 v[84:85], v[70:71], v[80:81] neg_lo:[0,1] neg_hi:[0,1]
	v_mov_b32_e32 v83, v70
	v_pk_add_f32 v[70:71], v[84:85], v[82:83] neg_lo:[0,1] neg_hi:[0,1]
	v_cvt_f32_i32_e32 v80, v119
	v_add_f32_e32 v68, v68, v71
	v_add_f32_e32 v68, v70, v68
	;; [unrolled: 1-line block ×4, first 2 shown]
	v_sub_f32_e32 v71, v70, v131
	v_mul_f32_e32 v68, v129, v68
	v_sub_f32_e32 v71, v130, v71
	v_add_f32_e32 v68, v71, v68
	v_add_f32_e32 v81, v70, v68
	v_mul_f32_e32 v82, v81, v81
	v_mov_b32_e32 v71, 0x3ecc95a3
	v_fmac_f32_e32 v71, 0x3e9b6dac, v82
	v_sub_f32_e32 v70, v81, v70
	v_fmaak_f32 v71, v82, v71, 0x3f2aaada
	v_sub_f32_e32 v68, v68, v70
	v_ldexp_f32 v83, v81, 1
	v_mul_f32_e32 v81, v81, v82
	v_mov_b32_e32 v70, 0x3f317218
	v_pk_mul_f32 v[70:71], v[80:81], v[70:71]
	v_ldexp_f32 v68, v68, 1
	v_fma_f32 v81, v80, s5, -v70
	v_fmamk_f32 v82, v80, 0xb102e308, v81
	v_pk_add_f32 v[80:81], v[70:71], v[82:83]
	v_mov_b32_e32 v84, v70
	v_sub_f32_e32 v83, v81, v83
	v_sub_f32_e32 v83, v71, v83
	v_add_f32_e32 v85, v68, v83
	v_pk_add_f32 v[70:71], v[80:81], v[70:71] neg_lo:[0,1] neg_hi:[0,1]
	v_pk_add_f32 v[128:129], v[80:81], v[84:85]
	v_mov_b32_e32 v83, v80
	v_mov_b32_e32 v71, v129
	v_pk_add_f32 v[130:131], v[82:83], v[70:71] neg_lo:[0,1] neg_hi:[0,1]
	v_pk_add_f32 v[70:71], v[82:83], v[70:71]
	s_mov_b32 s5, 0x33800000
	v_mov_b32_e32 v68, v71
	v_pk_add_f32 v[82:83], v[68:69], v[80:81] neg_lo:[0,1] neg_hi:[0,1]
	v_mov_b32_e32 v70, v129
	v_mov_b32_e32 v83, v82
	v_pk_add_f32 v[132:133], v[128:129], v[82:83] neg_lo:[0,1] neg_hi:[0,1]
	v_mov_b32_e32 v128, v81
	v_mov_b32_e32 v129, v82
	;; [unrolled: 1-line block ×3, first 2 shown]
	v_pk_add_f32 v[70:71], v[70:71], v[128:129] neg_lo:[0,1] neg_hi:[0,1]
	v_mov_b32_e32 v82, v85
	v_mov_b32_e32 v83, v80
	v_pk_add_f32 v[70:71], v[82:83], v[70:71] neg_lo:[0,1] neg_hi:[0,1]
	v_mov_b32_e32 v132, v130
	v_pk_add_f32 v[80:81], v[132:133], v[70:71]
	v_cmp_lt_f32_e64 s[6:7], |v86|, s5
	v_mov_b32_e32 v82, v81
	v_pk_add_f32 v[82:83], v[80:81], v[82:83]
	s_or_b64 vcc, vcc, s[6:7]
	v_pk_add_f32 v[84:85], v[68:69], v[82:83]
	v_mov_b32_e32 v71, v82
	v_mov_b32_e32 v81, v84
	v_pk_add_f32 v[128:129], v[80:81], v[130:131] neg_lo:[0,1] neg_hi:[0,1]
	s_nop 0
	v_sub_f32_e32 v68, v80, v128
	v_pk_add_f32 v[70:71], v[70:71], v[128:129] neg_lo:[0,1] neg_hi:[0,1]
	v_sub_f32_e32 v68, v130, v68
	v_add_f32_e32 v68, v70, v68
	v_add_f32_e32 v68, v68, v71
	;; [unrolled: 1-line block ×3, first 2 shown]
	v_cndmask_b32_e32 v68, v68, v86, vcc
	v_add_f32_e32 v68, v69, v68
.LBB141_246:
	s_or_b64 exec, exec, s[2:3]
	v_max_f32_e32 v69, v68, v68
	v_min_f32_e32 v70, v69, v87
	v_cmp_u_f32_e32 vcc, v68, v68
	v_max_f32_e32 v69, v69, v87
	s_nop 0
	v_cndmask_b32_e32 v70, v70, v68, vcc
	v_cndmask_b32_e32 v69, v69, v68, vcc
	v_cndmask_b32_e64 v71, v70, v29, s[26:27]
	v_cndmask_b32_e64 v70, v69, v29, s[26:27]
	v_cmp_neq_f32_e32 vcc, v71, v70
	v_cmp_class_f32_e64 s[2:3], v71, s4
	s_or_b64 s[4:5], vcc, s[2:3]
	v_mov_b32_e32 v69, v68
	s_and_saveexec_b64 s[2:3], s[4:5]
	s_cbranch_execz .LBB141_248
; %bb.247:
	v_sub_f32_e32 v69, v71, v70
	s_mov_b32 s4, 0x3fb8aa3b
	v_mul_f32_e32 v71, 0x3fb8aa3b, v69
	v_fma_f32 v80, v69, s4, -v71
	v_rndne_f32_e32 v81, v71
	v_fmamk_f32 v80, v69, 0x32a5705f, v80
	v_sub_f32_e32 v71, v71, v81
	v_add_f32_e32 v71, v71, v80
	v_exp_f32_e32 v71, v71
	v_cvt_i32_f32_e32 v80, v81
	s_mov_b32 s4, 0xc2ce8ed0
	v_cmp_ngt_f32_e32 vcc, s4, v69
	s_mov_b32 s4, 0x42b17218
	v_ldexp_f32 v71, v71, v80
	v_cndmask_b32_e32 v71, 0, v71, vcc
	v_mov_b32_e32 v80, 0x7f800000
	v_cmp_nlt_f32_e32 vcc, s4, v69
	s_mov_b32 s4, 0x3f2aaaab
	s_mov_b32 s5, 0x7f800000
	v_cndmask_b32_e32 v71, v80, v71, vcc
	v_add_f32_e32 v69, 1.0, v71
	v_add_f32_e32 v80, -1.0, v69
	v_sub_f32_e32 v81, v80, v69
	v_add_f32_e32 v81, 1.0, v81
	v_sub_f32_e32 v80, v71, v80
	v_add_f32_e32 v82, v80, v81
	v_frexp_mant_f32_e32 v83, v69
	v_cvt_f64_f32_e32 v[80:81], v69
	v_frexp_exp_i32_f64_e32 v80, v[80:81]
	v_cmp_gt_f32_e32 vcc, s4, v83
	s_mov_b32 s4, 0x3f317218
	s_nop 0
	v_subbrev_co_u32_e32 v119, vcc, 0, v80, vcc
	v_sub_u32_e32 v80, 0, v119
	v_ldexp_f32 v69, v69, v80
	v_ldexp_f32 v80, v82, v80
	v_add_f32_e32 v82, -1.0, v69
	v_add_f32_e32 v81, 1.0, v82
	v_sub_f32_e32 v81, v69, v81
	v_add_f32_e32 v83, v80, v81
	v_add_f32_e32 v81, 1.0, v69
	v_add_f32_e32 v84, -1.0, v81
	v_sub_f32_e32 v69, v69, v84
	v_add_f32_e32 v69, v80, v69
	v_add_f32_e32 v128, v81, v69
	v_rcp_f32_e32 v129, v128
	v_sub_f32_e32 v80, v81, v128
	v_add_f32_e32 v81, v82, v83
	v_add_f32_e32 v69, v69, v80
	v_mul_f32_e32 v131, v81, v129
	v_sub_f32_e32 v80, v82, v81
	v_mul_f32_e32 v82, v128, v131
	v_fma_f32 v84, v131, v128, -v82
	v_fmac_f32_e32 v84, v131, v69
	v_add_f32_e32 v130, v83, v80
	v_add_f32_e32 v80, v82, v84
	v_sub_f32_e32 v83, v81, v80
	v_pk_add_f32 v[86:87], v[80:81], v[82:83] neg_lo:[0,1] neg_hi:[0,1]
	v_mov_b32_e32 v85, v80
	v_pk_add_f32 v[80:81], v[86:87], v[84:85] neg_lo:[0,1] neg_hi:[0,1]
	v_cmp_eq_f32_e32 vcc, s5, v71
	v_add_f32_e32 v81, v130, v81
	v_add_f32_e32 v80, v80, v81
	v_add_f32_e32 v81, v83, v80
	v_mul_f32_e32 v130, v129, v81
	v_mul_f32_e32 v82, v128, v130
	v_fma_f32 v84, v130, v128, -v82
	v_fmac_f32_e32 v84, v130, v69
	v_sub_f32_e32 v69, v83, v81
	v_add_f32_e32 v69, v80, v69
	v_add_f32_e32 v80, v82, v84
	v_sub_f32_e32 v83, v81, v80
	v_pk_add_f32 v[86:87], v[80:81], v[82:83] neg_lo:[0,1] neg_hi:[0,1]
	v_mov_b32_e32 v85, v80
	v_pk_add_f32 v[80:81], v[86:87], v[84:85] neg_lo:[0,1] neg_hi:[0,1]
	v_cvt_f32_i32_e32 v82, v119
	v_add_f32_e32 v69, v69, v81
	v_add_f32_e32 v69, v80, v69
	;; [unrolled: 1-line block ×4, first 2 shown]
	v_sub_f32_e32 v81, v80, v131
	v_mul_f32_e32 v69, v129, v69
	v_sub_f32_e32 v81, v130, v81
	v_add_f32_e32 v69, v81, v69
	v_add_f32_e32 v83, v80, v69
	v_mul_f32_e32 v84, v83, v83
	v_mov_b32_e32 v81, 0x3ecc95a3
	v_fmac_f32_e32 v81, 0x3e9b6dac, v84
	v_sub_f32_e32 v80, v83, v80
	v_fmaak_f32 v81, v84, v81, 0x3f2aaada
	v_sub_f32_e32 v69, v69, v80
	v_ldexp_f32 v85, v83, 1
	v_mul_f32_e32 v83, v83, v84
	v_mov_b32_e32 v80, 0x3f317218
	v_pk_mul_f32 v[80:81], v[82:83], v[80:81]
	v_ldexp_f32 v69, v69, 1
	v_fma_f32 v83, v82, s4, -v80
	v_fmamk_f32 v84, v82, 0xb102e308, v83
	v_pk_add_f32 v[82:83], v[80:81], v[84:85]
	v_mov_b32_e32 v86, v80
	v_sub_f32_e32 v85, v83, v85
	v_sub_f32_e32 v85, v81, v85
	v_add_f32_e32 v87, v69, v85
	v_pk_add_f32 v[80:81], v[82:83], v[80:81] neg_lo:[0,1] neg_hi:[0,1]
	v_pk_add_f32 v[128:129], v[82:83], v[86:87]
	v_mov_b32_e32 v85, v82
	v_mov_b32_e32 v81, v129
	v_pk_add_f32 v[130:131], v[84:85], v[80:81] neg_lo:[0,1] neg_hi:[0,1]
	v_pk_add_f32 v[80:81], v[84:85], v[80:81]
	v_mov_b32_e32 v86, v87
	v_mov_b32_e32 v84, v81
	v_pk_add_f32 v[132:133], v[84:85], v[82:83] neg_lo:[0,1] neg_hi:[0,1]
	v_mov_b32_e32 v80, v129
	v_mov_b32_e32 v69, v132
	v_pk_add_f32 v[134:135], v[128:129], v[68:69] neg_lo:[0,1] neg_hi:[0,1]
	v_mov_b32_e32 v128, v83
	v_mov_b32_e32 v129, v132
	;; [unrolled: 1-line block ×3, first 2 shown]
	v_pk_add_f32 v[80:81], v[80:81], v[128:129] neg_lo:[0,1] neg_hi:[0,1]
	v_mov_b32_e32 v87, v82
	v_pk_add_f32 v[80:81], v[86:87], v[80:81] neg_lo:[0,1] neg_hi:[0,1]
	v_mov_b32_e32 v134, v130
	v_pk_add_f32 v[82:83], v[134:135], v[80:81]
	s_mov_b32 s4, 0x33800000
	v_mov_b32_e32 v86, v83
	v_pk_add_f32 v[86:87], v[82:83], v[86:87]
	v_cmp_lt_f32_e64 s[4:5], |v71|, s4
	v_pk_add_f32 v[84:85], v[84:85], v[86:87]
	v_mov_b32_e32 v81, v86
	v_mov_b32_e32 v83, v84
	v_pk_add_f32 v[128:129], v[82:83], v[130:131] neg_lo:[0,1] neg_hi:[0,1]
	s_or_b64 vcc, vcc, s[4:5]
	v_sub_f32_e32 v69, v82, v128
	v_pk_add_f32 v[80:81], v[80:81], v[128:129] neg_lo:[0,1] neg_hi:[0,1]
	v_sub_f32_e32 v69, v130, v69
	v_add_f32_e32 v69, v80, v69
	v_add_f32_e32 v69, v69, v81
	;; [unrolled: 1-line block ×3, first 2 shown]
	v_cndmask_b32_e32 v69, v69, v71, vcc
	v_add_f32_e32 v69, v70, v69
.LBB141_248:
	s_or_b64 exec, exec, s[2:3]
	v_max_f32_e32 v70, v69, v69
	v_min_f32_e32 v71, v70, v101
	v_cmp_u_f32_e32 vcc, v69, v69
	v_max_f32_e32 v70, v70, v101
	s_movk_i32 s4, 0x1f8
	v_cndmask_b32_e32 v71, v71, v69, vcc
	v_cndmask_b32_e32 v70, v70, v69, vcc
	v_cndmask_b32_e64 v80, v71, v30, s[28:29]
	v_cndmask_b32_e64 v71, v70, v30, s[28:29]
	v_cmp_neq_f32_e32 vcc, v80, v71
	v_cmp_class_f32_e64 s[2:3], v80, s4
	s_or_b64 s[6:7], vcc, s[2:3]
	v_mov_b32_e32 v70, v69
	s_and_saveexec_b64 s[2:3], s[6:7]
	s_cbranch_execz .LBB141_250
; %bb.249:
	v_sub_f32_e32 v70, v80, v71
	s_mov_b32 s5, 0x3fb8aa3b
	v_mul_f32_e32 v80, 0x3fb8aa3b, v70
	v_fma_f32 v81, v70, s5, -v80
	v_rndne_f32_e32 v82, v80
	v_fmamk_f32 v81, v70, 0x32a5705f, v81
	v_sub_f32_e32 v80, v80, v82
	v_add_f32_e32 v80, v80, v81
	v_exp_f32_e32 v80, v80
	v_cvt_i32_f32_e32 v81, v82
	s_mov_b32 s5, 0xc2ce8ed0
	v_cmp_ngt_f32_e32 vcc, s5, v70
	s_mov_b32 s5, 0x42b17218
	v_ldexp_f32 v80, v80, v81
	v_cndmask_b32_e32 v80, 0, v80, vcc
	v_mov_b32_e32 v81, 0x7f800000
	v_cmp_nlt_f32_e32 vcc, s5, v70
	s_mov_b32 s5, 0x3f2aaaab
	s_mov_b32 s6, 0x7f800000
	v_cndmask_b32_e32 v101, v81, v80, vcc
	v_add_f32_e32 v70, 1.0, v101
	v_add_f32_e32 v80, -1.0, v70
	v_sub_f32_e32 v81, v80, v70
	v_add_f32_e32 v81, 1.0, v81
	v_sub_f32_e32 v80, v101, v80
	v_add_f32_e32 v82, v80, v81
	v_frexp_mant_f32_e32 v83, v70
	v_cvt_f64_f32_e32 v[80:81], v70
	v_frexp_exp_i32_f64_e32 v80, v[80:81]
	v_cmp_gt_f32_e32 vcc, s5, v83
	s_mov_b32 s5, 0x3f317218
	s_nop 0
	v_subbrev_co_u32_e32 v119, vcc, 0, v80, vcc
	v_sub_u32_e32 v80, 0, v119
	v_ldexp_f32 v70, v70, v80
	v_ldexp_f32 v80, v82, v80
	v_add_f32_e32 v82, -1.0, v70
	v_add_f32_e32 v81, 1.0, v82
	v_sub_f32_e32 v81, v70, v81
	v_add_f32_e32 v83, v80, v81
	v_add_f32_e32 v81, 1.0, v70
	v_add_f32_e32 v84, -1.0, v81
	v_sub_f32_e32 v70, v70, v84
	v_add_f32_e32 v70, v80, v70
	v_add_f32_e32 v128, v81, v70
	v_rcp_f32_e32 v129, v128
	v_sub_f32_e32 v80, v81, v128
	v_add_f32_e32 v81, v82, v83
	v_add_f32_e32 v70, v70, v80
	v_mul_f32_e32 v131, v81, v129
	v_sub_f32_e32 v80, v82, v81
	v_mul_f32_e32 v82, v128, v131
	v_fma_f32 v84, v131, v128, -v82
	v_fmac_f32_e32 v84, v131, v70
	v_add_f32_e32 v130, v83, v80
	v_add_f32_e32 v80, v82, v84
	v_sub_f32_e32 v83, v81, v80
	v_pk_add_f32 v[86:87], v[80:81], v[82:83] neg_lo:[0,1] neg_hi:[0,1]
	v_mov_b32_e32 v85, v80
	v_pk_add_f32 v[80:81], v[86:87], v[84:85] neg_lo:[0,1] neg_hi:[0,1]
	v_cmp_eq_f32_e32 vcc, s6, v101
	v_add_f32_e32 v81, v130, v81
	v_add_f32_e32 v80, v80, v81
	v_add_f32_e32 v81, v83, v80
	v_mul_f32_e32 v130, v129, v81
	v_mul_f32_e32 v82, v128, v130
	v_fma_f32 v84, v130, v128, -v82
	v_fmac_f32_e32 v84, v130, v70
	v_sub_f32_e32 v70, v83, v81
	v_add_f32_e32 v70, v80, v70
	v_add_f32_e32 v80, v82, v84
	v_sub_f32_e32 v83, v81, v80
	v_pk_add_f32 v[86:87], v[80:81], v[82:83] neg_lo:[0,1] neg_hi:[0,1]
	v_mov_b32_e32 v85, v80
	v_pk_add_f32 v[80:81], v[86:87], v[84:85] neg_lo:[0,1] neg_hi:[0,1]
	v_cvt_f32_i32_e32 v82, v119
	v_add_f32_e32 v70, v70, v81
	v_add_f32_e32 v70, v80, v70
	;; [unrolled: 1-line block ×4, first 2 shown]
	v_sub_f32_e32 v81, v80, v131
	v_mul_f32_e32 v70, v129, v70
	v_sub_f32_e32 v81, v130, v81
	v_add_f32_e32 v70, v81, v70
	v_add_f32_e32 v83, v80, v70
	v_mul_f32_e32 v84, v83, v83
	v_mov_b32_e32 v81, 0x3ecc95a3
	v_fmac_f32_e32 v81, 0x3e9b6dac, v84
	v_sub_f32_e32 v80, v83, v80
	v_fmaak_f32 v81, v84, v81, 0x3f2aaada
	v_sub_f32_e32 v70, v70, v80
	v_ldexp_f32 v85, v83, 1
	v_mul_f32_e32 v83, v83, v84
	v_mov_b32_e32 v80, 0x3f317218
	v_pk_mul_f32 v[80:81], v[82:83], v[80:81]
	v_ldexp_f32 v70, v70, 1
	v_fma_f32 v83, v82, s5, -v80
	v_fmamk_f32 v84, v82, 0xb102e308, v83
	v_pk_add_f32 v[82:83], v[80:81], v[84:85]
	v_mov_b32_e32 v86, v80
	v_sub_f32_e32 v85, v83, v85
	v_sub_f32_e32 v85, v81, v85
	v_add_f32_e32 v87, v70, v85
	v_pk_add_f32 v[80:81], v[82:83], v[80:81] neg_lo:[0,1] neg_hi:[0,1]
	v_pk_add_f32 v[128:129], v[82:83], v[86:87]
	v_mov_b32_e32 v85, v82
	v_mov_b32_e32 v81, v129
	v_pk_add_f32 v[130:131], v[84:85], v[80:81] neg_lo:[0,1] neg_hi:[0,1]
	v_pk_add_f32 v[80:81], v[84:85], v[80:81]
	s_mov_b32 s5, 0x33800000
	v_mov_b32_e32 v70, v81
	v_pk_add_f32 v[84:85], v[70:71], v[82:83] neg_lo:[0,1] neg_hi:[0,1]
	v_mov_b32_e32 v80, v129
	v_mov_b32_e32 v85, v84
	v_pk_add_f32 v[132:133], v[128:129], v[84:85] neg_lo:[0,1] neg_hi:[0,1]
	v_mov_b32_e32 v128, v83
	v_mov_b32_e32 v129, v84
	;; [unrolled: 1-line block ×3, first 2 shown]
	v_pk_add_f32 v[80:81], v[80:81], v[128:129] neg_lo:[0,1] neg_hi:[0,1]
	v_mov_b32_e32 v84, v87
	v_mov_b32_e32 v85, v82
	v_pk_add_f32 v[80:81], v[84:85], v[80:81] neg_lo:[0,1] neg_hi:[0,1]
	v_mov_b32_e32 v132, v130
	v_pk_add_f32 v[82:83], v[132:133], v[80:81]
	v_cmp_lt_f32_e64 s[6:7], |v101|, s5
	v_mov_b32_e32 v84, v83
	v_pk_add_f32 v[84:85], v[82:83], v[84:85]
	s_or_b64 vcc, vcc, s[6:7]
	v_pk_add_f32 v[86:87], v[70:71], v[84:85]
	v_mov_b32_e32 v81, v84
	v_mov_b32_e32 v83, v86
	v_pk_add_f32 v[128:129], v[82:83], v[130:131] neg_lo:[0,1] neg_hi:[0,1]
	s_nop 0
	v_sub_f32_e32 v70, v82, v128
	v_pk_add_f32 v[80:81], v[80:81], v[128:129] neg_lo:[0,1] neg_hi:[0,1]
	v_sub_f32_e32 v70, v130, v70
	v_add_f32_e32 v70, v80, v70
	v_add_f32_e32 v70, v70, v81
	v_add_f32_e32 v70, v86, v70
	v_cndmask_b32_e32 v70, v70, v101, vcc
	v_add_f32_e32 v70, v71, v70
.LBB141_250:
	s_or_b64 exec, exec, s[2:3]
	v_max_f32_e32 v71, v70, v70
	v_min_f32_e32 v80, v71, v102
	v_cmp_u_f32_e32 vcc, v70, v70
	v_max_f32_e32 v71, v71, v102
	s_nop 0
	v_cndmask_b32_e32 v80, v80, v70, vcc
	v_cndmask_b32_e32 v71, v71, v70, vcc
	v_cndmask_b32_e64 v81, v80, v31, s[30:31]
	v_cndmask_b32_e64 v80, v71, v31, s[30:31]
	v_cmp_neq_f32_e32 vcc, v81, v80
	v_cmp_class_f32_e64 s[2:3], v81, s4
	s_or_b64 s[4:5], vcc, s[2:3]
	v_mov_b32_e32 v71, v70
	s_and_saveexec_b64 s[2:3], s[4:5]
	s_cbranch_execz .LBB141_252
; %bb.251:
	v_sub_f32_e32 v71, v81, v80
	s_mov_b32 s4, 0x3fb8aa3b
	v_mul_f32_e32 v81, 0x3fb8aa3b, v71
	v_fma_f32 v82, v71, s4, -v81
	v_rndne_f32_e32 v83, v81
	v_fmamk_f32 v82, v71, 0x32a5705f, v82
	v_sub_f32_e32 v81, v81, v83
	v_add_f32_e32 v81, v81, v82
	v_exp_f32_e32 v81, v81
	v_cvt_i32_f32_e32 v82, v83
	s_mov_b32 s4, 0xc2ce8ed0
	v_cmp_ngt_f32_e32 vcc, s4, v71
	s_mov_b32 s4, 0x42b17218
	v_ldexp_f32 v81, v81, v82
	v_cndmask_b32_e32 v81, 0, v81, vcc
	v_mov_b32_e32 v82, 0x7f800000
	v_cmp_nlt_f32_e32 vcc, s4, v71
	s_mov_b32 s4, 0x3f2aaaab
	s_mov_b32 s5, 0x7f800000
	v_cndmask_b32_e32 v81, v82, v81, vcc
	v_add_f32_e32 v71, 1.0, v81
	v_add_f32_e32 v82, -1.0, v71
	v_sub_f32_e32 v83, v82, v71
	v_add_f32_e32 v83, 1.0, v83
	v_sub_f32_e32 v82, v81, v82
	v_add_f32_e32 v84, v82, v83
	v_frexp_mant_f32_e32 v85, v71
	v_cvt_f64_f32_e32 v[82:83], v71
	v_frexp_exp_i32_f64_e32 v82, v[82:83]
	v_cmp_gt_f32_e32 vcc, s4, v85
	s_mov_b32 s4, 0x3f317218
	s_nop 0
	v_subbrev_co_u32_e32 v101, vcc, 0, v82, vcc
	v_sub_u32_e32 v82, 0, v101
	v_ldexp_f32 v71, v71, v82
	v_ldexp_f32 v82, v84, v82
	v_add_f32_e32 v84, -1.0, v71
	v_add_f32_e32 v83, 1.0, v84
	v_sub_f32_e32 v83, v71, v83
	v_add_f32_e32 v85, v82, v83
	v_add_f32_e32 v83, 1.0, v71
	v_add_f32_e32 v86, -1.0, v83
	v_sub_f32_e32 v71, v71, v86
	v_add_f32_e32 v71, v82, v71
	v_add_f32_e32 v102, v83, v71
	v_rcp_f32_e32 v119, v102
	v_sub_f32_e32 v82, v83, v102
	v_add_f32_e32 v83, v84, v85
	v_add_f32_e32 v71, v71, v82
	v_mul_f32_e32 v131, v83, v119
	v_sub_f32_e32 v82, v84, v83
	v_mul_f32_e32 v84, v102, v131
	v_fma_f32 v86, v131, v102, -v84
	v_fmac_f32_e32 v86, v131, v71
	v_add_f32_e32 v130, v85, v82
	v_add_f32_e32 v82, v84, v86
	v_sub_f32_e32 v85, v83, v82
	v_pk_add_f32 v[128:129], v[82:83], v[84:85] neg_lo:[0,1] neg_hi:[0,1]
	v_mov_b32_e32 v87, v82
	v_pk_add_f32 v[82:83], v[128:129], v[86:87] neg_lo:[0,1] neg_hi:[0,1]
	v_cmp_eq_f32_e32 vcc, s5, v81
	v_add_f32_e32 v83, v130, v83
	v_add_f32_e32 v82, v82, v83
	;; [unrolled: 1-line block ×3, first 2 shown]
	v_mul_f32_e32 v130, v119, v83
	v_mul_f32_e32 v84, v102, v130
	v_fma_f32 v86, v130, v102, -v84
	v_fmac_f32_e32 v86, v130, v71
	v_sub_f32_e32 v71, v85, v83
	v_add_f32_e32 v71, v82, v71
	v_add_f32_e32 v82, v84, v86
	v_sub_f32_e32 v85, v83, v82
	v_pk_add_f32 v[128:129], v[82:83], v[84:85] neg_lo:[0,1] neg_hi:[0,1]
	v_mov_b32_e32 v87, v82
	v_pk_add_f32 v[82:83], v[128:129], v[86:87] neg_lo:[0,1] neg_hi:[0,1]
	v_cvt_f32_i32_e32 v84, v101
	v_add_f32_e32 v71, v71, v83
	v_add_f32_e32 v71, v82, v71
	;; [unrolled: 1-line block ×4, first 2 shown]
	v_sub_f32_e32 v83, v82, v131
	v_mul_f32_e32 v71, v119, v71
	v_sub_f32_e32 v83, v130, v83
	v_add_f32_e32 v71, v83, v71
	v_add_f32_e32 v85, v82, v71
	v_mul_f32_e32 v86, v85, v85
	v_mov_b32_e32 v83, 0x3ecc95a3
	v_fmac_f32_e32 v83, 0x3e9b6dac, v86
	v_sub_f32_e32 v82, v85, v82
	v_fmaak_f32 v83, v86, v83, 0x3f2aaada
	v_sub_f32_e32 v71, v71, v82
	v_ldexp_f32 v87, v85, 1
	v_mul_f32_e32 v85, v85, v86
	v_mov_b32_e32 v82, 0x3f317218
	v_pk_mul_f32 v[82:83], v[84:85], v[82:83]
	v_ldexp_f32 v71, v71, 1
	v_fma_f32 v85, v84, s4, -v82
	v_fmamk_f32 v86, v84, 0xb102e308, v85
	v_pk_add_f32 v[84:85], v[82:83], v[86:87]
	v_mov_b32_e32 v128, v82
	v_sub_f32_e32 v87, v85, v87
	v_sub_f32_e32 v87, v83, v87
	v_add_f32_e32 v129, v71, v87
	v_pk_add_f32 v[82:83], v[84:85], v[82:83] neg_lo:[0,1] neg_hi:[0,1]
	v_pk_add_f32 v[130:131], v[84:85], v[128:129]
	v_mov_b32_e32 v87, v84
	v_mov_b32_e32 v83, v131
	v_pk_add_f32 v[132:133], v[86:87], v[82:83] neg_lo:[0,1] neg_hi:[0,1]
	v_pk_add_f32 v[82:83], v[86:87], v[82:83]
	v_mov_b32_e32 v128, v129
	v_mov_b32_e32 v86, v83
	v_pk_add_f32 v[134:135], v[86:87], v[84:85] neg_lo:[0,1] neg_hi:[0,1]
	v_mov_b32_e32 v82, v131
	v_mov_b32_e32 v71, v134
	v_pk_add_f32 v[144:145], v[130:131], v[70:71] neg_lo:[0,1] neg_hi:[0,1]
	v_mov_b32_e32 v130, v85
	v_mov_b32_e32 v131, v134
	;; [unrolled: 1-line block ×3, first 2 shown]
	v_pk_add_f32 v[82:83], v[82:83], v[130:131] neg_lo:[0,1] neg_hi:[0,1]
	v_mov_b32_e32 v129, v84
	v_pk_add_f32 v[82:83], v[128:129], v[82:83] neg_lo:[0,1] neg_hi:[0,1]
	v_mov_b32_e32 v144, v132
	v_pk_add_f32 v[84:85], v[144:145], v[82:83]
	s_mov_b32 s4, 0x33800000
	v_mov_b32_e32 v102, v85
	v_pk_add_f32 v[128:129], v[84:85], v[102:103]
	v_cmp_lt_f32_e64 s[4:5], |v81|, s4
	v_pk_add_f32 v[86:87], v[86:87], v[128:129]
	v_mov_b32_e32 v83, v128
	v_mov_b32_e32 v85, v86
	v_pk_add_f32 v[130:131], v[84:85], v[132:133] neg_lo:[0,1] neg_hi:[0,1]
	s_or_b64 vcc, vcc, s[4:5]
	v_sub_f32_e32 v71, v84, v130
	v_pk_add_f32 v[82:83], v[82:83], v[130:131] neg_lo:[0,1] neg_hi:[0,1]
	v_sub_f32_e32 v71, v132, v71
	v_add_f32_e32 v71, v82, v71
	v_add_f32_e32 v71, v71, v83
	;; [unrolled: 1-line block ×3, first 2 shown]
	v_cndmask_b32_e32 v71, v71, v81, vcc
	v_add_f32_e32 v71, v80, v71
.LBB141_252:
	s_or_b64 exec, exec, s[2:3]
	v_max_f32_e32 v80, v71, v71
	v_min_f32_e32 v81, v80, v103
	v_cmp_u_f32_e32 vcc, v71, v71
	v_max_f32_e32 v80, v80, v103
	s_movk_i32 s4, 0x1f8
	v_cndmask_b32_e32 v81, v81, v71, vcc
	v_cndmask_b32_e32 v80, v80, v71, vcc
	v_cndmask_b32_e64 v82, v81, v24, s[34:35]
	v_cndmask_b32_e64 v81, v80, v24, s[34:35]
	v_cmp_neq_f32_e32 vcc, v82, v81
	v_cmp_class_f32_e64 s[2:3], v82, s4
	s_or_b64 s[6:7], vcc, s[2:3]
	v_mov_b32_e32 v80, v71
	s_and_saveexec_b64 s[2:3], s[6:7]
	s_cbranch_execz .LBB141_254
; %bb.253:
	v_sub_f32_e32 v80, v82, v81
	s_mov_b32 s5, 0x3fb8aa3b
	v_mul_f32_e32 v82, 0x3fb8aa3b, v80
	v_fma_f32 v83, v80, s5, -v82
	v_rndne_f32_e32 v84, v82
	v_fmamk_f32 v83, v80, 0x32a5705f, v83
	v_sub_f32_e32 v82, v82, v84
	v_add_f32_e32 v82, v82, v83
	v_exp_f32_e32 v82, v82
	v_cvt_i32_f32_e32 v83, v84
	s_mov_b32 s5, 0xc2ce8ed0
	v_cmp_ngt_f32_e32 vcc, s5, v80
	s_mov_b32 s5, 0x42b17218
	v_ldexp_f32 v82, v82, v83
	v_cndmask_b32_e32 v82, 0, v82, vcc
	v_mov_b32_e32 v83, 0x7f800000
	v_cmp_nlt_f32_e32 vcc, s5, v80
	s_mov_b32 s5, 0x3f2aaaab
	s_mov_b32 s6, 0x7f800000
	v_cndmask_b32_e32 v101, v83, v82, vcc
	v_add_f32_e32 v80, 1.0, v101
	v_add_f32_e32 v82, -1.0, v80
	v_sub_f32_e32 v83, v82, v80
	v_add_f32_e32 v83, 1.0, v83
	v_sub_f32_e32 v82, v101, v82
	v_add_f32_e32 v84, v82, v83
	v_frexp_mant_f32_e32 v85, v80
	v_cvt_f64_f32_e32 v[82:83], v80
	v_frexp_exp_i32_f64_e32 v82, v[82:83]
	v_cmp_gt_f32_e32 vcc, s5, v85
	s_mov_b32 s5, 0x3f317218
	s_nop 0
	v_subbrev_co_u32_e32 v119, vcc, 0, v82, vcc
	v_sub_u32_e32 v82, 0, v119
	v_ldexp_f32 v80, v80, v82
	v_ldexp_f32 v82, v84, v82
	v_add_f32_e32 v84, -1.0, v80
	v_add_f32_e32 v83, 1.0, v84
	v_sub_f32_e32 v83, v80, v83
	v_add_f32_e32 v85, v82, v83
	v_add_f32_e32 v83, 1.0, v80
	v_add_f32_e32 v86, -1.0, v83
	v_sub_f32_e32 v80, v80, v86
	v_add_f32_e32 v80, v82, v80
	v_add_f32_e32 v128, v83, v80
	v_rcp_f32_e32 v129, v128
	v_sub_f32_e32 v82, v83, v128
	v_add_f32_e32 v83, v84, v85
	v_add_f32_e32 v80, v80, v82
	v_mul_f32_e32 v131, v83, v129
	v_sub_f32_e32 v82, v84, v83
	v_mul_f32_e32 v84, v128, v131
	v_fma_f32 v86, v131, v128, -v84
	v_fmac_f32_e32 v86, v131, v80
	v_add_f32_e32 v130, v85, v82
	v_add_f32_e32 v82, v84, v86
	v_sub_f32_e32 v85, v83, v82
	v_pk_add_f32 v[102:103], v[82:83], v[84:85] neg_lo:[0,1] neg_hi:[0,1]
	v_mov_b32_e32 v87, v82
	v_pk_add_f32 v[82:83], v[102:103], v[86:87] neg_lo:[0,1] neg_hi:[0,1]
	v_cmp_eq_f32_e32 vcc, s6, v101
	v_add_f32_e32 v83, v130, v83
	v_add_f32_e32 v82, v82, v83
	;; [unrolled: 1-line block ×3, first 2 shown]
	v_mul_f32_e32 v130, v129, v83
	v_mul_f32_e32 v84, v128, v130
	v_fma_f32 v86, v130, v128, -v84
	v_fmac_f32_e32 v86, v130, v80
	v_sub_f32_e32 v80, v85, v83
	v_add_f32_e32 v80, v82, v80
	v_add_f32_e32 v82, v84, v86
	v_sub_f32_e32 v85, v83, v82
	v_pk_add_f32 v[102:103], v[82:83], v[84:85] neg_lo:[0,1] neg_hi:[0,1]
	v_mov_b32_e32 v87, v82
	v_pk_add_f32 v[82:83], v[102:103], v[86:87] neg_lo:[0,1] neg_hi:[0,1]
	v_cvt_f32_i32_e32 v84, v119
	v_add_f32_e32 v80, v80, v83
	v_add_f32_e32 v80, v82, v80
	;; [unrolled: 1-line block ×4, first 2 shown]
	v_sub_f32_e32 v83, v82, v131
	v_mul_f32_e32 v80, v129, v80
	v_sub_f32_e32 v83, v130, v83
	v_add_f32_e32 v80, v83, v80
	v_add_f32_e32 v85, v82, v80
	v_mul_f32_e32 v86, v85, v85
	v_mov_b32_e32 v83, 0x3ecc95a3
	v_fmac_f32_e32 v83, 0x3e9b6dac, v86
	v_sub_f32_e32 v82, v85, v82
	v_fmaak_f32 v83, v86, v83, 0x3f2aaada
	v_sub_f32_e32 v80, v80, v82
	v_ldexp_f32 v87, v85, 1
	v_mul_f32_e32 v85, v85, v86
	v_mov_b32_e32 v82, 0x3f317218
	v_pk_mul_f32 v[82:83], v[84:85], v[82:83]
	v_ldexp_f32 v80, v80, 1
	v_fma_f32 v85, v84, s5, -v82
	v_fmamk_f32 v86, v84, 0xb102e308, v85
	v_pk_add_f32 v[84:85], v[82:83], v[86:87]
	v_mov_b32_e32 v102, v82
	v_sub_f32_e32 v87, v85, v87
	v_sub_f32_e32 v87, v83, v87
	v_add_f32_e32 v103, v80, v87
	v_pk_add_f32 v[82:83], v[84:85], v[82:83] neg_lo:[0,1] neg_hi:[0,1]
	v_pk_add_f32 v[128:129], v[84:85], v[102:103]
	v_mov_b32_e32 v87, v84
	v_mov_b32_e32 v83, v129
	v_pk_add_f32 v[130:131], v[86:87], v[82:83] neg_lo:[0,1] neg_hi:[0,1]
	v_pk_add_f32 v[82:83], v[86:87], v[82:83]
	s_mov_b32 s5, 0x33800000
	v_mov_b32_e32 v80, v83
	v_pk_add_f32 v[86:87], v[80:81], v[84:85] neg_lo:[0,1] neg_hi:[0,1]
	v_mov_b32_e32 v82, v129
	v_mov_b32_e32 v87, v86
	v_pk_add_f32 v[132:133], v[128:129], v[86:87] neg_lo:[0,1] neg_hi:[0,1]
	v_mov_b32_e32 v128, v85
	v_mov_b32_e32 v129, v86
	;; [unrolled: 1-line block ×3, first 2 shown]
	v_pk_add_f32 v[82:83], v[82:83], v[128:129] neg_lo:[0,1] neg_hi:[0,1]
	v_mov_b32_e32 v86, v103
	v_mov_b32_e32 v87, v84
	v_pk_add_f32 v[82:83], v[86:87], v[82:83] neg_lo:[0,1] neg_hi:[0,1]
	v_mov_b32_e32 v132, v130
	v_pk_add_f32 v[84:85], v[132:133], v[82:83]
	v_cmp_lt_f32_e64 s[6:7], |v101|, s5
	v_mov_b32_e32 v86, v85
	v_pk_add_f32 v[86:87], v[84:85], v[86:87]
	s_or_b64 vcc, vcc, s[6:7]
	v_pk_add_f32 v[102:103], v[80:81], v[86:87]
	v_mov_b32_e32 v83, v86
	v_mov_b32_e32 v85, v102
	v_pk_add_f32 v[128:129], v[84:85], v[130:131] neg_lo:[0,1] neg_hi:[0,1]
	s_nop 0
	v_sub_f32_e32 v80, v84, v128
	v_pk_add_f32 v[82:83], v[82:83], v[128:129] neg_lo:[0,1] neg_hi:[0,1]
	v_sub_f32_e32 v80, v130, v80
	v_add_f32_e32 v80, v82, v80
	v_add_f32_e32 v80, v80, v83
	;; [unrolled: 1-line block ×3, first 2 shown]
	v_cndmask_b32_e32 v80, v80, v101, vcc
	v_add_f32_e32 v80, v81, v80
.LBB141_254:
	s_or_b64 exec, exec, s[2:3]
	v_max_f32_e32 v81, v80, v80
	v_min_f32_e32 v82, v81, v112
	v_cmp_u_f32_e32 vcc, v80, v80
	v_max_f32_e32 v81, v81, v112
	s_nop 0
	v_cndmask_b32_e32 v82, v82, v80, vcc
	v_cndmask_b32_e32 v81, v81, v80, vcc
	v_cndmask_b32_e64 v83, v82, v25, s[36:37]
	v_cndmask_b32_e64 v82, v81, v25, s[36:37]
	v_cmp_neq_f32_e32 vcc, v83, v82
	v_cmp_class_f32_e64 s[2:3], v83, s4
	s_or_b64 s[4:5], vcc, s[2:3]
	v_mov_b32_e32 v81, v80
	s_and_saveexec_b64 s[2:3], s[4:5]
	s_cbranch_execz .LBB141_256
; %bb.255:
	v_sub_f32_e32 v81, v83, v82
	s_mov_b32 s4, 0x3fb8aa3b
	v_mul_f32_e32 v83, 0x3fb8aa3b, v81
	v_fma_f32 v84, v81, s4, -v83
	v_rndne_f32_e32 v85, v83
	v_fmamk_f32 v84, v81, 0x32a5705f, v84
	v_sub_f32_e32 v83, v83, v85
	v_add_f32_e32 v83, v83, v84
	v_exp_f32_e32 v83, v83
	v_cvt_i32_f32_e32 v84, v85
	s_mov_b32 s4, 0xc2ce8ed0
	v_cmp_ngt_f32_e32 vcc, s4, v81
	s_mov_b32 s4, 0x42b17218
	v_ldexp_f32 v83, v83, v84
	v_cndmask_b32_e32 v83, 0, v83, vcc
	v_mov_b32_e32 v84, 0x7f800000
	v_cmp_nlt_f32_e32 vcc, s4, v81
	s_mov_b32 s4, 0x3f2aaaab
	s_mov_b32 s5, 0x7f800000
	v_cndmask_b32_e32 v83, v84, v83, vcc
	v_add_f32_e32 v81, 1.0, v83
	v_add_f32_e32 v84, -1.0, v81
	v_sub_f32_e32 v85, v84, v81
	v_add_f32_e32 v85, 1.0, v85
	v_sub_f32_e32 v84, v83, v84
	v_add_f32_e32 v86, v84, v85
	v_frexp_mant_f32_e32 v87, v81
	v_cvt_f64_f32_e32 v[84:85], v81
	v_frexp_exp_i32_f64_e32 v84, v[84:85]
	v_cmp_gt_f32_e32 vcc, s4, v87
	s_mov_b32 s4, 0x3f317218
	s_nop 0
	v_subbrev_co_u32_e32 v101, vcc, 0, v84, vcc
	v_sub_u32_e32 v84, 0, v101
	v_ldexp_f32 v81, v81, v84
	v_ldexp_f32 v84, v86, v84
	v_add_f32_e32 v86, -1.0, v81
	v_add_f32_e32 v85, 1.0, v86
	v_sub_f32_e32 v85, v81, v85
	v_add_f32_e32 v87, v84, v85
	v_add_f32_e32 v85, 1.0, v81
	v_add_f32_e32 v102, -1.0, v85
	v_sub_f32_e32 v81, v81, v102
	v_add_f32_e32 v81, v84, v81
	v_add_f32_e32 v112, v85, v81
	v_rcp_f32_e32 v119, v112
	v_sub_f32_e32 v84, v85, v112
	v_add_f32_e32 v85, v86, v87
	v_add_f32_e32 v81, v81, v84
	v_mul_f32_e32 v131, v85, v119
	v_sub_f32_e32 v84, v86, v85
	v_mul_f32_e32 v86, v112, v131
	v_fma_f32 v102, v131, v112, -v86
	v_fmac_f32_e32 v102, v131, v81
	v_add_f32_e32 v130, v87, v84
	v_add_f32_e32 v84, v86, v102
	v_sub_f32_e32 v87, v85, v84
	v_pk_add_f32 v[128:129], v[84:85], v[86:87] neg_lo:[0,1] neg_hi:[0,1]
	v_mov_b32_e32 v103, v84
	v_pk_add_f32 v[84:85], v[128:129], v[102:103] neg_lo:[0,1] neg_hi:[0,1]
	v_cmp_eq_f32_e32 vcc, s5, v83
	v_add_f32_e32 v85, v130, v85
	v_add_f32_e32 v84, v84, v85
	;; [unrolled: 1-line block ×3, first 2 shown]
	v_mul_f32_e32 v130, v119, v85
	v_mul_f32_e32 v86, v112, v130
	v_fma_f32 v102, v130, v112, -v86
	v_fmac_f32_e32 v102, v130, v81
	v_sub_f32_e32 v81, v87, v85
	v_add_f32_e32 v81, v84, v81
	v_add_f32_e32 v84, v86, v102
	v_sub_f32_e32 v87, v85, v84
	v_pk_add_f32 v[128:129], v[84:85], v[86:87] neg_lo:[0,1] neg_hi:[0,1]
	v_mov_b32_e32 v103, v84
	v_pk_add_f32 v[84:85], v[128:129], v[102:103] neg_lo:[0,1] neg_hi:[0,1]
	v_cvt_f32_i32_e32 v86, v101
	v_add_f32_e32 v81, v81, v85
	v_add_f32_e32 v81, v84, v81
	;; [unrolled: 1-line block ×4, first 2 shown]
	v_sub_f32_e32 v85, v84, v131
	v_mul_f32_e32 v81, v119, v81
	v_sub_f32_e32 v85, v130, v85
	v_add_f32_e32 v81, v85, v81
	v_add_f32_e32 v87, v84, v81
	v_mul_f32_e32 v102, v87, v87
	v_mov_b32_e32 v85, 0x3ecc95a3
	v_fmac_f32_e32 v85, 0x3e9b6dac, v102
	v_sub_f32_e32 v84, v87, v84
	v_fmaak_f32 v85, v102, v85, 0x3f2aaada
	v_sub_f32_e32 v81, v81, v84
	v_ldexp_f32 v103, v87, 1
	v_mul_f32_e32 v87, v87, v102
	v_mov_b32_e32 v84, 0x3f317218
	v_pk_mul_f32 v[84:85], v[86:87], v[84:85]
	v_ldexp_f32 v81, v81, 1
	v_fma_f32 v87, v86, s4, -v84
	v_fmamk_f32 v102, v86, 0xb102e308, v87
	v_pk_add_f32 v[86:87], v[84:85], v[102:103]
	v_mov_b32_e32 v128, v84
	v_sub_f32_e32 v101, v87, v103
	v_sub_f32_e32 v101, v85, v101
	v_add_f32_e32 v129, v81, v101
	v_pk_add_f32 v[84:85], v[86:87], v[84:85] neg_lo:[0,1] neg_hi:[0,1]
	v_pk_add_f32 v[130:131], v[86:87], v[128:129]
	v_mov_b32_e32 v103, v86
	v_mov_b32_e32 v85, v131
	v_pk_add_f32 v[132:133], v[102:103], v[84:85] neg_lo:[0,1] neg_hi:[0,1]
	v_pk_add_f32 v[84:85], v[102:103], v[84:85]
	v_mov_b32_e32 v128, v129
	v_mov_b32_e32 v102, v85
	v_pk_add_f32 v[134:135], v[102:103], v[86:87] neg_lo:[0,1] neg_hi:[0,1]
	v_mov_b32_e32 v84, v131
	v_mov_b32_e32 v81, v134
	v_pk_add_f32 v[144:145], v[130:131], v[80:81] neg_lo:[0,1] neg_hi:[0,1]
	v_mov_b32_e32 v130, v87
	v_mov_b32_e32 v131, v134
	;; [unrolled: 1-line block ×3, first 2 shown]
	v_pk_add_f32 v[84:85], v[84:85], v[130:131] neg_lo:[0,1] neg_hi:[0,1]
	v_mov_b32_e32 v129, v86
	v_pk_add_f32 v[84:85], v[128:129], v[84:85] neg_lo:[0,1] neg_hi:[0,1]
	v_mov_b32_e32 v144, v132
	v_pk_add_f32 v[86:87], v[144:145], v[84:85]
	s_mov_b32 s4, 0x33800000
	v_mov_b32_e32 v112, v87
	v_pk_add_f32 v[128:129], v[86:87], v[112:113]
	v_cmp_lt_f32_e64 s[4:5], |v83|, s4
	v_pk_add_f32 v[102:103], v[102:103], v[128:129]
	v_mov_b32_e32 v85, v128
	v_mov_b32_e32 v87, v102
	v_pk_add_f32 v[130:131], v[86:87], v[132:133] neg_lo:[0,1] neg_hi:[0,1]
	s_or_b64 vcc, vcc, s[4:5]
	v_sub_f32_e32 v81, v86, v130
	v_pk_add_f32 v[84:85], v[84:85], v[130:131] neg_lo:[0,1] neg_hi:[0,1]
	v_sub_f32_e32 v81, v132, v81
	v_add_f32_e32 v81, v84, v81
	v_add_f32_e32 v81, v81, v85
	;; [unrolled: 1-line block ×3, first 2 shown]
	v_cndmask_b32_e32 v81, v81, v83, vcc
	v_add_f32_e32 v81, v82, v81
.LBB141_256:
	s_or_b64 exec, exec, s[2:3]
	v_max_f32_e32 v82, v81, v81
	v_min_f32_e32 v83, v82, v113
	v_cmp_u_f32_e32 vcc, v81, v81
	v_max_f32_e32 v82, v82, v113
	s_movk_i32 s4, 0x1f8
	v_cndmask_b32_e32 v83, v83, v81, vcc
	v_cndmask_b32_e32 v82, v82, v81, vcc
	v_cndmask_b32_e64 v84, v83, v26, s[38:39]
	v_cndmask_b32_e64 v83, v82, v26, s[38:39]
	v_cmp_neq_f32_e32 vcc, v84, v83
	v_cmp_class_f32_e64 s[2:3], v84, s4
	s_or_b64 s[6:7], vcc, s[2:3]
	v_mov_b32_e32 v82, v81
	s_and_saveexec_b64 s[2:3], s[6:7]
	s_cbranch_execz .LBB141_258
; %bb.257:
	v_sub_f32_e32 v82, v84, v83
	s_mov_b32 s5, 0x3fb8aa3b
	v_mul_f32_e32 v84, 0x3fb8aa3b, v82
	v_fma_f32 v85, v82, s5, -v84
	v_rndne_f32_e32 v86, v84
	v_fmamk_f32 v85, v82, 0x32a5705f, v85
	v_sub_f32_e32 v84, v84, v86
	v_add_f32_e32 v84, v84, v85
	v_exp_f32_e32 v84, v84
	v_cvt_i32_f32_e32 v85, v86
	s_mov_b32 s5, 0xc2ce8ed0
	v_cmp_ngt_f32_e32 vcc, s5, v82
	s_mov_b32 s5, 0x42b17218
	v_ldexp_f32 v84, v84, v85
	v_cndmask_b32_e32 v84, 0, v84, vcc
	v_mov_b32_e32 v85, 0x7f800000
	v_cmp_nlt_f32_e32 vcc, s5, v82
	s_mov_b32 s5, 0x3f2aaaab
	s_mov_b32 s6, 0x7f800000
	v_cndmask_b32_e32 v119, v85, v84, vcc
	v_add_f32_e32 v82, 1.0, v119
	v_add_f32_e32 v84, -1.0, v82
	v_sub_f32_e32 v85, v84, v82
	v_add_f32_e32 v85, 1.0, v85
	v_sub_f32_e32 v84, v119, v84
	v_add_f32_e32 v86, v84, v85
	v_frexp_mant_f32_e32 v87, v82
	v_cvt_f64_f32_e32 v[84:85], v82
	v_frexp_exp_i32_f64_e32 v84, v[84:85]
	v_cmp_gt_f32_e32 vcc, s5, v87
	s_mov_b32 s5, 0x3f317218
	s_nop 0
	v_subbrev_co_u32_e32 v101, vcc, 0, v84, vcc
	v_sub_u32_e32 v84, 0, v101
	v_ldexp_f32 v82, v82, v84
	v_ldexp_f32 v84, v86, v84
	v_add_f32_e32 v86, -1.0, v82
	v_add_f32_e32 v85, 1.0, v86
	v_sub_f32_e32 v85, v82, v85
	v_add_f32_e32 v87, v84, v85
	v_add_f32_e32 v85, 1.0, v82
	v_add_f32_e32 v102, -1.0, v85
	v_sub_f32_e32 v82, v82, v102
	v_add_f32_e32 v82, v84, v82
	v_add_f32_e32 v128, v85, v82
	v_rcp_f32_e32 v129, v128
	v_sub_f32_e32 v84, v85, v128
	v_add_f32_e32 v85, v86, v87
	v_add_f32_e32 v82, v82, v84
	v_mul_f32_e32 v131, v85, v129
	v_sub_f32_e32 v84, v86, v85
	v_mul_f32_e32 v86, v128, v131
	v_fma_f32 v102, v131, v128, -v86
	v_fmac_f32_e32 v102, v131, v82
	v_add_f32_e32 v130, v87, v84
	v_add_f32_e32 v84, v86, v102
	v_sub_f32_e32 v87, v85, v84
	v_pk_add_f32 v[112:113], v[84:85], v[86:87] neg_lo:[0,1] neg_hi:[0,1]
	v_mov_b32_e32 v103, v84
	v_pk_add_f32 v[84:85], v[112:113], v[102:103] neg_lo:[0,1] neg_hi:[0,1]
	v_cmp_eq_f32_e32 vcc, s6, v119
	v_add_f32_e32 v85, v130, v85
	v_add_f32_e32 v84, v84, v85
	;; [unrolled: 1-line block ×3, first 2 shown]
	v_mul_f32_e32 v130, v129, v85
	v_mul_f32_e32 v86, v128, v130
	v_fma_f32 v102, v130, v128, -v86
	v_fmac_f32_e32 v102, v130, v82
	v_sub_f32_e32 v82, v87, v85
	v_add_f32_e32 v82, v84, v82
	v_add_f32_e32 v84, v86, v102
	v_sub_f32_e32 v87, v85, v84
	v_pk_add_f32 v[112:113], v[84:85], v[86:87] neg_lo:[0,1] neg_hi:[0,1]
	v_mov_b32_e32 v103, v84
	v_pk_add_f32 v[84:85], v[112:113], v[102:103] neg_lo:[0,1] neg_hi:[0,1]
	v_cvt_f32_i32_e32 v86, v101
	v_add_f32_e32 v82, v82, v85
	v_add_f32_e32 v82, v84, v82
	v_add_f32_e32 v84, v131, v130
	v_add_f32_e32 v82, v87, v82
	v_sub_f32_e32 v85, v84, v131
	v_mul_f32_e32 v82, v129, v82
	v_sub_f32_e32 v85, v130, v85
	v_add_f32_e32 v82, v85, v82
	v_add_f32_e32 v87, v84, v82
	v_mul_f32_e32 v102, v87, v87
	v_mov_b32_e32 v85, 0x3ecc95a3
	v_fmac_f32_e32 v85, 0x3e9b6dac, v102
	v_sub_f32_e32 v84, v87, v84
	v_fmaak_f32 v85, v102, v85, 0x3f2aaada
	v_sub_f32_e32 v82, v82, v84
	v_ldexp_f32 v103, v87, 1
	v_mul_f32_e32 v87, v87, v102
	v_mov_b32_e32 v84, 0x3f317218
	v_pk_mul_f32 v[84:85], v[86:87], v[84:85]
	v_ldexp_f32 v82, v82, 1
	v_fma_f32 v87, v86, s5, -v84
	v_fmamk_f32 v102, v86, 0xb102e308, v87
	v_pk_add_f32 v[86:87], v[84:85], v[102:103]
	v_mov_b32_e32 v112, v84
	v_sub_f32_e32 v101, v87, v103
	v_sub_f32_e32 v101, v85, v101
	v_add_f32_e32 v113, v82, v101
	v_pk_add_f32 v[84:85], v[86:87], v[84:85] neg_lo:[0,1] neg_hi:[0,1]
	v_pk_add_f32 v[128:129], v[86:87], v[112:113]
	v_mov_b32_e32 v103, v86
	v_mov_b32_e32 v85, v129
	v_pk_add_f32 v[130:131], v[102:103], v[84:85] neg_lo:[0,1] neg_hi:[0,1]
	v_pk_add_f32 v[84:85], v[102:103], v[84:85]
	s_mov_b32 s5, 0x33800000
	v_mov_b32_e32 v82, v85
	v_pk_add_f32 v[102:103], v[82:83], v[86:87] neg_lo:[0,1] neg_hi:[0,1]
	v_mov_b32_e32 v84, v129
	v_mov_b32_e32 v101, v102
	v_pk_add_f32 v[132:133], v[128:129], v[100:101] neg_lo:[0,1] neg_hi:[0,1]
	v_mov_b32_e32 v128, v87
	v_mov_b32_e32 v129, v102
	;; [unrolled: 1-line block ×3, first 2 shown]
	v_pk_add_f32 v[84:85], v[84:85], v[128:129] neg_lo:[0,1] neg_hi:[0,1]
	v_mov_b32_e32 v102, v113
	v_mov_b32_e32 v103, v86
	v_pk_add_f32 v[84:85], v[102:103], v[84:85] neg_lo:[0,1] neg_hi:[0,1]
	v_mov_b32_e32 v132, v130
	v_pk_add_f32 v[86:87], v[132:133], v[84:85]
	v_cmp_lt_f32_e64 s[6:7], |v119|, s5
	v_mov_b32_e32 v102, v87
	v_pk_add_f32 v[102:103], v[86:87], v[102:103]
	s_or_b64 vcc, vcc, s[6:7]
	v_pk_add_f32 v[112:113], v[82:83], v[102:103]
	v_mov_b32_e32 v85, v102
	v_mov_b32_e32 v87, v112
	v_pk_add_f32 v[128:129], v[86:87], v[130:131] neg_lo:[0,1] neg_hi:[0,1]
	s_nop 0
	v_sub_f32_e32 v82, v86, v128
	v_pk_add_f32 v[84:85], v[84:85], v[128:129] neg_lo:[0,1] neg_hi:[0,1]
	v_sub_f32_e32 v82, v130, v82
	v_add_f32_e32 v82, v84, v82
	v_add_f32_e32 v82, v82, v85
	;; [unrolled: 1-line block ×3, first 2 shown]
	v_cndmask_b32_e32 v82, v82, v119, vcc
	v_add_f32_e32 v82, v83, v82
.LBB141_258:
	s_or_b64 exec, exec, s[2:3]
	v_max_f32_e32 v83, v82, v82
	v_min_f32_e32 v84, v83, v114
	v_cmp_u_f32_e32 vcc, v82, v82
	v_max_f32_e32 v83, v83, v114
	s_nop 0
	v_cndmask_b32_e32 v84, v84, v82, vcc
	v_cndmask_b32_e32 v83, v83, v82, vcc
	v_cndmask_b32_e64 v85, v84, v27, s[40:41]
	v_cndmask_b32_e64 v84, v83, v27, s[40:41]
	v_cmp_neq_f32_e32 vcc, v85, v84
	v_cmp_class_f32_e64 s[2:3], v85, s4
	s_or_b64 s[4:5], vcc, s[2:3]
	v_mov_b32_e32 v83, v82
	s_and_saveexec_b64 s[2:3], s[4:5]
	s_cbranch_execz .LBB141_260
; %bb.259:
	v_sub_f32_e32 v83, v85, v84
	s_mov_b32 s4, 0x3fb8aa3b
	v_mul_f32_e32 v85, 0x3fb8aa3b, v83
	v_fma_f32 v86, v83, s4, -v85
	v_rndne_f32_e32 v87, v85
	v_fmamk_f32 v86, v83, 0x32a5705f, v86
	v_sub_f32_e32 v85, v85, v87
	v_add_f32_e32 v85, v85, v86
	v_exp_f32_e32 v85, v85
	v_cvt_i32_f32_e32 v86, v87
	s_mov_b32 s4, 0xc2ce8ed0
	v_cmp_ngt_f32_e32 vcc, s4, v83
	s_mov_b32 s4, 0x42b17218
	v_ldexp_f32 v85, v85, v86
	v_cndmask_b32_e32 v85, 0, v85, vcc
	v_mov_b32_e32 v86, 0x7f800000
	v_cmp_nlt_f32_e32 vcc, s4, v83
	s_mov_b32 s4, 0x3f2aaaab
	s_mov_b32 s5, 0x7f800000
	v_cndmask_b32_e32 v85, v86, v85, vcc
	v_add_f32_e32 v83, 1.0, v85
	v_add_f32_e32 v86, -1.0, v83
	v_sub_f32_e32 v87, v86, v83
	v_add_f32_e32 v87, 1.0, v87
	v_sub_f32_e32 v86, v85, v86
	v_add_f32_e32 v101, v86, v87
	v_frexp_mant_f32_e32 v102, v83
	v_cvt_f64_f32_e32 v[86:87], v83
	v_frexp_exp_i32_f64_e32 v86, v[86:87]
	v_cmp_gt_f32_e32 vcc, s4, v102
	s_mov_b32 s4, 0x3f317218
	s_nop 0
	v_subbrev_co_u32_e32 v114, vcc, 0, v86, vcc
	v_sub_u32_e32 v86, 0, v114
	v_ldexp_f32 v83, v83, v86
	v_ldexp_f32 v86, v101, v86
	v_add_f32_e32 v101, -1.0, v83
	v_add_f32_e32 v87, 1.0, v101
	v_sub_f32_e32 v87, v83, v87
	v_add_f32_e32 v102, v86, v87
	v_add_f32_e32 v87, 1.0, v83
	v_add_f32_e32 v103, -1.0, v87
	v_sub_f32_e32 v83, v83, v103
	v_add_f32_e32 v83, v86, v83
	v_add_f32_e32 v119, v87, v83
	v_rcp_f32_e32 v130, v119
	v_sub_f32_e32 v86, v87, v119
	v_add_f32_e32 v87, v101, v102
	v_add_f32_e32 v83, v83, v86
	v_sub_f32_e32 v86, v101, v87
	v_mul_f32_e32 v131, v87, v130
	v_add_f32_e32 v101, v102, v86
	v_mul_f32_e32 v102, v119, v131
	v_fma_f32 v112, v131, v119, -v102
	v_fmac_f32_e32 v112, v131, v83
	v_add_f32_e32 v86, v102, v112
	v_sub_f32_e32 v103, v87, v86
	v_pk_add_f32 v[128:129], v[86:87], v[102:103] neg_lo:[0,1] neg_hi:[0,1]
	v_mov_b32_e32 v113, v86
	v_pk_add_f32 v[86:87], v[128:129], v[112:113] neg_lo:[0,1] neg_hi:[0,1]
	v_cmp_eq_f32_e32 vcc, s5, v85
	v_add_f32_e32 v87, v101, v87
	v_add_f32_e32 v86, v86, v87
	;; [unrolled: 1-line block ×3, first 2 shown]
	v_mul_f32_e32 v101, v130, v87
	v_mul_f32_e32 v102, v119, v101
	v_fma_f32 v112, v101, v119, -v102
	v_fmac_f32_e32 v112, v101, v83
	v_sub_f32_e32 v83, v103, v87
	v_add_f32_e32 v83, v86, v83
	v_add_f32_e32 v86, v102, v112
	v_sub_f32_e32 v103, v87, v86
	v_pk_add_f32 v[128:129], v[86:87], v[102:103] neg_lo:[0,1] neg_hi:[0,1]
	v_mov_b32_e32 v113, v86
	v_pk_add_f32 v[86:87], v[128:129], v[112:113] neg_lo:[0,1] neg_hi:[0,1]
	v_cvt_f32_i32_e32 v102, v114
	v_add_f32_e32 v83, v83, v87
	v_add_f32_e32 v83, v86, v83
	;; [unrolled: 1-line block ×4, first 2 shown]
	v_sub_f32_e32 v87, v86, v131
	v_mul_f32_e32 v83, v130, v83
	v_sub_f32_e32 v87, v101, v87
	v_add_f32_e32 v83, v87, v83
	v_add_f32_e32 v101, v86, v83
	v_mul_f32_e32 v103, v101, v101
	v_mov_b32_e32 v87, 0x3ecc95a3
	v_fmac_f32_e32 v87, 0x3e9b6dac, v103
	v_sub_f32_e32 v86, v101, v86
	v_fmaak_f32 v87, v103, v87, 0x3f2aaada
	v_sub_f32_e32 v83, v83, v86
	v_mul_f32_e32 v103, v101, v103
	v_mov_b32_e32 v86, 0x3f317218
	v_pk_mul_f32 v[86:87], v[102:103], v[86:87]
	v_ldexp_f32 v113, v101, 1
	v_fma_f32 v101, v102, s4, -v86
	v_fmamk_f32 v112, v102, 0xb102e308, v101
	v_pk_add_f32 v[102:103], v[86:87], v[112:113]
	v_ldexp_f32 v83, v83, 1
	v_sub_f32_e32 v101, v103, v113
	v_sub_f32_e32 v101, v87, v101
	v_add_f32_e32 v129, v83, v101
	v_mov_b32_e32 v128, v86
	v_pk_add_f32 v[86:87], v[102:103], v[86:87] neg_lo:[0,1] neg_hi:[0,1]
	v_pk_add_f32 v[130:131], v[102:103], v[128:129]
	v_mov_b32_e32 v113, v102
	v_mov_b32_e32 v87, v131
	v_pk_add_f32 v[132:133], v[112:113], v[86:87] neg_lo:[0,1] neg_hi:[0,1]
	v_pk_add_f32 v[86:87], v[112:113], v[86:87]
	v_mov_b32_e32 v128, v129
	v_mov_b32_e32 v112, v87
	v_pk_add_f32 v[134:135], v[112:113], v[102:103] neg_lo:[0,1] neg_hi:[0,1]
	v_mov_b32_e32 v86, v131
	v_mov_b32_e32 v83, v134
	v_pk_add_f32 v[144:145], v[130:131], v[82:83] neg_lo:[0,1] neg_hi:[0,1]
	v_mov_b32_e32 v130, v103
	v_mov_b32_e32 v131, v134
	;; [unrolled: 1-line block ×3, first 2 shown]
	v_pk_add_f32 v[86:87], v[86:87], v[130:131] neg_lo:[0,1] neg_hi:[0,1]
	v_mov_b32_e32 v129, v102
	v_pk_add_f32 v[86:87], v[128:129], v[86:87] neg_lo:[0,1] neg_hi:[0,1]
	v_mov_b32_e32 v144, v132
	v_pk_add_f32 v[102:103], v[144:145], v[86:87]
	s_mov_b32 s4, 0x33800000
	v_mov_b32_e32 v114, v103
	v_pk_add_f32 v[128:129], v[102:103], v[114:115]
	v_cmp_lt_f32_e64 s[4:5], |v85|, s4
	v_pk_add_f32 v[112:113], v[112:113], v[128:129]
	v_mov_b32_e32 v87, v128
	v_mov_b32_e32 v103, v112
	v_pk_add_f32 v[130:131], v[102:103], v[132:133] neg_lo:[0,1] neg_hi:[0,1]
	s_or_b64 vcc, vcc, s[4:5]
	v_sub_f32_e32 v83, v102, v130
	v_pk_add_f32 v[86:87], v[86:87], v[130:131] neg_lo:[0,1] neg_hi:[0,1]
	v_sub_f32_e32 v83, v132, v83
	v_add_f32_e32 v83, v86, v83
	v_add_f32_e32 v83, v83, v87
	;; [unrolled: 1-line block ×3, first 2 shown]
	v_cndmask_b32_e32 v83, v83, v85, vcc
	v_add_f32_e32 v83, v84, v83
.LBB141_260:
	s_or_b64 exec, exec, s[2:3]
	v_max_f32_e32 v84, v83, v83
	v_min_f32_e32 v85, v84, v115
	v_cmp_u_f32_e32 vcc, v83, v83
	v_max_f32_e32 v84, v84, v115
	s_movk_i32 s4, 0x1f8
	v_cndmask_b32_e32 v85, v85, v83, vcc
	v_cndmask_b32_e32 v84, v84, v83, vcc
	v_cndmask_b32_e64 v86, v85, v20, s[42:43]
	v_cndmask_b32_e64 v85, v84, v20, s[42:43]
	v_cmp_neq_f32_e32 vcc, v86, v85
	v_cmp_class_f32_e64 s[2:3], v86, s4
	s_or_b64 s[6:7], vcc, s[2:3]
	v_mov_b32_e32 v84, v83
	s_and_saveexec_b64 s[2:3], s[6:7]
	s_cbranch_execz .LBB141_262
; %bb.261:
	v_sub_f32_e32 v84, v86, v85
	s_mov_b32 s5, 0x3fb8aa3b
	v_mul_f32_e32 v86, 0x3fb8aa3b, v84
	v_fma_f32 v87, v84, s5, -v86
	v_rndne_f32_e32 v101, v86
	v_fmamk_f32 v87, v84, 0x32a5705f, v87
	v_sub_f32_e32 v86, v86, v101
	v_add_f32_e32 v86, v86, v87
	v_exp_f32_e32 v86, v86
	v_cvt_i32_f32_e32 v87, v101
	s_mov_b32 s5, 0xc2ce8ed0
	v_cmp_ngt_f32_e32 vcc, s5, v84
	s_mov_b32 s5, 0x42b17218
	v_ldexp_f32 v86, v86, v87
	v_cndmask_b32_e32 v86, 0, v86, vcc
	v_mov_b32_e32 v87, 0x7f800000
	v_cmp_nlt_f32_e32 vcc, s5, v84
	s_mov_b32 s5, 0x3f2aaaab
	s_mov_b32 s6, 0x7f800000
	v_cndmask_b32_e32 v119, v87, v86, vcc
	v_add_f32_e32 v84, 1.0, v119
	v_add_f32_e32 v86, -1.0, v84
	v_sub_f32_e32 v87, v86, v84
	v_add_f32_e32 v87, 1.0, v87
	v_sub_f32_e32 v86, v119, v86
	v_add_f32_e32 v101, v86, v87
	v_frexp_mant_f32_e32 v102, v84
	v_cvt_f64_f32_e32 v[86:87], v84
	v_frexp_exp_i32_f64_e32 v86, v[86:87]
	v_cmp_gt_f32_e32 vcc, s5, v102
	s_mov_b32 s5, 0x3f317218
	s_nop 0
	v_subbrev_co_u32_e32 v128, vcc, 0, v86, vcc
	v_sub_u32_e32 v86, 0, v128
	v_ldexp_f32 v84, v84, v86
	v_ldexp_f32 v86, v101, v86
	v_add_f32_e32 v101, -1.0, v84
	v_add_f32_e32 v87, 1.0, v101
	v_sub_f32_e32 v87, v84, v87
	v_add_f32_e32 v102, v86, v87
	v_add_f32_e32 v87, 1.0, v84
	v_add_f32_e32 v103, -1.0, v87
	v_sub_f32_e32 v84, v84, v103
	v_add_f32_e32 v84, v86, v84
	v_add_f32_e32 v129, v87, v84
	v_rcp_f32_e32 v130, v129
	v_sub_f32_e32 v86, v87, v129
	v_add_f32_e32 v87, v101, v102
	v_add_f32_e32 v84, v84, v86
	v_sub_f32_e32 v86, v101, v87
	v_mul_f32_e32 v131, v87, v130
	v_add_f32_e32 v101, v102, v86
	v_mul_f32_e32 v102, v129, v131
	v_fma_f32 v112, v131, v129, -v102
	v_fmac_f32_e32 v112, v131, v84
	v_add_f32_e32 v86, v102, v112
	v_sub_f32_e32 v103, v87, v86
	v_pk_add_f32 v[114:115], v[86:87], v[102:103] neg_lo:[0,1] neg_hi:[0,1]
	v_mov_b32_e32 v113, v86
	v_pk_add_f32 v[86:87], v[114:115], v[112:113] neg_lo:[0,1] neg_hi:[0,1]
	v_cmp_eq_f32_e32 vcc, s6, v119
	v_add_f32_e32 v87, v101, v87
	v_add_f32_e32 v86, v86, v87
	;; [unrolled: 1-line block ×3, first 2 shown]
	v_mul_f32_e32 v101, v130, v87
	v_mul_f32_e32 v102, v129, v101
	v_fma_f32 v112, v101, v129, -v102
	v_fmac_f32_e32 v112, v101, v84
	v_sub_f32_e32 v84, v103, v87
	v_add_f32_e32 v84, v86, v84
	v_add_f32_e32 v86, v102, v112
	v_sub_f32_e32 v103, v87, v86
	v_pk_add_f32 v[114:115], v[86:87], v[102:103] neg_lo:[0,1] neg_hi:[0,1]
	v_mov_b32_e32 v113, v86
	v_pk_add_f32 v[86:87], v[114:115], v[112:113] neg_lo:[0,1] neg_hi:[0,1]
	v_cvt_f32_i32_e32 v102, v128
	v_add_f32_e32 v84, v84, v87
	v_add_f32_e32 v84, v86, v84
	v_add_f32_e32 v86, v131, v101
	v_add_f32_e32 v84, v103, v84
	v_sub_f32_e32 v87, v86, v131
	v_mul_f32_e32 v84, v130, v84
	v_sub_f32_e32 v87, v101, v87
	v_add_f32_e32 v84, v87, v84
	v_add_f32_e32 v101, v86, v84
	v_mul_f32_e32 v103, v101, v101
	v_mov_b32_e32 v87, 0x3ecc95a3
	v_fmac_f32_e32 v87, 0x3e9b6dac, v103
	v_sub_f32_e32 v86, v101, v86
	v_fmaak_f32 v87, v103, v87, 0x3f2aaada
	v_sub_f32_e32 v84, v84, v86
	v_mul_f32_e32 v103, v101, v103
	v_mov_b32_e32 v86, 0x3f317218
	v_pk_mul_f32 v[86:87], v[102:103], v[86:87]
	v_ldexp_f32 v113, v101, 1
	v_fma_f32 v101, v102, s5, -v86
	v_fmamk_f32 v112, v102, 0xb102e308, v101
	v_pk_add_f32 v[102:103], v[86:87], v[112:113]
	v_ldexp_f32 v84, v84, 1
	v_sub_f32_e32 v101, v103, v113
	v_sub_f32_e32 v101, v87, v101
	v_add_f32_e32 v115, v84, v101
	v_mov_b32_e32 v114, v86
	v_pk_add_f32 v[86:87], v[102:103], v[86:87] neg_lo:[0,1] neg_hi:[0,1]
	v_pk_add_f32 v[128:129], v[102:103], v[114:115]
	v_mov_b32_e32 v113, v102
	v_mov_b32_e32 v87, v129
	v_pk_add_f32 v[130:131], v[112:113], v[86:87] neg_lo:[0,1] neg_hi:[0,1]
	v_pk_add_f32 v[86:87], v[112:113], v[86:87]
	s_mov_b32 s5, 0x33800000
	v_mov_b32_e32 v84, v87
	v_pk_add_f32 v[112:113], v[84:85], v[102:103] neg_lo:[0,1] neg_hi:[0,1]
	v_mov_b32_e32 v86, v129
	v_mov_b32_e32 v101, v112
	v_pk_add_f32 v[132:133], v[128:129], v[100:101] neg_lo:[0,1] neg_hi:[0,1]
	v_mov_b32_e32 v128, v103
	v_mov_b32_e32 v129, v112
	;; [unrolled: 1-line block ×3, first 2 shown]
	v_pk_add_f32 v[86:87], v[86:87], v[128:129] neg_lo:[0,1] neg_hi:[0,1]
	v_mov_b32_e32 v112, v115
	v_mov_b32_e32 v113, v102
	v_pk_add_f32 v[86:87], v[112:113], v[86:87] neg_lo:[0,1] neg_hi:[0,1]
	v_mov_b32_e32 v132, v130
	v_pk_add_f32 v[102:103], v[132:133], v[86:87]
	v_cmp_lt_f32_e64 s[6:7], |v119|, s5
	v_mov_b32_e32 v112, v103
	v_pk_add_f32 v[112:113], v[102:103], v[112:113]
	s_or_b64 vcc, vcc, s[6:7]
	v_pk_add_f32 v[114:115], v[84:85], v[112:113]
	v_mov_b32_e32 v87, v112
	v_mov_b32_e32 v103, v114
	v_pk_add_f32 v[128:129], v[102:103], v[130:131] neg_lo:[0,1] neg_hi:[0,1]
	s_nop 0
	v_sub_f32_e32 v84, v102, v128
	v_pk_add_f32 v[86:87], v[86:87], v[128:129] neg_lo:[0,1] neg_hi:[0,1]
	v_sub_f32_e32 v84, v130, v84
	v_add_f32_e32 v84, v86, v84
	v_add_f32_e32 v84, v84, v87
	;; [unrolled: 1-line block ×3, first 2 shown]
	v_cndmask_b32_e32 v84, v84, v119, vcc
	v_add_f32_e32 v84, v85, v84
.LBB141_262:
	s_or_b64 exec, exec, s[2:3]
	v_max_f32_e32 v85, v84, v84
	v_min_f32_e32 v86, v85, v116
	v_cmp_u_f32_e32 vcc, v84, v84
	v_max_f32_e32 v85, v85, v116
	s_nop 0
	v_cndmask_b32_e32 v86, v86, v84, vcc
	v_cndmask_b32_e32 v85, v85, v84, vcc
	v_cndmask_b32_e64 v87, v86, v21, s[44:45]
	v_cndmask_b32_e64 v86, v85, v21, s[44:45]
	v_cmp_neq_f32_e32 vcc, v87, v86
	v_cmp_class_f32_e64 s[2:3], v87, s4
	s_or_b64 s[4:5], vcc, s[2:3]
	v_mov_b32_e32 v85, v84
	s_and_saveexec_b64 s[2:3], s[4:5]
	s_cbranch_execz .LBB141_264
; %bb.263:
	v_sub_f32_e32 v85, v87, v86
	s_mov_b32 s4, 0x3fb8aa3b
	v_mul_f32_e32 v87, 0x3fb8aa3b, v85
	v_fma_f32 v101, v85, s4, -v87
	v_rndne_f32_e32 v102, v87
	v_fmamk_f32 v101, v85, 0x32a5705f, v101
	v_sub_f32_e32 v87, v87, v102
	v_add_f32_e32 v87, v87, v101
	v_exp_f32_e32 v87, v87
	v_cvt_i32_f32_e32 v101, v102
	s_mov_b32 s4, 0xc2ce8ed0
	v_cmp_ngt_f32_e32 vcc, s4, v85
	s_mov_b32 s4, 0x42b17218
	v_ldexp_f32 v87, v87, v101
	v_cndmask_b32_e32 v87, 0, v87, vcc
	v_mov_b32_e32 v101, 0x7f800000
	v_cmp_nlt_f32_e32 vcc, s4, v85
	s_mov_b32 s4, 0x3f2aaaab
	s_mov_b32 s5, 0x7f800000
	v_cndmask_b32_e32 v87, v101, v87, vcc
	v_add_f32_e32 v85, 1.0, v87
	v_add_f32_e32 v101, -1.0, v85
	v_sub_f32_e32 v102, v101, v85
	v_add_f32_e32 v102, 1.0, v102
	v_sub_f32_e32 v101, v87, v101
	v_add_f32_e32 v101, v101, v102
	v_frexp_mant_f32_e32 v112, v85
	v_cvt_f64_f32_e32 v[102:103], v85
	v_frexp_exp_i32_f64_e32 v102, v[102:103]
	v_cmp_gt_f32_e32 vcc, s4, v112
	s_mov_b32 s4, 0x3f317218
	s_nop 0
	v_subbrev_co_u32_e32 v116, vcc, 0, v102, vcc
	v_sub_u32_e32 v102, 0, v116
	v_ldexp_f32 v85, v85, v102
	v_ldexp_f32 v101, v101, v102
	v_add_f32_e32 v102, -1.0, v85
	v_add_f32_e32 v103, 1.0, v102
	v_sub_f32_e32 v103, v85, v103
	v_add_f32_e32 v112, v101, v103
	v_add_f32_e32 v103, 1.0, v85
	v_add_f32_e32 v113, -1.0, v103
	v_sub_f32_e32 v85, v85, v113
	v_add_f32_e32 v85, v101, v85
	v_add_f32_e32 v101, v103, v85
	v_rcp_f32_e32 v119, v101
	v_sub_f32_e32 v103, v103, v101
	v_add_f32_e32 v85, v85, v103
	v_add_f32_e32 v103, v102, v112
	v_sub_f32_e32 v102, v102, v103
	v_mul_f32_e32 v131, v103, v119
	v_add_f32_e32 v130, v112, v102
	v_mul_f32_e32 v112, v101, v131
	v_fma_f32 v114, v131, v101, -v112
	v_fmac_f32_e32 v114, v131, v85
	v_add_f32_e32 v102, v112, v114
	v_sub_f32_e32 v113, v103, v102
	v_pk_add_f32 v[128:129], v[102:103], v[112:113] neg_lo:[0,1] neg_hi:[0,1]
	v_mov_b32_e32 v115, v102
	v_pk_add_f32 v[102:103], v[128:129], v[114:115] neg_lo:[0,1] neg_hi:[0,1]
	v_cmp_eq_f32_e32 vcc, s5, v87
	v_add_f32_e32 v103, v130, v103
	v_add_f32_e32 v102, v102, v103
	;; [unrolled: 1-line block ×3, first 2 shown]
	v_mul_f32_e32 v130, v119, v103
	v_mul_f32_e32 v112, v101, v130
	v_fma_f32 v114, v130, v101, -v112
	v_fmac_f32_e32 v114, v130, v85
	v_sub_f32_e32 v85, v113, v103
	v_add_f32_e32 v85, v102, v85
	v_add_f32_e32 v102, v112, v114
	v_sub_f32_e32 v113, v103, v102
	v_pk_add_f32 v[128:129], v[102:103], v[112:113] neg_lo:[0,1] neg_hi:[0,1]
	v_mov_b32_e32 v115, v102
	v_pk_add_f32 v[102:103], v[128:129], v[114:115] neg_lo:[0,1] neg_hi:[0,1]
	v_add_f32_e32 v101, v131, v130
	v_add_f32_e32 v85, v85, v103
	;; [unrolled: 1-line block ×4, first 2 shown]
	v_sub_f32_e32 v102, v101, v131
	v_mul_f32_e32 v85, v119, v85
	v_sub_f32_e32 v102, v130, v102
	v_add_f32_e32 v85, v102, v85
	v_add_f32_e32 v102, v101, v85
	v_cvt_f32_i32_e32 v112, v116
	v_mul_f32_e32 v113, v102, v102
	v_mov_b32_e32 v103, 0x3ecc95a3
	v_fmac_f32_e32 v103, 0x3e9b6dac, v113
	v_fmaak_f32 v103, v113, v103, 0x3f2aaada
	v_sub_f32_e32 v101, v102, v101
	v_ldexp_f32 v115, v102, 1
	v_mul_f32_e32 v113, v102, v113
	v_mov_b32_e32 v102, 0x3f317218
	v_pk_mul_f32 v[102:103], v[112:113], v[102:103]
	v_sub_f32_e32 v85, v85, v101
	v_fma_f32 v101, v112, s4, -v102
	v_fmamk_f32 v114, v112, 0xb102e308, v101
	v_pk_add_f32 v[112:113], v[102:103], v[114:115]
	v_ldexp_f32 v85, v85, 1
	v_sub_f32_e32 v101, v113, v115
	v_sub_f32_e32 v101, v103, v101
	v_add_f32_e32 v129, v85, v101
	v_mov_b32_e32 v128, v102
	v_pk_add_f32 v[102:103], v[112:113], v[102:103] neg_lo:[0,1] neg_hi:[0,1]
	v_pk_add_f32 v[130:131], v[112:113], v[128:129]
	v_mov_b32_e32 v115, v112
	v_mov_b32_e32 v103, v131
	v_pk_add_f32 v[132:133], v[114:115], v[102:103] neg_lo:[0,1] neg_hi:[0,1]
	v_pk_add_f32 v[102:103], v[114:115], v[102:103]
	v_mov_b32_e32 v128, v129
	v_mov_b32_e32 v114, v103
	v_pk_add_f32 v[134:135], v[114:115], v[112:113] neg_lo:[0,1] neg_hi:[0,1]
	v_mov_b32_e32 v102, v131
	v_mov_b32_e32 v85, v134
	v_pk_add_f32 v[144:145], v[130:131], v[84:85] neg_lo:[0,1] neg_hi:[0,1]
	v_mov_b32_e32 v130, v113
	v_mov_b32_e32 v131, v134
	;; [unrolled: 1-line block ×3, first 2 shown]
	v_pk_add_f32 v[102:103], v[102:103], v[130:131] neg_lo:[0,1] neg_hi:[0,1]
	v_mov_b32_e32 v129, v112
	v_pk_add_f32 v[102:103], v[128:129], v[102:103] neg_lo:[0,1] neg_hi:[0,1]
	v_mov_b32_e32 v144, v132
	v_pk_add_f32 v[112:113], v[144:145], v[102:103]
	s_mov_b32 s4, 0x33800000
	v_mov_b32_e32 v116, v113
	v_pk_add_f32 v[128:129], v[112:113], v[116:117]
	v_cmp_lt_f32_e64 s[4:5], |v87|, s4
	v_pk_add_f32 v[114:115], v[114:115], v[128:129]
	v_mov_b32_e32 v103, v128
	v_mov_b32_e32 v113, v114
	v_pk_add_f32 v[130:131], v[112:113], v[132:133] neg_lo:[0,1] neg_hi:[0,1]
	s_or_b64 vcc, vcc, s[4:5]
	v_sub_f32_e32 v85, v112, v130
	v_pk_add_f32 v[102:103], v[102:103], v[130:131] neg_lo:[0,1] neg_hi:[0,1]
	v_sub_f32_e32 v85, v132, v85
	v_add_f32_e32 v85, v102, v85
	v_add_f32_e32 v85, v85, v103
	;; [unrolled: 1-line block ×3, first 2 shown]
	v_cndmask_b32_e32 v85, v85, v87, vcc
	v_add_f32_e32 v85, v86, v85
.LBB141_264:
	s_or_b64 exec, exec, s[2:3]
	v_max_f32_e32 v86, v85, v85
	v_min_f32_e32 v87, v86, v117
	v_cmp_u_f32_e32 vcc, v85, v85
	v_max_f32_e32 v86, v86, v117
	s_movk_i32 s4, 0x1f8
	v_cndmask_b32_e32 v87, v87, v85, vcc
	v_cndmask_b32_e32 v86, v86, v85, vcc
	v_cndmask_b32_e64 v101, v87, v22, s[46:47]
	v_cndmask_b32_e64 v87, v86, v22, s[46:47]
	v_cmp_neq_f32_e32 vcc, v101, v87
	v_cmp_class_f32_e64 s[2:3], v101, s4
	s_or_b64 s[6:7], vcc, s[2:3]
	v_mov_b32_e32 v86, v85
	s_and_saveexec_b64 s[2:3], s[6:7]
	s_cbranch_execz .LBB141_266
; %bb.265:
	v_sub_f32_e32 v86, v101, v87
	s_mov_b32 s5, 0x3fb8aa3b
	v_mul_f32_e32 v101, 0x3fb8aa3b, v86
	v_fma_f32 v102, v86, s5, -v101
	v_rndne_f32_e32 v103, v101
	v_fmamk_f32 v102, v86, 0x32a5705f, v102
	v_sub_f32_e32 v101, v101, v103
	v_add_f32_e32 v101, v101, v102
	v_exp_f32_e32 v101, v101
	v_cvt_i32_f32_e32 v102, v103
	s_mov_b32 s5, 0xc2ce8ed0
	v_cmp_ngt_f32_e32 vcc, s5, v86
	s_mov_b32 s5, 0x42b17218
	v_ldexp_f32 v101, v101, v102
	v_cndmask_b32_e32 v101, 0, v101, vcc
	v_mov_b32_e32 v102, 0x7f800000
	v_cmp_nlt_f32_e32 vcc, s5, v86
	s_mov_b32 s5, 0x3f2aaaab
	s_mov_b32 s6, 0x7f800000
	v_cndmask_b32_e32 v119, v102, v101, vcc
	v_add_f32_e32 v86, 1.0, v119
	v_add_f32_e32 v101, -1.0, v86
	v_sub_f32_e32 v102, v101, v86
	v_add_f32_e32 v102, 1.0, v102
	v_sub_f32_e32 v101, v119, v101
	v_add_f32_e32 v101, v101, v102
	v_frexp_mant_f32_e32 v112, v86
	v_cvt_f64_f32_e32 v[102:103], v86
	v_frexp_exp_i32_f64_e32 v102, v[102:103]
	v_cmp_gt_f32_e32 vcc, s5, v112
	s_mov_b32 s5, 0x3f317218
	s_nop 0
	v_subbrev_co_u32_e32 v128, vcc, 0, v102, vcc
	v_sub_u32_e32 v102, 0, v128
	v_ldexp_f32 v86, v86, v102
	v_ldexp_f32 v101, v101, v102
	v_add_f32_e32 v102, -1.0, v86
	v_add_f32_e32 v103, 1.0, v102
	v_sub_f32_e32 v103, v86, v103
	v_add_f32_e32 v112, v101, v103
	v_add_f32_e32 v103, 1.0, v86
	v_add_f32_e32 v113, -1.0, v103
	v_sub_f32_e32 v86, v86, v113
	v_add_f32_e32 v86, v101, v86
	v_add_f32_e32 v101, v103, v86
	v_rcp_f32_e32 v129, v101
	v_sub_f32_e32 v103, v103, v101
	v_add_f32_e32 v86, v86, v103
	v_add_f32_e32 v103, v102, v112
	v_sub_f32_e32 v102, v102, v103
	v_mul_f32_e32 v131, v103, v129
	v_add_f32_e32 v130, v112, v102
	v_mul_f32_e32 v112, v101, v131
	v_fma_f32 v114, v131, v101, -v112
	v_fmac_f32_e32 v114, v131, v86
	v_add_f32_e32 v102, v112, v114
	v_sub_f32_e32 v113, v103, v102
	v_pk_add_f32 v[116:117], v[102:103], v[112:113] neg_lo:[0,1] neg_hi:[0,1]
	v_mov_b32_e32 v115, v102
	v_pk_add_f32 v[102:103], v[116:117], v[114:115] neg_lo:[0,1] neg_hi:[0,1]
	v_cmp_eq_f32_e32 vcc, s6, v119
	v_add_f32_e32 v103, v130, v103
	v_add_f32_e32 v102, v102, v103
	v_add_f32_e32 v103, v113, v102
	v_mul_f32_e32 v130, v129, v103
	v_mul_f32_e32 v112, v101, v130
	v_fma_f32 v114, v130, v101, -v112
	v_fmac_f32_e32 v114, v130, v86
	v_sub_f32_e32 v86, v113, v103
	v_add_f32_e32 v86, v102, v86
	v_add_f32_e32 v102, v112, v114
	v_sub_f32_e32 v113, v103, v102
	v_pk_add_f32 v[116:117], v[102:103], v[112:113] neg_lo:[0,1] neg_hi:[0,1]
	v_mov_b32_e32 v115, v102
	v_pk_add_f32 v[102:103], v[116:117], v[114:115] neg_lo:[0,1] neg_hi:[0,1]
	v_add_f32_e32 v101, v131, v130
	v_add_f32_e32 v86, v86, v103
	;; [unrolled: 1-line block ×4, first 2 shown]
	v_sub_f32_e32 v102, v101, v131
	v_mul_f32_e32 v86, v129, v86
	v_sub_f32_e32 v102, v130, v102
	v_add_f32_e32 v86, v102, v86
	v_add_f32_e32 v102, v101, v86
	v_cvt_f32_i32_e32 v112, v128
	v_mul_f32_e32 v113, v102, v102
	v_mov_b32_e32 v103, 0x3ecc95a3
	v_fmac_f32_e32 v103, 0x3e9b6dac, v113
	v_fmaak_f32 v103, v113, v103, 0x3f2aaada
	v_sub_f32_e32 v101, v102, v101
	v_ldexp_f32 v115, v102, 1
	v_mul_f32_e32 v113, v102, v113
	v_mov_b32_e32 v102, 0x3f317218
	v_pk_mul_f32 v[102:103], v[112:113], v[102:103]
	v_sub_f32_e32 v86, v86, v101
	v_fma_f32 v101, v112, s5, -v102
	v_fmamk_f32 v114, v112, 0xb102e308, v101
	v_pk_add_f32 v[112:113], v[102:103], v[114:115]
	v_ldexp_f32 v86, v86, 1
	v_sub_f32_e32 v101, v113, v115
	v_sub_f32_e32 v101, v103, v101
	v_add_f32_e32 v117, v86, v101
	v_mov_b32_e32 v116, v102
	v_pk_add_f32 v[102:103], v[112:113], v[102:103] neg_lo:[0,1] neg_hi:[0,1]
	v_pk_add_f32 v[128:129], v[112:113], v[116:117]
	v_mov_b32_e32 v115, v112
	v_mov_b32_e32 v103, v129
	v_pk_add_f32 v[130:131], v[114:115], v[102:103] neg_lo:[0,1] neg_hi:[0,1]
	v_pk_add_f32 v[102:103], v[114:115], v[102:103]
	s_mov_b32 s5, 0x33800000
	v_mov_b32_e32 v86, v103
	v_pk_add_f32 v[114:115], v[86:87], v[112:113] neg_lo:[0,1] neg_hi:[0,1]
	v_mov_b32_e32 v102, v129
	v_mov_b32_e32 v101, v114
	v_pk_add_f32 v[132:133], v[128:129], v[100:101] neg_lo:[0,1] neg_hi:[0,1]
	v_mov_b32_e32 v128, v113
	v_mov_b32_e32 v129, v114
	;; [unrolled: 1-line block ×3, first 2 shown]
	v_pk_add_f32 v[102:103], v[102:103], v[128:129] neg_lo:[0,1] neg_hi:[0,1]
	v_mov_b32_e32 v114, v117
	v_mov_b32_e32 v115, v112
	v_pk_add_f32 v[102:103], v[114:115], v[102:103] neg_lo:[0,1] neg_hi:[0,1]
	v_mov_b32_e32 v132, v130
	v_pk_add_f32 v[112:113], v[132:133], v[102:103]
	v_cmp_lt_f32_e64 s[6:7], |v119|, s5
	v_mov_b32_e32 v114, v113
	v_pk_add_f32 v[114:115], v[112:113], v[114:115]
	s_or_b64 vcc, vcc, s[6:7]
	v_pk_add_f32 v[116:117], v[86:87], v[114:115]
	v_mov_b32_e32 v103, v114
	v_mov_b32_e32 v113, v116
	v_pk_add_f32 v[128:129], v[112:113], v[130:131] neg_lo:[0,1] neg_hi:[0,1]
	s_nop 0
	v_sub_f32_e32 v86, v112, v128
	v_pk_add_f32 v[102:103], v[102:103], v[128:129] neg_lo:[0,1] neg_hi:[0,1]
	v_sub_f32_e32 v86, v130, v86
	v_add_f32_e32 v86, v102, v86
	v_add_f32_e32 v86, v86, v103
	;; [unrolled: 1-line block ×3, first 2 shown]
	v_cndmask_b32_e32 v86, v86, v119, vcc
	v_add_f32_e32 v86, v87, v86
.LBB141_266:
	s_or_b64 exec, exec, s[2:3]
	v_max_f32_e32 v87, v86, v86
	v_min_f32_e32 v101, v87, v118
	v_cmp_u_f32_e32 vcc, v86, v86
	v_max_f32_e32 v87, v87, v118
	s_nop 0
	v_cndmask_b32_e32 v101, v101, v86, vcc
	v_cndmask_b32_e32 v87, v87, v86, vcc
	v_cndmask_b32_e64 v102, v101, v23, s[48:49]
	v_cndmask_b32_e64 v101, v87, v23, s[48:49]
	v_cmp_neq_f32_e32 vcc, v102, v101
	v_cmp_class_f32_e64 s[2:3], v102, s4
	s_or_b64 s[4:5], vcc, s[2:3]
	v_mov_b32_e32 v87, v86
	s_and_saveexec_b64 s[2:3], s[4:5]
	s_cbranch_execz .LBB141_268
; %bb.267:
	v_sub_f32_e32 v87, v102, v101
	s_mov_b32 s4, 0x3fb8aa3b
	v_mul_f32_e32 v102, 0x3fb8aa3b, v87
	v_fma_f32 v103, v87, s4, -v102
	v_rndne_f32_e32 v112, v102
	v_fmamk_f32 v103, v87, 0x32a5705f, v103
	v_sub_f32_e32 v102, v102, v112
	v_add_f32_e32 v102, v102, v103
	v_exp_f32_e32 v102, v102
	v_cvt_i32_f32_e32 v103, v112
	s_mov_b32 s4, 0xc2ce8ed0
	v_cmp_ngt_f32_e32 vcc, s4, v87
	s_mov_b32 s4, 0x42b17218
	v_ldexp_f32 v102, v102, v103
	v_cndmask_b32_e32 v102, 0, v102, vcc
	v_mov_b32_e32 v103, 0x7f800000
	v_cmp_nlt_f32_e32 vcc, s4, v87
	s_mov_b32 s4, 0x3f2aaaab
	s_mov_b32 s5, 0x7f800000
	v_cndmask_b32_e32 v134, v103, v102, vcc
	v_add_f32_e32 v87, 1.0, v134
	v_add_f32_e32 v102, -1.0, v87
	v_sub_f32_e32 v103, v102, v87
	v_add_f32_e32 v103, 1.0, v103
	v_sub_f32_e32 v102, v134, v102
	v_add_f32_e32 v112, v102, v103
	v_frexp_mant_f32_e32 v113, v87
	v_cvt_f64_f32_e32 v[102:103], v87
	v_frexp_exp_i32_f64_e32 v102, v[102:103]
	v_cmp_gt_f32_e32 vcc, s4, v113
	s_mov_b32 s4, 0x3f317218
	s_nop 0
	v_subbrev_co_u32_e32 v118, vcc, 0, v102, vcc
	v_sub_u32_e32 v102, 0, v118
	v_ldexp_f32 v87, v87, v102
	v_ldexp_f32 v102, v112, v102
	v_add_f32_e32 v112, -1.0, v87
	v_add_f32_e32 v103, 1.0, v112
	v_sub_f32_e32 v103, v87, v103
	v_add_f32_e32 v113, v102, v103
	v_add_f32_e32 v103, 1.0, v87
	v_add_f32_e32 v114, -1.0, v103
	v_sub_f32_e32 v87, v87, v114
	v_add_f32_e32 v87, v102, v87
	v_add_f32_e32 v119, v103, v87
	v_rcp_f32_e32 v128, v119
	v_sub_f32_e32 v102, v103, v119
	v_add_f32_e32 v103, v112, v113
	v_add_f32_e32 v87, v87, v102
	v_mul_f32_e32 v130, v103, v128
	v_sub_f32_e32 v102, v112, v103
	v_mul_f32_e32 v112, v119, v130
	v_fma_f32 v114, v130, v119, -v112
	v_fmac_f32_e32 v114, v130, v87
	v_add_f32_e32 v129, v113, v102
	v_add_f32_e32 v102, v112, v114
	v_sub_f32_e32 v113, v103, v102
	v_pk_add_f32 v[116:117], v[102:103], v[112:113] neg_lo:[0,1] neg_hi:[0,1]
	v_mov_b32_e32 v115, v102
	v_pk_add_f32 v[102:103], v[116:117], v[114:115] neg_lo:[0,1] neg_hi:[0,1]
	v_cmp_eq_f32_e32 vcc, s5, v134
	v_add_f32_e32 v103, v129, v103
	v_add_f32_e32 v102, v102, v103
	;; [unrolled: 1-line block ×3, first 2 shown]
	v_mul_f32_e32 v129, v128, v103
	v_mul_f32_e32 v112, v119, v129
	v_fma_f32 v114, v129, v119, -v112
	v_fmac_f32_e32 v114, v129, v87
	v_sub_f32_e32 v87, v113, v103
	v_add_f32_e32 v87, v102, v87
	v_add_f32_e32 v102, v112, v114
	v_sub_f32_e32 v113, v103, v102
	v_pk_add_f32 v[116:117], v[102:103], v[112:113] neg_lo:[0,1] neg_hi:[0,1]
	v_mov_b32_e32 v115, v102
	v_pk_add_f32 v[102:103], v[116:117], v[114:115] neg_lo:[0,1] neg_hi:[0,1]
	v_cvt_f32_i32_e32 v112, v118
	v_add_f32_e32 v87, v87, v103
	v_add_f32_e32 v87, v102, v87
	;; [unrolled: 1-line block ×4, first 2 shown]
	v_sub_f32_e32 v103, v102, v130
	v_mul_f32_e32 v87, v128, v87
	v_sub_f32_e32 v103, v129, v103
	v_add_f32_e32 v87, v103, v87
	v_add_f32_e32 v113, v102, v87
	v_mul_f32_e32 v114, v113, v113
	v_mov_b32_e32 v103, 0x3ecc95a3
	v_fmac_f32_e32 v103, 0x3e9b6dac, v114
	v_sub_f32_e32 v102, v113, v102
	v_fmaak_f32 v103, v114, v103, 0x3f2aaada
	v_sub_f32_e32 v87, v87, v102
	v_ldexp_f32 v115, v113, 1
	v_mul_f32_e32 v113, v113, v114
	v_mov_b32_e32 v102, 0x3f317218
	v_pk_mul_f32 v[102:103], v[112:113], v[102:103]
	v_ldexp_f32 v87, v87, 1
	v_fma_f32 v113, v112, s4, -v102
	v_fmamk_f32 v114, v112, 0xb102e308, v113
	v_pk_add_f32 v[112:113], v[102:103], v[114:115]
	v_mov_b32_e32 v116, v102
	v_sub_f32_e32 v115, v113, v115
	v_sub_f32_e32 v115, v103, v115
	v_add_f32_e32 v117, v87, v115
	v_pk_add_f32 v[102:103], v[112:113], v[102:103] neg_lo:[0,1] neg_hi:[0,1]
	v_pk_add_f32 v[118:119], v[112:113], v[116:117]
	v_mov_b32_e32 v115, v112
	v_mov_b32_e32 v103, v119
	v_pk_add_f32 v[128:129], v[114:115], v[102:103] neg_lo:[0,1] neg_hi:[0,1]
	v_pk_add_f32 v[102:103], v[114:115], v[102:103]
	v_mov_b32_e32 v116, v117
	v_mov_b32_e32 v114, v103
	v_pk_add_f32 v[130:131], v[114:115], v[112:113] neg_lo:[0,1] neg_hi:[0,1]
	v_mov_b32_e32 v102, v119
	v_mov_b32_e32 v87, v130
	v_pk_add_f32 v[132:133], v[118:119], v[86:87] neg_lo:[0,1] neg_hi:[0,1]
	v_mov_b32_e32 v118, v113
	v_mov_b32_e32 v119, v130
	;; [unrolled: 1-line block ×3, first 2 shown]
	v_pk_add_f32 v[102:103], v[102:103], v[118:119] neg_lo:[0,1] neg_hi:[0,1]
	v_mov_b32_e32 v117, v112
	v_pk_add_f32 v[102:103], v[116:117], v[102:103] neg_lo:[0,1] neg_hi:[0,1]
	v_mov_b32_e32 v132, v128
	v_pk_add_f32 v[112:113], v[132:133], v[102:103]
	s_mov_b32 s4, 0x33800000
	v_mov_b32_e32 v116, v113
	v_pk_add_f32 v[116:117], v[112:113], v[116:117]
	v_cmp_lt_f32_e64 s[4:5], |v134|, s4
	v_pk_add_f32 v[114:115], v[114:115], v[116:117]
	v_mov_b32_e32 v103, v116
	v_mov_b32_e32 v113, v114
	v_pk_add_f32 v[118:119], v[112:113], v[128:129] neg_lo:[0,1] neg_hi:[0,1]
	s_or_b64 vcc, vcc, s[4:5]
	v_sub_f32_e32 v87, v112, v118
	v_pk_add_f32 v[102:103], v[102:103], v[118:119] neg_lo:[0,1] neg_hi:[0,1]
	v_sub_f32_e32 v87, v128, v87
	v_add_f32_e32 v87, v102, v87
	v_add_f32_e32 v87, v87, v103
	;; [unrolled: 1-line block ×3, first 2 shown]
	v_cndmask_b32_e32 v87, v87, v134, vcc
	v_add_f32_e32 v87, v101, v87
.LBB141_268:
	s_or_b64 exec, exec, s[2:3]
	s_branch .LBB141_415
.LBB141_269:
                                        ; implicit-def: $vgpr87
                                        ; implicit-def: $vgpr82_vgpr83
                                        ; implicit-def: $vgpr70_vgpr71
                                        ; implicit-def: $vgpr66_vgpr67
                                        ; implicit-def: $vgpr54_vgpr55
                                        ; implicit-def: $vgpr50_vgpr51
	s_cbranch_execz .LBB141_415
; %bb.270:
	v_cmp_ne_u64_e64 s[2:3], 0, v[6:7]
	v_cmp_eq_u32_e64 s[52:53], 0, v0
	v_cmp_ne_u32_e32 vcc, 0, v0
	s_and_b64 s[2:3], s[52:53], s[2:3]
	s_and_saveexec_b64 s[4:5], s[2:3]
	s_cbranch_execz .LBB141_274
; %bb.271:
	flat_load_dword v3, v[2:3]
	v_max_f32_e32 v2, v16, v16
	s_movk_i32 s6, 0x1f8
	s_waitcnt vmcnt(0) lgkmcnt(0)
	v_max_f32_e32 v6, v3, v3
	v_min_f32_e32 v7, v6, v2
	v_max_f32_e32 v2, v6, v2
	v_cmp_u_f32_e64 s[2:3], v3, v3
	s_nop 1
	v_cndmask_b32_e64 v6, v7, v3, s[2:3]
	v_cndmask_b32_e64 v2, v2, v3, s[2:3]
	v_cmp_u_f32_e64 s[2:3], v16, v16
	s_nop 1
	v_cndmask_b32_e64 v6, v6, v16, s[2:3]
	v_cndmask_b32_e64 v2, v2, v16, s[2:3]
	v_cmp_neq_f32_e64 s[2:3], v6, v2
	v_cmp_class_f32_e64 s[6:7], v6, s6
	s_or_b64 s[2:3], s[2:3], s[6:7]
	s_and_saveexec_b64 s[6:7], s[2:3]
	s_cbranch_execz .LBB141_273
; %bb.272:
	v_sub_f32_e32 v3, v6, v2
	s_mov_b32 s2, 0x3fb8aa3b
	v_mul_f32_e32 v6, 0x3fb8aa3b, v3
	v_fma_f32 v7, v3, s2, -v6
	v_rndne_f32_e32 v16, v6
	v_fmamk_f32 v7, v3, 0x32a5705f, v7
	v_sub_f32_e32 v6, v6, v16
	v_add_f32_e32 v6, v6, v7
	v_exp_f32_e32 v6, v6
	v_cvt_i32_f32_e32 v7, v16
	s_mov_b32 s2, 0xc2ce8ed0
	v_cmp_ngt_f32_e64 s[2:3], s2, v3
	s_mov_b32 s8, 0x7f800000
	v_ldexp_f32 v6, v6, v7
	v_cndmask_b32_e64 v6, 0, v6, s[2:3]
	s_mov_b32 s2, 0x42b17218
	v_mov_b32_e32 v7, 0x7f800000
	v_cmp_nlt_f32_e64 s[2:3], s2, v3
	s_nop 1
	v_cndmask_b32_e64 v68, v7, v6, s[2:3]
	v_add_f32_e32 v3, 1.0, v68
	v_add_f32_e32 v6, -1.0, v3
	v_sub_f32_e32 v7, v6, v3
	v_add_f32_e32 v7, 1.0, v7
	v_sub_f32_e32 v6, v68, v6
	v_add_f32_e32 v16, v6, v7
	v_frexp_mant_f32_e32 v48, v3
	s_mov_b32 s2, 0x3f2aaaab
	v_cvt_f64_f32_e32 v[6:7], v3
	v_frexp_exp_i32_f64_e32 v6, v[6:7]
	v_cmp_gt_f32_e64 s[2:3], s2, v48
	s_nop 1
	v_subbrev_co_u32_e64 v54, s[2:3], 0, v6, s[2:3]
	v_sub_u32_e32 v6, 0, v54
	v_ldexp_f32 v3, v3, v6
	v_ldexp_f32 v6, v16, v6
	v_add_f32_e32 v16, -1.0, v3
	v_add_f32_e32 v7, 1.0, v16
	v_sub_f32_e32 v7, v3, v7
	v_add_f32_e32 v48, v6, v7
	v_add_f32_e32 v7, 1.0, v3
	v_add_f32_e32 v49, -1.0, v7
	v_sub_f32_e32 v3, v3, v49
	v_add_f32_e32 v3, v6, v3
	v_add_f32_e32 v55, v7, v3
	v_rcp_f32_e32 v64, v55
	v_sub_f32_e32 v6, v7, v55
	v_add_f32_e32 v7, v16, v48
	v_add_f32_e32 v3, v3, v6
	v_sub_f32_e32 v6, v16, v7
	v_mul_f32_e32 v65, v7, v64
	v_add_f32_e32 v16, v48, v6
	v_mul_f32_e32 v48, v55, v65
	v_fma_f32 v50, v65, v55, -v48
	v_fmac_f32_e32 v50, v65, v3
	v_add_f32_e32 v6, v48, v50
	v_sub_f32_e32 v49, v7, v6
	v_pk_add_f32 v[52:53], v[6:7], v[48:49] neg_lo:[0,1] neg_hi:[0,1]
	v_mov_b32_e32 v51, v6
	v_pk_add_f32 v[6:7], v[52:53], v[50:51] neg_lo:[0,1] neg_hi:[0,1]
	s_mov_b32 s2, 0x3f317218
	v_add_f32_e32 v7, v16, v7
	v_add_f32_e32 v6, v6, v7
	;; [unrolled: 1-line block ×3, first 2 shown]
	v_mul_f32_e32 v16, v64, v7
	v_mul_f32_e32 v48, v55, v16
	v_fma_f32 v50, v16, v55, -v48
	v_fmac_f32_e32 v50, v16, v3
	v_sub_f32_e32 v3, v49, v7
	v_add_f32_e32 v3, v6, v3
	v_add_f32_e32 v6, v48, v50
	v_sub_f32_e32 v49, v7, v6
	v_pk_add_f32 v[52:53], v[6:7], v[48:49] neg_lo:[0,1] neg_hi:[0,1]
	v_mov_b32_e32 v51, v6
	v_pk_add_f32 v[6:7], v[52:53], v[50:51] neg_lo:[0,1] neg_hi:[0,1]
	v_cvt_f32_i32_e32 v48, v54
	v_add_f32_e32 v3, v3, v7
	v_add_f32_e32 v3, v6, v3
	;; [unrolled: 1-line block ×4, first 2 shown]
	v_sub_f32_e32 v7, v6, v65
	v_mul_f32_e32 v3, v64, v3
	v_sub_f32_e32 v7, v16, v7
	v_add_f32_e32 v3, v7, v3
	v_add_f32_e32 v16, v6, v3
	v_mul_f32_e32 v49, v16, v16
	v_mov_b32_e32 v7, 0x3ecc95a3
	v_fmac_f32_e32 v7, 0x3e9b6dac, v49
	v_sub_f32_e32 v6, v16, v6
	v_fmaak_f32 v7, v49, v7, 0x3f2aaada
	v_sub_f32_e32 v3, v3, v6
	v_mul_f32_e32 v49, v16, v49
	v_mov_b32_e32 v6, 0x3f317218
	v_pk_mul_f32 v[6:7], v[48:49], v[6:7]
	v_ldexp_f32 v51, v16, 1
	v_fma_f32 v16, v48, s2, -v6
	v_fmamk_f32 v50, v48, 0xb102e308, v16
	v_pk_add_f32 v[48:49], v[6:7], v[50:51]
	v_ldexp_f32 v3, v3, 1
	v_sub_f32_e32 v16, v49, v51
	v_sub_f32_e32 v16, v7, v16
	v_add_f32_e32 v53, v3, v16
	v_mov_b32_e32 v52, v6
	v_pk_add_f32 v[6:7], v[48:49], v[6:7] neg_lo:[0,1] neg_hi:[0,1]
	v_pk_add_f32 v[54:55], v[48:49], v[52:53]
	v_mov_b32_e32 v51, v48
	v_mov_b32_e32 v7, v55
	v_pk_add_f32 v[64:65], v[50:51], v[6:7] neg_lo:[0,1] neg_hi:[0,1]
	v_pk_add_f32 v[6:7], v[50:51], v[6:7]
	v_cmp_eq_f32_e64 s[2:3], s8, v68
	v_mov_b32_e32 v16, v7
	v_pk_add_f32 v[50:51], v[16:17], v[48:49] neg_lo:[0,1] neg_hi:[0,1]
	v_mov_b32_e32 v6, v55
	v_mov_b32_e32 v3, v50
	v_pk_add_f32 v[66:67], v[54:55], v[2:3] neg_lo:[0,1] neg_hi:[0,1]
	v_mov_b32_e32 v54, v49
	v_mov_b32_e32 v55, v50
	;; [unrolled: 1-line block ×3, first 2 shown]
	v_pk_add_f32 v[6:7], v[6:7], v[54:55] neg_lo:[0,1] neg_hi:[0,1]
	v_mov_b32_e32 v50, v53
	v_mov_b32_e32 v51, v48
	v_pk_add_f32 v[6:7], v[50:51], v[6:7] neg_lo:[0,1] neg_hi:[0,1]
	v_mov_b32_e32 v66, v64
	v_pk_add_f32 v[48:49], v[66:67], v[6:7]
	s_mov_b32 s8, 0x33800000
	v_mov_b32_e32 v50, v49
	v_pk_add_f32 v[50:51], v[48:49], v[50:51]
	v_cmp_lt_f32_e64 s[8:9], |v68|, s8
	v_pk_add_f32 v[52:53], v[16:17], v[50:51]
	v_mov_b32_e32 v7, v50
	v_mov_b32_e32 v49, v52
	v_pk_add_f32 v[54:55], v[48:49], v[64:65] neg_lo:[0,1] neg_hi:[0,1]
	s_or_b64 s[2:3], s[2:3], s[8:9]
	v_sub_f32_e32 v3, v48, v54
	v_pk_add_f32 v[6:7], v[6:7], v[54:55] neg_lo:[0,1] neg_hi:[0,1]
	v_sub_f32_e32 v3, v64, v3
	v_add_f32_e32 v3, v6, v3
	v_add_f32_e32 v3, v3, v7
	;; [unrolled: 1-line block ×3, first 2 shown]
	v_cndmask_b32_e64 v3, v3, v68, s[2:3]
	v_add_f32_e32 v3, v2, v3
.LBB141_273:
	s_or_b64 exec, exec, s[6:7]
	v_mov_b32_e32 v16, v3
.LBB141_274:
	s_or_b64 exec, exec, s[4:5]
	v_max_f32_e32 v51, v16, v16
	v_min_f32_e32 v50, v51, v11
	v_cmp_u_f32_e64 s[50:51], v16, v16
	v_cmp_u_f32_e64 s[2:3], v17, v17
	v_max_f32_e32 v52, v51, v11
	v_cndmask_b32_e64 v2, v50, v16, s[50:51]
	v_cndmask_b32_e64 v3, v2, v17, s[2:3]
	;; [unrolled: 1-line block ×4, first 2 shown]
	s_movk_i32 s8, 0x1f8
	v_cmp_neq_f32_e64 s[4:5], v3, v2
	v_cmp_class_f32_e64 s[6:7], v3, s8
	s_or_b64 s[4:5], s[4:5], s[6:7]
	v_mov_b32_e32 v53, v16
	s_and_saveexec_b64 s[6:7], s[4:5]
	s_cbranch_execz .LBB141_276
; %bb.275:
	v_sub_f32_e32 v3, v3, v2
	s_mov_b32 s4, 0x3fb8aa3b
	v_mul_f32_e32 v6, 0x3fb8aa3b, v3
	v_fma_f32 v7, v3, s4, -v6
	v_rndne_f32_e32 v48, v6
	v_fmamk_f32 v7, v3, 0x32a5705f, v7
	v_sub_f32_e32 v6, v6, v48
	v_add_f32_e32 v6, v6, v7
	v_exp_f32_e32 v6, v6
	v_cvt_i32_f32_e32 v7, v48
	s_mov_b32 s4, 0xc2ce8ed0
	v_cmp_ngt_f32_e64 s[4:5], s4, v3
	s_mov_b32 s9, 0x7f800000
	v_ldexp_f32 v6, v6, v7
	v_cndmask_b32_e64 v6, 0, v6, s[4:5]
	s_mov_b32 s4, 0x42b17218
	v_mov_b32_e32 v7, 0x7f800000
	v_cmp_nlt_f32_e64 s[4:5], s4, v3
	s_nop 1
	v_cndmask_b32_e64 v53, v7, v6, s[4:5]
	v_add_f32_e32 v3, 1.0, v53
	v_add_f32_e32 v6, -1.0, v3
	v_sub_f32_e32 v7, v6, v3
	v_add_f32_e32 v7, 1.0, v7
	v_sub_f32_e32 v6, v53, v6
	v_add_f32_e32 v48, v6, v7
	v_frexp_mant_f32_e32 v49, v3
	s_mov_b32 s4, 0x3f2aaaab
	v_cvt_f64_f32_e32 v[6:7], v3
	v_frexp_exp_i32_f64_e32 v6, v[6:7]
	v_cmp_gt_f32_e64 s[4:5], s4, v49
	s_nop 1
	v_subbrev_co_u32_e64 v66, s[4:5], 0, v6, s[4:5]
	v_sub_u32_e32 v6, 0, v66
	v_ldexp_f32 v3, v3, v6
	v_ldexp_f32 v6, v48, v6
	v_add_f32_e32 v48, -1.0, v3
	v_add_f32_e32 v7, 1.0, v48
	v_sub_f32_e32 v7, v3, v7
	v_add_f32_e32 v49, v6, v7
	v_add_f32_e32 v7, 1.0, v3
	v_add_f32_e32 v54, -1.0, v7
	v_sub_f32_e32 v3, v3, v54
	v_add_f32_e32 v3, v6, v3
	v_add_f32_e32 v67, v7, v3
	v_rcp_f32_e32 v68, v67
	v_sub_f32_e32 v6, v7, v67
	v_add_f32_e32 v7, v48, v49
	v_add_f32_e32 v3, v3, v6
	v_mul_f32_e32 v70, v7, v68
	v_sub_f32_e32 v6, v48, v7
	v_mul_f32_e32 v48, v67, v70
	v_fma_f32 v54, v70, v67, -v48
	v_fmac_f32_e32 v54, v70, v3
	v_add_f32_e32 v69, v49, v6
	v_add_f32_e32 v6, v48, v54
	v_sub_f32_e32 v49, v7, v6
	v_pk_add_f32 v[64:65], v[6:7], v[48:49] neg_lo:[0,1] neg_hi:[0,1]
	v_mov_b32_e32 v55, v6
	v_pk_add_f32 v[6:7], v[64:65], v[54:55] neg_lo:[0,1] neg_hi:[0,1]
	s_mov_b32 s4, 0x3f317218
	v_add_f32_e32 v7, v69, v7
	v_add_f32_e32 v6, v6, v7
	v_add_f32_e32 v7, v49, v6
	v_mul_f32_e32 v69, v68, v7
	v_mul_f32_e32 v48, v67, v69
	v_fma_f32 v54, v69, v67, -v48
	v_fmac_f32_e32 v54, v69, v3
	v_sub_f32_e32 v3, v49, v7
	v_add_f32_e32 v3, v6, v3
	v_add_f32_e32 v6, v48, v54
	v_sub_f32_e32 v49, v7, v6
	v_pk_add_f32 v[64:65], v[6:7], v[48:49] neg_lo:[0,1] neg_hi:[0,1]
	v_mov_b32_e32 v55, v6
	v_pk_add_f32 v[6:7], v[64:65], v[54:55] neg_lo:[0,1] neg_hi:[0,1]
	v_cvt_f32_i32_e32 v48, v66
	v_add_f32_e32 v3, v3, v7
	v_add_f32_e32 v3, v6, v3
	;; [unrolled: 1-line block ×4, first 2 shown]
	v_sub_f32_e32 v7, v6, v70
	v_mul_f32_e32 v3, v68, v3
	v_sub_f32_e32 v7, v69, v7
	v_add_f32_e32 v3, v7, v3
	v_add_f32_e32 v49, v6, v3
	v_mul_f32_e32 v54, v49, v49
	v_mov_b32_e32 v7, 0x3ecc95a3
	v_fmac_f32_e32 v7, 0x3e9b6dac, v54
	v_sub_f32_e32 v6, v49, v6
	v_fmaak_f32 v7, v54, v7, 0x3f2aaada
	v_sub_f32_e32 v3, v3, v6
	v_ldexp_f32 v55, v49, 1
	v_mul_f32_e32 v49, v49, v54
	v_mov_b32_e32 v6, 0x3f317218
	v_pk_mul_f32 v[6:7], v[48:49], v[6:7]
	v_ldexp_f32 v3, v3, 1
	v_fma_f32 v49, v48, s4, -v6
	v_fmamk_f32 v54, v48, 0xb102e308, v49
	v_pk_add_f32 v[48:49], v[6:7], v[54:55]
	v_mov_b32_e32 v64, v6
	v_sub_f32_e32 v55, v49, v55
	v_sub_f32_e32 v55, v7, v55
	v_add_f32_e32 v65, v3, v55
	v_pk_add_f32 v[6:7], v[48:49], v[6:7] neg_lo:[0,1] neg_hi:[0,1]
	v_pk_add_f32 v[66:67], v[48:49], v[64:65]
	v_mov_b32_e32 v55, v48
	v_mov_b32_e32 v7, v67
	v_pk_add_f32 v[68:69], v[54:55], v[6:7] neg_lo:[0,1] neg_hi:[0,1]
	v_pk_add_f32 v[6:7], v[54:55], v[6:7]
	v_mov_b32_e32 v64, v65
	v_mov_b32_e32 v54, v7
	v_pk_add_f32 v[70:71], v[54:55], v[48:49] neg_lo:[0,1] neg_hi:[0,1]
	v_mov_b32_e32 v6, v67
	v_mov_b32_e32 v3, v70
	v_pk_add_f32 v[80:81], v[66:67], v[2:3] neg_lo:[0,1] neg_hi:[0,1]
	v_mov_b32_e32 v66, v49
	v_mov_b32_e32 v67, v70
	v_mov_b32_e32 v69, v7
	v_pk_add_f32 v[6:7], v[6:7], v[66:67] neg_lo:[0,1] neg_hi:[0,1]
	v_mov_b32_e32 v65, v48
	v_pk_add_f32 v[6:7], v[64:65], v[6:7] neg_lo:[0,1] neg_hi:[0,1]
	v_mov_b32_e32 v80, v68
	v_pk_add_f32 v[48:49], v[80:81], v[6:7]
	v_cmp_eq_f32_e64 s[4:5], s9, v53
	v_mov_b32_e32 v64, v49
	v_pk_add_f32 v[64:65], v[48:49], v[64:65]
	s_mov_b32 s9, 0x33800000
	v_pk_add_f32 v[54:55], v[54:55], v[64:65]
	v_mov_b32_e32 v7, v64
	v_mov_b32_e32 v49, v54
	v_pk_add_f32 v[66:67], v[48:49], v[68:69] neg_lo:[0,1] neg_hi:[0,1]
	v_cmp_lt_f32_e64 s[10:11], |v53|, s9
	v_sub_f32_e32 v3, v48, v66
	v_pk_add_f32 v[6:7], v[6:7], v[66:67] neg_lo:[0,1] neg_hi:[0,1]
	v_sub_f32_e32 v3, v68, v3
	v_add_f32_e32 v3, v6, v3
	v_add_f32_e32 v3, v3, v7
	;; [unrolled: 1-line block ×3, first 2 shown]
	s_or_b64 s[4:5], s[4:5], s[10:11]
	v_cndmask_b32_e64 v3, v3, v53, s[4:5]
	v_add_f32_e32 v53, v2, v3
.LBB141_276:
	s_or_b64 exec, exec, s[6:7]
	v_max_f32_e32 v6, v18, v18
	v_max_f32_e32 v2, v53, v53
	v_min_f32_e32 v3, v2, v6
	v_cmp_u_f32_e64 s[6:7], v53, v53
	v_max_f32_e32 v2, v2, v6
	v_cmp_u_f32_e64 s[4:5], v18, v18
	v_cndmask_b32_e64 v3, v3, v53, s[6:7]
	v_cndmask_b32_e64 v2, v2, v53, s[6:7]
	;; [unrolled: 1-line block ×4, first 2 shown]
	v_cmp_neq_f32_e64 s[6:7], v3, v2
	v_cmp_class_f32_e64 s[8:9], v3, s8
	s_or_b64 s[6:7], s[6:7], s[8:9]
	s_and_saveexec_b64 s[8:9], s[6:7]
	s_cbranch_execz .LBB141_278
; %bb.277:
	v_sub_f32_e32 v3, v3, v2
	s_mov_b32 s6, 0x3fb8aa3b
	v_mul_f32_e32 v7, 0x3fb8aa3b, v3
	v_fma_f32 v48, v3, s6, -v7
	v_rndne_f32_e32 v49, v7
	v_fmamk_f32 v48, v3, 0x32a5705f, v48
	v_sub_f32_e32 v7, v7, v49
	v_add_f32_e32 v7, v7, v48
	v_exp_f32_e32 v7, v7
	v_cvt_i32_f32_e32 v48, v49
	s_mov_b32 s6, 0xc2ce8ed0
	v_cmp_ngt_f32_e64 s[6:7], s6, v3
	s_mov_b32 s10, 0x7f800000
	v_ldexp_f32 v7, v7, v48
	v_cndmask_b32_e64 v7, 0, v7, s[6:7]
	s_mov_b32 s6, 0x42b17218
	v_mov_b32_e32 v48, 0x7f800000
	v_cmp_nlt_f32_e64 s[6:7], s6, v3
	s_nop 1
	v_cndmask_b32_e64 v7, v48, v7, s[6:7]
	v_add_f32_e32 v3, 1.0, v7
	v_add_f32_e32 v48, -1.0, v3
	v_sub_f32_e32 v49, v48, v3
	v_add_f32_e32 v49, 1.0, v49
	v_sub_f32_e32 v48, v7, v48
	v_add_f32_e32 v53, v48, v49
	v_frexp_mant_f32_e32 v54, v3
	s_mov_b32 s6, 0x3f2aaaab
	v_cvt_f64_f32_e32 v[48:49], v3
	v_frexp_exp_i32_f64_e32 v48, v[48:49]
	v_cmp_gt_f32_e64 s[6:7], s6, v54
	s_nop 1
	v_subbrev_co_u32_e64 v68, s[6:7], 0, v48, s[6:7]
	v_sub_u32_e32 v48, 0, v68
	v_ldexp_f32 v3, v3, v48
	v_ldexp_f32 v48, v53, v48
	v_add_f32_e32 v53, -1.0, v3
	v_add_f32_e32 v49, 1.0, v53
	v_sub_f32_e32 v49, v3, v49
	v_add_f32_e32 v54, v48, v49
	v_add_f32_e32 v49, 1.0, v3
	v_add_f32_e32 v55, -1.0, v49
	v_sub_f32_e32 v3, v3, v55
	v_add_f32_e32 v3, v48, v3
	v_add_f32_e32 v69, v49, v3
	v_rcp_f32_e32 v70, v69
	v_sub_f32_e32 v48, v49, v69
	v_add_f32_e32 v49, v53, v54
	v_add_f32_e32 v3, v3, v48
	v_sub_f32_e32 v48, v53, v49
	v_mul_f32_e32 v71, v49, v70
	v_add_f32_e32 v53, v54, v48
	v_mul_f32_e32 v54, v69, v71
	v_fma_f32 v64, v71, v69, -v54
	v_fmac_f32_e32 v64, v71, v3
	v_add_f32_e32 v48, v54, v64
	v_sub_f32_e32 v55, v49, v48
	v_pk_add_f32 v[66:67], v[48:49], v[54:55] neg_lo:[0,1] neg_hi:[0,1]
	v_mov_b32_e32 v65, v48
	v_pk_add_f32 v[48:49], v[66:67], v[64:65] neg_lo:[0,1] neg_hi:[0,1]
	s_mov_b32 s6, 0x3f317218
	v_add_f32_e32 v49, v53, v49
	v_add_f32_e32 v48, v48, v49
	;; [unrolled: 1-line block ×3, first 2 shown]
	v_mul_f32_e32 v53, v70, v49
	v_mul_f32_e32 v54, v69, v53
	v_fma_f32 v64, v53, v69, -v54
	v_fmac_f32_e32 v64, v53, v3
	v_sub_f32_e32 v3, v55, v49
	v_add_f32_e32 v3, v48, v3
	v_add_f32_e32 v48, v54, v64
	v_sub_f32_e32 v55, v49, v48
	v_pk_add_f32 v[66:67], v[48:49], v[54:55] neg_lo:[0,1] neg_hi:[0,1]
	v_mov_b32_e32 v65, v48
	v_pk_add_f32 v[48:49], v[66:67], v[64:65] neg_lo:[0,1] neg_hi:[0,1]
	v_cvt_f32_i32_e32 v54, v68
	v_add_f32_e32 v3, v3, v49
	v_add_f32_e32 v3, v48, v3
	v_add_f32_e32 v48, v71, v53
	v_add_f32_e32 v3, v55, v3
	v_sub_f32_e32 v49, v48, v71
	v_mul_f32_e32 v3, v70, v3
	v_sub_f32_e32 v49, v53, v49
	v_add_f32_e32 v3, v49, v3
	v_add_f32_e32 v53, v48, v3
	v_mul_f32_e32 v55, v53, v53
	v_mov_b32_e32 v49, 0x3ecc95a3
	v_fmac_f32_e32 v49, 0x3e9b6dac, v55
	v_sub_f32_e32 v48, v53, v48
	v_fmaak_f32 v49, v55, v49, 0x3f2aaada
	v_sub_f32_e32 v3, v3, v48
	v_mul_f32_e32 v55, v53, v55
	v_mov_b32_e32 v48, 0x3f317218
	v_pk_mul_f32 v[48:49], v[54:55], v[48:49]
	v_ldexp_f32 v65, v53, 1
	v_fma_f32 v53, v54, s6, -v48
	v_fmamk_f32 v64, v54, 0xb102e308, v53
	v_pk_add_f32 v[54:55], v[48:49], v[64:65]
	v_ldexp_f32 v3, v3, 1
	v_sub_f32_e32 v53, v55, v65
	v_sub_f32_e32 v53, v49, v53
	v_add_f32_e32 v67, v3, v53
	v_mov_b32_e32 v66, v48
	v_pk_add_f32 v[48:49], v[54:55], v[48:49] neg_lo:[0,1] neg_hi:[0,1]
	v_pk_add_f32 v[68:69], v[54:55], v[66:67]
	v_mov_b32_e32 v65, v54
	v_mov_b32_e32 v49, v69
	v_pk_add_f32 v[70:71], v[64:65], v[48:49] neg_lo:[0,1] neg_hi:[0,1]
	v_pk_add_f32 v[48:49], v[64:65], v[48:49]
	v_mov_b32_e32 v66, v67
	v_mov_b32_e32 v64, v49
	v_pk_add_f32 v[80:81], v[64:65], v[54:55] neg_lo:[0,1] neg_hi:[0,1]
	v_mov_b32_e32 v48, v69
	v_mov_b32_e32 v3, v80
	v_pk_add_f32 v[82:83], v[68:69], v[2:3] neg_lo:[0,1] neg_hi:[0,1]
	v_mov_b32_e32 v68, v55
	v_mov_b32_e32 v69, v80
	;; [unrolled: 1-line block ×3, first 2 shown]
	v_pk_add_f32 v[48:49], v[48:49], v[68:69] neg_lo:[0,1] neg_hi:[0,1]
	v_mov_b32_e32 v67, v54
	v_pk_add_f32 v[48:49], v[66:67], v[48:49] neg_lo:[0,1] neg_hi:[0,1]
	v_mov_b32_e32 v82, v70
	v_pk_add_f32 v[54:55], v[82:83], v[48:49]
	v_cmp_eq_f32_e64 s[6:7], s10, v7
	v_mov_b32_e32 v66, v55
	v_pk_add_f32 v[66:67], v[54:55], v[66:67]
	s_mov_b32 s10, 0x33800000
	v_pk_add_f32 v[64:65], v[64:65], v[66:67]
	v_mov_b32_e32 v49, v66
	v_mov_b32_e32 v55, v64
	v_pk_add_f32 v[68:69], v[54:55], v[70:71] neg_lo:[0,1] neg_hi:[0,1]
	v_cmp_lt_f32_e64 s[10:11], |v7|, s10
	v_sub_f32_e32 v3, v54, v68
	v_pk_add_f32 v[48:49], v[48:49], v[68:69] neg_lo:[0,1] neg_hi:[0,1]
	v_sub_f32_e32 v3, v70, v3
	v_add_f32_e32 v3, v48, v3
	v_add_f32_e32 v3, v3, v49
	;; [unrolled: 1-line block ×3, first 2 shown]
	s_or_b64 s[6:7], s[6:7], s[10:11]
	v_cndmask_b32_e64 v3, v3, v7, s[6:7]
	v_add_f32_e32 v53, v2, v3
.LBB141_278:
	s_or_b64 exec, exec, s[8:9]
	v_max_f32_e32 v7, v19, v19
	v_max_f32_e32 v2, v53, v53
	v_min_f32_e32 v3, v2, v7
	v_cmp_u_f32_e64 s[8:9], v53, v53
	v_max_f32_e32 v2, v2, v7
	v_cmp_u_f32_e64 s[6:7], v19, v19
	v_cndmask_b32_e64 v3, v3, v53, s[8:9]
	v_cndmask_b32_e64 v2, v2, v53, s[8:9]
	v_cndmask_b32_e64 v3, v3, v19, s[6:7]
	v_cndmask_b32_e64 v2, v2, v19, s[6:7]
	s_movk_i32 s12, 0x1f8
	v_cmp_neq_f32_e64 s[8:9], v3, v2
	v_cmp_class_f32_e64 s[10:11], v3, s12
	s_or_b64 s[8:9], s[8:9], s[10:11]
	s_and_saveexec_b64 s[10:11], s[8:9]
	s_cbranch_execz .LBB141_280
; %bb.279:
	v_sub_f32_e32 v3, v3, v2
	s_mov_b32 s8, 0x3fb8aa3b
	v_mul_f32_e32 v48, 0x3fb8aa3b, v3
	v_fma_f32 v49, v3, s8, -v48
	v_rndne_f32_e32 v53, v48
	v_fmamk_f32 v49, v3, 0x32a5705f, v49
	v_sub_f32_e32 v48, v48, v53
	v_add_f32_e32 v48, v48, v49
	v_exp_f32_e32 v48, v48
	v_cvt_i32_f32_e32 v49, v53
	s_mov_b32 s8, 0xc2ce8ed0
	v_cmp_ngt_f32_e64 s[8:9], s8, v3
	s_mov_b32 s13, 0x7f800000
	v_ldexp_f32 v48, v48, v49
	v_cndmask_b32_e64 v48, 0, v48, s[8:9]
	s_mov_b32 s8, 0x42b17218
	v_mov_b32_e32 v49, 0x7f800000
	v_cmp_nlt_f32_e64 s[8:9], s8, v3
	s_nop 1
	v_cndmask_b32_e64 v53, v49, v48, s[8:9]
	v_add_f32_e32 v3, 1.0, v53
	v_add_f32_e32 v48, -1.0, v3
	v_sub_f32_e32 v49, v48, v3
	v_add_f32_e32 v49, 1.0, v49
	v_sub_f32_e32 v48, v53, v48
	v_add_f32_e32 v54, v48, v49
	v_frexp_mant_f32_e32 v55, v3
	s_mov_b32 s8, 0x3f2aaaab
	v_cvt_f64_f32_e32 v[48:49], v3
	v_frexp_exp_i32_f64_e32 v48, v[48:49]
	v_cmp_gt_f32_e64 s[8:9], s8, v55
	s_nop 1
	v_subbrev_co_u32_e64 v68, s[8:9], 0, v48, s[8:9]
	v_sub_u32_e32 v48, 0, v68
	v_ldexp_f32 v3, v3, v48
	v_ldexp_f32 v48, v54, v48
	v_add_f32_e32 v54, -1.0, v3
	v_add_f32_e32 v49, 1.0, v54
	v_sub_f32_e32 v49, v3, v49
	v_add_f32_e32 v55, v48, v49
	v_add_f32_e32 v49, 1.0, v3
	v_add_f32_e32 v64, -1.0, v49
	v_sub_f32_e32 v3, v3, v64
	v_add_f32_e32 v3, v48, v3
	v_add_f32_e32 v69, v49, v3
	v_rcp_f32_e32 v70, v69
	v_sub_f32_e32 v48, v49, v69
	v_add_f32_e32 v49, v54, v55
	v_add_f32_e32 v3, v3, v48
	v_mul_f32_e32 v80, v49, v70
	v_sub_f32_e32 v48, v54, v49
	v_mul_f32_e32 v54, v69, v80
	v_fma_f32 v64, v80, v69, -v54
	v_fmac_f32_e32 v64, v80, v3
	v_add_f32_e32 v71, v55, v48
	v_add_f32_e32 v48, v54, v64
	v_sub_f32_e32 v55, v49, v48
	v_pk_add_f32 v[66:67], v[48:49], v[54:55] neg_lo:[0,1] neg_hi:[0,1]
	v_mov_b32_e32 v65, v48
	v_pk_add_f32 v[48:49], v[66:67], v[64:65] neg_lo:[0,1] neg_hi:[0,1]
	s_mov_b32 s8, 0x3f317218
	v_add_f32_e32 v49, v71, v49
	v_add_f32_e32 v48, v48, v49
	;; [unrolled: 1-line block ×3, first 2 shown]
	v_mul_f32_e32 v71, v70, v49
	v_mul_f32_e32 v54, v69, v71
	v_fma_f32 v64, v71, v69, -v54
	v_fmac_f32_e32 v64, v71, v3
	v_sub_f32_e32 v3, v55, v49
	v_add_f32_e32 v3, v48, v3
	v_add_f32_e32 v48, v54, v64
	v_sub_f32_e32 v55, v49, v48
	v_pk_add_f32 v[66:67], v[48:49], v[54:55] neg_lo:[0,1] neg_hi:[0,1]
	v_mov_b32_e32 v65, v48
	v_pk_add_f32 v[48:49], v[66:67], v[64:65] neg_lo:[0,1] neg_hi:[0,1]
	v_cvt_f32_i32_e32 v54, v68
	v_add_f32_e32 v3, v3, v49
	v_add_f32_e32 v3, v48, v3
	;; [unrolled: 1-line block ×4, first 2 shown]
	v_sub_f32_e32 v49, v48, v80
	v_mul_f32_e32 v3, v70, v3
	v_sub_f32_e32 v49, v71, v49
	v_add_f32_e32 v3, v49, v3
	v_add_f32_e32 v55, v48, v3
	v_mul_f32_e32 v64, v55, v55
	v_mov_b32_e32 v49, 0x3ecc95a3
	v_fmac_f32_e32 v49, 0x3e9b6dac, v64
	v_sub_f32_e32 v48, v55, v48
	v_fmaak_f32 v49, v64, v49, 0x3f2aaada
	v_sub_f32_e32 v3, v3, v48
	v_ldexp_f32 v65, v55, 1
	v_mul_f32_e32 v55, v55, v64
	v_mov_b32_e32 v48, 0x3f317218
	v_pk_mul_f32 v[48:49], v[54:55], v[48:49]
	v_ldexp_f32 v3, v3, 1
	v_fma_f32 v55, v54, s8, -v48
	v_fmamk_f32 v64, v54, 0xb102e308, v55
	v_pk_add_f32 v[54:55], v[48:49], v[64:65]
	v_mov_b32_e32 v66, v48
	v_sub_f32_e32 v65, v55, v65
	v_sub_f32_e32 v65, v49, v65
	v_add_f32_e32 v67, v3, v65
	v_pk_add_f32 v[48:49], v[54:55], v[48:49] neg_lo:[0,1] neg_hi:[0,1]
	v_pk_add_f32 v[68:69], v[54:55], v[66:67]
	v_mov_b32_e32 v65, v54
	v_mov_b32_e32 v49, v69
	v_pk_add_f32 v[70:71], v[64:65], v[48:49] neg_lo:[0,1] neg_hi:[0,1]
	v_pk_add_f32 v[48:49], v[64:65], v[48:49]
	v_mov_b32_e32 v66, v67
	v_mov_b32_e32 v64, v49
	v_pk_add_f32 v[80:81], v[64:65], v[54:55] neg_lo:[0,1] neg_hi:[0,1]
	v_mov_b32_e32 v48, v69
	v_mov_b32_e32 v3, v80
	v_pk_add_f32 v[82:83], v[68:69], v[2:3] neg_lo:[0,1] neg_hi:[0,1]
	v_mov_b32_e32 v68, v55
	v_mov_b32_e32 v69, v80
	;; [unrolled: 1-line block ×3, first 2 shown]
	v_pk_add_f32 v[48:49], v[48:49], v[68:69] neg_lo:[0,1] neg_hi:[0,1]
	v_mov_b32_e32 v67, v54
	v_pk_add_f32 v[48:49], v[66:67], v[48:49] neg_lo:[0,1] neg_hi:[0,1]
	v_mov_b32_e32 v82, v70
	v_pk_add_f32 v[54:55], v[82:83], v[48:49]
	v_cmp_eq_f32_e64 s[8:9], s13, v53
	v_mov_b32_e32 v66, v55
	v_pk_add_f32 v[66:67], v[54:55], v[66:67]
	s_mov_b32 s13, 0x33800000
	v_pk_add_f32 v[64:65], v[64:65], v[66:67]
	v_mov_b32_e32 v49, v66
	v_mov_b32_e32 v55, v64
	v_pk_add_f32 v[68:69], v[54:55], v[70:71] neg_lo:[0,1] neg_hi:[0,1]
	v_cmp_lt_f32_e64 s[14:15], |v53|, s13
	v_sub_f32_e32 v3, v54, v68
	v_pk_add_f32 v[48:49], v[48:49], v[68:69] neg_lo:[0,1] neg_hi:[0,1]
	v_sub_f32_e32 v3, v70, v3
	v_add_f32_e32 v3, v48, v3
	v_add_f32_e32 v3, v3, v49
	;; [unrolled: 1-line block ×3, first 2 shown]
	s_or_b64 s[8:9], s[8:9], s[14:15]
	v_cndmask_b32_e64 v3, v3, v53, s[8:9]
	v_add_f32_e32 v53, v2, v3
.LBB141_280:
	s_or_b64 exec, exec, s[10:11]
	v_max_f32_e32 v48, v36, v36
	v_max_f32_e32 v2, v53, v53
	v_min_f32_e32 v3, v2, v48
	v_cmp_u_f32_e64 s[10:11], v53, v53
	v_max_f32_e32 v2, v2, v48
	v_cmp_u_f32_e64 s[8:9], v36, v36
	v_cndmask_b32_e64 v3, v3, v53, s[10:11]
	v_cndmask_b32_e64 v2, v2, v53, s[10:11]
	;; [unrolled: 1-line block ×4, first 2 shown]
	v_cmp_neq_f32_e64 s[10:11], v3, v2
	v_cmp_class_f32_e64 s[12:13], v3, s12
	s_or_b64 s[10:11], s[10:11], s[12:13]
	s_and_saveexec_b64 s[12:13], s[10:11]
	s_cbranch_execz .LBB141_282
; %bb.281:
	v_sub_f32_e32 v3, v3, v2
	s_mov_b32 s10, 0x3fb8aa3b
	v_mul_f32_e32 v49, 0x3fb8aa3b, v3
	v_fma_f32 v53, v3, s10, -v49
	v_rndne_f32_e32 v54, v49
	v_fmamk_f32 v53, v3, 0x32a5705f, v53
	v_sub_f32_e32 v49, v49, v54
	v_add_f32_e32 v49, v49, v53
	v_exp_f32_e32 v49, v49
	v_cvt_i32_f32_e32 v53, v54
	s_mov_b32 s10, 0xc2ce8ed0
	v_cmp_ngt_f32_e64 s[10:11], s10, v3
	s_mov_b32 s14, 0x7f800000
	v_ldexp_f32 v49, v49, v53
	v_cndmask_b32_e64 v49, 0, v49, s[10:11]
	s_mov_b32 s10, 0x42b17218
	v_mov_b32_e32 v53, 0x7f800000
	v_cmp_nlt_f32_e64 s[10:11], s10, v3
	s_nop 1
	v_cndmask_b32_e64 v49, v53, v49, s[10:11]
	v_add_f32_e32 v3, 1.0, v49
	v_add_f32_e32 v53, -1.0, v3
	v_sub_f32_e32 v54, v53, v3
	v_add_f32_e32 v54, 1.0, v54
	v_sub_f32_e32 v53, v49, v53
	v_add_f32_e32 v53, v53, v54
	v_frexp_mant_f32_e32 v64, v3
	s_mov_b32 s10, 0x3f2aaaab
	v_cvt_f64_f32_e32 v[54:55], v3
	v_frexp_exp_i32_f64_e32 v54, v[54:55]
	v_cmp_gt_f32_e64 s[10:11], s10, v64
	s_nop 1
	v_subbrev_co_u32_e64 v70, s[10:11], 0, v54, s[10:11]
	v_sub_u32_e32 v54, 0, v70
	v_ldexp_f32 v3, v3, v54
	v_ldexp_f32 v53, v53, v54
	v_add_f32_e32 v54, -1.0, v3
	v_add_f32_e32 v55, 1.0, v54
	v_sub_f32_e32 v55, v3, v55
	v_add_f32_e32 v64, v53, v55
	v_add_f32_e32 v55, 1.0, v3
	v_add_f32_e32 v65, -1.0, v55
	v_sub_f32_e32 v3, v3, v65
	v_add_f32_e32 v3, v53, v3
	v_add_f32_e32 v53, v55, v3
	v_rcp_f32_e32 v71, v53
	v_sub_f32_e32 v55, v55, v53
	v_add_f32_e32 v3, v3, v55
	v_add_f32_e32 v55, v54, v64
	v_sub_f32_e32 v54, v54, v55
	v_mul_f32_e32 v81, v55, v71
	v_add_f32_e32 v80, v64, v54
	v_mul_f32_e32 v64, v53, v81
	v_fma_f32 v66, v81, v53, -v64
	v_fmac_f32_e32 v66, v81, v3
	v_add_f32_e32 v54, v64, v66
	v_sub_f32_e32 v65, v55, v54
	v_pk_add_f32 v[68:69], v[54:55], v[64:65] neg_lo:[0,1] neg_hi:[0,1]
	v_mov_b32_e32 v67, v54
	v_pk_add_f32 v[54:55], v[68:69], v[66:67] neg_lo:[0,1] neg_hi:[0,1]
	s_mov_b32 s10, 0x3f317218
	v_add_f32_e32 v55, v80, v55
	v_add_f32_e32 v54, v54, v55
	;; [unrolled: 1-line block ×3, first 2 shown]
	v_mul_f32_e32 v80, v71, v55
	v_mul_f32_e32 v64, v53, v80
	v_fma_f32 v66, v80, v53, -v64
	v_fmac_f32_e32 v66, v80, v3
	v_sub_f32_e32 v3, v65, v55
	v_add_f32_e32 v3, v54, v3
	v_add_f32_e32 v54, v64, v66
	v_sub_f32_e32 v65, v55, v54
	v_pk_add_f32 v[68:69], v[54:55], v[64:65] neg_lo:[0,1] neg_hi:[0,1]
	v_mov_b32_e32 v67, v54
	v_pk_add_f32 v[54:55], v[68:69], v[66:67] neg_lo:[0,1] neg_hi:[0,1]
	v_add_f32_e32 v53, v81, v80
	v_add_f32_e32 v3, v3, v55
	;; [unrolled: 1-line block ×4, first 2 shown]
	v_sub_f32_e32 v54, v53, v81
	v_mul_f32_e32 v3, v71, v3
	v_sub_f32_e32 v54, v80, v54
	v_add_f32_e32 v3, v54, v3
	v_add_f32_e32 v54, v53, v3
	v_cvt_f32_i32_e32 v64, v70
	v_mul_f32_e32 v65, v54, v54
	v_mov_b32_e32 v55, 0x3ecc95a3
	v_fmac_f32_e32 v55, 0x3e9b6dac, v65
	v_fmaak_f32 v55, v65, v55, 0x3f2aaada
	v_sub_f32_e32 v53, v54, v53
	v_ldexp_f32 v67, v54, 1
	v_mul_f32_e32 v65, v54, v65
	v_mov_b32_e32 v54, 0x3f317218
	v_pk_mul_f32 v[54:55], v[64:65], v[54:55]
	v_sub_f32_e32 v3, v3, v53
	v_fma_f32 v53, v64, s10, -v54
	v_fmamk_f32 v66, v64, 0xb102e308, v53
	v_pk_add_f32 v[64:65], v[54:55], v[66:67]
	v_ldexp_f32 v3, v3, 1
	v_sub_f32_e32 v53, v65, v67
	v_sub_f32_e32 v53, v55, v53
	v_add_f32_e32 v69, v3, v53
	v_mov_b32_e32 v68, v54
	v_pk_add_f32 v[54:55], v[64:65], v[54:55] neg_lo:[0,1] neg_hi:[0,1]
	v_pk_add_f32 v[70:71], v[64:65], v[68:69]
	v_mov_b32_e32 v67, v64
	v_mov_b32_e32 v55, v71
	v_pk_add_f32 v[80:81], v[66:67], v[54:55] neg_lo:[0,1] neg_hi:[0,1]
	v_pk_add_f32 v[54:55], v[66:67], v[54:55]
	v_mov_b32_e32 v68, v69
	v_mov_b32_e32 v66, v55
	v_pk_add_f32 v[82:83], v[66:67], v[64:65] neg_lo:[0,1] neg_hi:[0,1]
	v_mov_b32_e32 v54, v71
	v_mov_b32_e32 v3, v82
	v_pk_add_f32 v[84:85], v[70:71], v[2:3] neg_lo:[0,1] neg_hi:[0,1]
	v_mov_b32_e32 v70, v65
	v_mov_b32_e32 v71, v82
	;; [unrolled: 1-line block ×3, first 2 shown]
	v_pk_add_f32 v[54:55], v[54:55], v[70:71] neg_lo:[0,1] neg_hi:[0,1]
	v_mov_b32_e32 v69, v64
	v_pk_add_f32 v[54:55], v[68:69], v[54:55] neg_lo:[0,1] neg_hi:[0,1]
	v_mov_b32_e32 v84, v80
	v_pk_add_f32 v[64:65], v[84:85], v[54:55]
	v_cmp_eq_f32_e64 s[10:11], s14, v49
	v_mov_b32_e32 v68, v65
	v_pk_add_f32 v[68:69], v[64:65], v[68:69]
	s_mov_b32 s14, 0x33800000
	v_pk_add_f32 v[66:67], v[66:67], v[68:69]
	v_mov_b32_e32 v55, v68
	v_mov_b32_e32 v65, v66
	v_pk_add_f32 v[70:71], v[64:65], v[80:81] neg_lo:[0,1] neg_hi:[0,1]
	v_cmp_lt_f32_e64 s[14:15], |v49|, s14
	v_sub_f32_e32 v3, v64, v70
	v_pk_add_f32 v[54:55], v[54:55], v[70:71] neg_lo:[0,1] neg_hi:[0,1]
	v_sub_f32_e32 v3, v80, v3
	v_add_f32_e32 v3, v54, v3
	v_add_f32_e32 v3, v3, v55
	;; [unrolled: 1-line block ×3, first 2 shown]
	s_or_b64 s[10:11], s[10:11], s[14:15]
	v_cndmask_b32_e64 v3, v3, v49, s[10:11]
	v_add_f32_e32 v53, v2, v3
.LBB141_282:
	s_or_b64 exec, exec, s[12:13]
	v_max_f32_e32 v49, v37, v37
	v_max_f32_e32 v2, v53, v53
	v_min_f32_e32 v3, v2, v49
	v_cmp_u_f32_e64 s[12:13], v53, v53
	v_max_f32_e32 v2, v2, v49
	v_cmp_u_f32_e64 s[10:11], v37, v37
	v_cndmask_b32_e64 v3, v3, v53, s[12:13]
	v_cndmask_b32_e64 v2, v2, v53, s[12:13]
	;; [unrolled: 1-line block ×4, first 2 shown]
	s_movk_i32 s16, 0x1f8
	v_cmp_neq_f32_e64 s[12:13], v3, v2
	v_cmp_class_f32_e64 s[14:15], v3, s16
	s_or_b64 s[12:13], s[12:13], s[14:15]
	s_and_saveexec_b64 s[14:15], s[12:13]
	s_cbranch_execz .LBB141_284
; %bb.283:
	v_sub_f32_e32 v3, v3, v2
	s_mov_b32 s12, 0x3fb8aa3b
	v_mul_f32_e32 v53, 0x3fb8aa3b, v3
	v_fma_f32 v54, v3, s12, -v53
	v_rndne_f32_e32 v55, v53
	v_fmamk_f32 v54, v3, 0x32a5705f, v54
	v_sub_f32_e32 v53, v53, v55
	v_add_f32_e32 v53, v53, v54
	v_exp_f32_e32 v53, v53
	v_cvt_i32_f32_e32 v54, v55
	s_mov_b32 s12, 0xc2ce8ed0
	v_cmp_ngt_f32_e64 s[12:13], s12, v3
	s_mov_b32 s17, 0x7f800000
	v_ldexp_f32 v53, v53, v54
	v_cndmask_b32_e64 v53, 0, v53, s[12:13]
	s_mov_b32 s12, 0x42b17218
	v_mov_b32_e32 v54, 0x7f800000
	v_cmp_nlt_f32_e64 s[12:13], s12, v3
	s_nop 1
	v_cndmask_b32_e64 v53, v54, v53, s[12:13]
	v_add_f32_e32 v3, 1.0, v53
	v_add_f32_e32 v54, -1.0, v3
	v_sub_f32_e32 v55, v54, v3
	v_add_f32_e32 v55, 1.0, v55
	v_sub_f32_e32 v54, v53, v54
	v_add_f32_e32 v64, v54, v55
	v_frexp_mant_f32_e32 v65, v3
	s_mov_b32 s12, 0x3f2aaaab
	v_cvt_f64_f32_e32 v[54:55], v3
	v_frexp_exp_i32_f64_e32 v54, v[54:55]
	v_cmp_gt_f32_e64 s[12:13], s12, v65
	s_nop 1
	v_subbrev_co_u32_e64 v70, s[12:13], 0, v54, s[12:13]
	v_sub_u32_e32 v54, 0, v70
	v_ldexp_f32 v3, v3, v54
	v_ldexp_f32 v54, v64, v54
	v_add_f32_e32 v64, -1.0, v3
	v_add_f32_e32 v55, 1.0, v64
	v_sub_f32_e32 v55, v3, v55
	v_add_f32_e32 v65, v54, v55
	v_add_f32_e32 v55, 1.0, v3
	v_add_f32_e32 v66, -1.0, v55
	v_sub_f32_e32 v3, v3, v66
	v_add_f32_e32 v3, v54, v3
	v_add_f32_e32 v71, v55, v3
	v_rcp_f32_e32 v80, v71
	v_sub_f32_e32 v54, v55, v71
	v_add_f32_e32 v55, v64, v65
	v_add_f32_e32 v3, v3, v54
	v_mul_f32_e32 v82, v55, v80
	v_sub_f32_e32 v54, v64, v55
	v_mul_f32_e32 v64, v71, v82
	v_fma_f32 v66, v82, v71, -v64
	v_fmac_f32_e32 v66, v82, v3
	v_add_f32_e32 v81, v65, v54
	v_add_f32_e32 v54, v64, v66
	v_sub_f32_e32 v65, v55, v54
	v_pk_add_f32 v[68:69], v[54:55], v[64:65] neg_lo:[0,1] neg_hi:[0,1]
	v_mov_b32_e32 v67, v54
	v_pk_add_f32 v[54:55], v[68:69], v[66:67] neg_lo:[0,1] neg_hi:[0,1]
	s_mov_b32 s12, 0x3f317218
	v_add_f32_e32 v55, v81, v55
	v_add_f32_e32 v54, v54, v55
	;; [unrolled: 1-line block ×3, first 2 shown]
	v_mul_f32_e32 v81, v80, v55
	v_mul_f32_e32 v64, v71, v81
	v_fma_f32 v66, v81, v71, -v64
	v_fmac_f32_e32 v66, v81, v3
	v_sub_f32_e32 v3, v65, v55
	v_add_f32_e32 v3, v54, v3
	v_add_f32_e32 v54, v64, v66
	v_sub_f32_e32 v65, v55, v54
	v_pk_add_f32 v[68:69], v[54:55], v[64:65] neg_lo:[0,1] neg_hi:[0,1]
	v_mov_b32_e32 v67, v54
	v_pk_add_f32 v[54:55], v[68:69], v[66:67] neg_lo:[0,1] neg_hi:[0,1]
	v_cvt_f32_i32_e32 v64, v70
	v_add_f32_e32 v3, v3, v55
	v_add_f32_e32 v3, v54, v3
	;; [unrolled: 1-line block ×4, first 2 shown]
	v_sub_f32_e32 v55, v54, v82
	v_mul_f32_e32 v3, v80, v3
	v_sub_f32_e32 v55, v81, v55
	v_add_f32_e32 v3, v55, v3
	v_add_f32_e32 v65, v54, v3
	v_mul_f32_e32 v66, v65, v65
	v_mov_b32_e32 v55, 0x3ecc95a3
	v_fmac_f32_e32 v55, 0x3e9b6dac, v66
	v_sub_f32_e32 v54, v65, v54
	v_fmaak_f32 v55, v66, v55, 0x3f2aaada
	v_sub_f32_e32 v3, v3, v54
	v_ldexp_f32 v67, v65, 1
	v_mul_f32_e32 v65, v65, v66
	v_mov_b32_e32 v54, 0x3f317218
	v_pk_mul_f32 v[54:55], v[64:65], v[54:55]
	v_ldexp_f32 v3, v3, 1
	v_fma_f32 v65, v64, s12, -v54
	v_fmamk_f32 v66, v64, 0xb102e308, v65
	v_pk_add_f32 v[64:65], v[54:55], v[66:67]
	v_mov_b32_e32 v68, v54
	v_sub_f32_e32 v67, v65, v67
	v_sub_f32_e32 v67, v55, v67
	v_add_f32_e32 v69, v3, v67
	v_pk_add_f32 v[54:55], v[64:65], v[54:55] neg_lo:[0,1] neg_hi:[0,1]
	v_pk_add_f32 v[70:71], v[64:65], v[68:69]
	v_mov_b32_e32 v67, v64
	v_mov_b32_e32 v55, v71
	v_pk_add_f32 v[80:81], v[66:67], v[54:55] neg_lo:[0,1] neg_hi:[0,1]
	v_pk_add_f32 v[54:55], v[66:67], v[54:55]
	v_mov_b32_e32 v68, v69
	v_mov_b32_e32 v66, v55
	v_pk_add_f32 v[82:83], v[66:67], v[64:65] neg_lo:[0,1] neg_hi:[0,1]
	v_mov_b32_e32 v54, v71
	v_mov_b32_e32 v3, v82
	v_pk_add_f32 v[84:85], v[70:71], v[2:3] neg_lo:[0,1] neg_hi:[0,1]
	v_mov_b32_e32 v70, v65
	v_mov_b32_e32 v71, v82
	;; [unrolled: 1-line block ×3, first 2 shown]
	v_pk_add_f32 v[54:55], v[54:55], v[70:71] neg_lo:[0,1] neg_hi:[0,1]
	v_mov_b32_e32 v69, v64
	v_pk_add_f32 v[54:55], v[68:69], v[54:55] neg_lo:[0,1] neg_hi:[0,1]
	v_mov_b32_e32 v84, v80
	v_pk_add_f32 v[64:65], v[84:85], v[54:55]
	v_cmp_eq_f32_e64 s[12:13], s17, v53
	v_mov_b32_e32 v68, v65
	v_pk_add_f32 v[68:69], v[64:65], v[68:69]
	s_mov_b32 s17, 0x33800000
	v_pk_add_f32 v[66:67], v[66:67], v[68:69]
	v_mov_b32_e32 v55, v68
	v_mov_b32_e32 v65, v66
	v_pk_add_f32 v[70:71], v[64:65], v[80:81] neg_lo:[0,1] neg_hi:[0,1]
	v_cmp_lt_f32_e64 s[18:19], |v53|, s17
	v_sub_f32_e32 v3, v64, v70
	v_pk_add_f32 v[54:55], v[54:55], v[70:71] neg_lo:[0,1] neg_hi:[0,1]
	v_sub_f32_e32 v3, v80, v3
	v_add_f32_e32 v3, v54, v3
	v_add_f32_e32 v3, v3, v55
	;; [unrolled: 1-line block ×3, first 2 shown]
	s_or_b64 s[12:13], s[12:13], s[18:19]
	v_cndmask_b32_e64 v3, v3, v53, s[12:13]
	v_add_f32_e32 v53, v2, v3
.LBB141_284:
	s_or_b64 exec, exec, s[14:15]
	v_max_f32_e32 v54, v38, v38
	v_max_f32_e32 v2, v53, v53
	v_min_f32_e32 v3, v2, v54
	v_cmp_u_f32_e64 s[14:15], v53, v53
	v_max_f32_e32 v2, v2, v54
	v_cmp_u_f32_e64 s[12:13], v38, v38
	v_cndmask_b32_e64 v3, v3, v53, s[14:15]
	v_cndmask_b32_e64 v2, v2, v53, s[14:15]
	;; [unrolled: 1-line block ×4, first 2 shown]
	v_cmp_neq_f32_e64 s[14:15], v3, v2
	v_cmp_class_f32_e64 s[16:17], v3, s16
	s_or_b64 s[14:15], s[14:15], s[16:17]
	s_and_saveexec_b64 s[16:17], s[14:15]
	s_cbranch_execz .LBB141_286
; %bb.285:
	v_sub_f32_e32 v3, v3, v2
	s_mov_b32 s14, 0x3fb8aa3b
	v_mul_f32_e32 v53, 0x3fb8aa3b, v3
	v_fma_f32 v55, v3, s14, -v53
	v_rndne_f32_e32 v64, v53
	v_fmamk_f32 v55, v3, 0x32a5705f, v55
	v_sub_f32_e32 v53, v53, v64
	v_add_f32_e32 v53, v53, v55
	v_exp_f32_e32 v53, v53
	v_cvt_i32_f32_e32 v55, v64
	s_mov_b32 s14, 0xc2ce8ed0
	v_cmp_ngt_f32_e64 s[14:15], s14, v3
	s_mov_b32 s18, 0x7f800000
	v_ldexp_f32 v53, v53, v55
	v_cndmask_b32_e64 v53, 0, v53, s[14:15]
	s_mov_b32 s14, 0x42b17218
	v_mov_b32_e32 v55, 0x7f800000
	v_cmp_nlt_f32_e64 s[14:15], s14, v3
	s_nop 1
	v_cndmask_b32_e64 v53, v55, v53, s[14:15]
	v_add_f32_e32 v3, 1.0, v53
	v_add_f32_e32 v55, -1.0, v3
	v_sub_f32_e32 v64, v55, v3
	v_add_f32_e32 v64, 1.0, v64
	v_sub_f32_e32 v55, v53, v55
	v_add_f32_e32 v55, v55, v64
	v_frexp_mant_f32_e32 v66, v3
	s_mov_b32 s14, 0x3f2aaaab
	v_cvt_f64_f32_e32 v[64:65], v3
	v_frexp_exp_i32_f64_e32 v64, v[64:65]
	v_cmp_gt_f32_e64 s[14:15], s14, v66
	s_nop 1
	v_subbrev_co_u32_e64 v80, s[14:15], 0, v64, s[14:15]
	v_sub_u32_e32 v64, 0, v80
	v_ldexp_f32 v3, v3, v64
	v_ldexp_f32 v55, v55, v64
	v_add_f32_e32 v64, -1.0, v3
	v_add_f32_e32 v65, 1.0, v64
	v_sub_f32_e32 v65, v3, v65
	v_add_f32_e32 v66, v55, v65
	v_add_f32_e32 v65, 1.0, v3
	v_add_f32_e32 v67, -1.0, v65
	v_sub_f32_e32 v3, v3, v67
	v_add_f32_e32 v3, v55, v3
	v_add_f32_e32 v55, v65, v3
	v_rcp_f32_e32 v81, v55
	v_sub_f32_e32 v65, v65, v55
	v_add_f32_e32 v3, v3, v65
	v_add_f32_e32 v65, v64, v66
	v_sub_f32_e32 v64, v64, v65
	v_mul_f32_e32 v83, v65, v81
	v_add_f32_e32 v82, v66, v64
	v_mul_f32_e32 v66, v55, v83
	v_fma_f32 v68, v83, v55, -v66
	v_fmac_f32_e32 v68, v83, v3
	v_add_f32_e32 v64, v66, v68
	v_sub_f32_e32 v67, v65, v64
	v_pk_add_f32 v[70:71], v[64:65], v[66:67] neg_lo:[0,1] neg_hi:[0,1]
	v_mov_b32_e32 v69, v64
	v_pk_add_f32 v[64:65], v[70:71], v[68:69] neg_lo:[0,1] neg_hi:[0,1]
	s_mov_b32 s14, 0x3f317218
	v_add_f32_e32 v65, v82, v65
	v_add_f32_e32 v64, v64, v65
	;; [unrolled: 1-line block ×3, first 2 shown]
	v_mul_f32_e32 v82, v81, v65
	v_mul_f32_e32 v66, v55, v82
	v_fma_f32 v68, v82, v55, -v66
	v_fmac_f32_e32 v68, v82, v3
	v_sub_f32_e32 v3, v67, v65
	v_add_f32_e32 v3, v64, v3
	v_add_f32_e32 v64, v66, v68
	v_sub_f32_e32 v67, v65, v64
	v_pk_add_f32 v[70:71], v[64:65], v[66:67] neg_lo:[0,1] neg_hi:[0,1]
	v_mov_b32_e32 v69, v64
	v_pk_add_f32 v[64:65], v[70:71], v[68:69] neg_lo:[0,1] neg_hi:[0,1]
	v_add_f32_e32 v55, v83, v82
	v_add_f32_e32 v3, v3, v65
	;; [unrolled: 1-line block ×4, first 2 shown]
	v_sub_f32_e32 v64, v55, v83
	v_mul_f32_e32 v3, v81, v3
	v_sub_f32_e32 v64, v82, v64
	v_add_f32_e32 v3, v64, v3
	v_add_f32_e32 v64, v55, v3
	v_cvt_f32_i32_e32 v66, v80
	v_mul_f32_e32 v67, v64, v64
	v_mov_b32_e32 v65, 0x3ecc95a3
	v_fmac_f32_e32 v65, 0x3e9b6dac, v67
	v_fmaak_f32 v65, v67, v65, 0x3f2aaada
	v_sub_f32_e32 v55, v64, v55
	v_ldexp_f32 v69, v64, 1
	v_mul_f32_e32 v67, v64, v67
	v_mov_b32_e32 v64, 0x3f317218
	v_pk_mul_f32 v[64:65], v[66:67], v[64:65]
	v_sub_f32_e32 v3, v3, v55
	v_fma_f32 v55, v66, s14, -v64
	v_fmamk_f32 v68, v66, 0xb102e308, v55
	v_pk_add_f32 v[66:67], v[64:65], v[68:69]
	v_ldexp_f32 v3, v3, 1
	v_sub_f32_e32 v55, v67, v69
	v_sub_f32_e32 v55, v65, v55
	v_add_f32_e32 v71, v3, v55
	v_mov_b32_e32 v70, v64
	v_pk_add_f32 v[64:65], v[66:67], v[64:65] neg_lo:[0,1] neg_hi:[0,1]
	v_pk_add_f32 v[80:81], v[66:67], v[70:71]
	v_mov_b32_e32 v69, v66
	v_mov_b32_e32 v65, v81
	v_pk_add_f32 v[82:83], v[68:69], v[64:65] neg_lo:[0,1] neg_hi:[0,1]
	v_pk_add_f32 v[64:65], v[68:69], v[64:65]
	v_mov_b32_e32 v70, v71
	v_mov_b32_e32 v68, v65
	v_pk_add_f32 v[84:85], v[68:69], v[66:67] neg_lo:[0,1] neg_hi:[0,1]
	v_mov_b32_e32 v64, v81
	v_mov_b32_e32 v3, v84
	v_pk_add_f32 v[86:87], v[80:81], v[2:3] neg_lo:[0,1] neg_hi:[0,1]
	v_mov_b32_e32 v80, v67
	v_mov_b32_e32 v81, v84
	;; [unrolled: 1-line block ×3, first 2 shown]
	v_pk_add_f32 v[64:65], v[64:65], v[80:81] neg_lo:[0,1] neg_hi:[0,1]
	v_mov_b32_e32 v71, v66
	v_pk_add_f32 v[64:65], v[70:71], v[64:65] neg_lo:[0,1] neg_hi:[0,1]
	v_mov_b32_e32 v86, v82
	v_pk_add_f32 v[66:67], v[86:87], v[64:65]
	v_cmp_eq_f32_e64 s[14:15], s18, v53
	v_mov_b32_e32 v70, v67
	v_pk_add_f32 v[70:71], v[66:67], v[70:71]
	s_mov_b32 s18, 0x33800000
	v_pk_add_f32 v[68:69], v[68:69], v[70:71]
	v_mov_b32_e32 v65, v70
	v_mov_b32_e32 v67, v68
	v_pk_add_f32 v[80:81], v[66:67], v[82:83] neg_lo:[0,1] neg_hi:[0,1]
	v_cmp_lt_f32_e64 s[18:19], |v53|, s18
	v_sub_f32_e32 v3, v66, v80
	v_pk_add_f32 v[64:65], v[64:65], v[80:81] neg_lo:[0,1] neg_hi:[0,1]
	v_sub_f32_e32 v3, v82, v3
	v_add_f32_e32 v3, v64, v3
	v_add_f32_e32 v3, v3, v65
	;; [unrolled: 1-line block ×3, first 2 shown]
	s_or_b64 s[14:15], s[14:15], s[18:19]
	v_cndmask_b32_e64 v3, v3, v53, s[14:15]
	v_add_f32_e32 v53, v2, v3
.LBB141_286:
	s_or_b64 exec, exec, s[16:17]
	v_max_f32_e32 v55, v39, v39
	v_max_f32_e32 v2, v53, v53
	v_min_f32_e32 v3, v2, v55
	v_cmp_u_f32_e64 s[16:17], v53, v53
	v_max_f32_e32 v2, v2, v55
	v_cmp_u_f32_e64 s[14:15], v39, v39
	v_cndmask_b32_e64 v3, v3, v53, s[16:17]
	v_cndmask_b32_e64 v2, v2, v53, s[16:17]
	;; [unrolled: 1-line block ×4, first 2 shown]
	s_movk_i32 s20, 0x1f8
	v_cmp_neq_f32_e64 s[16:17], v3, v2
	v_cmp_class_f32_e64 s[18:19], v3, s20
	s_or_b64 s[16:17], s[16:17], s[18:19]
	s_and_saveexec_b64 s[18:19], s[16:17]
	s_cbranch_execz .LBB141_288
; %bb.287:
	v_sub_f32_e32 v3, v3, v2
	s_mov_b32 s16, 0x3fb8aa3b
	v_mul_f32_e32 v53, 0x3fb8aa3b, v3
	v_fma_f32 v64, v3, s16, -v53
	v_rndne_f32_e32 v65, v53
	v_fmamk_f32 v64, v3, 0x32a5705f, v64
	v_sub_f32_e32 v53, v53, v65
	v_add_f32_e32 v53, v53, v64
	v_exp_f32_e32 v53, v53
	v_cvt_i32_f32_e32 v64, v65
	s_mov_b32 s16, 0xc2ce8ed0
	v_cmp_ngt_f32_e64 s[16:17], s16, v3
	s_mov_b32 s21, 0x7f800000
	v_ldexp_f32 v53, v53, v64
	v_cndmask_b32_e64 v53, 0, v53, s[16:17]
	s_mov_b32 s16, 0x42b17218
	v_mov_b32_e32 v64, 0x7f800000
	v_cmp_nlt_f32_e64 s[16:17], s16, v3
	s_nop 1
	v_cndmask_b32_e64 v53, v64, v53, s[16:17]
	v_add_f32_e32 v3, 1.0, v53
	v_add_f32_e32 v64, -1.0, v3
	v_sub_f32_e32 v65, v64, v3
	v_add_f32_e32 v65, 1.0, v65
	v_sub_f32_e32 v64, v53, v64
	v_add_f32_e32 v66, v64, v65
	v_frexp_mant_f32_e32 v67, v3
	s_mov_b32 s16, 0x3f2aaaab
	v_cvt_f64_f32_e32 v[64:65], v3
	v_frexp_exp_i32_f64_e32 v64, v[64:65]
	v_cmp_gt_f32_e64 s[16:17], s16, v67
	s_nop 1
	v_subbrev_co_u32_e64 v80, s[16:17], 0, v64, s[16:17]
	v_sub_u32_e32 v64, 0, v80
	v_ldexp_f32 v3, v3, v64
	v_ldexp_f32 v64, v66, v64
	v_add_f32_e32 v66, -1.0, v3
	v_add_f32_e32 v65, 1.0, v66
	v_sub_f32_e32 v65, v3, v65
	v_add_f32_e32 v67, v64, v65
	v_add_f32_e32 v65, 1.0, v3
	v_add_f32_e32 v68, -1.0, v65
	v_sub_f32_e32 v3, v3, v68
	v_add_f32_e32 v3, v64, v3
	v_add_f32_e32 v81, v65, v3
	v_rcp_f32_e32 v82, v81
	v_sub_f32_e32 v64, v65, v81
	v_add_f32_e32 v65, v66, v67
	v_add_f32_e32 v3, v3, v64
	v_mul_f32_e32 v84, v65, v82
	v_sub_f32_e32 v64, v66, v65
	v_mul_f32_e32 v66, v81, v84
	v_fma_f32 v68, v84, v81, -v66
	v_fmac_f32_e32 v68, v84, v3
	v_add_f32_e32 v83, v67, v64
	v_add_f32_e32 v64, v66, v68
	v_sub_f32_e32 v67, v65, v64
	v_pk_add_f32 v[70:71], v[64:65], v[66:67] neg_lo:[0,1] neg_hi:[0,1]
	v_mov_b32_e32 v69, v64
	v_pk_add_f32 v[64:65], v[70:71], v[68:69] neg_lo:[0,1] neg_hi:[0,1]
	s_mov_b32 s16, 0x3f317218
	v_add_f32_e32 v65, v83, v65
	v_add_f32_e32 v64, v64, v65
	;; [unrolled: 1-line block ×3, first 2 shown]
	v_mul_f32_e32 v83, v82, v65
	v_mul_f32_e32 v66, v81, v83
	v_fma_f32 v68, v83, v81, -v66
	v_fmac_f32_e32 v68, v83, v3
	v_sub_f32_e32 v3, v67, v65
	v_add_f32_e32 v3, v64, v3
	v_add_f32_e32 v64, v66, v68
	v_sub_f32_e32 v67, v65, v64
	v_pk_add_f32 v[70:71], v[64:65], v[66:67] neg_lo:[0,1] neg_hi:[0,1]
	v_mov_b32_e32 v69, v64
	v_pk_add_f32 v[64:65], v[70:71], v[68:69] neg_lo:[0,1] neg_hi:[0,1]
	v_cvt_f32_i32_e32 v66, v80
	v_add_f32_e32 v3, v3, v65
	v_add_f32_e32 v3, v64, v3
	;; [unrolled: 1-line block ×4, first 2 shown]
	v_sub_f32_e32 v65, v64, v84
	v_mul_f32_e32 v3, v82, v3
	v_sub_f32_e32 v65, v83, v65
	v_add_f32_e32 v3, v65, v3
	v_add_f32_e32 v67, v64, v3
	v_mul_f32_e32 v68, v67, v67
	v_mov_b32_e32 v65, 0x3ecc95a3
	v_fmac_f32_e32 v65, 0x3e9b6dac, v68
	v_sub_f32_e32 v64, v67, v64
	v_fmaak_f32 v65, v68, v65, 0x3f2aaada
	v_sub_f32_e32 v3, v3, v64
	v_ldexp_f32 v69, v67, 1
	v_mul_f32_e32 v67, v67, v68
	v_mov_b32_e32 v64, 0x3f317218
	v_pk_mul_f32 v[64:65], v[66:67], v[64:65]
	v_ldexp_f32 v3, v3, 1
	v_fma_f32 v67, v66, s16, -v64
	v_fmamk_f32 v68, v66, 0xb102e308, v67
	v_pk_add_f32 v[66:67], v[64:65], v[68:69]
	v_mov_b32_e32 v70, v64
	v_sub_f32_e32 v69, v67, v69
	v_sub_f32_e32 v69, v65, v69
	v_add_f32_e32 v71, v3, v69
	v_pk_add_f32 v[64:65], v[66:67], v[64:65] neg_lo:[0,1] neg_hi:[0,1]
	v_pk_add_f32 v[80:81], v[66:67], v[70:71]
	v_mov_b32_e32 v69, v66
	v_mov_b32_e32 v65, v81
	v_pk_add_f32 v[82:83], v[68:69], v[64:65] neg_lo:[0,1] neg_hi:[0,1]
	v_pk_add_f32 v[64:65], v[68:69], v[64:65]
	v_mov_b32_e32 v70, v71
	v_mov_b32_e32 v68, v65
	v_pk_add_f32 v[84:85], v[68:69], v[66:67] neg_lo:[0,1] neg_hi:[0,1]
	v_mov_b32_e32 v64, v81
	v_mov_b32_e32 v3, v84
	v_pk_add_f32 v[86:87], v[80:81], v[2:3] neg_lo:[0,1] neg_hi:[0,1]
	v_mov_b32_e32 v80, v67
	v_mov_b32_e32 v81, v84
	;; [unrolled: 1-line block ×3, first 2 shown]
	v_pk_add_f32 v[64:65], v[64:65], v[80:81] neg_lo:[0,1] neg_hi:[0,1]
	v_mov_b32_e32 v71, v66
	v_pk_add_f32 v[64:65], v[70:71], v[64:65] neg_lo:[0,1] neg_hi:[0,1]
	v_mov_b32_e32 v86, v82
	v_pk_add_f32 v[66:67], v[86:87], v[64:65]
	v_cmp_eq_f32_e64 s[16:17], s21, v53
	v_mov_b32_e32 v70, v67
	v_pk_add_f32 v[70:71], v[66:67], v[70:71]
	s_mov_b32 s21, 0x33800000
	v_pk_add_f32 v[68:69], v[68:69], v[70:71]
	v_mov_b32_e32 v65, v70
	v_mov_b32_e32 v67, v68
	v_pk_add_f32 v[80:81], v[66:67], v[82:83] neg_lo:[0,1] neg_hi:[0,1]
	v_cmp_lt_f32_e64 s[22:23], |v53|, s21
	v_sub_f32_e32 v3, v66, v80
	v_pk_add_f32 v[64:65], v[64:65], v[80:81] neg_lo:[0,1] neg_hi:[0,1]
	v_sub_f32_e32 v3, v82, v3
	v_add_f32_e32 v3, v64, v3
	v_add_f32_e32 v3, v3, v65
	;; [unrolled: 1-line block ×3, first 2 shown]
	s_or_b64 s[16:17], s[16:17], s[22:23]
	v_cndmask_b32_e64 v3, v3, v53, s[16:17]
	v_add_f32_e32 v53, v2, v3
.LBB141_288:
	s_or_b64 exec, exec, s[18:19]
	v_max_f32_e32 v64, v32, v32
	v_max_f32_e32 v2, v53, v53
	v_min_f32_e32 v3, v2, v64
	v_cmp_u_f32_e64 s[18:19], v53, v53
	v_max_f32_e32 v2, v2, v64
	v_cmp_u_f32_e64 s[16:17], v32, v32
	v_cndmask_b32_e64 v3, v3, v53, s[18:19]
	v_cndmask_b32_e64 v2, v2, v53, s[18:19]
	;; [unrolled: 1-line block ×4, first 2 shown]
	v_cmp_neq_f32_e64 s[18:19], v3, v2
	v_cmp_class_f32_e64 s[20:21], v3, s20
	s_or_b64 s[18:19], s[18:19], s[20:21]
	s_and_saveexec_b64 s[20:21], s[18:19]
	s_cbranch_execz .LBB141_290
; %bb.289:
	v_sub_f32_e32 v3, v3, v2
	s_mov_b32 s18, 0x3fb8aa3b
	v_mul_f32_e32 v53, 0x3fb8aa3b, v3
	v_fma_f32 v65, v3, s18, -v53
	v_rndne_f32_e32 v66, v53
	v_fmamk_f32 v65, v3, 0x32a5705f, v65
	v_sub_f32_e32 v53, v53, v66
	v_add_f32_e32 v53, v53, v65
	v_exp_f32_e32 v53, v53
	v_cvt_i32_f32_e32 v65, v66
	s_mov_b32 s18, 0xc2ce8ed0
	v_cmp_ngt_f32_e64 s[18:19], s18, v3
	s_mov_b32 s22, 0x7f800000
	v_ldexp_f32 v53, v53, v65
	v_cndmask_b32_e64 v53, 0, v53, s[18:19]
	s_mov_b32 s18, 0x42b17218
	v_mov_b32_e32 v65, 0x7f800000
	v_cmp_nlt_f32_e64 s[18:19], s18, v3
	s_nop 1
	v_cndmask_b32_e64 v53, v65, v53, s[18:19]
	v_add_f32_e32 v3, 1.0, v53
	v_add_f32_e32 v65, -1.0, v3
	v_sub_f32_e32 v66, v65, v3
	v_add_f32_e32 v66, 1.0, v66
	v_sub_f32_e32 v65, v53, v65
	v_add_f32_e32 v65, v65, v66
	v_frexp_mant_f32_e32 v68, v3
	s_mov_b32 s18, 0x3f2aaaab
	v_cvt_f64_f32_e32 v[66:67], v3
	v_frexp_exp_i32_f64_e32 v66, v[66:67]
	v_cmp_gt_f32_e64 s[18:19], s18, v68
	s_nop 1
	v_subbrev_co_u32_e64 v82, s[18:19], 0, v66, s[18:19]
	v_sub_u32_e32 v66, 0, v82
	v_ldexp_f32 v3, v3, v66
	v_ldexp_f32 v65, v65, v66
	v_add_f32_e32 v66, -1.0, v3
	v_add_f32_e32 v67, 1.0, v66
	v_sub_f32_e32 v67, v3, v67
	v_add_f32_e32 v68, v65, v67
	v_add_f32_e32 v67, 1.0, v3
	v_add_f32_e32 v69, -1.0, v67
	v_sub_f32_e32 v3, v3, v69
	v_add_f32_e32 v3, v65, v3
	v_add_f32_e32 v65, v67, v3
	v_rcp_f32_e32 v83, v65
	v_sub_f32_e32 v67, v67, v65
	v_add_f32_e32 v3, v3, v67
	v_add_f32_e32 v67, v66, v68
	v_sub_f32_e32 v66, v66, v67
	v_mul_f32_e32 v85, v67, v83
	v_add_f32_e32 v84, v68, v66
	v_mul_f32_e32 v68, v65, v85
	v_fma_f32 v70, v85, v65, -v68
	v_fmac_f32_e32 v70, v85, v3
	v_add_f32_e32 v66, v68, v70
	v_sub_f32_e32 v69, v67, v66
	v_pk_add_f32 v[80:81], v[66:67], v[68:69] neg_lo:[0,1] neg_hi:[0,1]
	v_mov_b32_e32 v71, v66
	v_pk_add_f32 v[66:67], v[80:81], v[70:71] neg_lo:[0,1] neg_hi:[0,1]
	s_mov_b32 s18, 0x3f317218
	v_add_f32_e32 v67, v84, v67
	v_add_f32_e32 v66, v66, v67
	;; [unrolled: 1-line block ×3, first 2 shown]
	v_mul_f32_e32 v84, v83, v67
	v_mul_f32_e32 v68, v65, v84
	v_fma_f32 v70, v84, v65, -v68
	v_fmac_f32_e32 v70, v84, v3
	v_sub_f32_e32 v3, v69, v67
	v_add_f32_e32 v3, v66, v3
	v_add_f32_e32 v66, v68, v70
	v_sub_f32_e32 v69, v67, v66
	v_pk_add_f32 v[80:81], v[66:67], v[68:69] neg_lo:[0,1] neg_hi:[0,1]
	v_mov_b32_e32 v71, v66
	v_pk_add_f32 v[66:67], v[80:81], v[70:71] neg_lo:[0,1] neg_hi:[0,1]
	v_add_f32_e32 v65, v85, v84
	v_add_f32_e32 v3, v3, v67
	;; [unrolled: 1-line block ×4, first 2 shown]
	v_sub_f32_e32 v66, v65, v85
	v_mul_f32_e32 v3, v83, v3
	v_sub_f32_e32 v66, v84, v66
	v_add_f32_e32 v3, v66, v3
	v_add_f32_e32 v66, v65, v3
	v_cvt_f32_i32_e32 v68, v82
	v_mul_f32_e32 v69, v66, v66
	v_mov_b32_e32 v67, 0x3ecc95a3
	v_fmac_f32_e32 v67, 0x3e9b6dac, v69
	v_fmaak_f32 v67, v69, v67, 0x3f2aaada
	v_sub_f32_e32 v65, v66, v65
	v_ldexp_f32 v71, v66, 1
	v_mul_f32_e32 v69, v66, v69
	v_mov_b32_e32 v66, 0x3f317218
	v_pk_mul_f32 v[66:67], v[68:69], v[66:67]
	v_sub_f32_e32 v3, v3, v65
	v_fma_f32 v65, v68, s18, -v66
	v_fmamk_f32 v70, v68, 0xb102e308, v65
	v_pk_add_f32 v[68:69], v[66:67], v[70:71]
	v_ldexp_f32 v3, v3, 1
	v_sub_f32_e32 v65, v69, v71
	v_sub_f32_e32 v65, v67, v65
	v_add_f32_e32 v81, v3, v65
	v_mov_b32_e32 v80, v66
	v_pk_add_f32 v[66:67], v[68:69], v[66:67] neg_lo:[0,1] neg_hi:[0,1]
	v_pk_add_f32 v[82:83], v[68:69], v[80:81]
	v_mov_b32_e32 v71, v68
	v_mov_b32_e32 v67, v83
	v_pk_add_f32 v[84:85], v[70:71], v[66:67] neg_lo:[0,1] neg_hi:[0,1]
	v_pk_add_f32 v[66:67], v[70:71], v[66:67]
	v_mov_b32_e32 v80, v81
	v_mov_b32_e32 v70, v67
	v_pk_add_f32 v[86:87], v[70:71], v[68:69] neg_lo:[0,1] neg_hi:[0,1]
	v_mov_b32_e32 v66, v83
	v_mov_b32_e32 v3, v86
	v_pk_add_f32 v[102:103], v[82:83], v[2:3] neg_lo:[0,1] neg_hi:[0,1]
	v_mov_b32_e32 v82, v69
	v_mov_b32_e32 v83, v86
	;; [unrolled: 1-line block ×3, first 2 shown]
	v_pk_add_f32 v[66:67], v[66:67], v[82:83] neg_lo:[0,1] neg_hi:[0,1]
	v_mov_b32_e32 v81, v68
	v_pk_add_f32 v[66:67], v[80:81], v[66:67] neg_lo:[0,1] neg_hi:[0,1]
	v_mov_b32_e32 v102, v84
	v_pk_add_f32 v[68:69], v[102:103], v[66:67]
	v_cmp_eq_f32_e64 s[18:19], s22, v53
	v_mov_b32_e32 v80, v69
	v_pk_add_f32 v[80:81], v[68:69], v[80:81]
	s_mov_b32 s22, 0x33800000
	v_pk_add_f32 v[70:71], v[70:71], v[80:81]
	v_mov_b32_e32 v67, v80
	v_mov_b32_e32 v69, v70
	v_pk_add_f32 v[82:83], v[68:69], v[84:85] neg_lo:[0,1] neg_hi:[0,1]
	v_cmp_lt_f32_e64 s[22:23], |v53|, s22
	v_sub_f32_e32 v3, v68, v82
	v_pk_add_f32 v[66:67], v[66:67], v[82:83] neg_lo:[0,1] neg_hi:[0,1]
	v_sub_f32_e32 v3, v84, v3
	v_add_f32_e32 v3, v66, v3
	v_add_f32_e32 v3, v3, v67
	;; [unrolled: 1-line block ×3, first 2 shown]
	s_or_b64 s[18:19], s[18:19], s[22:23]
	v_cndmask_b32_e64 v3, v3, v53, s[18:19]
	v_add_f32_e32 v53, v2, v3
.LBB141_290:
	s_or_b64 exec, exec, s[20:21]
	v_max_f32_e32 v65, v33, v33
	v_max_f32_e32 v2, v53, v53
	v_min_f32_e32 v3, v2, v65
	v_cmp_u_f32_e64 s[20:21], v53, v53
	v_max_f32_e32 v2, v2, v65
	v_cmp_u_f32_e64 s[18:19], v33, v33
	v_cndmask_b32_e64 v3, v3, v53, s[20:21]
	v_cndmask_b32_e64 v2, v2, v53, s[20:21]
	v_cndmask_b32_e64 v3, v3, v33, s[18:19]
	v_cndmask_b32_e64 v2, v2, v33, s[18:19]
	s_movk_i32 s24, 0x1f8
	v_cmp_neq_f32_e64 s[20:21], v3, v2
	v_cmp_class_f32_e64 s[22:23], v3, s24
	s_or_b64 s[20:21], s[20:21], s[22:23]
	s_and_saveexec_b64 s[22:23], s[20:21]
	s_cbranch_execz .LBB141_292
; %bb.291:
	v_sub_f32_e32 v3, v3, v2
	s_mov_b32 s20, 0x3fb8aa3b
	v_mul_f32_e32 v53, 0x3fb8aa3b, v3
	v_fma_f32 v66, v3, s20, -v53
	v_rndne_f32_e32 v67, v53
	v_fmamk_f32 v66, v3, 0x32a5705f, v66
	v_sub_f32_e32 v53, v53, v67
	v_add_f32_e32 v53, v53, v66
	v_exp_f32_e32 v53, v53
	v_cvt_i32_f32_e32 v66, v67
	s_mov_b32 s20, 0xc2ce8ed0
	v_cmp_ngt_f32_e64 s[20:21], s20, v3
	s_mov_b32 s25, 0x7f800000
	v_ldexp_f32 v53, v53, v66
	v_cndmask_b32_e64 v53, 0, v53, s[20:21]
	s_mov_b32 s20, 0x42b17218
	v_mov_b32_e32 v66, 0x7f800000
	v_cmp_nlt_f32_e64 s[20:21], s20, v3
	s_nop 1
	v_cndmask_b32_e64 v53, v66, v53, s[20:21]
	v_add_f32_e32 v3, 1.0, v53
	v_add_f32_e32 v66, -1.0, v3
	v_sub_f32_e32 v67, v66, v3
	v_add_f32_e32 v67, 1.0, v67
	v_sub_f32_e32 v66, v53, v66
	v_add_f32_e32 v68, v66, v67
	v_frexp_mant_f32_e32 v69, v3
	s_mov_b32 s20, 0x3f2aaaab
	v_cvt_f64_f32_e32 v[66:67], v3
	v_frexp_exp_i32_f64_e32 v66, v[66:67]
	v_cmp_gt_f32_e64 s[20:21], s20, v69
	s_nop 1
	v_subbrev_co_u32_e64 v82, s[20:21], 0, v66, s[20:21]
	v_sub_u32_e32 v66, 0, v82
	v_ldexp_f32 v3, v3, v66
	v_ldexp_f32 v66, v68, v66
	v_add_f32_e32 v68, -1.0, v3
	v_add_f32_e32 v67, 1.0, v68
	v_sub_f32_e32 v67, v3, v67
	v_add_f32_e32 v69, v66, v67
	v_add_f32_e32 v67, 1.0, v3
	v_add_f32_e32 v70, -1.0, v67
	v_sub_f32_e32 v3, v3, v70
	v_add_f32_e32 v3, v66, v3
	v_add_f32_e32 v83, v67, v3
	v_rcp_f32_e32 v84, v83
	v_sub_f32_e32 v66, v67, v83
	v_add_f32_e32 v67, v68, v69
	v_add_f32_e32 v3, v3, v66
	v_mul_f32_e32 v86, v67, v84
	v_sub_f32_e32 v66, v68, v67
	v_mul_f32_e32 v68, v83, v86
	v_fma_f32 v70, v86, v83, -v68
	v_fmac_f32_e32 v70, v86, v3
	v_add_f32_e32 v85, v69, v66
	v_add_f32_e32 v66, v68, v70
	v_sub_f32_e32 v69, v67, v66
	v_pk_add_f32 v[80:81], v[66:67], v[68:69] neg_lo:[0,1] neg_hi:[0,1]
	v_mov_b32_e32 v71, v66
	v_pk_add_f32 v[66:67], v[80:81], v[70:71] neg_lo:[0,1] neg_hi:[0,1]
	s_mov_b32 s20, 0x3f317218
	v_add_f32_e32 v67, v85, v67
	v_add_f32_e32 v66, v66, v67
	;; [unrolled: 1-line block ×3, first 2 shown]
	v_mul_f32_e32 v85, v84, v67
	v_mul_f32_e32 v68, v83, v85
	v_fma_f32 v70, v85, v83, -v68
	v_fmac_f32_e32 v70, v85, v3
	v_sub_f32_e32 v3, v69, v67
	v_add_f32_e32 v3, v66, v3
	v_add_f32_e32 v66, v68, v70
	v_sub_f32_e32 v69, v67, v66
	v_pk_add_f32 v[80:81], v[66:67], v[68:69] neg_lo:[0,1] neg_hi:[0,1]
	v_mov_b32_e32 v71, v66
	v_pk_add_f32 v[66:67], v[80:81], v[70:71] neg_lo:[0,1] neg_hi:[0,1]
	v_cvt_f32_i32_e32 v68, v82
	v_add_f32_e32 v3, v3, v67
	v_add_f32_e32 v3, v66, v3
	;; [unrolled: 1-line block ×4, first 2 shown]
	v_sub_f32_e32 v67, v66, v86
	v_mul_f32_e32 v3, v84, v3
	v_sub_f32_e32 v67, v85, v67
	v_add_f32_e32 v3, v67, v3
	v_add_f32_e32 v69, v66, v3
	v_mul_f32_e32 v70, v69, v69
	v_mov_b32_e32 v67, 0x3ecc95a3
	v_fmac_f32_e32 v67, 0x3e9b6dac, v70
	v_sub_f32_e32 v66, v69, v66
	v_fmaak_f32 v67, v70, v67, 0x3f2aaada
	v_sub_f32_e32 v3, v3, v66
	v_ldexp_f32 v71, v69, 1
	v_mul_f32_e32 v69, v69, v70
	v_mov_b32_e32 v66, 0x3f317218
	v_pk_mul_f32 v[66:67], v[68:69], v[66:67]
	v_ldexp_f32 v3, v3, 1
	v_fma_f32 v69, v68, s20, -v66
	v_fmamk_f32 v70, v68, 0xb102e308, v69
	v_pk_add_f32 v[68:69], v[66:67], v[70:71]
	v_mov_b32_e32 v80, v66
	v_sub_f32_e32 v71, v69, v71
	v_sub_f32_e32 v71, v67, v71
	v_add_f32_e32 v81, v3, v71
	v_pk_add_f32 v[66:67], v[68:69], v[66:67] neg_lo:[0,1] neg_hi:[0,1]
	v_pk_add_f32 v[82:83], v[68:69], v[80:81]
	v_mov_b32_e32 v71, v68
	v_mov_b32_e32 v67, v83
	v_pk_add_f32 v[84:85], v[70:71], v[66:67] neg_lo:[0,1] neg_hi:[0,1]
	v_pk_add_f32 v[66:67], v[70:71], v[66:67]
	v_mov_b32_e32 v80, v81
	v_mov_b32_e32 v70, v67
	v_pk_add_f32 v[86:87], v[70:71], v[68:69] neg_lo:[0,1] neg_hi:[0,1]
	v_mov_b32_e32 v66, v83
	v_mov_b32_e32 v3, v86
	v_pk_add_f32 v[102:103], v[82:83], v[2:3] neg_lo:[0,1] neg_hi:[0,1]
	v_mov_b32_e32 v82, v69
	v_mov_b32_e32 v83, v86
	v_mov_b32_e32 v85, v67
	v_pk_add_f32 v[66:67], v[66:67], v[82:83] neg_lo:[0,1] neg_hi:[0,1]
	v_mov_b32_e32 v81, v68
	v_pk_add_f32 v[66:67], v[80:81], v[66:67] neg_lo:[0,1] neg_hi:[0,1]
	v_mov_b32_e32 v102, v84
	v_pk_add_f32 v[68:69], v[102:103], v[66:67]
	v_cmp_eq_f32_e64 s[20:21], s25, v53
	v_mov_b32_e32 v80, v69
	v_pk_add_f32 v[80:81], v[68:69], v[80:81]
	s_mov_b32 s25, 0x33800000
	v_pk_add_f32 v[70:71], v[70:71], v[80:81]
	v_mov_b32_e32 v67, v80
	v_mov_b32_e32 v69, v70
	v_pk_add_f32 v[82:83], v[68:69], v[84:85] neg_lo:[0,1] neg_hi:[0,1]
	v_cmp_lt_f32_e64 s[26:27], |v53|, s25
	v_sub_f32_e32 v3, v68, v82
	v_pk_add_f32 v[66:67], v[66:67], v[82:83] neg_lo:[0,1] neg_hi:[0,1]
	v_sub_f32_e32 v3, v84, v3
	v_add_f32_e32 v3, v66, v3
	v_add_f32_e32 v3, v3, v67
	;; [unrolled: 1-line block ×3, first 2 shown]
	s_or_b64 s[20:21], s[20:21], s[26:27]
	v_cndmask_b32_e64 v3, v3, v53, s[20:21]
	v_add_f32_e32 v53, v2, v3
.LBB141_292:
	s_or_b64 exec, exec, s[22:23]
	v_max_f32_e32 v66, v34, v34
	v_max_f32_e32 v2, v53, v53
	v_min_f32_e32 v3, v2, v66
	v_cmp_u_f32_e64 s[22:23], v53, v53
	v_max_f32_e32 v2, v2, v66
	v_cmp_u_f32_e64 s[20:21], v34, v34
	v_cndmask_b32_e64 v3, v3, v53, s[22:23]
	v_cndmask_b32_e64 v2, v2, v53, s[22:23]
	;; [unrolled: 1-line block ×4, first 2 shown]
	v_cmp_neq_f32_e64 s[22:23], v3, v2
	v_cmp_class_f32_e64 s[24:25], v3, s24
	s_or_b64 s[22:23], s[22:23], s[24:25]
	s_and_saveexec_b64 s[24:25], s[22:23]
	s_cbranch_execz .LBB141_294
; %bb.293:
	v_sub_f32_e32 v3, v3, v2
	s_mov_b32 s22, 0x3fb8aa3b
	v_mul_f32_e32 v53, 0x3fb8aa3b, v3
	v_fma_f32 v67, v3, s22, -v53
	v_rndne_f32_e32 v68, v53
	v_fmamk_f32 v67, v3, 0x32a5705f, v67
	v_sub_f32_e32 v53, v53, v68
	v_add_f32_e32 v53, v53, v67
	v_exp_f32_e32 v53, v53
	v_cvt_i32_f32_e32 v67, v68
	s_mov_b32 s22, 0xc2ce8ed0
	v_cmp_ngt_f32_e64 s[22:23], s22, v3
	s_mov_b32 s26, 0x7f800000
	v_ldexp_f32 v53, v53, v67
	v_cndmask_b32_e64 v53, 0, v53, s[22:23]
	s_mov_b32 s22, 0x42b17218
	v_mov_b32_e32 v67, 0x7f800000
	v_cmp_nlt_f32_e64 s[22:23], s22, v3
	s_nop 1
	v_cndmask_b32_e64 v53, v67, v53, s[22:23]
	v_add_f32_e32 v3, 1.0, v53
	v_add_f32_e32 v67, -1.0, v3
	v_sub_f32_e32 v68, v67, v3
	v_add_f32_e32 v68, 1.0, v68
	v_sub_f32_e32 v67, v53, v67
	v_add_f32_e32 v67, v67, v68
	v_frexp_mant_f32_e32 v70, v3
	s_mov_b32 s22, 0x3f2aaaab
	v_cvt_f64_f32_e32 v[68:69], v3
	v_frexp_exp_i32_f64_e32 v68, v[68:69]
	v_cmp_gt_f32_e64 s[22:23], s22, v70
	s_nop 1
	v_subbrev_co_u32_e64 v84, s[22:23], 0, v68, s[22:23]
	v_sub_u32_e32 v68, 0, v84
	v_ldexp_f32 v3, v3, v68
	v_ldexp_f32 v67, v67, v68
	v_add_f32_e32 v68, -1.0, v3
	v_add_f32_e32 v69, 1.0, v68
	v_sub_f32_e32 v69, v3, v69
	v_add_f32_e32 v70, v67, v69
	v_add_f32_e32 v69, 1.0, v3
	v_add_f32_e32 v71, -1.0, v69
	v_sub_f32_e32 v3, v3, v71
	v_add_f32_e32 v3, v67, v3
	v_add_f32_e32 v67, v69, v3
	v_rcp_f32_e32 v85, v67
	v_sub_f32_e32 v69, v69, v67
	v_add_f32_e32 v3, v3, v69
	v_add_f32_e32 v69, v68, v70
	v_sub_f32_e32 v68, v68, v69
	v_mul_f32_e32 v87, v69, v85
	v_add_f32_e32 v86, v70, v68
	v_mul_f32_e32 v70, v67, v87
	v_fma_f32 v80, v87, v67, -v70
	v_fmac_f32_e32 v80, v87, v3
	v_add_f32_e32 v68, v70, v80
	v_sub_f32_e32 v71, v69, v68
	v_pk_add_f32 v[82:83], v[68:69], v[70:71] neg_lo:[0,1] neg_hi:[0,1]
	v_mov_b32_e32 v81, v68
	v_pk_add_f32 v[68:69], v[82:83], v[80:81] neg_lo:[0,1] neg_hi:[0,1]
	s_mov_b32 s22, 0x3f317218
	v_add_f32_e32 v69, v86, v69
	v_add_f32_e32 v68, v68, v69
	;; [unrolled: 1-line block ×3, first 2 shown]
	v_mul_f32_e32 v86, v85, v69
	v_mul_f32_e32 v70, v67, v86
	v_fma_f32 v80, v86, v67, -v70
	v_fmac_f32_e32 v80, v86, v3
	v_sub_f32_e32 v3, v71, v69
	v_add_f32_e32 v3, v68, v3
	v_add_f32_e32 v68, v70, v80
	v_sub_f32_e32 v71, v69, v68
	v_pk_add_f32 v[82:83], v[68:69], v[70:71] neg_lo:[0,1] neg_hi:[0,1]
	v_mov_b32_e32 v81, v68
	v_pk_add_f32 v[68:69], v[82:83], v[80:81] neg_lo:[0,1] neg_hi:[0,1]
	v_add_f32_e32 v67, v87, v86
	v_add_f32_e32 v3, v3, v69
	;; [unrolled: 1-line block ×4, first 2 shown]
	v_sub_f32_e32 v68, v67, v87
	v_mul_f32_e32 v3, v85, v3
	v_sub_f32_e32 v68, v86, v68
	v_add_f32_e32 v3, v68, v3
	v_add_f32_e32 v68, v67, v3
	v_cvt_f32_i32_e32 v70, v84
	v_mul_f32_e32 v71, v68, v68
	v_mov_b32_e32 v69, 0x3ecc95a3
	v_fmac_f32_e32 v69, 0x3e9b6dac, v71
	v_fmaak_f32 v69, v71, v69, 0x3f2aaada
	v_sub_f32_e32 v67, v68, v67
	v_ldexp_f32 v81, v68, 1
	v_mul_f32_e32 v71, v68, v71
	v_mov_b32_e32 v68, 0x3f317218
	v_pk_mul_f32 v[68:69], v[70:71], v[68:69]
	v_sub_f32_e32 v3, v3, v67
	v_fma_f32 v67, v70, s22, -v68
	v_fmamk_f32 v80, v70, 0xb102e308, v67
	v_pk_add_f32 v[70:71], v[68:69], v[80:81]
	v_ldexp_f32 v3, v3, 1
	v_sub_f32_e32 v67, v71, v81
	v_sub_f32_e32 v67, v69, v67
	v_add_f32_e32 v83, v3, v67
	v_mov_b32_e32 v82, v68
	v_pk_add_f32 v[68:69], v[70:71], v[68:69] neg_lo:[0,1] neg_hi:[0,1]
	v_pk_add_f32 v[84:85], v[70:71], v[82:83]
	v_mov_b32_e32 v81, v70
	v_mov_b32_e32 v69, v85
	v_pk_add_f32 v[86:87], v[80:81], v[68:69] neg_lo:[0,1] neg_hi:[0,1]
	v_pk_add_f32 v[68:69], v[80:81], v[68:69]
	v_mov_b32_e32 v82, v83
	v_mov_b32_e32 v80, v69
	v_pk_add_f32 v[102:103], v[80:81], v[70:71] neg_lo:[0,1] neg_hi:[0,1]
	v_mov_b32_e32 v68, v85
	v_mov_b32_e32 v3, v102
	v_pk_add_f32 v[112:113], v[84:85], v[2:3] neg_lo:[0,1] neg_hi:[0,1]
	v_mov_b32_e32 v84, v71
	v_mov_b32_e32 v85, v102
	;; [unrolled: 1-line block ×3, first 2 shown]
	v_pk_add_f32 v[68:69], v[68:69], v[84:85] neg_lo:[0,1] neg_hi:[0,1]
	v_mov_b32_e32 v83, v70
	v_pk_add_f32 v[68:69], v[82:83], v[68:69] neg_lo:[0,1] neg_hi:[0,1]
	v_mov_b32_e32 v112, v86
	v_pk_add_f32 v[70:71], v[112:113], v[68:69]
	v_cmp_eq_f32_e64 s[22:23], s26, v53
	v_mov_b32_e32 v82, v71
	v_pk_add_f32 v[82:83], v[70:71], v[82:83]
	s_mov_b32 s26, 0x33800000
	v_pk_add_f32 v[80:81], v[80:81], v[82:83]
	v_mov_b32_e32 v69, v82
	v_mov_b32_e32 v71, v80
	v_pk_add_f32 v[84:85], v[70:71], v[86:87] neg_lo:[0,1] neg_hi:[0,1]
	v_cmp_lt_f32_e64 s[26:27], |v53|, s26
	v_sub_f32_e32 v3, v70, v84
	v_pk_add_f32 v[68:69], v[68:69], v[84:85] neg_lo:[0,1] neg_hi:[0,1]
	v_sub_f32_e32 v3, v86, v3
	v_add_f32_e32 v3, v68, v3
	v_add_f32_e32 v3, v3, v69
	;; [unrolled: 1-line block ×3, first 2 shown]
	s_or_b64 s[22:23], s[22:23], s[26:27]
	v_cndmask_b32_e64 v3, v3, v53, s[22:23]
	v_add_f32_e32 v53, v2, v3
.LBB141_294:
	s_or_b64 exec, exec, s[24:25]
	v_max_f32_e32 v67, v35, v35
	v_max_f32_e32 v2, v53, v53
	v_min_f32_e32 v3, v2, v67
	v_cmp_u_f32_e64 s[24:25], v53, v53
	v_max_f32_e32 v2, v2, v67
	v_cmp_u_f32_e64 s[22:23], v35, v35
	v_cndmask_b32_e64 v3, v3, v53, s[24:25]
	v_cndmask_b32_e64 v2, v2, v53, s[24:25]
	;; [unrolled: 1-line block ×4, first 2 shown]
	s_movk_i32 s28, 0x1f8
	v_cmp_neq_f32_e64 s[24:25], v3, v2
	v_cmp_class_f32_e64 s[26:27], v3, s28
	s_or_b64 s[24:25], s[24:25], s[26:27]
	s_and_saveexec_b64 s[26:27], s[24:25]
	s_cbranch_execz .LBB141_296
; %bb.295:
	v_sub_f32_e32 v3, v3, v2
	s_mov_b32 s24, 0x3fb8aa3b
	v_mul_f32_e32 v53, 0x3fb8aa3b, v3
	v_fma_f32 v68, v3, s24, -v53
	v_rndne_f32_e32 v69, v53
	v_fmamk_f32 v68, v3, 0x32a5705f, v68
	v_sub_f32_e32 v53, v53, v69
	v_add_f32_e32 v53, v53, v68
	v_exp_f32_e32 v53, v53
	v_cvt_i32_f32_e32 v68, v69
	s_mov_b32 s24, 0xc2ce8ed0
	v_cmp_ngt_f32_e64 s[24:25], s24, v3
	s_mov_b32 s29, 0x7f800000
	v_ldexp_f32 v53, v53, v68
	v_cndmask_b32_e64 v53, 0, v53, s[24:25]
	s_mov_b32 s24, 0x42b17218
	v_mov_b32_e32 v68, 0x7f800000
	v_cmp_nlt_f32_e64 s[24:25], s24, v3
	s_nop 1
	v_cndmask_b32_e64 v53, v68, v53, s[24:25]
	v_add_f32_e32 v3, 1.0, v53
	v_add_f32_e32 v68, -1.0, v3
	v_sub_f32_e32 v69, v68, v3
	v_add_f32_e32 v69, 1.0, v69
	v_sub_f32_e32 v68, v53, v68
	v_add_f32_e32 v70, v68, v69
	v_frexp_mant_f32_e32 v71, v3
	s_mov_b32 s24, 0x3f2aaaab
	v_cvt_f64_f32_e32 v[68:69], v3
	v_frexp_exp_i32_f64_e32 v68, v[68:69]
	v_cmp_gt_f32_e64 s[24:25], s24, v71
	s_nop 1
	v_subbrev_co_u32_e64 v84, s[24:25], 0, v68, s[24:25]
	v_sub_u32_e32 v68, 0, v84
	v_ldexp_f32 v3, v3, v68
	v_ldexp_f32 v68, v70, v68
	v_add_f32_e32 v70, -1.0, v3
	v_add_f32_e32 v69, 1.0, v70
	v_sub_f32_e32 v69, v3, v69
	v_add_f32_e32 v71, v68, v69
	v_add_f32_e32 v69, 1.0, v3
	v_add_f32_e32 v80, -1.0, v69
	v_sub_f32_e32 v3, v3, v80
	v_add_f32_e32 v3, v68, v3
	v_add_f32_e32 v85, v69, v3
	v_rcp_f32_e32 v86, v85
	v_sub_f32_e32 v68, v69, v85
	v_add_f32_e32 v69, v70, v71
	v_add_f32_e32 v3, v3, v68
	v_mul_f32_e32 v101, v69, v86
	v_sub_f32_e32 v68, v70, v69
	v_mul_f32_e32 v70, v85, v101
	v_fma_f32 v80, v101, v85, -v70
	v_fmac_f32_e32 v80, v101, v3
	v_add_f32_e32 v87, v71, v68
	v_add_f32_e32 v68, v70, v80
	v_sub_f32_e32 v71, v69, v68
	v_pk_add_f32 v[82:83], v[68:69], v[70:71] neg_lo:[0,1] neg_hi:[0,1]
	v_mov_b32_e32 v81, v68
	v_pk_add_f32 v[68:69], v[82:83], v[80:81] neg_lo:[0,1] neg_hi:[0,1]
	s_mov_b32 s24, 0x3f317218
	v_add_f32_e32 v69, v87, v69
	v_add_f32_e32 v68, v68, v69
	v_add_f32_e32 v69, v71, v68
	v_mul_f32_e32 v87, v86, v69
	v_mul_f32_e32 v70, v85, v87
	v_fma_f32 v80, v87, v85, -v70
	v_fmac_f32_e32 v80, v87, v3
	v_sub_f32_e32 v3, v71, v69
	v_add_f32_e32 v3, v68, v3
	v_add_f32_e32 v68, v70, v80
	v_sub_f32_e32 v71, v69, v68
	v_pk_add_f32 v[82:83], v[68:69], v[70:71] neg_lo:[0,1] neg_hi:[0,1]
	v_mov_b32_e32 v81, v68
	v_pk_add_f32 v[68:69], v[82:83], v[80:81] neg_lo:[0,1] neg_hi:[0,1]
	v_cvt_f32_i32_e32 v70, v84
	v_add_f32_e32 v3, v3, v69
	v_add_f32_e32 v3, v68, v3
	;; [unrolled: 1-line block ×4, first 2 shown]
	v_sub_f32_e32 v69, v68, v101
	v_mul_f32_e32 v3, v86, v3
	v_sub_f32_e32 v69, v87, v69
	v_add_f32_e32 v3, v69, v3
	v_add_f32_e32 v71, v68, v3
	v_mul_f32_e32 v80, v71, v71
	v_mov_b32_e32 v69, 0x3ecc95a3
	v_fmac_f32_e32 v69, 0x3e9b6dac, v80
	v_sub_f32_e32 v68, v71, v68
	v_fmaak_f32 v69, v80, v69, 0x3f2aaada
	v_sub_f32_e32 v3, v3, v68
	v_ldexp_f32 v81, v71, 1
	v_mul_f32_e32 v71, v71, v80
	v_mov_b32_e32 v68, 0x3f317218
	v_pk_mul_f32 v[68:69], v[70:71], v[68:69]
	v_ldexp_f32 v3, v3, 1
	v_fma_f32 v71, v70, s24, -v68
	v_fmamk_f32 v80, v70, 0xb102e308, v71
	v_pk_add_f32 v[70:71], v[68:69], v[80:81]
	v_mov_b32_e32 v82, v68
	v_sub_f32_e32 v81, v71, v81
	v_sub_f32_e32 v81, v69, v81
	v_add_f32_e32 v83, v3, v81
	v_pk_add_f32 v[68:69], v[70:71], v[68:69] neg_lo:[0,1] neg_hi:[0,1]
	v_pk_add_f32 v[84:85], v[70:71], v[82:83]
	v_mov_b32_e32 v81, v70
	v_mov_b32_e32 v69, v85
	v_pk_add_f32 v[86:87], v[80:81], v[68:69] neg_lo:[0,1] neg_hi:[0,1]
	v_pk_add_f32 v[68:69], v[80:81], v[68:69]
	v_mov_b32_e32 v82, v83
	v_mov_b32_e32 v80, v69
	v_pk_add_f32 v[102:103], v[80:81], v[70:71] neg_lo:[0,1] neg_hi:[0,1]
	v_mov_b32_e32 v68, v85
	v_mov_b32_e32 v3, v102
	v_pk_add_f32 v[112:113], v[84:85], v[2:3] neg_lo:[0,1] neg_hi:[0,1]
	v_mov_b32_e32 v84, v71
	v_mov_b32_e32 v85, v102
	;; [unrolled: 1-line block ×3, first 2 shown]
	v_pk_add_f32 v[68:69], v[68:69], v[84:85] neg_lo:[0,1] neg_hi:[0,1]
	v_mov_b32_e32 v83, v70
	v_pk_add_f32 v[68:69], v[82:83], v[68:69] neg_lo:[0,1] neg_hi:[0,1]
	v_mov_b32_e32 v112, v86
	v_pk_add_f32 v[70:71], v[112:113], v[68:69]
	v_cmp_eq_f32_e64 s[24:25], s29, v53
	v_mov_b32_e32 v82, v71
	v_pk_add_f32 v[82:83], v[70:71], v[82:83]
	s_mov_b32 s29, 0x33800000
	v_pk_add_f32 v[80:81], v[80:81], v[82:83]
	v_mov_b32_e32 v69, v82
	v_mov_b32_e32 v71, v80
	v_pk_add_f32 v[84:85], v[70:71], v[86:87] neg_lo:[0,1] neg_hi:[0,1]
	v_cmp_lt_f32_e64 s[30:31], |v53|, s29
	v_sub_f32_e32 v3, v70, v84
	v_pk_add_f32 v[68:69], v[68:69], v[84:85] neg_lo:[0,1] neg_hi:[0,1]
	v_sub_f32_e32 v3, v86, v3
	v_add_f32_e32 v3, v68, v3
	v_add_f32_e32 v3, v3, v69
	;; [unrolled: 1-line block ×3, first 2 shown]
	s_or_b64 s[24:25], s[24:25], s[30:31]
	v_cndmask_b32_e64 v3, v3, v53, s[24:25]
	v_add_f32_e32 v53, v2, v3
.LBB141_296:
	s_or_b64 exec, exec, s[26:27]
	v_max_f32_e32 v68, v28, v28
	v_max_f32_e32 v2, v53, v53
	v_min_f32_e32 v3, v2, v68
	v_cmp_u_f32_e64 s[26:27], v53, v53
	v_max_f32_e32 v2, v2, v68
	v_cmp_u_f32_e64 s[24:25], v28, v28
	v_cndmask_b32_e64 v3, v3, v53, s[26:27]
	v_cndmask_b32_e64 v2, v2, v53, s[26:27]
	;; [unrolled: 1-line block ×4, first 2 shown]
	v_cmp_neq_f32_e64 s[26:27], v3, v2
	v_cmp_class_f32_e64 s[28:29], v3, s28
	s_or_b64 s[26:27], s[26:27], s[28:29]
	s_and_saveexec_b64 s[28:29], s[26:27]
	s_cbranch_execz .LBB141_298
; %bb.297:
	v_sub_f32_e32 v3, v3, v2
	s_mov_b32 s26, 0x3fb8aa3b
	v_mul_f32_e32 v53, 0x3fb8aa3b, v3
	v_fma_f32 v69, v3, s26, -v53
	v_rndne_f32_e32 v70, v53
	v_fmamk_f32 v69, v3, 0x32a5705f, v69
	v_sub_f32_e32 v53, v53, v70
	v_add_f32_e32 v53, v53, v69
	v_exp_f32_e32 v53, v53
	v_cvt_i32_f32_e32 v69, v70
	s_mov_b32 s26, 0xc2ce8ed0
	v_cmp_ngt_f32_e64 s[26:27], s26, v3
	s_mov_b32 s30, 0x7f800000
	v_ldexp_f32 v53, v53, v69
	v_cndmask_b32_e64 v53, 0, v53, s[26:27]
	s_mov_b32 s26, 0x42b17218
	v_mov_b32_e32 v69, 0x7f800000
	v_cmp_nlt_f32_e64 s[26:27], s26, v3
	s_nop 1
	v_cndmask_b32_e64 v53, v69, v53, s[26:27]
	v_add_f32_e32 v3, 1.0, v53
	v_add_f32_e32 v69, -1.0, v3
	v_sub_f32_e32 v70, v69, v3
	v_add_f32_e32 v70, 1.0, v70
	v_sub_f32_e32 v69, v53, v69
	v_add_f32_e32 v69, v69, v70
	v_frexp_mant_f32_e32 v80, v3
	s_mov_b32 s26, 0x3f2aaaab
	v_cvt_f64_f32_e32 v[70:71], v3
	v_frexp_exp_i32_f64_e32 v70, v[70:71]
	v_cmp_gt_f32_e64 s[26:27], s26, v80
	s_nop 1
	v_subbrev_co_u32_e64 v86, s[26:27], 0, v70, s[26:27]
	v_sub_u32_e32 v70, 0, v86
	v_ldexp_f32 v3, v3, v70
	v_ldexp_f32 v69, v69, v70
	v_add_f32_e32 v70, -1.0, v3
	v_add_f32_e32 v71, 1.0, v70
	v_sub_f32_e32 v71, v3, v71
	v_add_f32_e32 v80, v69, v71
	v_add_f32_e32 v71, 1.0, v3
	v_add_f32_e32 v81, -1.0, v71
	v_sub_f32_e32 v3, v3, v81
	v_add_f32_e32 v3, v69, v3
	v_add_f32_e32 v69, v71, v3
	v_rcp_f32_e32 v87, v69
	v_sub_f32_e32 v71, v71, v69
	v_add_f32_e32 v3, v3, v71
	v_add_f32_e32 v71, v70, v80
	v_sub_f32_e32 v70, v70, v71
	v_mul_f32_e32 v102, v71, v87
	v_add_f32_e32 v101, v80, v70
	v_mul_f32_e32 v80, v69, v102
	v_fma_f32 v82, v102, v69, -v80
	v_fmac_f32_e32 v82, v102, v3
	v_add_f32_e32 v70, v80, v82
	v_sub_f32_e32 v81, v71, v70
	v_pk_add_f32 v[84:85], v[70:71], v[80:81] neg_lo:[0,1] neg_hi:[0,1]
	v_mov_b32_e32 v83, v70
	v_pk_add_f32 v[70:71], v[84:85], v[82:83] neg_lo:[0,1] neg_hi:[0,1]
	s_mov_b32 s26, 0x3f317218
	v_add_f32_e32 v71, v101, v71
	v_add_f32_e32 v70, v70, v71
	;; [unrolled: 1-line block ×3, first 2 shown]
	v_mul_f32_e32 v101, v87, v71
	v_mul_f32_e32 v80, v69, v101
	v_fma_f32 v82, v101, v69, -v80
	v_fmac_f32_e32 v82, v101, v3
	v_sub_f32_e32 v3, v81, v71
	v_add_f32_e32 v3, v70, v3
	v_add_f32_e32 v70, v80, v82
	v_sub_f32_e32 v81, v71, v70
	v_pk_add_f32 v[84:85], v[70:71], v[80:81] neg_lo:[0,1] neg_hi:[0,1]
	v_mov_b32_e32 v83, v70
	v_pk_add_f32 v[70:71], v[84:85], v[82:83] neg_lo:[0,1] neg_hi:[0,1]
	v_add_f32_e32 v69, v102, v101
	v_add_f32_e32 v3, v3, v71
	;; [unrolled: 1-line block ×4, first 2 shown]
	v_sub_f32_e32 v70, v69, v102
	v_mul_f32_e32 v3, v87, v3
	v_sub_f32_e32 v70, v101, v70
	v_add_f32_e32 v3, v70, v3
	v_add_f32_e32 v70, v69, v3
	v_cvt_f32_i32_e32 v80, v86
	v_mul_f32_e32 v81, v70, v70
	v_mov_b32_e32 v71, 0x3ecc95a3
	v_fmac_f32_e32 v71, 0x3e9b6dac, v81
	v_fmaak_f32 v71, v81, v71, 0x3f2aaada
	v_sub_f32_e32 v69, v70, v69
	v_ldexp_f32 v83, v70, 1
	v_mul_f32_e32 v81, v70, v81
	v_mov_b32_e32 v70, 0x3f317218
	v_pk_mul_f32 v[70:71], v[80:81], v[70:71]
	v_sub_f32_e32 v3, v3, v69
	v_fma_f32 v69, v80, s26, -v70
	v_fmamk_f32 v82, v80, 0xb102e308, v69
	v_pk_add_f32 v[80:81], v[70:71], v[82:83]
	v_ldexp_f32 v3, v3, 1
	v_sub_f32_e32 v69, v81, v83
	v_sub_f32_e32 v69, v71, v69
	v_add_f32_e32 v85, v3, v69
	v_mov_b32_e32 v84, v70
	v_pk_add_f32 v[70:71], v[80:81], v[70:71] neg_lo:[0,1] neg_hi:[0,1]
	v_pk_add_f32 v[86:87], v[80:81], v[84:85]
	v_mov_b32_e32 v83, v80
	v_mov_b32_e32 v71, v87
	v_pk_add_f32 v[102:103], v[82:83], v[70:71] neg_lo:[0,1] neg_hi:[0,1]
	v_pk_add_f32 v[70:71], v[82:83], v[70:71]
	v_mov_b32_e32 v84, v85
	v_mov_b32_e32 v82, v71
	v_pk_add_f32 v[112:113], v[82:83], v[80:81] neg_lo:[0,1] neg_hi:[0,1]
	v_mov_b32_e32 v70, v87
	v_mov_b32_e32 v3, v112
	v_pk_add_f32 v[114:115], v[86:87], v[2:3] neg_lo:[0,1] neg_hi:[0,1]
	v_mov_b32_e32 v86, v81
	v_mov_b32_e32 v87, v112
	;; [unrolled: 1-line block ×3, first 2 shown]
	v_pk_add_f32 v[70:71], v[70:71], v[86:87] neg_lo:[0,1] neg_hi:[0,1]
	v_mov_b32_e32 v85, v80
	v_pk_add_f32 v[70:71], v[84:85], v[70:71] neg_lo:[0,1] neg_hi:[0,1]
	v_mov_b32_e32 v114, v102
	v_pk_add_f32 v[80:81], v[114:115], v[70:71]
	v_cmp_eq_f32_e64 s[26:27], s30, v53
	v_mov_b32_e32 v84, v81
	v_pk_add_f32 v[84:85], v[80:81], v[84:85]
	s_mov_b32 s30, 0x33800000
	v_pk_add_f32 v[82:83], v[82:83], v[84:85]
	v_mov_b32_e32 v71, v84
	v_mov_b32_e32 v81, v82
	v_pk_add_f32 v[86:87], v[80:81], v[102:103] neg_lo:[0,1] neg_hi:[0,1]
	v_cmp_lt_f32_e64 s[30:31], |v53|, s30
	v_sub_f32_e32 v3, v80, v86
	v_pk_add_f32 v[70:71], v[70:71], v[86:87] neg_lo:[0,1] neg_hi:[0,1]
	v_sub_f32_e32 v3, v102, v3
	v_add_f32_e32 v3, v70, v3
	v_add_f32_e32 v3, v3, v71
	;; [unrolled: 1-line block ×3, first 2 shown]
	s_or_b64 s[26:27], s[26:27], s[30:31]
	v_cndmask_b32_e64 v3, v3, v53, s[26:27]
	v_add_f32_e32 v53, v2, v3
.LBB141_298:
	s_or_b64 exec, exec, s[28:29]
	v_max_f32_e32 v69, v29, v29
	v_max_f32_e32 v2, v53, v53
	v_min_f32_e32 v3, v2, v69
	v_cmp_u_f32_e64 s[28:29], v53, v53
	v_max_f32_e32 v2, v2, v69
	v_cmp_u_f32_e64 s[26:27], v29, v29
	v_cndmask_b32_e64 v3, v3, v53, s[28:29]
	v_cndmask_b32_e64 v2, v2, v53, s[28:29]
	;; [unrolled: 1-line block ×4, first 2 shown]
	s_movk_i32 s34, 0x1f8
	v_cmp_neq_f32_e64 s[28:29], v3, v2
	v_cmp_class_f32_e64 s[30:31], v3, s34
	s_or_b64 s[28:29], s[28:29], s[30:31]
	s_and_saveexec_b64 s[30:31], s[28:29]
	s_cbranch_execz .LBB141_300
; %bb.299:
	v_sub_f32_e32 v3, v3, v2
	s_mov_b32 s28, 0x3fb8aa3b
	v_mul_f32_e32 v53, 0x3fb8aa3b, v3
	v_fma_f32 v70, v3, s28, -v53
	v_rndne_f32_e32 v71, v53
	v_fmamk_f32 v70, v3, 0x32a5705f, v70
	v_sub_f32_e32 v53, v53, v71
	v_add_f32_e32 v53, v53, v70
	v_exp_f32_e32 v53, v53
	v_cvt_i32_f32_e32 v70, v71
	s_mov_b32 s28, 0xc2ce8ed0
	v_cmp_ngt_f32_e64 s[28:29], s28, v3
	s_mov_b32 s35, 0x7f800000
	v_ldexp_f32 v53, v53, v70
	v_cndmask_b32_e64 v53, 0, v53, s[28:29]
	s_mov_b32 s28, 0x42b17218
	v_mov_b32_e32 v70, 0x7f800000
	v_cmp_nlt_f32_e64 s[28:29], s28, v3
	s_nop 1
	v_cndmask_b32_e64 v53, v70, v53, s[28:29]
	v_add_f32_e32 v3, 1.0, v53
	v_add_f32_e32 v70, -1.0, v3
	v_sub_f32_e32 v71, v70, v3
	v_add_f32_e32 v71, 1.0, v71
	v_sub_f32_e32 v70, v53, v70
	v_add_f32_e32 v80, v70, v71
	v_frexp_mant_f32_e32 v81, v3
	s_mov_b32 s28, 0x3f2aaaab
	v_cvt_f64_f32_e32 v[70:71], v3
	v_frexp_exp_i32_f64_e32 v70, v[70:71]
	v_cmp_gt_f32_e64 s[28:29], s28, v81
	s_nop 1
	v_subbrev_co_u32_e64 v86, s[28:29], 0, v70, s[28:29]
	v_sub_u32_e32 v70, 0, v86
	v_ldexp_f32 v3, v3, v70
	v_ldexp_f32 v70, v80, v70
	v_add_f32_e32 v80, -1.0, v3
	v_add_f32_e32 v71, 1.0, v80
	v_sub_f32_e32 v71, v3, v71
	v_add_f32_e32 v81, v70, v71
	v_add_f32_e32 v71, 1.0, v3
	v_add_f32_e32 v82, -1.0, v71
	v_sub_f32_e32 v3, v3, v82
	v_add_f32_e32 v3, v70, v3
	v_add_f32_e32 v87, v71, v3
	v_rcp_f32_e32 v101, v87
	v_sub_f32_e32 v70, v71, v87
	v_add_f32_e32 v71, v80, v81
	v_add_f32_e32 v3, v3, v70
	v_mul_f32_e32 v103, v71, v101
	v_sub_f32_e32 v70, v80, v71
	v_mul_f32_e32 v80, v87, v103
	v_fma_f32 v82, v103, v87, -v80
	v_fmac_f32_e32 v82, v103, v3
	v_add_f32_e32 v102, v81, v70
	v_add_f32_e32 v70, v80, v82
	v_sub_f32_e32 v81, v71, v70
	v_pk_add_f32 v[84:85], v[70:71], v[80:81] neg_lo:[0,1] neg_hi:[0,1]
	v_mov_b32_e32 v83, v70
	v_pk_add_f32 v[70:71], v[84:85], v[82:83] neg_lo:[0,1] neg_hi:[0,1]
	s_mov_b32 s28, 0x3f317218
	v_add_f32_e32 v71, v102, v71
	v_add_f32_e32 v70, v70, v71
	;; [unrolled: 1-line block ×3, first 2 shown]
	v_mul_f32_e32 v102, v101, v71
	v_mul_f32_e32 v80, v87, v102
	v_fma_f32 v82, v102, v87, -v80
	v_fmac_f32_e32 v82, v102, v3
	v_sub_f32_e32 v3, v81, v71
	v_add_f32_e32 v3, v70, v3
	v_add_f32_e32 v70, v80, v82
	v_sub_f32_e32 v81, v71, v70
	v_pk_add_f32 v[84:85], v[70:71], v[80:81] neg_lo:[0,1] neg_hi:[0,1]
	v_mov_b32_e32 v83, v70
	v_pk_add_f32 v[70:71], v[84:85], v[82:83] neg_lo:[0,1] neg_hi:[0,1]
	v_cvt_f32_i32_e32 v80, v86
	v_add_f32_e32 v3, v3, v71
	v_add_f32_e32 v3, v70, v3
	;; [unrolled: 1-line block ×4, first 2 shown]
	v_sub_f32_e32 v71, v70, v103
	v_mul_f32_e32 v3, v101, v3
	v_sub_f32_e32 v71, v102, v71
	v_add_f32_e32 v3, v71, v3
	v_add_f32_e32 v81, v70, v3
	v_mul_f32_e32 v82, v81, v81
	v_mov_b32_e32 v71, 0x3ecc95a3
	v_fmac_f32_e32 v71, 0x3e9b6dac, v82
	v_sub_f32_e32 v70, v81, v70
	v_fmaak_f32 v71, v82, v71, 0x3f2aaada
	v_sub_f32_e32 v3, v3, v70
	v_ldexp_f32 v83, v81, 1
	v_mul_f32_e32 v81, v81, v82
	v_mov_b32_e32 v70, 0x3f317218
	v_pk_mul_f32 v[70:71], v[80:81], v[70:71]
	v_ldexp_f32 v3, v3, 1
	v_fma_f32 v81, v80, s28, -v70
	v_fmamk_f32 v82, v80, 0xb102e308, v81
	v_pk_add_f32 v[80:81], v[70:71], v[82:83]
	v_mov_b32_e32 v84, v70
	v_sub_f32_e32 v83, v81, v83
	v_sub_f32_e32 v83, v71, v83
	v_add_f32_e32 v85, v3, v83
	v_pk_add_f32 v[70:71], v[80:81], v[70:71] neg_lo:[0,1] neg_hi:[0,1]
	v_pk_add_f32 v[86:87], v[80:81], v[84:85]
	v_mov_b32_e32 v83, v80
	v_mov_b32_e32 v71, v87
	v_pk_add_f32 v[102:103], v[82:83], v[70:71] neg_lo:[0,1] neg_hi:[0,1]
	v_pk_add_f32 v[70:71], v[82:83], v[70:71]
	v_mov_b32_e32 v84, v85
	v_mov_b32_e32 v82, v71
	v_pk_add_f32 v[112:113], v[82:83], v[80:81] neg_lo:[0,1] neg_hi:[0,1]
	v_mov_b32_e32 v70, v87
	v_mov_b32_e32 v3, v112
	v_pk_add_f32 v[114:115], v[86:87], v[2:3] neg_lo:[0,1] neg_hi:[0,1]
	v_mov_b32_e32 v86, v81
	v_mov_b32_e32 v87, v112
	;; [unrolled: 1-line block ×3, first 2 shown]
	v_pk_add_f32 v[70:71], v[70:71], v[86:87] neg_lo:[0,1] neg_hi:[0,1]
	v_mov_b32_e32 v85, v80
	v_pk_add_f32 v[70:71], v[84:85], v[70:71] neg_lo:[0,1] neg_hi:[0,1]
	v_mov_b32_e32 v114, v102
	v_pk_add_f32 v[80:81], v[114:115], v[70:71]
	v_cmp_eq_f32_e64 s[28:29], s35, v53
	v_mov_b32_e32 v84, v81
	v_pk_add_f32 v[84:85], v[80:81], v[84:85]
	s_mov_b32 s35, 0x33800000
	v_pk_add_f32 v[82:83], v[82:83], v[84:85]
	v_mov_b32_e32 v71, v84
	v_mov_b32_e32 v81, v82
	v_pk_add_f32 v[86:87], v[80:81], v[102:103] neg_lo:[0,1] neg_hi:[0,1]
	v_cmp_lt_f32_e64 s[36:37], |v53|, s35
	v_sub_f32_e32 v3, v80, v86
	v_pk_add_f32 v[70:71], v[70:71], v[86:87] neg_lo:[0,1] neg_hi:[0,1]
	v_sub_f32_e32 v3, v102, v3
	v_add_f32_e32 v3, v70, v3
	v_add_f32_e32 v3, v3, v71
	;; [unrolled: 1-line block ×3, first 2 shown]
	s_or_b64 s[28:29], s[28:29], s[36:37]
	v_cndmask_b32_e64 v3, v3, v53, s[28:29]
	v_add_f32_e32 v53, v2, v3
.LBB141_300:
	s_or_b64 exec, exec, s[30:31]
	v_max_f32_e32 v70, v30, v30
	v_max_f32_e32 v2, v53, v53
	v_min_f32_e32 v3, v2, v70
	v_cmp_u_f32_e64 s[30:31], v53, v53
	v_max_f32_e32 v2, v2, v70
	v_cmp_u_f32_e64 s[28:29], v30, v30
	v_cndmask_b32_e64 v3, v3, v53, s[30:31]
	v_cndmask_b32_e64 v2, v2, v53, s[30:31]
	;; [unrolled: 1-line block ×4, first 2 shown]
	v_cmp_neq_f32_e64 s[30:31], v3, v2
	v_cmp_class_f32_e64 s[34:35], v3, s34
	s_or_b64 s[30:31], s[30:31], s[34:35]
	s_and_saveexec_b64 s[34:35], s[30:31]
	s_cbranch_execz .LBB141_302
; %bb.301:
	v_sub_f32_e32 v3, v3, v2
	s_mov_b32 s30, 0x3fb8aa3b
	v_mul_f32_e32 v53, 0x3fb8aa3b, v3
	v_fma_f32 v71, v3, s30, -v53
	v_rndne_f32_e32 v80, v53
	v_fmamk_f32 v71, v3, 0x32a5705f, v71
	v_sub_f32_e32 v53, v53, v80
	v_add_f32_e32 v53, v53, v71
	v_exp_f32_e32 v53, v53
	v_cvt_i32_f32_e32 v71, v80
	s_mov_b32 s30, 0xc2ce8ed0
	v_cmp_ngt_f32_e64 s[30:31], s30, v3
	s_mov_b32 s36, 0x7f800000
	v_ldexp_f32 v53, v53, v71
	v_cndmask_b32_e64 v53, 0, v53, s[30:31]
	s_mov_b32 s30, 0x42b17218
	v_mov_b32_e32 v71, 0x7f800000
	v_cmp_nlt_f32_e64 s[30:31], s30, v3
	s_nop 1
	v_cndmask_b32_e64 v53, v71, v53, s[30:31]
	v_add_f32_e32 v3, 1.0, v53
	v_add_f32_e32 v71, -1.0, v3
	v_sub_f32_e32 v80, v71, v3
	v_add_f32_e32 v80, 1.0, v80
	v_sub_f32_e32 v71, v53, v71
	v_add_f32_e32 v71, v71, v80
	v_frexp_mant_f32_e32 v82, v3
	s_mov_b32 s30, 0x3f2aaaab
	v_cvt_f64_f32_e32 v[80:81], v3
	v_frexp_exp_i32_f64_e32 v80, v[80:81]
	v_cmp_gt_f32_e64 s[30:31], s30, v82
	s_nop 1
	v_subbrev_co_u32_e64 v101, s[30:31], 0, v80, s[30:31]
	v_sub_u32_e32 v80, 0, v101
	v_ldexp_f32 v3, v3, v80
	v_ldexp_f32 v71, v71, v80
	v_add_f32_e32 v80, -1.0, v3
	v_add_f32_e32 v81, 1.0, v80
	v_sub_f32_e32 v81, v3, v81
	v_add_f32_e32 v82, v71, v81
	v_add_f32_e32 v81, 1.0, v3
	v_add_f32_e32 v83, -1.0, v81
	v_sub_f32_e32 v3, v3, v83
	v_add_f32_e32 v3, v71, v3
	v_add_f32_e32 v71, v81, v3
	v_rcp_f32_e32 v102, v71
	v_sub_f32_e32 v81, v81, v71
	v_add_f32_e32 v3, v3, v81
	v_add_f32_e32 v81, v80, v82
	v_sub_f32_e32 v80, v80, v81
	v_mul_f32_e32 v112, v81, v102
	v_add_f32_e32 v103, v82, v80
	v_mul_f32_e32 v82, v71, v112
	v_fma_f32 v84, v112, v71, -v82
	v_fmac_f32_e32 v84, v112, v3
	v_add_f32_e32 v80, v82, v84
	v_sub_f32_e32 v83, v81, v80
	v_pk_add_f32 v[86:87], v[80:81], v[82:83] neg_lo:[0,1] neg_hi:[0,1]
	v_mov_b32_e32 v85, v80
	v_pk_add_f32 v[80:81], v[86:87], v[84:85] neg_lo:[0,1] neg_hi:[0,1]
	s_mov_b32 s30, 0x3f317218
	v_add_f32_e32 v81, v103, v81
	v_add_f32_e32 v80, v80, v81
	;; [unrolled: 1-line block ×3, first 2 shown]
	v_mul_f32_e32 v103, v102, v81
	v_mul_f32_e32 v82, v71, v103
	v_fma_f32 v84, v103, v71, -v82
	v_fmac_f32_e32 v84, v103, v3
	v_sub_f32_e32 v3, v83, v81
	v_add_f32_e32 v3, v80, v3
	v_add_f32_e32 v80, v82, v84
	v_sub_f32_e32 v83, v81, v80
	v_pk_add_f32 v[86:87], v[80:81], v[82:83] neg_lo:[0,1] neg_hi:[0,1]
	v_mov_b32_e32 v85, v80
	v_pk_add_f32 v[80:81], v[86:87], v[84:85] neg_lo:[0,1] neg_hi:[0,1]
	v_add_f32_e32 v71, v112, v103
	v_add_f32_e32 v3, v3, v81
	;; [unrolled: 1-line block ×4, first 2 shown]
	v_sub_f32_e32 v80, v71, v112
	v_mul_f32_e32 v3, v102, v3
	v_sub_f32_e32 v80, v103, v80
	v_add_f32_e32 v3, v80, v3
	v_add_f32_e32 v80, v71, v3
	v_cvt_f32_i32_e32 v82, v101
	v_mul_f32_e32 v83, v80, v80
	v_mov_b32_e32 v81, 0x3ecc95a3
	v_fmac_f32_e32 v81, 0x3e9b6dac, v83
	v_fmaak_f32 v81, v83, v81, 0x3f2aaada
	v_sub_f32_e32 v71, v80, v71
	v_ldexp_f32 v85, v80, 1
	v_mul_f32_e32 v83, v80, v83
	v_mov_b32_e32 v80, 0x3f317218
	v_pk_mul_f32 v[80:81], v[82:83], v[80:81]
	v_sub_f32_e32 v3, v3, v71
	v_fma_f32 v71, v82, s30, -v80
	v_fmamk_f32 v84, v82, 0xb102e308, v71
	v_pk_add_f32 v[82:83], v[80:81], v[84:85]
	v_ldexp_f32 v3, v3, 1
	v_sub_f32_e32 v71, v83, v85
	v_sub_f32_e32 v71, v81, v71
	v_add_f32_e32 v87, v3, v71
	v_mov_b32_e32 v86, v80
	v_pk_add_f32 v[80:81], v[82:83], v[80:81] neg_lo:[0,1] neg_hi:[0,1]
	v_pk_add_f32 v[102:103], v[82:83], v[86:87]
	v_mov_b32_e32 v85, v82
	v_mov_b32_e32 v81, v103
	v_pk_add_f32 v[112:113], v[84:85], v[80:81] neg_lo:[0,1] neg_hi:[0,1]
	v_pk_add_f32 v[80:81], v[84:85], v[80:81]
	v_mov_b32_e32 v86, v87
	v_mov_b32_e32 v84, v81
	v_pk_add_f32 v[114:115], v[84:85], v[82:83] neg_lo:[0,1] neg_hi:[0,1]
	v_mov_b32_e32 v80, v103
	v_mov_b32_e32 v3, v114
	v_pk_add_f32 v[116:117], v[102:103], v[2:3] neg_lo:[0,1] neg_hi:[0,1]
	v_mov_b32_e32 v102, v83
	v_mov_b32_e32 v103, v114
	;; [unrolled: 1-line block ×3, first 2 shown]
	v_pk_add_f32 v[80:81], v[80:81], v[102:103] neg_lo:[0,1] neg_hi:[0,1]
	v_mov_b32_e32 v87, v82
	v_pk_add_f32 v[80:81], v[86:87], v[80:81] neg_lo:[0,1] neg_hi:[0,1]
	v_mov_b32_e32 v116, v112
	v_pk_add_f32 v[82:83], v[116:117], v[80:81]
	v_cmp_eq_f32_e64 s[30:31], s36, v53
	v_mov_b32_e32 v86, v83
	v_pk_add_f32 v[86:87], v[82:83], v[86:87]
	s_mov_b32 s36, 0x33800000
	v_pk_add_f32 v[84:85], v[84:85], v[86:87]
	v_mov_b32_e32 v81, v86
	v_mov_b32_e32 v83, v84
	v_pk_add_f32 v[102:103], v[82:83], v[112:113] neg_lo:[0,1] neg_hi:[0,1]
	v_cmp_lt_f32_e64 s[36:37], |v53|, s36
	v_sub_f32_e32 v3, v82, v102
	v_pk_add_f32 v[80:81], v[80:81], v[102:103] neg_lo:[0,1] neg_hi:[0,1]
	v_sub_f32_e32 v3, v112, v3
	v_add_f32_e32 v3, v80, v3
	v_add_f32_e32 v3, v3, v81
	;; [unrolled: 1-line block ×3, first 2 shown]
	s_or_b64 s[30:31], s[30:31], s[36:37]
	v_cndmask_b32_e64 v3, v3, v53, s[30:31]
	v_add_f32_e32 v53, v2, v3
.LBB141_302:
	s_or_b64 exec, exec, s[34:35]
	v_max_f32_e32 v71, v31, v31
	v_max_f32_e32 v2, v53, v53
	v_min_f32_e32 v3, v2, v71
	v_cmp_u_f32_e64 s[34:35], v53, v53
	v_max_f32_e32 v2, v2, v71
	v_cmp_u_f32_e64 s[30:31], v31, v31
	v_cndmask_b32_e64 v3, v3, v53, s[34:35]
	v_cndmask_b32_e64 v2, v2, v53, s[34:35]
	;; [unrolled: 1-line block ×4, first 2 shown]
	s_movk_i32 s38, 0x1f8
	v_cmp_neq_f32_e64 s[34:35], v3, v2
	v_cmp_class_f32_e64 s[36:37], v3, s38
	s_or_b64 s[34:35], s[34:35], s[36:37]
	s_and_saveexec_b64 s[36:37], s[34:35]
	s_cbranch_execz .LBB141_304
; %bb.303:
	v_sub_f32_e32 v3, v3, v2
	s_mov_b32 s34, 0x3fb8aa3b
	v_mul_f32_e32 v53, 0x3fb8aa3b, v3
	v_fma_f32 v80, v3, s34, -v53
	v_rndne_f32_e32 v81, v53
	v_fmamk_f32 v80, v3, 0x32a5705f, v80
	v_sub_f32_e32 v53, v53, v81
	v_add_f32_e32 v53, v53, v80
	v_exp_f32_e32 v53, v53
	v_cvt_i32_f32_e32 v80, v81
	s_mov_b32 s34, 0xc2ce8ed0
	v_cmp_ngt_f32_e64 s[34:35], s34, v3
	s_mov_b32 s39, 0x7f800000
	v_ldexp_f32 v53, v53, v80
	v_cndmask_b32_e64 v53, 0, v53, s[34:35]
	s_mov_b32 s34, 0x42b17218
	v_mov_b32_e32 v80, 0x7f800000
	v_cmp_nlt_f32_e64 s[34:35], s34, v3
	s_nop 1
	v_cndmask_b32_e64 v53, v80, v53, s[34:35]
	v_add_f32_e32 v3, 1.0, v53
	v_add_f32_e32 v80, -1.0, v3
	v_sub_f32_e32 v81, v80, v3
	v_add_f32_e32 v81, 1.0, v81
	v_sub_f32_e32 v80, v53, v80
	v_add_f32_e32 v82, v80, v81
	v_frexp_mant_f32_e32 v83, v3
	s_mov_b32 s34, 0x3f2aaaab
	v_cvt_f64_f32_e32 v[80:81], v3
	v_frexp_exp_i32_f64_e32 v80, v[80:81]
	v_cmp_gt_f32_e64 s[34:35], s34, v83
	s_nop 1
	v_subbrev_co_u32_e64 v101, s[34:35], 0, v80, s[34:35]
	v_sub_u32_e32 v80, 0, v101
	v_ldexp_f32 v3, v3, v80
	v_ldexp_f32 v80, v82, v80
	v_add_f32_e32 v82, -1.0, v3
	v_add_f32_e32 v81, 1.0, v82
	v_sub_f32_e32 v81, v3, v81
	v_add_f32_e32 v83, v80, v81
	v_add_f32_e32 v81, 1.0, v3
	v_add_f32_e32 v84, -1.0, v81
	v_sub_f32_e32 v3, v3, v84
	v_add_f32_e32 v3, v80, v3
	v_add_f32_e32 v102, v81, v3
	v_rcp_f32_e32 v103, v102
	v_sub_f32_e32 v80, v81, v102
	v_add_f32_e32 v81, v82, v83
	v_add_f32_e32 v3, v3, v80
	v_mul_f32_e32 v113, v81, v103
	v_sub_f32_e32 v80, v82, v81
	v_mul_f32_e32 v82, v102, v113
	v_fma_f32 v84, v113, v102, -v82
	v_fmac_f32_e32 v84, v113, v3
	v_add_f32_e32 v112, v83, v80
	v_add_f32_e32 v80, v82, v84
	v_sub_f32_e32 v83, v81, v80
	v_pk_add_f32 v[86:87], v[80:81], v[82:83] neg_lo:[0,1] neg_hi:[0,1]
	v_mov_b32_e32 v85, v80
	v_pk_add_f32 v[80:81], v[86:87], v[84:85] neg_lo:[0,1] neg_hi:[0,1]
	s_mov_b32 s34, 0x3f317218
	v_add_f32_e32 v81, v112, v81
	v_add_f32_e32 v80, v80, v81
	;; [unrolled: 1-line block ×3, first 2 shown]
	v_mul_f32_e32 v112, v103, v81
	v_mul_f32_e32 v82, v102, v112
	v_fma_f32 v84, v112, v102, -v82
	v_fmac_f32_e32 v84, v112, v3
	v_sub_f32_e32 v3, v83, v81
	v_add_f32_e32 v3, v80, v3
	v_add_f32_e32 v80, v82, v84
	v_sub_f32_e32 v83, v81, v80
	v_pk_add_f32 v[86:87], v[80:81], v[82:83] neg_lo:[0,1] neg_hi:[0,1]
	v_mov_b32_e32 v85, v80
	v_pk_add_f32 v[80:81], v[86:87], v[84:85] neg_lo:[0,1] neg_hi:[0,1]
	v_cvt_f32_i32_e32 v82, v101
	v_add_f32_e32 v3, v3, v81
	v_add_f32_e32 v3, v80, v3
	;; [unrolled: 1-line block ×4, first 2 shown]
	v_sub_f32_e32 v81, v80, v113
	v_mul_f32_e32 v3, v103, v3
	v_sub_f32_e32 v81, v112, v81
	v_add_f32_e32 v3, v81, v3
	v_add_f32_e32 v83, v80, v3
	v_mul_f32_e32 v84, v83, v83
	v_mov_b32_e32 v81, 0x3ecc95a3
	v_fmac_f32_e32 v81, 0x3e9b6dac, v84
	v_sub_f32_e32 v80, v83, v80
	v_fmaak_f32 v81, v84, v81, 0x3f2aaada
	v_sub_f32_e32 v3, v3, v80
	v_ldexp_f32 v85, v83, 1
	v_mul_f32_e32 v83, v83, v84
	v_mov_b32_e32 v80, 0x3f317218
	v_pk_mul_f32 v[80:81], v[82:83], v[80:81]
	v_ldexp_f32 v3, v3, 1
	v_fma_f32 v83, v82, s34, -v80
	v_fmamk_f32 v84, v82, 0xb102e308, v83
	v_pk_add_f32 v[82:83], v[80:81], v[84:85]
	v_mov_b32_e32 v86, v80
	v_sub_f32_e32 v85, v83, v85
	v_sub_f32_e32 v85, v81, v85
	v_add_f32_e32 v87, v3, v85
	v_pk_add_f32 v[80:81], v[82:83], v[80:81] neg_lo:[0,1] neg_hi:[0,1]
	v_pk_add_f32 v[102:103], v[82:83], v[86:87]
	v_mov_b32_e32 v85, v82
	v_mov_b32_e32 v81, v103
	v_pk_add_f32 v[112:113], v[84:85], v[80:81] neg_lo:[0,1] neg_hi:[0,1]
	v_pk_add_f32 v[80:81], v[84:85], v[80:81]
	v_mov_b32_e32 v86, v87
	v_mov_b32_e32 v84, v81
	v_pk_add_f32 v[114:115], v[84:85], v[82:83] neg_lo:[0,1] neg_hi:[0,1]
	v_mov_b32_e32 v80, v103
	v_mov_b32_e32 v3, v114
	v_pk_add_f32 v[116:117], v[102:103], v[2:3] neg_lo:[0,1] neg_hi:[0,1]
	v_mov_b32_e32 v102, v83
	v_mov_b32_e32 v103, v114
	;; [unrolled: 1-line block ×3, first 2 shown]
	v_pk_add_f32 v[80:81], v[80:81], v[102:103] neg_lo:[0,1] neg_hi:[0,1]
	v_mov_b32_e32 v87, v82
	v_pk_add_f32 v[80:81], v[86:87], v[80:81] neg_lo:[0,1] neg_hi:[0,1]
	v_mov_b32_e32 v116, v112
	v_pk_add_f32 v[82:83], v[116:117], v[80:81]
	v_cmp_eq_f32_e64 s[34:35], s39, v53
	v_mov_b32_e32 v86, v83
	v_pk_add_f32 v[86:87], v[82:83], v[86:87]
	s_mov_b32 s39, 0x33800000
	v_pk_add_f32 v[84:85], v[84:85], v[86:87]
	v_mov_b32_e32 v81, v86
	v_mov_b32_e32 v83, v84
	v_pk_add_f32 v[102:103], v[82:83], v[112:113] neg_lo:[0,1] neg_hi:[0,1]
	v_cmp_lt_f32_e64 s[40:41], |v53|, s39
	v_sub_f32_e32 v3, v82, v102
	v_pk_add_f32 v[80:81], v[80:81], v[102:103] neg_lo:[0,1] neg_hi:[0,1]
	v_sub_f32_e32 v3, v112, v3
	v_add_f32_e32 v3, v80, v3
	v_add_f32_e32 v3, v3, v81
	;; [unrolled: 1-line block ×3, first 2 shown]
	s_or_b64 s[34:35], s[34:35], s[40:41]
	v_cndmask_b32_e64 v3, v3, v53, s[34:35]
	v_add_f32_e32 v53, v2, v3
.LBB141_304:
	s_or_b64 exec, exec, s[36:37]
	v_max_f32_e32 v80, v24, v24
	v_max_f32_e32 v2, v53, v53
	v_min_f32_e32 v3, v2, v80
	v_cmp_u_f32_e64 s[36:37], v53, v53
	v_max_f32_e32 v2, v2, v80
	v_cmp_u_f32_e64 s[34:35], v24, v24
	v_cndmask_b32_e64 v3, v3, v53, s[36:37]
	v_cndmask_b32_e64 v2, v2, v53, s[36:37]
	;; [unrolled: 1-line block ×4, first 2 shown]
	v_cmp_neq_f32_e64 s[36:37], v3, v2
	v_cmp_class_f32_e64 s[38:39], v3, s38
	s_or_b64 s[36:37], s[36:37], s[38:39]
	s_and_saveexec_b64 s[38:39], s[36:37]
	s_cbranch_execz .LBB141_306
; %bb.305:
	v_sub_f32_e32 v3, v3, v2
	s_mov_b32 s36, 0x3fb8aa3b
	v_mul_f32_e32 v53, 0x3fb8aa3b, v3
	v_fma_f32 v81, v3, s36, -v53
	v_rndne_f32_e32 v82, v53
	v_fmamk_f32 v81, v3, 0x32a5705f, v81
	v_sub_f32_e32 v53, v53, v82
	v_add_f32_e32 v53, v53, v81
	v_exp_f32_e32 v53, v53
	v_cvt_i32_f32_e32 v81, v82
	s_mov_b32 s36, 0xc2ce8ed0
	v_cmp_ngt_f32_e64 s[36:37], s36, v3
	s_mov_b32 s40, 0x7f800000
	v_ldexp_f32 v53, v53, v81
	v_cndmask_b32_e64 v53, 0, v53, s[36:37]
	s_mov_b32 s36, 0x42b17218
	v_mov_b32_e32 v81, 0x7f800000
	v_cmp_nlt_f32_e64 s[36:37], s36, v3
	s_nop 1
	v_cndmask_b32_e64 v53, v81, v53, s[36:37]
	v_add_f32_e32 v3, 1.0, v53
	v_add_f32_e32 v81, -1.0, v3
	v_sub_f32_e32 v82, v81, v3
	v_add_f32_e32 v82, 1.0, v82
	v_sub_f32_e32 v81, v53, v81
	v_add_f32_e32 v81, v81, v82
	v_frexp_mant_f32_e32 v84, v3
	s_mov_b32 s36, 0x3f2aaaab
	v_cvt_f64_f32_e32 v[82:83], v3
	v_frexp_exp_i32_f64_e32 v82, v[82:83]
	v_cmp_gt_f32_e64 s[36:37], s36, v84
	s_nop 1
	v_subbrev_co_u32_e64 v101, s[36:37], 0, v82, s[36:37]
	v_sub_u32_e32 v82, 0, v101
	v_ldexp_f32 v3, v3, v82
	v_ldexp_f32 v81, v81, v82
	v_add_f32_e32 v82, -1.0, v3
	v_add_f32_e32 v83, 1.0, v82
	v_sub_f32_e32 v83, v3, v83
	v_add_f32_e32 v84, v81, v83
	v_add_f32_e32 v83, 1.0, v3
	v_add_f32_e32 v85, -1.0, v83
	v_sub_f32_e32 v3, v3, v85
	v_add_f32_e32 v3, v81, v3
	v_add_f32_e32 v81, v83, v3
	v_rcp_f32_e32 v112, v81
	v_sub_f32_e32 v83, v83, v81
	v_add_f32_e32 v3, v3, v83
	v_add_f32_e32 v83, v82, v84
	v_sub_f32_e32 v82, v82, v83
	v_mul_f32_e32 v114, v83, v112
	v_add_f32_e32 v113, v84, v82
	v_mul_f32_e32 v84, v81, v114
	v_fma_f32 v86, v114, v81, -v84
	v_fmac_f32_e32 v86, v114, v3
	v_add_f32_e32 v82, v84, v86
	v_sub_f32_e32 v85, v83, v82
	v_pk_add_f32 v[102:103], v[82:83], v[84:85] neg_lo:[0,1] neg_hi:[0,1]
	v_mov_b32_e32 v87, v82
	v_pk_add_f32 v[82:83], v[102:103], v[86:87] neg_lo:[0,1] neg_hi:[0,1]
	s_mov_b32 s36, 0x3f317218
	v_add_f32_e32 v83, v113, v83
	v_add_f32_e32 v82, v82, v83
	;; [unrolled: 1-line block ×3, first 2 shown]
	v_mul_f32_e32 v113, v112, v83
	v_mul_f32_e32 v84, v81, v113
	v_fma_f32 v86, v113, v81, -v84
	v_fmac_f32_e32 v86, v113, v3
	v_sub_f32_e32 v3, v85, v83
	v_add_f32_e32 v3, v82, v3
	v_add_f32_e32 v82, v84, v86
	v_sub_f32_e32 v85, v83, v82
	v_pk_add_f32 v[102:103], v[82:83], v[84:85] neg_lo:[0,1] neg_hi:[0,1]
	v_mov_b32_e32 v87, v82
	v_pk_add_f32 v[82:83], v[102:103], v[86:87] neg_lo:[0,1] neg_hi:[0,1]
	v_add_f32_e32 v81, v114, v113
	v_add_f32_e32 v3, v3, v83
	;; [unrolled: 1-line block ×4, first 2 shown]
	v_sub_f32_e32 v82, v81, v114
	v_mul_f32_e32 v3, v112, v3
	v_sub_f32_e32 v82, v113, v82
	v_add_f32_e32 v3, v82, v3
	v_add_f32_e32 v82, v81, v3
	v_cvt_f32_i32_e32 v84, v101
	v_mul_f32_e32 v85, v82, v82
	v_mov_b32_e32 v83, 0x3ecc95a3
	v_fmac_f32_e32 v83, 0x3e9b6dac, v85
	v_fmaak_f32 v83, v85, v83, 0x3f2aaada
	v_sub_f32_e32 v81, v82, v81
	v_ldexp_f32 v87, v82, 1
	v_mul_f32_e32 v85, v82, v85
	v_mov_b32_e32 v82, 0x3f317218
	v_pk_mul_f32 v[82:83], v[84:85], v[82:83]
	v_sub_f32_e32 v3, v3, v81
	v_fma_f32 v81, v84, s36, -v82
	v_fmamk_f32 v86, v84, 0xb102e308, v81
	v_pk_add_f32 v[84:85], v[82:83], v[86:87]
	v_ldexp_f32 v3, v3, 1
	v_sub_f32_e32 v81, v85, v87
	v_sub_f32_e32 v81, v83, v81
	v_add_f32_e32 v103, v3, v81
	v_mov_b32_e32 v102, v82
	v_pk_add_f32 v[82:83], v[84:85], v[82:83] neg_lo:[0,1] neg_hi:[0,1]
	v_pk_add_f32 v[112:113], v[84:85], v[102:103]
	v_mov_b32_e32 v87, v84
	v_mov_b32_e32 v83, v113
	v_pk_add_f32 v[114:115], v[86:87], v[82:83] neg_lo:[0,1] neg_hi:[0,1]
	v_pk_add_f32 v[82:83], v[86:87], v[82:83]
	v_mov_b32_e32 v102, v103
	v_mov_b32_e32 v86, v83
	v_pk_add_f32 v[116:117], v[86:87], v[84:85] neg_lo:[0,1] neg_hi:[0,1]
	v_mov_b32_e32 v82, v113
	v_mov_b32_e32 v3, v116
	v_pk_add_f32 v[118:119], v[112:113], v[2:3] neg_lo:[0,1] neg_hi:[0,1]
	v_mov_b32_e32 v112, v85
	v_mov_b32_e32 v113, v116
	;; [unrolled: 1-line block ×3, first 2 shown]
	v_pk_add_f32 v[82:83], v[82:83], v[112:113] neg_lo:[0,1] neg_hi:[0,1]
	v_mov_b32_e32 v103, v84
	v_pk_add_f32 v[82:83], v[102:103], v[82:83] neg_lo:[0,1] neg_hi:[0,1]
	v_mov_b32_e32 v118, v114
	v_pk_add_f32 v[84:85], v[118:119], v[82:83]
	v_cmp_eq_f32_e64 s[36:37], s40, v53
	v_mov_b32_e32 v102, v85
	v_pk_add_f32 v[102:103], v[84:85], v[102:103]
	s_mov_b32 s40, 0x33800000
	v_pk_add_f32 v[86:87], v[86:87], v[102:103]
	v_mov_b32_e32 v83, v102
	v_mov_b32_e32 v85, v86
	v_pk_add_f32 v[112:113], v[84:85], v[114:115] neg_lo:[0,1] neg_hi:[0,1]
	v_cmp_lt_f32_e64 s[40:41], |v53|, s40
	v_sub_f32_e32 v3, v84, v112
	v_pk_add_f32 v[82:83], v[82:83], v[112:113] neg_lo:[0,1] neg_hi:[0,1]
	v_sub_f32_e32 v3, v114, v3
	v_add_f32_e32 v3, v82, v3
	v_add_f32_e32 v3, v3, v83
	;; [unrolled: 1-line block ×3, first 2 shown]
	s_or_b64 s[36:37], s[36:37], s[40:41]
	v_cndmask_b32_e64 v3, v3, v53, s[36:37]
	v_add_f32_e32 v53, v2, v3
.LBB141_306:
	s_or_b64 exec, exec, s[38:39]
	v_max_f32_e32 v81, v25, v25
	v_max_f32_e32 v2, v53, v53
	v_min_f32_e32 v3, v2, v81
	v_cmp_u_f32_e64 s[38:39], v53, v53
	v_max_f32_e32 v2, v2, v81
	v_cmp_u_f32_e64 s[36:37], v25, v25
	v_cndmask_b32_e64 v3, v3, v53, s[38:39]
	v_cndmask_b32_e64 v2, v2, v53, s[38:39]
	v_cndmask_b32_e64 v3, v3, v25, s[36:37]
	v_cndmask_b32_e64 v2, v2, v25, s[36:37]
	s_movk_i32 s42, 0x1f8
	v_cmp_neq_f32_e64 s[38:39], v3, v2
	v_cmp_class_f32_e64 s[40:41], v3, s42
	s_or_b64 s[38:39], s[38:39], s[40:41]
	s_and_saveexec_b64 s[40:41], s[38:39]
	s_cbranch_execz .LBB141_308
; %bb.307:
	v_sub_f32_e32 v3, v3, v2
	s_mov_b32 s38, 0x3fb8aa3b
	v_mul_f32_e32 v53, 0x3fb8aa3b, v3
	v_fma_f32 v82, v3, s38, -v53
	v_rndne_f32_e32 v83, v53
	v_fmamk_f32 v82, v3, 0x32a5705f, v82
	v_sub_f32_e32 v53, v53, v83
	v_add_f32_e32 v53, v53, v82
	v_exp_f32_e32 v53, v53
	v_cvt_i32_f32_e32 v82, v83
	s_mov_b32 s38, 0xc2ce8ed0
	v_cmp_ngt_f32_e64 s[38:39], s38, v3
	s_mov_b32 s43, 0x7f800000
	v_ldexp_f32 v53, v53, v82
	v_cndmask_b32_e64 v53, 0, v53, s[38:39]
	s_mov_b32 s38, 0x42b17218
	v_mov_b32_e32 v82, 0x7f800000
	v_cmp_nlt_f32_e64 s[38:39], s38, v3
	s_nop 1
	v_cndmask_b32_e64 v53, v82, v53, s[38:39]
	v_add_f32_e32 v3, 1.0, v53
	v_add_f32_e32 v82, -1.0, v3
	v_sub_f32_e32 v83, v82, v3
	v_add_f32_e32 v83, 1.0, v83
	v_sub_f32_e32 v82, v53, v82
	v_add_f32_e32 v84, v82, v83
	v_frexp_mant_f32_e32 v85, v3
	s_mov_b32 s38, 0x3f2aaaab
	v_cvt_f64_f32_e32 v[82:83], v3
	v_frexp_exp_i32_f64_e32 v82, v[82:83]
	v_cmp_gt_f32_e64 s[38:39], s38, v85
	s_nop 1
	v_subbrev_co_u32_e64 v101, s[38:39], 0, v82, s[38:39]
	v_sub_u32_e32 v82, 0, v101
	v_ldexp_f32 v3, v3, v82
	v_ldexp_f32 v82, v84, v82
	v_add_f32_e32 v84, -1.0, v3
	v_add_f32_e32 v83, 1.0, v84
	v_sub_f32_e32 v83, v3, v83
	v_add_f32_e32 v85, v82, v83
	v_add_f32_e32 v83, 1.0, v3
	v_add_f32_e32 v86, -1.0, v83
	v_sub_f32_e32 v3, v3, v86
	v_add_f32_e32 v3, v82, v3
	v_add_f32_e32 v112, v83, v3
	v_rcp_f32_e32 v113, v112
	v_sub_f32_e32 v82, v83, v112
	v_add_f32_e32 v83, v84, v85
	v_add_f32_e32 v3, v3, v82
	v_mul_f32_e32 v115, v83, v113
	v_sub_f32_e32 v82, v84, v83
	v_mul_f32_e32 v84, v112, v115
	v_fma_f32 v86, v115, v112, -v84
	v_fmac_f32_e32 v86, v115, v3
	v_add_f32_e32 v114, v85, v82
	v_add_f32_e32 v82, v84, v86
	v_sub_f32_e32 v85, v83, v82
	v_pk_add_f32 v[102:103], v[82:83], v[84:85] neg_lo:[0,1] neg_hi:[0,1]
	v_mov_b32_e32 v87, v82
	v_pk_add_f32 v[82:83], v[102:103], v[86:87] neg_lo:[0,1] neg_hi:[0,1]
	s_mov_b32 s38, 0x3f317218
	v_add_f32_e32 v83, v114, v83
	v_add_f32_e32 v82, v82, v83
	;; [unrolled: 1-line block ×3, first 2 shown]
	v_mul_f32_e32 v114, v113, v83
	v_mul_f32_e32 v84, v112, v114
	v_fma_f32 v86, v114, v112, -v84
	v_fmac_f32_e32 v86, v114, v3
	v_sub_f32_e32 v3, v85, v83
	v_add_f32_e32 v3, v82, v3
	v_add_f32_e32 v82, v84, v86
	v_sub_f32_e32 v85, v83, v82
	v_pk_add_f32 v[102:103], v[82:83], v[84:85] neg_lo:[0,1] neg_hi:[0,1]
	v_mov_b32_e32 v87, v82
	v_pk_add_f32 v[82:83], v[102:103], v[86:87] neg_lo:[0,1] neg_hi:[0,1]
	v_cvt_f32_i32_e32 v84, v101
	v_add_f32_e32 v3, v3, v83
	v_add_f32_e32 v3, v82, v3
	v_add_f32_e32 v82, v115, v114
	v_add_f32_e32 v3, v85, v3
	v_sub_f32_e32 v83, v82, v115
	v_mul_f32_e32 v3, v113, v3
	v_sub_f32_e32 v83, v114, v83
	v_add_f32_e32 v3, v83, v3
	v_add_f32_e32 v85, v82, v3
	v_mul_f32_e32 v86, v85, v85
	v_mov_b32_e32 v83, 0x3ecc95a3
	v_fmac_f32_e32 v83, 0x3e9b6dac, v86
	v_sub_f32_e32 v82, v85, v82
	v_fmaak_f32 v83, v86, v83, 0x3f2aaada
	v_sub_f32_e32 v3, v3, v82
	v_ldexp_f32 v87, v85, 1
	v_mul_f32_e32 v85, v85, v86
	v_mov_b32_e32 v82, 0x3f317218
	v_pk_mul_f32 v[82:83], v[84:85], v[82:83]
	v_ldexp_f32 v3, v3, 1
	v_fma_f32 v85, v84, s38, -v82
	v_fmamk_f32 v86, v84, 0xb102e308, v85
	v_pk_add_f32 v[84:85], v[82:83], v[86:87]
	v_mov_b32_e32 v102, v82
	v_sub_f32_e32 v87, v85, v87
	v_sub_f32_e32 v87, v83, v87
	v_add_f32_e32 v103, v3, v87
	v_pk_add_f32 v[82:83], v[84:85], v[82:83] neg_lo:[0,1] neg_hi:[0,1]
	v_pk_add_f32 v[112:113], v[84:85], v[102:103]
	v_mov_b32_e32 v87, v84
	v_mov_b32_e32 v83, v113
	v_pk_add_f32 v[114:115], v[86:87], v[82:83] neg_lo:[0,1] neg_hi:[0,1]
	v_pk_add_f32 v[82:83], v[86:87], v[82:83]
	v_mov_b32_e32 v102, v103
	v_mov_b32_e32 v86, v83
	v_pk_add_f32 v[116:117], v[86:87], v[84:85] neg_lo:[0,1] neg_hi:[0,1]
	v_mov_b32_e32 v82, v113
	v_mov_b32_e32 v3, v116
	v_pk_add_f32 v[118:119], v[112:113], v[2:3] neg_lo:[0,1] neg_hi:[0,1]
	v_mov_b32_e32 v112, v85
	v_mov_b32_e32 v113, v116
	;; [unrolled: 1-line block ×3, first 2 shown]
	v_pk_add_f32 v[82:83], v[82:83], v[112:113] neg_lo:[0,1] neg_hi:[0,1]
	v_mov_b32_e32 v103, v84
	v_pk_add_f32 v[82:83], v[102:103], v[82:83] neg_lo:[0,1] neg_hi:[0,1]
	v_mov_b32_e32 v118, v114
	v_pk_add_f32 v[84:85], v[118:119], v[82:83]
	v_cmp_eq_f32_e64 s[38:39], s43, v53
	v_mov_b32_e32 v102, v85
	v_pk_add_f32 v[102:103], v[84:85], v[102:103]
	s_mov_b32 s43, 0x33800000
	v_pk_add_f32 v[86:87], v[86:87], v[102:103]
	v_mov_b32_e32 v83, v102
	v_mov_b32_e32 v85, v86
	v_pk_add_f32 v[112:113], v[84:85], v[114:115] neg_lo:[0,1] neg_hi:[0,1]
	v_cmp_lt_f32_e64 s[44:45], |v53|, s43
	v_sub_f32_e32 v3, v84, v112
	v_pk_add_f32 v[82:83], v[82:83], v[112:113] neg_lo:[0,1] neg_hi:[0,1]
	v_sub_f32_e32 v3, v114, v3
	v_add_f32_e32 v3, v82, v3
	v_add_f32_e32 v3, v3, v83
	;; [unrolled: 1-line block ×3, first 2 shown]
	s_or_b64 s[38:39], s[38:39], s[44:45]
	v_cndmask_b32_e64 v3, v3, v53, s[38:39]
	v_add_f32_e32 v53, v2, v3
.LBB141_308:
	s_or_b64 exec, exec, s[40:41]
	v_max_f32_e32 v82, v26, v26
	v_max_f32_e32 v2, v53, v53
	v_min_f32_e32 v3, v2, v82
	v_cmp_u_f32_e64 s[40:41], v53, v53
	v_max_f32_e32 v2, v2, v82
	v_cmp_u_f32_e64 s[38:39], v26, v26
	v_cndmask_b32_e64 v3, v3, v53, s[40:41]
	v_cndmask_b32_e64 v2, v2, v53, s[40:41]
	;; [unrolled: 1-line block ×4, first 2 shown]
	v_cmp_neq_f32_e64 s[40:41], v3, v2
	v_cmp_class_f32_e64 s[42:43], v3, s42
	s_or_b64 s[40:41], s[40:41], s[42:43]
	s_and_saveexec_b64 s[42:43], s[40:41]
	s_cbranch_execz .LBB141_310
; %bb.309:
	v_sub_f32_e32 v3, v3, v2
	s_mov_b32 s40, 0x3fb8aa3b
	v_mul_f32_e32 v53, 0x3fb8aa3b, v3
	v_fma_f32 v83, v3, s40, -v53
	v_rndne_f32_e32 v84, v53
	v_fmamk_f32 v83, v3, 0x32a5705f, v83
	v_sub_f32_e32 v53, v53, v84
	v_add_f32_e32 v53, v53, v83
	v_exp_f32_e32 v53, v53
	v_cvt_i32_f32_e32 v83, v84
	s_mov_b32 s40, 0xc2ce8ed0
	v_cmp_ngt_f32_e64 s[40:41], s40, v3
	s_mov_b32 s44, 0x7f800000
	v_ldexp_f32 v53, v53, v83
	v_cndmask_b32_e64 v53, 0, v53, s[40:41]
	s_mov_b32 s40, 0x42b17218
	v_mov_b32_e32 v83, 0x7f800000
	v_cmp_nlt_f32_e64 s[40:41], s40, v3
	s_nop 1
	v_cndmask_b32_e64 v53, v83, v53, s[40:41]
	v_add_f32_e32 v3, 1.0, v53
	v_add_f32_e32 v83, -1.0, v3
	v_sub_f32_e32 v84, v83, v3
	v_add_f32_e32 v84, 1.0, v84
	v_sub_f32_e32 v83, v53, v83
	v_add_f32_e32 v83, v83, v84
	v_frexp_mant_f32_e32 v86, v3
	s_mov_b32 s40, 0x3f2aaaab
	v_cvt_f64_f32_e32 v[84:85], v3
	v_frexp_exp_i32_f64_e32 v84, v[84:85]
	v_cmp_gt_f32_e64 s[40:41], s40, v86
	s_nop 1
	v_subbrev_co_u32_e64 v101, s[40:41], 0, v84, s[40:41]
	v_sub_u32_e32 v84, 0, v101
	v_ldexp_f32 v3, v3, v84
	v_ldexp_f32 v83, v83, v84
	v_add_f32_e32 v84, -1.0, v3
	v_add_f32_e32 v85, 1.0, v84
	v_sub_f32_e32 v85, v3, v85
	v_add_f32_e32 v86, v83, v85
	v_add_f32_e32 v85, 1.0, v3
	v_add_f32_e32 v87, -1.0, v85
	v_sub_f32_e32 v3, v3, v87
	v_add_f32_e32 v3, v83, v3
	v_add_f32_e32 v83, v85, v3
	v_rcp_f32_e32 v114, v83
	v_sub_f32_e32 v85, v85, v83
	v_add_f32_e32 v3, v3, v85
	v_add_f32_e32 v85, v84, v86
	v_sub_f32_e32 v84, v84, v85
	v_mul_f32_e32 v116, v85, v114
	v_add_f32_e32 v115, v86, v84
	v_mul_f32_e32 v86, v83, v116
	v_fma_f32 v102, v116, v83, -v86
	v_fmac_f32_e32 v102, v116, v3
	v_add_f32_e32 v84, v86, v102
	v_sub_f32_e32 v87, v85, v84
	v_pk_add_f32 v[112:113], v[84:85], v[86:87] neg_lo:[0,1] neg_hi:[0,1]
	v_mov_b32_e32 v103, v84
	v_pk_add_f32 v[84:85], v[112:113], v[102:103] neg_lo:[0,1] neg_hi:[0,1]
	s_mov_b32 s40, 0x3f317218
	v_add_f32_e32 v85, v115, v85
	v_add_f32_e32 v84, v84, v85
	;; [unrolled: 1-line block ×3, first 2 shown]
	v_mul_f32_e32 v115, v114, v85
	v_mul_f32_e32 v86, v83, v115
	v_fma_f32 v102, v115, v83, -v86
	v_fmac_f32_e32 v102, v115, v3
	v_sub_f32_e32 v3, v87, v85
	v_add_f32_e32 v3, v84, v3
	v_add_f32_e32 v84, v86, v102
	v_sub_f32_e32 v87, v85, v84
	v_pk_add_f32 v[112:113], v[84:85], v[86:87] neg_lo:[0,1] neg_hi:[0,1]
	v_mov_b32_e32 v103, v84
	v_pk_add_f32 v[84:85], v[112:113], v[102:103] neg_lo:[0,1] neg_hi:[0,1]
	v_add_f32_e32 v83, v116, v115
	v_add_f32_e32 v3, v3, v85
	;; [unrolled: 1-line block ×4, first 2 shown]
	v_sub_f32_e32 v84, v83, v116
	v_mul_f32_e32 v3, v114, v3
	v_sub_f32_e32 v84, v115, v84
	v_add_f32_e32 v3, v84, v3
	v_add_f32_e32 v84, v83, v3
	v_cvt_f32_i32_e32 v86, v101
	v_mul_f32_e32 v87, v84, v84
	v_mov_b32_e32 v85, 0x3ecc95a3
	v_fmac_f32_e32 v85, 0x3e9b6dac, v87
	v_fmaak_f32 v85, v87, v85, 0x3f2aaada
	v_sub_f32_e32 v83, v84, v83
	v_ldexp_f32 v103, v84, 1
	v_mul_f32_e32 v87, v84, v87
	v_mov_b32_e32 v84, 0x3f317218
	v_pk_mul_f32 v[84:85], v[86:87], v[84:85]
	v_sub_f32_e32 v3, v3, v83
	v_fma_f32 v83, v86, s40, -v84
	v_fmamk_f32 v102, v86, 0xb102e308, v83
	v_pk_add_f32 v[86:87], v[84:85], v[102:103]
	v_ldexp_f32 v3, v3, 1
	v_sub_f32_e32 v83, v87, v103
	v_sub_f32_e32 v83, v85, v83
	v_add_f32_e32 v113, v3, v83
	v_mov_b32_e32 v112, v84
	v_pk_add_f32 v[84:85], v[86:87], v[84:85] neg_lo:[0,1] neg_hi:[0,1]
	v_pk_add_f32 v[114:115], v[86:87], v[112:113]
	v_mov_b32_e32 v103, v86
	v_mov_b32_e32 v85, v115
	v_pk_add_f32 v[116:117], v[102:103], v[84:85] neg_lo:[0,1] neg_hi:[0,1]
	v_pk_add_f32 v[84:85], v[102:103], v[84:85]
	v_mov_b32_e32 v112, v113
	v_mov_b32_e32 v102, v85
	v_pk_add_f32 v[118:119], v[102:103], v[86:87] neg_lo:[0,1] neg_hi:[0,1]
	v_mov_b32_e32 v84, v115
	v_mov_b32_e32 v3, v118
	v_pk_add_f32 v[128:129], v[114:115], v[2:3] neg_lo:[0,1] neg_hi:[0,1]
	v_mov_b32_e32 v114, v87
	v_mov_b32_e32 v115, v118
	;; [unrolled: 1-line block ×3, first 2 shown]
	v_pk_add_f32 v[84:85], v[84:85], v[114:115] neg_lo:[0,1] neg_hi:[0,1]
	v_mov_b32_e32 v113, v86
	v_pk_add_f32 v[84:85], v[112:113], v[84:85] neg_lo:[0,1] neg_hi:[0,1]
	v_mov_b32_e32 v128, v116
	v_pk_add_f32 v[86:87], v[128:129], v[84:85]
	v_cmp_eq_f32_e64 s[40:41], s44, v53
	v_mov_b32_e32 v112, v87
	v_pk_add_f32 v[112:113], v[86:87], v[112:113]
	s_mov_b32 s44, 0x33800000
	v_pk_add_f32 v[102:103], v[102:103], v[112:113]
	v_mov_b32_e32 v85, v112
	v_mov_b32_e32 v87, v102
	v_pk_add_f32 v[114:115], v[86:87], v[116:117] neg_lo:[0,1] neg_hi:[0,1]
	v_cmp_lt_f32_e64 s[44:45], |v53|, s44
	v_sub_f32_e32 v3, v86, v114
	v_pk_add_f32 v[84:85], v[84:85], v[114:115] neg_lo:[0,1] neg_hi:[0,1]
	v_sub_f32_e32 v3, v116, v3
	v_add_f32_e32 v3, v84, v3
	v_add_f32_e32 v3, v3, v85
	;; [unrolled: 1-line block ×3, first 2 shown]
	s_or_b64 s[40:41], s[40:41], s[44:45]
	v_cndmask_b32_e64 v3, v3, v53, s[40:41]
	v_add_f32_e32 v53, v2, v3
.LBB141_310:
	s_or_b64 exec, exec, s[42:43]
	v_max_f32_e32 v83, v27, v27
	v_max_f32_e32 v2, v53, v53
	v_min_f32_e32 v3, v2, v83
	v_cmp_u_f32_e64 s[42:43], v53, v53
	v_max_f32_e32 v2, v2, v83
	v_cmp_u_f32_e64 s[40:41], v27, v27
	v_cndmask_b32_e64 v3, v3, v53, s[42:43]
	v_cndmask_b32_e64 v2, v2, v53, s[42:43]
	;; [unrolled: 1-line block ×4, first 2 shown]
	s_movk_i32 s46, 0x1f8
	v_cmp_neq_f32_e64 s[42:43], v3, v2
	v_cmp_class_f32_e64 s[44:45], v3, s46
	s_or_b64 s[42:43], s[42:43], s[44:45]
	s_and_saveexec_b64 s[44:45], s[42:43]
	s_cbranch_execz .LBB141_312
; %bb.311:
	v_sub_f32_e32 v3, v3, v2
	s_mov_b32 s42, 0x3fb8aa3b
	v_mul_f32_e32 v53, 0x3fb8aa3b, v3
	v_fma_f32 v84, v3, s42, -v53
	v_rndne_f32_e32 v85, v53
	v_fmamk_f32 v84, v3, 0x32a5705f, v84
	v_sub_f32_e32 v53, v53, v85
	v_add_f32_e32 v53, v53, v84
	v_exp_f32_e32 v53, v53
	v_cvt_i32_f32_e32 v84, v85
	s_mov_b32 s42, 0xc2ce8ed0
	v_cmp_ngt_f32_e64 s[42:43], s42, v3
	s_mov_b32 s47, 0x7f800000
	v_ldexp_f32 v53, v53, v84
	v_cndmask_b32_e64 v53, 0, v53, s[42:43]
	s_mov_b32 s42, 0x42b17218
	v_mov_b32_e32 v84, 0x7f800000
	v_cmp_nlt_f32_e64 s[42:43], s42, v3
	s_nop 1
	v_cndmask_b32_e64 v53, v84, v53, s[42:43]
	v_add_f32_e32 v3, 1.0, v53
	v_add_f32_e32 v84, -1.0, v3
	v_sub_f32_e32 v85, v84, v3
	v_add_f32_e32 v85, 1.0, v85
	v_sub_f32_e32 v84, v53, v84
	v_add_f32_e32 v86, v84, v85
	v_frexp_mant_f32_e32 v87, v3
	s_mov_b32 s42, 0x3f2aaaab
	v_cvt_f64_f32_e32 v[84:85], v3
	v_frexp_exp_i32_f64_e32 v84, v[84:85]
	v_cmp_gt_f32_e64 s[42:43], s42, v87
	s_nop 1
	v_subbrev_co_u32_e64 v101, s[42:43], 0, v84, s[42:43]
	v_sub_u32_e32 v84, 0, v101
	v_ldexp_f32 v3, v3, v84
	v_ldexp_f32 v84, v86, v84
	v_add_f32_e32 v86, -1.0, v3
	v_add_f32_e32 v85, 1.0, v86
	v_sub_f32_e32 v85, v3, v85
	v_add_f32_e32 v87, v84, v85
	v_add_f32_e32 v85, 1.0, v3
	v_add_f32_e32 v102, -1.0, v85
	v_sub_f32_e32 v3, v3, v102
	v_add_f32_e32 v3, v84, v3
	v_add_f32_e32 v114, v85, v3
	v_rcp_f32_e32 v115, v114
	v_sub_f32_e32 v84, v85, v114
	v_add_f32_e32 v85, v86, v87
	v_add_f32_e32 v3, v3, v84
	v_mul_f32_e32 v117, v85, v115
	v_sub_f32_e32 v84, v86, v85
	v_mul_f32_e32 v86, v114, v117
	v_fma_f32 v102, v117, v114, -v86
	v_fmac_f32_e32 v102, v117, v3
	v_add_f32_e32 v116, v87, v84
	v_add_f32_e32 v84, v86, v102
	v_sub_f32_e32 v87, v85, v84
	v_pk_add_f32 v[112:113], v[84:85], v[86:87] neg_lo:[0,1] neg_hi:[0,1]
	v_mov_b32_e32 v103, v84
	v_pk_add_f32 v[84:85], v[112:113], v[102:103] neg_lo:[0,1] neg_hi:[0,1]
	s_mov_b32 s42, 0x3f317218
	v_add_f32_e32 v85, v116, v85
	v_add_f32_e32 v84, v84, v85
	v_add_f32_e32 v85, v87, v84
	v_mul_f32_e32 v116, v115, v85
	v_mul_f32_e32 v86, v114, v116
	v_fma_f32 v102, v116, v114, -v86
	v_fmac_f32_e32 v102, v116, v3
	v_sub_f32_e32 v3, v87, v85
	v_add_f32_e32 v3, v84, v3
	v_add_f32_e32 v84, v86, v102
	v_sub_f32_e32 v87, v85, v84
	v_pk_add_f32 v[112:113], v[84:85], v[86:87] neg_lo:[0,1] neg_hi:[0,1]
	v_mov_b32_e32 v103, v84
	v_pk_add_f32 v[84:85], v[112:113], v[102:103] neg_lo:[0,1] neg_hi:[0,1]
	v_cvt_f32_i32_e32 v86, v101
	v_add_f32_e32 v3, v3, v85
	v_add_f32_e32 v3, v84, v3
	;; [unrolled: 1-line block ×4, first 2 shown]
	v_sub_f32_e32 v85, v84, v117
	v_mul_f32_e32 v3, v115, v3
	v_sub_f32_e32 v85, v116, v85
	v_add_f32_e32 v3, v85, v3
	v_add_f32_e32 v87, v84, v3
	v_mul_f32_e32 v102, v87, v87
	v_mov_b32_e32 v85, 0x3ecc95a3
	v_fmac_f32_e32 v85, 0x3e9b6dac, v102
	v_sub_f32_e32 v84, v87, v84
	v_fmaak_f32 v85, v102, v85, 0x3f2aaada
	v_sub_f32_e32 v3, v3, v84
	v_ldexp_f32 v103, v87, 1
	v_mul_f32_e32 v87, v87, v102
	v_mov_b32_e32 v84, 0x3f317218
	v_pk_mul_f32 v[84:85], v[86:87], v[84:85]
	v_ldexp_f32 v3, v3, 1
	v_fma_f32 v87, v86, s42, -v84
	v_fmamk_f32 v102, v86, 0xb102e308, v87
	v_pk_add_f32 v[86:87], v[84:85], v[102:103]
	v_mov_b32_e32 v112, v84
	v_sub_f32_e32 v101, v87, v103
	v_sub_f32_e32 v101, v85, v101
	v_add_f32_e32 v113, v3, v101
	v_pk_add_f32 v[84:85], v[86:87], v[84:85] neg_lo:[0,1] neg_hi:[0,1]
	v_pk_add_f32 v[114:115], v[86:87], v[112:113]
	v_mov_b32_e32 v103, v86
	v_mov_b32_e32 v85, v115
	v_pk_add_f32 v[116:117], v[102:103], v[84:85] neg_lo:[0,1] neg_hi:[0,1]
	v_pk_add_f32 v[84:85], v[102:103], v[84:85]
	v_mov_b32_e32 v112, v113
	v_mov_b32_e32 v102, v85
	v_pk_add_f32 v[118:119], v[102:103], v[86:87] neg_lo:[0,1] neg_hi:[0,1]
	v_mov_b32_e32 v84, v115
	v_mov_b32_e32 v3, v118
	v_pk_add_f32 v[128:129], v[114:115], v[2:3] neg_lo:[0,1] neg_hi:[0,1]
	v_mov_b32_e32 v114, v87
	v_mov_b32_e32 v115, v118
	;; [unrolled: 1-line block ×3, first 2 shown]
	v_pk_add_f32 v[84:85], v[84:85], v[114:115] neg_lo:[0,1] neg_hi:[0,1]
	v_mov_b32_e32 v113, v86
	v_pk_add_f32 v[84:85], v[112:113], v[84:85] neg_lo:[0,1] neg_hi:[0,1]
	v_mov_b32_e32 v128, v116
	v_pk_add_f32 v[86:87], v[128:129], v[84:85]
	v_cmp_eq_f32_e64 s[42:43], s47, v53
	v_mov_b32_e32 v112, v87
	v_pk_add_f32 v[112:113], v[86:87], v[112:113]
	s_mov_b32 s47, 0x33800000
	v_pk_add_f32 v[102:103], v[102:103], v[112:113]
	v_mov_b32_e32 v85, v112
	v_mov_b32_e32 v87, v102
	v_pk_add_f32 v[114:115], v[86:87], v[116:117] neg_lo:[0,1] neg_hi:[0,1]
	v_cmp_lt_f32_e64 s[48:49], |v53|, s47
	v_sub_f32_e32 v3, v86, v114
	v_pk_add_f32 v[84:85], v[84:85], v[114:115] neg_lo:[0,1] neg_hi:[0,1]
	v_sub_f32_e32 v3, v116, v3
	v_add_f32_e32 v3, v84, v3
	v_add_f32_e32 v3, v3, v85
	v_add_f32_e32 v3, v102, v3
	s_or_b64 s[42:43], s[42:43], s[48:49]
	v_cndmask_b32_e64 v3, v3, v53, s[42:43]
	v_add_f32_e32 v53, v2, v3
.LBB141_312:
	s_or_b64 exec, exec, s[44:45]
	v_max_f32_e32 v84, v20, v20
	v_max_f32_e32 v2, v53, v53
	v_min_f32_e32 v3, v2, v84
	v_cmp_u_f32_e64 s[44:45], v53, v53
	v_max_f32_e32 v2, v2, v84
	v_cmp_u_f32_e64 s[42:43], v20, v20
	v_cndmask_b32_e64 v3, v3, v53, s[44:45]
	v_cndmask_b32_e64 v2, v2, v53, s[44:45]
	;; [unrolled: 1-line block ×4, first 2 shown]
	v_cmp_neq_f32_e64 s[44:45], v3, v2
	v_cmp_class_f32_e64 s[46:47], v3, s46
	s_or_b64 s[44:45], s[44:45], s[46:47]
	s_and_saveexec_b64 s[46:47], s[44:45]
	s_cbranch_execz .LBB141_314
; %bb.313:
	v_sub_f32_e32 v3, v3, v2
	s_mov_b32 s44, 0x3fb8aa3b
	v_mul_f32_e32 v53, 0x3fb8aa3b, v3
	v_fma_f32 v85, v3, s44, -v53
	v_rndne_f32_e32 v86, v53
	v_fmamk_f32 v85, v3, 0x32a5705f, v85
	v_sub_f32_e32 v53, v53, v86
	v_add_f32_e32 v53, v53, v85
	v_exp_f32_e32 v53, v53
	v_cvt_i32_f32_e32 v85, v86
	s_mov_b32 s44, 0xc2ce8ed0
	v_cmp_ngt_f32_e64 s[44:45], s44, v3
	s_mov_b32 s48, 0x7f800000
	v_ldexp_f32 v53, v53, v85
	v_cndmask_b32_e64 v53, 0, v53, s[44:45]
	s_mov_b32 s44, 0x42b17218
	v_mov_b32_e32 v85, 0x7f800000
	v_cmp_nlt_f32_e64 s[44:45], s44, v3
	s_nop 1
	v_cndmask_b32_e64 v53, v85, v53, s[44:45]
	v_add_f32_e32 v3, 1.0, v53
	v_add_f32_e32 v85, -1.0, v3
	v_sub_f32_e32 v86, v85, v3
	v_add_f32_e32 v86, 1.0, v86
	v_sub_f32_e32 v85, v53, v85
	v_add_f32_e32 v85, v85, v86
	v_frexp_mant_f32_e32 v101, v3
	s_mov_b32 s44, 0x3f2aaaab
	v_cvt_f64_f32_e32 v[86:87], v3
	v_frexp_exp_i32_f64_e32 v86, v[86:87]
	v_cmp_gt_f32_e64 s[44:45], s44, v101
	s_nop 1
	v_subbrev_co_u32_e64 v101, s[44:45], 0, v86, s[44:45]
	v_sub_u32_e32 v86, 0, v101
	v_ldexp_f32 v3, v3, v86
	v_ldexp_f32 v85, v85, v86
	v_add_f32_e32 v86, -1.0, v3
	v_add_f32_e32 v87, 1.0, v86
	v_sub_f32_e32 v87, v3, v87
	v_add_f32_e32 v102, v85, v87
	v_add_f32_e32 v87, 1.0, v3
	v_add_f32_e32 v103, -1.0, v87
	v_sub_f32_e32 v3, v3, v103
	v_add_f32_e32 v3, v85, v3
	v_add_f32_e32 v85, v87, v3
	v_rcp_f32_e32 v116, v85
	v_sub_f32_e32 v87, v87, v85
	v_add_f32_e32 v3, v3, v87
	v_add_f32_e32 v87, v86, v102
	v_sub_f32_e32 v86, v86, v87
	v_mul_f32_e32 v118, v87, v116
	v_add_f32_e32 v117, v102, v86
	v_mul_f32_e32 v102, v85, v118
	v_fma_f32 v112, v118, v85, -v102
	v_fmac_f32_e32 v112, v118, v3
	v_add_f32_e32 v86, v102, v112
	v_sub_f32_e32 v103, v87, v86
	v_pk_add_f32 v[114:115], v[86:87], v[102:103] neg_lo:[0,1] neg_hi:[0,1]
	v_mov_b32_e32 v113, v86
	v_pk_add_f32 v[86:87], v[114:115], v[112:113] neg_lo:[0,1] neg_hi:[0,1]
	s_mov_b32 s44, 0x3f317218
	v_add_f32_e32 v87, v117, v87
	v_add_f32_e32 v86, v86, v87
	;; [unrolled: 1-line block ×3, first 2 shown]
	v_mul_f32_e32 v117, v116, v87
	v_mul_f32_e32 v102, v85, v117
	v_fma_f32 v112, v117, v85, -v102
	v_fmac_f32_e32 v112, v117, v3
	v_sub_f32_e32 v3, v103, v87
	v_add_f32_e32 v3, v86, v3
	v_add_f32_e32 v86, v102, v112
	v_sub_f32_e32 v103, v87, v86
	v_pk_add_f32 v[114:115], v[86:87], v[102:103] neg_lo:[0,1] neg_hi:[0,1]
	v_mov_b32_e32 v113, v86
	v_pk_add_f32 v[86:87], v[114:115], v[112:113] neg_lo:[0,1] neg_hi:[0,1]
	v_add_f32_e32 v85, v118, v117
	v_add_f32_e32 v3, v3, v87
	;; [unrolled: 1-line block ×4, first 2 shown]
	v_sub_f32_e32 v86, v85, v118
	v_mul_f32_e32 v3, v116, v3
	v_sub_f32_e32 v86, v117, v86
	v_add_f32_e32 v3, v86, v3
	v_add_f32_e32 v86, v85, v3
	v_cvt_f32_i32_e32 v102, v101
	v_mul_f32_e32 v103, v86, v86
	v_mov_b32_e32 v87, 0x3ecc95a3
	v_fmac_f32_e32 v87, 0x3e9b6dac, v103
	v_fmaak_f32 v87, v103, v87, 0x3f2aaada
	v_sub_f32_e32 v85, v86, v85
	v_ldexp_f32 v113, v86, 1
	v_mul_f32_e32 v103, v86, v103
	v_mov_b32_e32 v86, 0x3f317218
	v_pk_mul_f32 v[86:87], v[102:103], v[86:87]
	v_sub_f32_e32 v3, v3, v85
	v_fma_f32 v85, v102, s44, -v86
	v_fmamk_f32 v112, v102, 0xb102e308, v85
	v_pk_add_f32 v[102:103], v[86:87], v[112:113]
	v_ldexp_f32 v3, v3, 1
	v_sub_f32_e32 v85, v103, v113
	v_sub_f32_e32 v85, v87, v85
	v_add_f32_e32 v115, v3, v85
	v_mov_b32_e32 v114, v86
	v_pk_add_f32 v[86:87], v[102:103], v[86:87] neg_lo:[0,1] neg_hi:[0,1]
	v_pk_add_f32 v[116:117], v[102:103], v[114:115]
	v_mov_b32_e32 v113, v102
	v_mov_b32_e32 v87, v117
	v_pk_add_f32 v[118:119], v[112:113], v[86:87] neg_lo:[0,1] neg_hi:[0,1]
	v_pk_add_f32 v[86:87], v[112:113], v[86:87]
	v_mov_b32_e32 v114, v115
	v_mov_b32_e32 v112, v87
	v_pk_add_f32 v[128:129], v[112:113], v[102:103] neg_lo:[0,1] neg_hi:[0,1]
	v_mov_b32_e32 v86, v117
	v_mov_b32_e32 v3, v128
	v_pk_add_f32 v[130:131], v[116:117], v[2:3] neg_lo:[0,1] neg_hi:[0,1]
	v_mov_b32_e32 v116, v103
	v_mov_b32_e32 v117, v128
	;; [unrolled: 1-line block ×3, first 2 shown]
	v_pk_add_f32 v[86:87], v[86:87], v[116:117] neg_lo:[0,1] neg_hi:[0,1]
	v_mov_b32_e32 v115, v102
	v_pk_add_f32 v[86:87], v[114:115], v[86:87] neg_lo:[0,1] neg_hi:[0,1]
	v_mov_b32_e32 v130, v118
	v_pk_add_f32 v[102:103], v[130:131], v[86:87]
	v_cmp_eq_f32_e64 s[44:45], s48, v53
	v_mov_b32_e32 v114, v103
	v_pk_add_f32 v[114:115], v[102:103], v[114:115]
	s_mov_b32 s48, 0x33800000
	v_pk_add_f32 v[112:113], v[112:113], v[114:115]
	v_mov_b32_e32 v87, v114
	v_mov_b32_e32 v103, v112
	v_pk_add_f32 v[116:117], v[102:103], v[118:119] neg_lo:[0,1] neg_hi:[0,1]
	v_cmp_lt_f32_e64 s[48:49], |v53|, s48
	v_sub_f32_e32 v3, v102, v116
	v_pk_add_f32 v[86:87], v[86:87], v[116:117] neg_lo:[0,1] neg_hi:[0,1]
	v_sub_f32_e32 v3, v118, v3
	v_add_f32_e32 v3, v86, v3
	v_add_f32_e32 v3, v3, v87
	;; [unrolled: 1-line block ×3, first 2 shown]
	s_or_b64 s[44:45], s[44:45], s[48:49]
	v_cndmask_b32_e64 v3, v3, v53, s[44:45]
	v_add_f32_e32 v53, v2, v3
.LBB141_314:
	s_or_b64 exec, exec, s[46:47]
	v_max_f32_e32 v85, v21, v21
	v_max_f32_e32 v2, v53, v53
	v_min_f32_e32 v3, v2, v85
	v_cmp_u_f32_e64 s[46:47], v53, v53
	v_max_f32_e32 v2, v2, v85
	v_cmp_u_f32_e64 s[44:45], v21, v21
	v_cndmask_b32_e64 v3, v3, v53, s[46:47]
	v_cndmask_b32_e64 v2, v2, v53, s[46:47]
	;; [unrolled: 1-line block ×4, first 2 shown]
	s_movk_i32 s54, 0x1f8
	v_cmp_neq_f32_e64 s[46:47], v3, v2
	v_cmp_class_f32_e64 s[48:49], v3, s54
	s_or_b64 s[46:47], s[46:47], s[48:49]
	s_and_saveexec_b64 s[48:49], s[46:47]
	s_cbranch_execz .LBB141_316
; %bb.315:
	v_sub_f32_e32 v3, v3, v2
	s_mov_b32 s46, 0x3fb8aa3b
	v_mul_f32_e32 v53, 0x3fb8aa3b, v3
	v_fma_f32 v86, v3, s46, -v53
	v_rndne_f32_e32 v87, v53
	v_fmamk_f32 v86, v3, 0x32a5705f, v86
	v_sub_f32_e32 v53, v53, v87
	v_add_f32_e32 v53, v53, v86
	v_exp_f32_e32 v53, v53
	v_cvt_i32_f32_e32 v86, v87
	s_mov_b32 s46, 0xc2ce8ed0
	v_cmp_ngt_f32_e64 s[46:47], s46, v3
	s_mov_b32 s55, 0x7f800000
	v_ldexp_f32 v53, v53, v86
	v_cndmask_b32_e64 v53, 0, v53, s[46:47]
	s_mov_b32 s46, 0x42b17218
	v_mov_b32_e32 v86, 0x7f800000
	v_cmp_nlt_f32_e64 s[46:47], s46, v3
	s_nop 1
	v_cndmask_b32_e64 v53, v86, v53, s[46:47]
	v_add_f32_e32 v3, 1.0, v53
	v_add_f32_e32 v86, -1.0, v3
	v_sub_f32_e32 v87, v86, v3
	v_add_f32_e32 v87, 1.0, v87
	v_sub_f32_e32 v86, v53, v86
	v_add_f32_e32 v101, v86, v87
	v_frexp_mant_f32_e32 v102, v3
	s_mov_b32 s46, 0x3f2aaaab
	v_cvt_f64_f32_e32 v[86:87], v3
	v_frexp_exp_i32_f64_e32 v86, v[86:87]
	v_cmp_gt_f32_e64 s[46:47], s46, v102
	s_nop 1
	v_subbrev_co_u32_e64 v116, s[46:47], 0, v86, s[46:47]
	v_sub_u32_e32 v86, 0, v116
	v_ldexp_f32 v3, v3, v86
	v_ldexp_f32 v86, v101, v86
	v_add_f32_e32 v101, -1.0, v3
	v_add_f32_e32 v87, 1.0, v101
	v_sub_f32_e32 v87, v3, v87
	v_add_f32_e32 v102, v86, v87
	v_add_f32_e32 v87, 1.0, v3
	v_add_f32_e32 v103, -1.0, v87
	v_sub_f32_e32 v3, v3, v103
	v_add_f32_e32 v3, v86, v3
	v_add_f32_e32 v117, v87, v3
	v_rcp_f32_e32 v118, v117
	v_sub_f32_e32 v86, v87, v117
	v_add_f32_e32 v87, v101, v102
	v_add_f32_e32 v3, v3, v86
	v_sub_f32_e32 v86, v101, v87
	v_mul_f32_e32 v119, v87, v118
	v_add_f32_e32 v101, v102, v86
	v_mul_f32_e32 v102, v117, v119
	v_fma_f32 v112, v119, v117, -v102
	v_fmac_f32_e32 v112, v119, v3
	v_add_f32_e32 v86, v102, v112
	v_sub_f32_e32 v103, v87, v86
	v_pk_add_f32 v[114:115], v[86:87], v[102:103] neg_lo:[0,1] neg_hi:[0,1]
	v_mov_b32_e32 v113, v86
	v_pk_add_f32 v[86:87], v[114:115], v[112:113] neg_lo:[0,1] neg_hi:[0,1]
	s_mov_b32 s46, 0x3f317218
	v_add_f32_e32 v87, v101, v87
	v_add_f32_e32 v86, v86, v87
	;; [unrolled: 1-line block ×3, first 2 shown]
	v_mul_f32_e32 v101, v118, v87
	v_mul_f32_e32 v102, v117, v101
	v_fma_f32 v112, v101, v117, -v102
	v_fmac_f32_e32 v112, v101, v3
	v_sub_f32_e32 v3, v103, v87
	v_add_f32_e32 v3, v86, v3
	v_add_f32_e32 v86, v102, v112
	v_sub_f32_e32 v103, v87, v86
	v_pk_add_f32 v[114:115], v[86:87], v[102:103] neg_lo:[0,1] neg_hi:[0,1]
	v_mov_b32_e32 v113, v86
	v_pk_add_f32 v[86:87], v[114:115], v[112:113] neg_lo:[0,1] neg_hi:[0,1]
	v_cvt_f32_i32_e32 v102, v116
	v_add_f32_e32 v3, v3, v87
	v_add_f32_e32 v3, v86, v3
	;; [unrolled: 1-line block ×4, first 2 shown]
	v_sub_f32_e32 v87, v86, v119
	v_mul_f32_e32 v3, v118, v3
	v_sub_f32_e32 v87, v101, v87
	v_add_f32_e32 v3, v87, v3
	v_add_f32_e32 v101, v86, v3
	v_mul_f32_e32 v103, v101, v101
	v_mov_b32_e32 v87, 0x3ecc95a3
	v_fmac_f32_e32 v87, 0x3e9b6dac, v103
	v_sub_f32_e32 v86, v101, v86
	v_fmaak_f32 v87, v103, v87, 0x3f2aaada
	v_sub_f32_e32 v3, v3, v86
	v_mul_f32_e32 v103, v101, v103
	v_mov_b32_e32 v86, 0x3f317218
	v_pk_mul_f32 v[86:87], v[102:103], v[86:87]
	v_ldexp_f32 v113, v101, 1
	v_fma_f32 v101, v102, s46, -v86
	v_fmamk_f32 v112, v102, 0xb102e308, v101
	v_pk_add_f32 v[102:103], v[86:87], v[112:113]
	v_ldexp_f32 v3, v3, 1
	v_sub_f32_e32 v101, v103, v113
	v_sub_f32_e32 v101, v87, v101
	v_add_f32_e32 v115, v3, v101
	v_mov_b32_e32 v114, v86
	v_pk_add_f32 v[86:87], v[102:103], v[86:87] neg_lo:[0,1] neg_hi:[0,1]
	v_pk_add_f32 v[116:117], v[102:103], v[114:115]
	v_mov_b32_e32 v113, v102
	v_mov_b32_e32 v87, v117
	v_pk_add_f32 v[118:119], v[112:113], v[86:87] neg_lo:[0,1] neg_hi:[0,1]
	v_pk_add_f32 v[86:87], v[112:113], v[86:87]
	v_mov_b32_e32 v114, v115
	v_mov_b32_e32 v112, v87
	v_pk_add_f32 v[128:129], v[112:113], v[102:103] neg_lo:[0,1] neg_hi:[0,1]
	v_mov_b32_e32 v86, v117
	v_mov_b32_e32 v3, v128
	v_pk_add_f32 v[130:131], v[116:117], v[2:3] neg_lo:[0,1] neg_hi:[0,1]
	v_mov_b32_e32 v116, v103
	v_mov_b32_e32 v117, v128
	;; [unrolled: 1-line block ×3, first 2 shown]
	v_pk_add_f32 v[86:87], v[86:87], v[116:117] neg_lo:[0,1] neg_hi:[0,1]
	v_mov_b32_e32 v115, v102
	v_pk_add_f32 v[86:87], v[114:115], v[86:87] neg_lo:[0,1] neg_hi:[0,1]
	v_mov_b32_e32 v130, v118
	v_pk_add_f32 v[102:103], v[130:131], v[86:87]
	v_cmp_eq_f32_e64 s[46:47], s55, v53
	v_mov_b32_e32 v114, v103
	v_pk_add_f32 v[114:115], v[102:103], v[114:115]
	s_mov_b32 s55, 0x33800000
	v_pk_add_f32 v[112:113], v[112:113], v[114:115]
	v_mov_b32_e32 v87, v114
	v_mov_b32_e32 v103, v112
	v_pk_add_f32 v[116:117], v[102:103], v[118:119] neg_lo:[0,1] neg_hi:[0,1]
	v_cmp_lt_f32_e64 s[56:57], |v53|, s55
	v_sub_f32_e32 v3, v102, v116
	v_pk_add_f32 v[86:87], v[86:87], v[116:117] neg_lo:[0,1] neg_hi:[0,1]
	v_sub_f32_e32 v3, v118, v3
	v_add_f32_e32 v3, v86, v3
	v_add_f32_e32 v3, v3, v87
	;; [unrolled: 1-line block ×3, first 2 shown]
	s_or_b64 s[46:47], s[46:47], s[56:57]
	v_cndmask_b32_e64 v3, v3, v53, s[46:47]
	v_add_f32_e32 v53, v2, v3
.LBB141_316:
	s_or_b64 exec, exec, s[48:49]
	v_max_f32_e32 v86, v22, v22
	v_max_f32_e32 v2, v53, v53
	v_min_f32_e32 v3, v2, v86
	v_cmp_u_f32_e64 s[48:49], v53, v53
	v_max_f32_e32 v2, v2, v86
	v_cmp_u_f32_e64 s[46:47], v22, v22
	v_cndmask_b32_e64 v3, v3, v53, s[48:49]
	v_cndmask_b32_e64 v2, v2, v53, s[48:49]
	v_cndmask_b32_e64 v3, v3, v22, s[46:47]
	v_cndmask_b32_e64 v2, v2, v22, s[46:47]
	v_cmp_neq_f32_e64 s[48:49], v3, v2
	v_cmp_class_f32_e64 s[54:55], v3, s54
	s_or_b64 s[48:49], s[48:49], s[54:55]
	s_and_saveexec_b64 s[54:55], s[48:49]
	s_cbranch_execz .LBB141_318
; %bb.317:
	v_sub_f32_e32 v3, v3, v2
	s_mov_b32 s48, 0x3fb8aa3b
	v_mul_f32_e32 v53, 0x3fb8aa3b, v3
	v_fma_f32 v87, v3, s48, -v53
	v_rndne_f32_e32 v101, v53
	v_fmamk_f32 v87, v3, 0x32a5705f, v87
	v_sub_f32_e32 v53, v53, v101
	v_add_f32_e32 v53, v53, v87
	v_exp_f32_e32 v53, v53
	v_cvt_i32_f32_e32 v87, v101
	s_mov_b32 s48, 0xc2ce8ed0
	v_cmp_ngt_f32_e64 s[48:49], s48, v3
	s_mov_b32 s56, 0x7f800000
	v_ldexp_f32 v53, v53, v87
	v_cndmask_b32_e64 v53, 0, v53, s[48:49]
	s_mov_b32 s48, 0x42b17218
	v_mov_b32_e32 v87, 0x7f800000
	v_cmp_nlt_f32_e64 s[48:49], s48, v3
	s_nop 1
	v_cndmask_b32_e64 v53, v87, v53, s[48:49]
	v_add_f32_e32 v3, 1.0, v53
	v_add_f32_e32 v87, -1.0, v3
	v_sub_f32_e32 v101, v87, v3
	v_add_f32_e32 v101, 1.0, v101
	v_sub_f32_e32 v87, v53, v87
	v_add_f32_e32 v87, v87, v101
	v_frexp_mant_f32_e32 v101, v3
	s_mov_b32 s48, 0x3f2aaaab
	v_cvt_f64_f32_e32 v[102:103], v3
	v_frexp_exp_i32_f64_e32 v102, v[102:103]
	v_cmp_gt_f32_e64 s[48:49], s48, v101
	s_nop 1
	v_subbrev_co_u32_e64 v101, s[48:49], 0, v102, s[48:49]
	v_sub_u32_e32 v102, 0, v101
	v_ldexp_f32 v3, v3, v102
	v_ldexp_f32 v87, v87, v102
	v_add_f32_e32 v102, -1.0, v3
	v_add_f32_e32 v103, 1.0, v102
	v_sub_f32_e32 v103, v3, v103
	v_add_f32_e32 v112, v87, v103
	v_add_f32_e32 v103, 1.0, v3
	v_add_f32_e32 v113, -1.0, v103
	v_sub_f32_e32 v3, v3, v113
	v_add_f32_e32 v3, v87, v3
	v_add_f32_e32 v87, v103, v3
	v_rcp_f32_e32 v118, v87
	v_sub_f32_e32 v103, v103, v87
	v_add_f32_e32 v3, v3, v103
	v_add_f32_e32 v103, v102, v112
	v_sub_f32_e32 v102, v102, v103
	v_mul_f32_e32 v128, v103, v118
	v_add_f32_e32 v119, v112, v102
	v_mul_f32_e32 v112, v87, v128
	v_fma_f32 v114, v128, v87, -v112
	v_fmac_f32_e32 v114, v128, v3
	v_add_f32_e32 v102, v112, v114
	v_sub_f32_e32 v113, v103, v102
	v_pk_add_f32 v[116:117], v[102:103], v[112:113] neg_lo:[0,1] neg_hi:[0,1]
	v_mov_b32_e32 v115, v102
	v_pk_add_f32 v[102:103], v[116:117], v[114:115] neg_lo:[0,1] neg_hi:[0,1]
	s_mov_b32 s48, 0x3f317218
	v_add_f32_e32 v103, v119, v103
	v_add_f32_e32 v102, v102, v103
	;; [unrolled: 1-line block ×3, first 2 shown]
	v_mul_f32_e32 v119, v118, v103
	v_mul_f32_e32 v112, v87, v119
	v_fma_f32 v114, v119, v87, -v112
	v_fmac_f32_e32 v114, v119, v3
	v_sub_f32_e32 v3, v113, v103
	v_add_f32_e32 v3, v102, v3
	v_add_f32_e32 v102, v112, v114
	v_sub_f32_e32 v113, v103, v102
	v_pk_add_f32 v[116:117], v[102:103], v[112:113] neg_lo:[0,1] neg_hi:[0,1]
	v_mov_b32_e32 v115, v102
	v_pk_add_f32 v[102:103], v[116:117], v[114:115] neg_lo:[0,1] neg_hi:[0,1]
	v_add_f32_e32 v87, v128, v119
	v_add_f32_e32 v3, v3, v103
	;; [unrolled: 1-line block ×4, first 2 shown]
	v_sub_f32_e32 v102, v87, v128
	v_mul_f32_e32 v3, v118, v3
	v_sub_f32_e32 v102, v119, v102
	v_add_f32_e32 v3, v102, v3
	v_add_f32_e32 v102, v87, v3
	v_cvt_f32_i32_e32 v112, v101
	v_mul_f32_e32 v113, v102, v102
	v_mov_b32_e32 v103, 0x3ecc95a3
	v_fmac_f32_e32 v103, 0x3e9b6dac, v113
	v_fmaak_f32 v103, v113, v103, 0x3f2aaada
	v_sub_f32_e32 v87, v102, v87
	v_ldexp_f32 v115, v102, 1
	v_mul_f32_e32 v113, v102, v113
	v_mov_b32_e32 v102, 0x3f317218
	v_pk_mul_f32 v[102:103], v[112:113], v[102:103]
	v_sub_f32_e32 v3, v3, v87
	v_fma_f32 v87, v112, s48, -v102
	v_fmamk_f32 v114, v112, 0xb102e308, v87
	v_pk_add_f32 v[112:113], v[102:103], v[114:115]
	v_ldexp_f32 v3, v3, 1
	v_sub_f32_e32 v87, v113, v115
	v_sub_f32_e32 v87, v103, v87
	v_add_f32_e32 v117, v3, v87
	v_mov_b32_e32 v116, v102
	v_pk_add_f32 v[102:103], v[112:113], v[102:103] neg_lo:[0,1] neg_hi:[0,1]
	v_pk_add_f32 v[118:119], v[112:113], v[116:117]
	v_mov_b32_e32 v115, v112
	v_mov_b32_e32 v103, v119
	v_pk_add_f32 v[128:129], v[114:115], v[102:103] neg_lo:[0,1] neg_hi:[0,1]
	v_pk_add_f32 v[102:103], v[114:115], v[102:103]
	v_mov_b32_e32 v116, v117
	v_mov_b32_e32 v114, v103
	v_pk_add_f32 v[130:131], v[114:115], v[112:113] neg_lo:[0,1] neg_hi:[0,1]
	v_mov_b32_e32 v102, v119
	v_mov_b32_e32 v3, v130
	v_pk_add_f32 v[132:133], v[118:119], v[2:3] neg_lo:[0,1] neg_hi:[0,1]
	v_mov_b32_e32 v118, v113
	v_mov_b32_e32 v119, v130
	;; [unrolled: 1-line block ×3, first 2 shown]
	v_pk_add_f32 v[102:103], v[102:103], v[118:119] neg_lo:[0,1] neg_hi:[0,1]
	v_mov_b32_e32 v117, v112
	v_pk_add_f32 v[102:103], v[116:117], v[102:103] neg_lo:[0,1] neg_hi:[0,1]
	v_mov_b32_e32 v132, v128
	v_pk_add_f32 v[112:113], v[132:133], v[102:103]
	v_cmp_eq_f32_e64 s[48:49], s56, v53
	v_mov_b32_e32 v116, v113
	v_pk_add_f32 v[116:117], v[112:113], v[116:117]
	s_mov_b32 s56, 0x33800000
	v_pk_add_f32 v[114:115], v[114:115], v[116:117]
	v_mov_b32_e32 v103, v116
	v_mov_b32_e32 v113, v114
	v_pk_add_f32 v[118:119], v[112:113], v[128:129] neg_lo:[0,1] neg_hi:[0,1]
	v_cmp_lt_f32_e64 s[56:57], |v53|, s56
	v_sub_f32_e32 v3, v112, v118
	v_pk_add_f32 v[102:103], v[102:103], v[118:119] neg_lo:[0,1] neg_hi:[0,1]
	v_sub_f32_e32 v3, v128, v3
	v_add_f32_e32 v3, v102, v3
	v_add_f32_e32 v3, v3, v103
	v_add_f32_e32 v3, v114, v3
	s_or_b64 s[48:49], s[48:49], s[56:57]
	v_cndmask_b32_e64 v3, v3, v53, s[48:49]
	v_add_f32_e32 v53, v2, v3
.LBB141_318:
	s_or_b64 exec, exec, s[54:55]
	v_max_f32_e32 v87, v23, v23
	v_max_f32_e32 v2, v53, v53
	v_min_f32_e32 v3, v2, v87
	v_cmp_u_f32_e64 s[54:55], v53, v53
	v_max_f32_e32 v2, v2, v87
	v_cmp_u_f32_e64 s[48:49], v23, v23
	v_cndmask_b32_e64 v3, v3, v53, s[54:55]
	v_cndmask_b32_e64 v2, v2, v53, s[54:55]
	;; [unrolled: 1-line block ×4, first 2 shown]
	s_movk_i32 s56, 0x1f8
	v_cmp_neq_f32_e64 s[54:55], v3, v2
	v_cmp_class_f32_e64 s[56:57], v3, s56
	s_or_b64 s[54:55], s[54:55], s[56:57]
	s_and_saveexec_b64 s[56:57], s[54:55]
	s_cbranch_execz .LBB141_320
; %bb.319:
	v_sub_f32_e32 v3, v3, v2
	s_mov_b32 s54, 0x3fb8aa3b
	v_mul_f32_e32 v53, 0x3fb8aa3b, v3
	v_fma_f32 v101, v3, s54, -v53
	v_rndne_f32_e32 v102, v53
	v_fmamk_f32 v101, v3, 0x32a5705f, v101
	v_sub_f32_e32 v53, v53, v102
	v_add_f32_e32 v53, v53, v101
	v_exp_f32_e32 v53, v53
	v_cvt_i32_f32_e32 v101, v102
	s_mov_b32 s54, 0xc2ce8ed0
	v_cmp_ngt_f32_e64 s[54:55], s54, v3
	s_mov_b32 s58, 0x7f800000
	v_ldexp_f32 v53, v53, v101
	v_cndmask_b32_e64 v53, 0, v53, s[54:55]
	s_mov_b32 s54, 0x42b17218
	v_mov_b32_e32 v101, 0x7f800000
	v_cmp_nlt_f32_e64 s[54:55], s54, v3
	s_nop 1
	v_cndmask_b32_e64 v53, v101, v53, s[54:55]
	v_add_f32_e32 v3, 1.0, v53
	v_add_f32_e32 v101, -1.0, v3
	v_sub_f32_e32 v102, v101, v3
	v_add_f32_e32 v102, 1.0, v102
	v_sub_f32_e32 v101, v53, v101
	v_add_f32_e32 v101, v101, v102
	v_frexp_mant_f32_e32 v112, v3
	s_mov_b32 s54, 0x3f2aaaab
	v_cvt_f64_f32_e32 v[102:103], v3
	v_frexp_exp_i32_f64_e32 v102, v[102:103]
	v_cmp_gt_f32_e64 s[54:55], s54, v112
	s_nop 1
	v_subbrev_co_u32_e64 v118, s[54:55], 0, v102, s[54:55]
	v_sub_u32_e32 v102, 0, v118
	v_ldexp_f32 v3, v3, v102
	v_ldexp_f32 v101, v101, v102
	v_add_f32_e32 v102, -1.0, v3
	v_add_f32_e32 v103, 1.0, v102
	v_sub_f32_e32 v103, v3, v103
	v_add_f32_e32 v112, v101, v103
	v_add_f32_e32 v103, 1.0, v3
	v_add_f32_e32 v113, -1.0, v103
	v_sub_f32_e32 v3, v3, v113
	v_add_f32_e32 v3, v101, v3
	v_add_f32_e32 v101, v103, v3
	v_rcp_f32_e32 v119, v101
	v_sub_f32_e32 v103, v103, v101
	v_add_f32_e32 v3, v3, v103
	v_add_f32_e32 v103, v102, v112
	v_sub_f32_e32 v102, v102, v103
	v_mul_f32_e32 v129, v103, v119
	v_add_f32_e32 v128, v112, v102
	v_mul_f32_e32 v112, v101, v129
	v_fma_f32 v114, v129, v101, -v112
	v_fmac_f32_e32 v114, v129, v3
	v_add_f32_e32 v102, v112, v114
	v_sub_f32_e32 v113, v103, v102
	v_pk_add_f32 v[116:117], v[102:103], v[112:113] neg_lo:[0,1] neg_hi:[0,1]
	v_mov_b32_e32 v115, v102
	v_pk_add_f32 v[102:103], v[116:117], v[114:115] neg_lo:[0,1] neg_hi:[0,1]
	s_mov_b32 s54, 0x3f317218
	v_add_f32_e32 v103, v128, v103
	v_add_f32_e32 v102, v102, v103
	;; [unrolled: 1-line block ×3, first 2 shown]
	v_mul_f32_e32 v128, v119, v103
	v_mul_f32_e32 v112, v101, v128
	v_fma_f32 v114, v128, v101, -v112
	v_fmac_f32_e32 v114, v128, v3
	v_sub_f32_e32 v3, v113, v103
	v_add_f32_e32 v3, v102, v3
	v_add_f32_e32 v102, v112, v114
	v_sub_f32_e32 v113, v103, v102
	v_pk_add_f32 v[116:117], v[102:103], v[112:113] neg_lo:[0,1] neg_hi:[0,1]
	v_mov_b32_e32 v115, v102
	v_pk_add_f32 v[102:103], v[116:117], v[114:115] neg_lo:[0,1] neg_hi:[0,1]
	v_add_f32_e32 v101, v129, v128
	v_add_f32_e32 v3, v3, v103
	;; [unrolled: 1-line block ×4, first 2 shown]
	v_sub_f32_e32 v102, v101, v129
	v_mul_f32_e32 v3, v119, v3
	v_sub_f32_e32 v102, v128, v102
	v_add_f32_e32 v3, v102, v3
	v_add_f32_e32 v102, v101, v3
	v_cvt_f32_i32_e32 v112, v118
	v_mul_f32_e32 v113, v102, v102
	v_mov_b32_e32 v103, 0x3ecc95a3
	v_fmac_f32_e32 v103, 0x3e9b6dac, v113
	v_fmaak_f32 v103, v113, v103, 0x3f2aaada
	v_sub_f32_e32 v101, v102, v101
	v_ldexp_f32 v115, v102, 1
	v_mul_f32_e32 v113, v102, v113
	v_mov_b32_e32 v102, 0x3f317218
	v_pk_mul_f32 v[102:103], v[112:113], v[102:103]
	v_sub_f32_e32 v3, v3, v101
	v_fma_f32 v101, v112, s54, -v102
	v_fmamk_f32 v114, v112, 0xb102e308, v101
	v_pk_add_f32 v[112:113], v[102:103], v[114:115]
	v_ldexp_f32 v3, v3, 1
	v_sub_f32_e32 v101, v113, v115
	v_sub_f32_e32 v101, v103, v101
	v_add_f32_e32 v117, v3, v101
	v_mov_b32_e32 v116, v102
	v_pk_add_f32 v[102:103], v[112:113], v[102:103] neg_lo:[0,1] neg_hi:[0,1]
	v_pk_add_f32 v[118:119], v[112:113], v[116:117]
	v_mov_b32_e32 v115, v112
	v_mov_b32_e32 v103, v119
	v_pk_add_f32 v[128:129], v[114:115], v[102:103] neg_lo:[0,1] neg_hi:[0,1]
	v_pk_add_f32 v[102:103], v[114:115], v[102:103]
	v_mov_b32_e32 v116, v117
	v_mov_b32_e32 v114, v103
	v_pk_add_f32 v[130:131], v[114:115], v[112:113] neg_lo:[0,1] neg_hi:[0,1]
	v_mov_b32_e32 v102, v119
	v_mov_b32_e32 v3, v130
	v_pk_add_f32 v[132:133], v[118:119], v[2:3] neg_lo:[0,1] neg_hi:[0,1]
	v_mov_b32_e32 v118, v113
	v_mov_b32_e32 v119, v130
	;; [unrolled: 1-line block ×3, first 2 shown]
	v_pk_add_f32 v[102:103], v[102:103], v[118:119] neg_lo:[0,1] neg_hi:[0,1]
	v_mov_b32_e32 v117, v112
	v_pk_add_f32 v[102:103], v[116:117], v[102:103] neg_lo:[0,1] neg_hi:[0,1]
	v_mov_b32_e32 v132, v128
	v_pk_add_f32 v[112:113], v[132:133], v[102:103]
	v_cmp_eq_f32_e64 s[54:55], s58, v53
	v_mov_b32_e32 v116, v113
	v_pk_add_f32 v[116:117], v[112:113], v[116:117]
	s_mov_b32 s58, 0x33800000
	v_pk_add_f32 v[114:115], v[114:115], v[116:117]
	v_mov_b32_e32 v103, v116
	v_mov_b32_e32 v113, v114
	v_pk_add_f32 v[118:119], v[112:113], v[128:129] neg_lo:[0,1] neg_hi:[0,1]
	v_cmp_lt_f32_e64 s[58:59], |v53|, s58
	v_sub_f32_e32 v3, v112, v118
	v_pk_add_f32 v[102:103], v[102:103], v[118:119] neg_lo:[0,1] neg_hi:[0,1]
	v_sub_f32_e32 v3, v128, v3
	v_add_f32_e32 v3, v102, v3
	v_add_f32_e32 v3, v3, v103
	;; [unrolled: 1-line block ×3, first 2 shown]
	s_or_b64 s[54:55], s[54:55], s[58:59]
	v_cndmask_b32_e64 v3, v3, v53, s[54:55]
	v_add_f32_e32 v53, v2, v3
.LBB141_320:
	s_or_b64 exec, exec, s[56:57]
	v_lshrrev_b32_e32 v2, 5, v0
	v_add_lshl_u32 v2, v2, v0, 2
	v_cmp_gt_u32_e64 s[54:55], 64, v0
	ds_write_b32 v2, v53
	s_waitcnt lgkmcnt(0)
	s_barrier
	s_and_saveexec_b64 s[60:61], s[54:55]
	s_cbranch_execz .LBB141_360
; %bb.321:
	v_lshrrev_b32_e32 v2, 3, v0
	v_add_lshl_u32 v101, v2, v10, 2
	ds_read2_b32 v[2:3], v101 offset1:1
	s_movk_i32 s64, 0x1f8
	s_waitcnt lgkmcnt(0)
	v_max_f32_e32 v103, v3, v3
	v_max_f32_e32 v102, v2, v2
	v_min_f32_e32 v112, v102, v103
	v_max_f32_e32 v113, v102, v103
	v_cmp_u_f32_e64 s[54:55], v2, v2
	v_cmp_u_f32_e64 s[56:57], v3, v3
	s_nop 0
	v_cndmask_b32_e64 v103, v112, v2, s[54:55]
	v_cndmask_b32_e64 v112, v113, v2, s[54:55]
	;; [unrolled: 1-line block ×4, first 2 shown]
	v_cmp_neq_f32_e64 s[56:57], v103, v3
	v_cmp_class_f32_e64 s[58:59], v103, s64
	s_or_b64 s[56:57], s[56:57], s[58:59]
	v_mov_b32_e32 v112, v2
	s_and_saveexec_b64 s[58:59], s[56:57]
	s_cbranch_execz .LBB141_323
; %bb.322:
	v_sub_f32_e32 v103, v103, v3
	s_mov_b32 s56, 0x3fb8aa3b
	v_mul_f32_e32 v112, 0x3fb8aa3b, v103
	v_fma_f32 v113, v103, s56, -v112
	v_rndne_f32_e32 v114, v112
	v_fmamk_f32 v113, v103, 0x32a5705f, v113
	v_sub_f32_e32 v112, v112, v114
	v_add_f32_e32 v112, v112, v113
	v_exp_f32_e32 v112, v112
	v_cvt_i32_f32_e32 v113, v114
	s_mov_b32 s56, 0xc2ce8ed0
	v_cmp_ngt_f32_e64 s[56:57], s56, v103
	s_mov_b32 s65, 0x7f800000
	v_ldexp_f32 v112, v112, v113
	v_cndmask_b32_e64 v112, 0, v112, s[56:57]
	s_mov_b32 s56, 0x42b17218
	v_mov_b32_e32 v113, 0x7f800000
	v_cmp_nlt_f32_e64 s[56:57], s56, v103
	s_nop 1
	v_cndmask_b32_e64 v144, v113, v112, s[56:57]
	v_add_f32_e32 v103, 1.0, v144
	v_add_f32_e32 v112, -1.0, v103
	v_sub_f32_e32 v113, v112, v103
	v_add_f32_e32 v113, 1.0, v113
	v_sub_f32_e32 v112, v144, v112
	v_add_f32_e32 v114, v112, v113
	v_frexp_mant_f32_e32 v115, v103
	s_mov_b32 s56, 0x3f2aaaab
	v_cvt_f64_f32_e32 v[112:113], v103
	v_frexp_exp_i32_f64_e32 v112, v[112:113]
	v_cmp_gt_f32_e64 s[56:57], s56, v115
	s_nop 1
	v_subbrev_co_u32_e64 v128, s[56:57], 0, v112, s[56:57]
	v_sub_u32_e32 v112, 0, v128
	v_ldexp_f32 v103, v103, v112
	v_ldexp_f32 v112, v114, v112
	v_add_f32_e32 v114, -1.0, v103
	v_add_f32_e32 v113, 1.0, v114
	v_sub_f32_e32 v113, v103, v113
	v_add_f32_e32 v115, v112, v113
	v_add_f32_e32 v113, 1.0, v103
	v_add_f32_e32 v116, -1.0, v113
	v_sub_f32_e32 v103, v103, v116
	v_add_f32_e32 v103, v112, v103
	v_add_f32_e32 v129, v113, v103
	v_rcp_f32_e32 v130, v129
	v_sub_f32_e32 v112, v113, v129
	v_add_f32_e32 v113, v114, v115
	v_add_f32_e32 v103, v103, v112
	v_mul_f32_e32 v132, v113, v130
	v_sub_f32_e32 v112, v114, v113
	v_mul_f32_e32 v114, v129, v132
	v_fma_f32 v116, v132, v129, -v114
	v_fmac_f32_e32 v116, v132, v103
	v_add_f32_e32 v131, v115, v112
	v_add_f32_e32 v112, v114, v116
	v_sub_f32_e32 v115, v113, v112
	v_pk_add_f32 v[118:119], v[112:113], v[114:115] neg_lo:[0,1] neg_hi:[0,1]
	v_mov_b32_e32 v117, v112
	v_pk_add_f32 v[112:113], v[118:119], v[116:117] neg_lo:[0,1] neg_hi:[0,1]
	s_mov_b32 s56, 0x3f317218
	v_add_f32_e32 v113, v131, v113
	v_add_f32_e32 v112, v112, v113
	;; [unrolled: 1-line block ×3, first 2 shown]
	v_mul_f32_e32 v131, v130, v113
	v_mul_f32_e32 v114, v129, v131
	v_fma_f32 v116, v131, v129, -v114
	v_fmac_f32_e32 v116, v131, v103
	v_sub_f32_e32 v103, v115, v113
	v_add_f32_e32 v103, v112, v103
	v_add_f32_e32 v112, v114, v116
	v_sub_f32_e32 v115, v113, v112
	v_pk_add_f32 v[118:119], v[112:113], v[114:115] neg_lo:[0,1] neg_hi:[0,1]
	v_mov_b32_e32 v117, v112
	v_pk_add_f32 v[112:113], v[118:119], v[116:117] neg_lo:[0,1] neg_hi:[0,1]
	v_cvt_f32_i32_e32 v114, v128
	v_add_f32_e32 v103, v103, v113
	v_add_f32_e32 v103, v112, v103
	;; [unrolled: 1-line block ×4, first 2 shown]
	v_sub_f32_e32 v113, v112, v132
	v_mul_f32_e32 v103, v130, v103
	v_sub_f32_e32 v113, v131, v113
	v_add_f32_e32 v103, v113, v103
	v_add_f32_e32 v115, v112, v103
	v_mul_f32_e32 v116, v115, v115
	v_mov_b32_e32 v113, 0x3ecc95a3
	v_fmac_f32_e32 v113, 0x3e9b6dac, v116
	v_sub_f32_e32 v112, v115, v112
	v_fmaak_f32 v113, v116, v113, 0x3f2aaada
	v_sub_f32_e32 v103, v103, v112
	v_ldexp_f32 v117, v115, 1
	v_mul_f32_e32 v115, v115, v116
	v_mov_b32_e32 v112, 0x3f317218
	v_pk_mul_f32 v[112:113], v[114:115], v[112:113]
	v_ldexp_f32 v103, v103, 1
	v_fma_f32 v115, v114, s56, -v112
	v_fmamk_f32 v116, v114, 0xb102e308, v115
	v_pk_add_f32 v[114:115], v[112:113], v[116:117]
	v_mov_b32_e32 v118, v112
	v_sub_f32_e32 v117, v115, v117
	v_sub_f32_e32 v117, v113, v117
	v_add_f32_e32 v119, v103, v117
	v_pk_add_f32 v[112:113], v[114:115], v[112:113] neg_lo:[0,1] neg_hi:[0,1]
	v_pk_add_f32 v[128:129], v[114:115], v[118:119]
	v_mov_b32_e32 v117, v114
	v_mov_b32_e32 v113, v129
	v_pk_add_f32 v[130:131], v[116:117], v[112:113] neg_lo:[0,1] neg_hi:[0,1]
	v_pk_add_f32 v[112:113], v[116:117], v[112:113]
	v_mov_b32_e32 v118, v119
	v_mov_b32_e32 v116, v113
	v_pk_add_f32 v[132:133], v[116:117], v[114:115] neg_lo:[0,1] neg_hi:[0,1]
	v_mov_b32_e32 v112, v129
	v_mov_b32_e32 v103, v132
	v_pk_add_f32 v[134:135], v[128:129], v[102:103] neg_lo:[0,1] neg_hi:[0,1]
	v_mov_b32_e32 v128, v115
	v_mov_b32_e32 v129, v132
	v_mov_b32_e32 v131, v113
	v_pk_add_f32 v[112:113], v[112:113], v[128:129] neg_lo:[0,1] neg_hi:[0,1]
	v_mov_b32_e32 v119, v114
	v_pk_add_f32 v[112:113], v[118:119], v[112:113] neg_lo:[0,1] neg_hi:[0,1]
	v_mov_b32_e32 v134, v130
	v_pk_add_f32 v[114:115], v[134:135], v[112:113]
	v_cmp_eq_f32_e64 s[56:57], s65, v144
	v_mov_b32_e32 v118, v115
	v_pk_add_f32 v[118:119], v[114:115], v[118:119]
	s_mov_b32 s65, 0x33800000
	v_pk_add_f32 v[116:117], v[116:117], v[118:119]
	v_mov_b32_e32 v113, v118
	v_mov_b32_e32 v115, v116
	v_pk_add_f32 v[128:129], v[114:115], v[130:131] neg_lo:[0,1] neg_hi:[0,1]
	v_cmp_lt_f32_e64 s[66:67], |v144|, s65
	v_sub_f32_e32 v103, v114, v128
	v_pk_add_f32 v[112:113], v[112:113], v[128:129] neg_lo:[0,1] neg_hi:[0,1]
	v_sub_f32_e32 v103, v130, v103
	v_add_f32_e32 v103, v112, v103
	v_add_f32_e32 v103, v103, v113
	;; [unrolled: 1-line block ×3, first 2 shown]
	s_or_b64 s[56:57], s[56:57], s[66:67]
	v_cndmask_b32_e64 v103, v103, v144, s[56:57]
	v_add_f32_e32 v112, v3, v103
.LBB141_323:
	s_or_b64 exec, exec, s[58:59]
	ds_read_b32 v3, v101 offset:8
	v_max_f32_e32 v103, v112, v112
	v_cmp_u_f32_e64 s[56:57], v112, v112
	s_waitcnt lgkmcnt(0)
	v_max_f32_e32 v113, v3, v3
	v_min_f32_e32 v114, v103, v113
	v_max_f32_e32 v113, v103, v113
	v_cndmask_b32_e64 v103, v114, v112, s[56:57]
	v_cmp_u_f32_e64 s[58:59], v3, v3
	v_cndmask_b32_e64 v113, v113, v112, s[56:57]
	s_nop 0
	v_cndmask_b32_e64 v103, v103, v3, s[58:59]
	v_cndmask_b32_e64 v3, v113, v3, s[58:59]
	v_cmp_neq_f32_e64 s[56:57], v103, v3
	v_cmp_class_f32_e64 s[58:59], v103, s64
	s_or_b64 s[56:57], s[56:57], s[58:59]
	s_and_saveexec_b64 s[58:59], s[56:57]
	s_cbranch_execz .LBB141_325
; %bb.324:
	v_sub_f32_e32 v103, v103, v3
	s_mov_b32 s56, 0x3fb8aa3b
	v_mul_f32_e32 v112, 0x3fb8aa3b, v103
	v_fma_f32 v113, v103, s56, -v112
	v_rndne_f32_e32 v114, v112
	v_fmamk_f32 v113, v103, 0x32a5705f, v113
	v_sub_f32_e32 v112, v112, v114
	v_add_f32_e32 v112, v112, v113
	v_exp_f32_e32 v112, v112
	v_cvt_i32_f32_e32 v113, v114
	s_mov_b32 s56, 0xc2ce8ed0
	v_cmp_ngt_f32_e64 s[56:57], s56, v103
	s_mov_b32 s64, 0x7f800000
	v_ldexp_f32 v112, v112, v113
	v_cndmask_b32_e64 v112, 0, v112, s[56:57]
	s_mov_b32 s56, 0x42b17218
	v_mov_b32_e32 v113, 0x7f800000
	v_cmp_nlt_f32_e64 s[56:57], s56, v103
	s_nop 1
	v_cndmask_b32_e64 v144, v113, v112, s[56:57]
	v_add_f32_e32 v103, 1.0, v144
	v_add_f32_e32 v112, -1.0, v103
	v_sub_f32_e32 v113, v112, v103
	v_add_f32_e32 v113, 1.0, v113
	v_sub_f32_e32 v112, v144, v112
	v_add_f32_e32 v114, v112, v113
	v_frexp_mant_f32_e32 v115, v103
	s_mov_b32 s56, 0x3f2aaaab
	v_cvt_f64_f32_e32 v[112:113], v103
	v_frexp_exp_i32_f64_e32 v112, v[112:113]
	v_cmp_gt_f32_e64 s[56:57], s56, v115
	s_nop 1
	v_subbrev_co_u32_e64 v128, s[56:57], 0, v112, s[56:57]
	v_sub_u32_e32 v112, 0, v128
	v_ldexp_f32 v103, v103, v112
	v_ldexp_f32 v112, v114, v112
	v_add_f32_e32 v114, -1.0, v103
	v_add_f32_e32 v113, 1.0, v114
	v_sub_f32_e32 v113, v103, v113
	v_add_f32_e32 v115, v112, v113
	v_add_f32_e32 v113, 1.0, v103
	v_add_f32_e32 v116, -1.0, v113
	v_sub_f32_e32 v103, v103, v116
	v_add_f32_e32 v103, v112, v103
	v_add_f32_e32 v129, v113, v103
	v_rcp_f32_e32 v130, v129
	v_sub_f32_e32 v112, v113, v129
	v_add_f32_e32 v113, v114, v115
	v_add_f32_e32 v103, v103, v112
	v_mul_f32_e32 v132, v113, v130
	v_sub_f32_e32 v112, v114, v113
	v_mul_f32_e32 v114, v129, v132
	v_fma_f32 v116, v132, v129, -v114
	v_fmac_f32_e32 v116, v132, v103
	v_add_f32_e32 v131, v115, v112
	v_add_f32_e32 v112, v114, v116
	v_sub_f32_e32 v115, v113, v112
	v_pk_add_f32 v[118:119], v[112:113], v[114:115] neg_lo:[0,1] neg_hi:[0,1]
	v_mov_b32_e32 v117, v112
	v_pk_add_f32 v[112:113], v[118:119], v[116:117] neg_lo:[0,1] neg_hi:[0,1]
	s_mov_b32 s56, 0x3f317218
	v_add_f32_e32 v113, v131, v113
	v_add_f32_e32 v112, v112, v113
	;; [unrolled: 1-line block ×3, first 2 shown]
	v_mul_f32_e32 v131, v130, v113
	v_mul_f32_e32 v114, v129, v131
	v_fma_f32 v116, v131, v129, -v114
	v_fmac_f32_e32 v116, v131, v103
	v_sub_f32_e32 v103, v115, v113
	v_add_f32_e32 v103, v112, v103
	v_add_f32_e32 v112, v114, v116
	v_sub_f32_e32 v115, v113, v112
	v_pk_add_f32 v[118:119], v[112:113], v[114:115] neg_lo:[0,1] neg_hi:[0,1]
	v_mov_b32_e32 v117, v112
	v_pk_add_f32 v[112:113], v[118:119], v[116:117] neg_lo:[0,1] neg_hi:[0,1]
	v_cvt_f32_i32_e32 v114, v128
	v_add_f32_e32 v103, v103, v113
	v_add_f32_e32 v103, v112, v103
	;; [unrolled: 1-line block ×4, first 2 shown]
	v_sub_f32_e32 v113, v112, v132
	v_mul_f32_e32 v103, v130, v103
	v_sub_f32_e32 v113, v131, v113
	v_add_f32_e32 v103, v113, v103
	v_add_f32_e32 v115, v112, v103
	v_mul_f32_e32 v116, v115, v115
	v_mov_b32_e32 v113, 0x3ecc95a3
	v_fmac_f32_e32 v113, 0x3e9b6dac, v116
	v_sub_f32_e32 v112, v115, v112
	v_fmaak_f32 v113, v116, v113, 0x3f2aaada
	v_sub_f32_e32 v103, v103, v112
	v_ldexp_f32 v117, v115, 1
	v_mul_f32_e32 v115, v115, v116
	v_mov_b32_e32 v112, 0x3f317218
	v_pk_mul_f32 v[112:113], v[114:115], v[112:113]
	v_ldexp_f32 v103, v103, 1
	v_fma_f32 v115, v114, s56, -v112
	v_fmamk_f32 v116, v114, 0xb102e308, v115
	v_pk_add_f32 v[114:115], v[112:113], v[116:117]
	v_mov_b32_e32 v118, v112
	v_sub_f32_e32 v117, v115, v117
	v_sub_f32_e32 v117, v113, v117
	v_add_f32_e32 v119, v103, v117
	v_pk_add_f32 v[112:113], v[114:115], v[112:113] neg_lo:[0,1] neg_hi:[0,1]
	v_pk_add_f32 v[128:129], v[114:115], v[118:119]
	v_mov_b32_e32 v117, v114
	v_mov_b32_e32 v113, v129
	v_pk_add_f32 v[130:131], v[116:117], v[112:113] neg_lo:[0,1] neg_hi:[0,1]
	v_pk_add_f32 v[112:113], v[116:117], v[112:113]
	v_mov_b32_e32 v118, v119
	v_mov_b32_e32 v116, v113
	v_pk_add_f32 v[132:133], v[116:117], v[114:115] neg_lo:[0,1] neg_hi:[0,1]
	v_mov_b32_e32 v112, v129
	v_mov_b32_e32 v103, v132
	v_pk_add_f32 v[134:135], v[128:129], v[102:103] neg_lo:[0,1] neg_hi:[0,1]
	v_mov_b32_e32 v128, v115
	v_mov_b32_e32 v129, v132
	;; [unrolled: 1-line block ×3, first 2 shown]
	v_pk_add_f32 v[112:113], v[112:113], v[128:129] neg_lo:[0,1] neg_hi:[0,1]
	v_mov_b32_e32 v119, v114
	v_pk_add_f32 v[112:113], v[118:119], v[112:113] neg_lo:[0,1] neg_hi:[0,1]
	v_mov_b32_e32 v134, v130
	v_pk_add_f32 v[114:115], v[134:135], v[112:113]
	v_cmp_eq_f32_e64 s[56:57], s64, v144
	v_mov_b32_e32 v118, v115
	v_pk_add_f32 v[118:119], v[114:115], v[118:119]
	s_mov_b32 s64, 0x33800000
	v_pk_add_f32 v[116:117], v[116:117], v[118:119]
	v_mov_b32_e32 v113, v118
	v_mov_b32_e32 v115, v116
	v_pk_add_f32 v[128:129], v[114:115], v[130:131] neg_lo:[0,1] neg_hi:[0,1]
	v_cmp_lt_f32_e64 s[64:65], |v144|, s64
	v_sub_f32_e32 v103, v114, v128
	v_pk_add_f32 v[112:113], v[112:113], v[128:129] neg_lo:[0,1] neg_hi:[0,1]
	v_sub_f32_e32 v103, v130, v103
	v_add_f32_e32 v103, v112, v103
	v_add_f32_e32 v103, v103, v113
	;; [unrolled: 1-line block ×3, first 2 shown]
	s_or_b64 s[56:57], s[56:57], s[64:65]
	v_cndmask_b32_e64 v103, v103, v144, s[56:57]
	v_add_f32_e32 v112, v3, v103
.LBB141_325:
	s_or_b64 exec, exec, s[58:59]
	ds_read_b32 v3, v101 offset:12
	v_max_f32_e32 v103, v112, v112
	v_cmp_u_f32_e64 s[56:57], v112, v112
	s_waitcnt lgkmcnt(0)
	v_max_f32_e32 v113, v3, v3
	v_min_f32_e32 v114, v103, v113
	v_max_f32_e32 v113, v103, v113
	v_cndmask_b32_e64 v103, v114, v112, s[56:57]
	v_cmp_u_f32_e64 s[58:59], v3, v3
	v_cndmask_b32_e64 v113, v113, v112, s[56:57]
	s_nop 0
	v_cndmask_b32_e64 v103, v103, v3, s[58:59]
	v_cndmask_b32_e64 v3, v113, v3, s[58:59]
	s_movk_i32 s58, 0x1f8
	v_cmp_neq_f32_e64 s[56:57], v103, v3
	v_cmp_class_f32_e64 s[58:59], v103, s58
	s_or_b64 s[56:57], s[56:57], s[58:59]
	s_and_saveexec_b64 s[58:59], s[56:57]
	s_cbranch_execz .LBB141_327
; %bb.326:
	v_sub_f32_e32 v103, v103, v3
	s_mov_b32 s56, 0x3fb8aa3b
	v_mul_f32_e32 v112, 0x3fb8aa3b, v103
	v_fma_f32 v113, v103, s56, -v112
	v_rndne_f32_e32 v114, v112
	v_fmamk_f32 v113, v103, 0x32a5705f, v113
	v_sub_f32_e32 v112, v112, v114
	v_add_f32_e32 v112, v112, v113
	v_exp_f32_e32 v112, v112
	v_cvt_i32_f32_e32 v113, v114
	s_mov_b32 s56, 0xc2ce8ed0
	v_cmp_ngt_f32_e64 s[56:57], s56, v103
	s_mov_b32 s64, 0x7f800000
	v_ldexp_f32 v112, v112, v113
	v_cndmask_b32_e64 v112, 0, v112, s[56:57]
	s_mov_b32 s56, 0x42b17218
	v_mov_b32_e32 v113, 0x7f800000
	v_cmp_nlt_f32_e64 s[56:57], s56, v103
	s_nop 1
	v_cndmask_b32_e64 v144, v113, v112, s[56:57]
	v_add_f32_e32 v103, 1.0, v144
	v_add_f32_e32 v112, -1.0, v103
	v_sub_f32_e32 v113, v112, v103
	v_add_f32_e32 v113, 1.0, v113
	v_sub_f32_e32 v112, v144, v112
	v_add_f32_e32 v114, v112, v113
	v_frexp_mant_f32_e32 v115, v103
	s_mov_b32 s56, 0x3f2aaaab
	v_cvt_f64_f32_e32 v[112:113], v103
	v_frexp_exp_i32_f64_e32 v112, v[112:113]
	v_cmp_gt_f32_e64 s[56:57], s56, v115
	s_nop 1
	v_subbrev_co_u32_e64 v128, s[56:57], 0, v112, s[56:57]
	v_sub_u32_e32 v112, 0, v128
	v_ldexp_f32 v103, v103, v112
	v_ldexp_f32 v112, v114, v112
	v_add_f32_e32 v114, -1.0, v103
	v_add_f32_e32 v113, 1.0, v114
	v_sub_f32_e32 v113, v103, v113
	v_add_f32_e32 v115, v112, v113
	v_add_f32_e32 v113, 1.0, v103
	v_add_f32_e32 v116, -1.0, v113
	v_sub_f32_e32 v103, v103, v116
	v_add_f32_e32 v103, v112, v103
	v_add_f32_e32 v129, v113, v103
	v_rcp_f32_e32 v130, v129
	v_sub_f32_e32 v112, v113, v129
	v_add_f32_e32 v113, v114, v115
	v_add_f32_e32 v103, v103, v112
	v_mul_f32_e32 v132, v113, v130
	v_sub_f32_e32 v112, v114, v113
	v_mul_f32_e32 v114, v129, v132
	v_fma_f32 v116, v132, v129, -v114
	v_fmac_f32_e32 v116, v132, v103
	v_add_f32_e32 v131, v115, v112
	v_add_f32_e32 v112, v114, v116
	v_sub_f32_e32 v115, v113, v112
	v_pk_add_f32 v[118:119], v[112:113], v[114:115] neg_lo:[0,1] neg_hi:[0,1]
	v_mov_b32_e32 v117, v112
	v_pk_add_f32 v[112:113], v[118:119], v[116:117] neg_lo:[0,1] neg_hi:[0,1]
	s_mov_b32 s56, 0x3f317218
	v_add_f32_e32 v113, v131, v113
	v_add_f32_e32 v112, v112, v113
	v_add_f32_e32 v113, v115, v112
	v_mul_f32_e32 v131, v130, v113
	v_mul_f32_e32 v114, v129, v131
	v_fma_f32 v116, v131, v129, -v114
	v_fmac_f32_e32 v116, v131, v103
	v_sub_f32_e32 v103, v115, v113
	v_add_f32_e32 v103, v112, v103
	v_add_f32_e32 v112, v114, v116
	v_sub_f32_e32 v115, v113, v112
	v_pk_add_f32 v[118:119], v[112:113], v[114:115] neg_lo:[0,1] neg_hi:[0,1]
	v_mov_b32_e32 v117, v112
	v_pk_add_f32 v[112:113], v[118:119], v[116:117] neg_lo:[0,1] neg_hi:[0,1]
	v_cvt_f32_i32_e32 v114, v128
	v_add_f32_e32 v103, v103, v113
	v_add_f32_e32 v103, v112, v103
	;; [unrolled: 1-line block ×4, first 2 shown]
	v_sub_f32_e32 v113, v112, v132
	v_mul_f32_e32 v103, v130, v103
	v_sub_f32_e32 v113, v131, v113
	v_add_f32_e32 v103, v113, v103
	v_add_f32_e32 v115, v112, v103
	v_mul_f32_e32 v116, v115, v115
	v_mov_b32_e32 v113, 0x3ecc95a3
	v_fmac_f32_e32 v113, 0x3e9b6dac, v116
	v_sub_f32_e32 v112, v115, v112
	v_fmaak_f32 v113, v116, v113, 0x3f2aaada
	v_sub_f32_e32 v103, v103, v112
	v_ldexp_f32 v117, v115, 1
	v_mul_f32_e32 v115, v115, v116
	v_mov_b32_e32 v112, 0x3f317218
	v_pk_mul_f32 v[112:113], v[114:115], v[112:113]
	v_ldexp_f32 v103, v103, 1
	v_fma_f32 v115, v114, s56, -v112
	v_fmamk_f32 v116, v114, 0xb102e308, v115
	v_pk_add_f32 v[114:115], v[112:113], v[116:117]
	v_mov_b32_e32 v118, v112
	v_sub_f32_e32 v117, v115, v117
	v_sub_f32_e32 v117, v113, v117
	v_add_f32_e32 v119, v103, v117
	v_pk_add_f32 v[112:113], v[114:115], v[112:113] neg_lo:[0,1] neg_hi:[0,1]
	v_pk_add_f32 v[128:129], v[114:115], v[118:119]
	v_mov_b32_e32 v117, v114
	v_mov_b32_e32 v113, v129
	v_pk_add_f32 v[130:131], v[116:117], v[112:113] neg_lo:[0,1] neg_hi:[0,1]
	v_pk_add_f32 v[112:113], v[116:117], v[112:113]
	v_mov_b32_e32 v118, v119
	v_mov_b32_e32 v116, v113
	v_pk_add_f32 v[132:133], v[116:117], v[114:115] neg_lo:[0,1] neg_hi:[0,1]
	v_mov_b32_e32 v112, v129
	v_mov_b32_e32 v103, v132
	v_pk_add_f32 v[134:135], v[128:129], v[102:103] neg_lo:[0,1] neg_hi:[0,1]
	v_mov_b32_e32 v128, v115
	v_mov_b32_e32 v129, v132
	;; [unrolled: 1-line block ×3, first 2 shown]
	v_pk_add_f32 v[112:113], v[112:113], v[128:129] neg_lo:[0,1] neg_hi:[0,1]
	v_mov_b32_e32 v119, v114
	v_pk_add_f32 v[112:113], v[118:119], v[112:113] neg_lo:[0,1] neg_hi:[0,1]
	v_mov_b32_e32 v134, v130
	v_pk_add_f32 v[114:115], v[134:135], v[112:113]
	v_cmp_eq_f32_e64 s[56:57], s64, v144
	v_mov_b32_e32 v118, v115
	v_pk_add_f32 v[118:119], v[114:115], v[118:119]
	s_mov_b32 s64, 0x33800000
	v_pk_add_f32 v[116:117], v[116:117], v[118:119]
	v_mov_b32_e32 v113, v118
	v_mov_b32_e32 v115, v116
	v_pk_add_f32 v[128:129], v[114:115], v[130:131] neg_lo:[0,1] neg_hi:[0,1]
	v_cmp_lt_f32_e64 s[64:65], |v144|, s64
	v_sub_f32_e32 v103, v114, v128
	v_pk_add_f32 v[112:113], v[112:113], v[128:129] neg_lo:[0,1] neg_hi:[0,1]
	v_sub_f32_e32 v103, v130, v103
	v_add_f32_e32 v103, v112, v103
	v_add_f32_e32 v103, v103, v113
	v_add_f32_e32 v103, v116, v103
	s_or_b64 s[56:57], s[56:57], s[64:65]
	v_cndmask_b32_e64 v103, v103, v144, s[56:57]
	v_add_f32_e32 v112, v3, v103
.LBB141_327:
	s_or_b64 exec, exec, s[58:59]
	v_mbcnt_lo_u32_b32 v3, -1, 0
	v_mbcnt_hi_u32_b32 v3, -1, v3
	v_and_b32_e32 v103, 15, v3
	v_mov_b32_dpp v113, v112 row_shr:1 row_mask:0xf bank_mask:0xf
	v_cmp_ne_u32_e64 s[56:57], 0, v103
	s_and_saveexec_b64 s[58:59], s[56:57]
	s_xor_b64 s[64:65], exec, s[58:59]
	s_cbranch_execz .LBB141_331
; %bb.328:
	v_max_f32_e32 v115, v112, v112
	v_max_f32_e32 v116, v113, v113
	v_min_f32_e32 v114, v116, v115
	v_cmp_u_f32_e64 s[56:57], v113, v113
	v_max_f32_e32 v115, v116, v115
	v_cmp_u_f32_e64 s[58:59], v112, v112
	v_cndmask_b32_e64 v114, v114, v113, s[56:57]
	v_cndmask_b32_e64 v115, v115, v113, s[56:57]
	;; [unrolled: 1-line block ×4, first 2 shown]
	s_movk_i32 s58, 0x1f8
	v_cmp_neq_f32_e64 s[56:57], v114, v112
	v_cmp_class_f32_e64 s[58:59], v114, s58
	s_or_b64 s[56:57], s[56:57], s[58:59]
	s_and_saveexec_b64 s[58:59], s[56:57]
	s_cbranch_execz .LBB141_330
; %bb.329:
	v_sub_f32_e32 v113, v114, v112
	s_mov_b32 s56, 0x3fb8aa3b
	v_mul_f32_e32 v114, 0x3fb8aa3b, v113
	v_fma_f32 v115, v113, s56, -v114
	v_rndne_f32_e32 v116, v114
	v_fmamk_f32 v115, v113, 0x32a5705f, v115
	v_sub_f32_e32 v114, v114, v116
	v_add_f32_e32 v114, v114, v115
	v_exp_f32_e32 v114, v114
	v_cvt_i32_f32_e32 v115, v116
	s_mov_b32 s56, 0xc2ce8ed0
	v_cmp_ngt_f32_e64 s[56:57], s56, v113
	s_mov_b32 s66, 0x7f800000
	v_ldexp_f32 v114, v114, v115
	v_cndmask_b32_e64 v114, 0, v114, s[56:57]
	s_mov_b32 s56, 0x42b17218
	v_mov_b32_e32 v115, 0x7f800000
	v_cmp_nlt_f32_e64 s[56:57], s56, v113
	s_nop 1
	v_cndmask_b32_e64 v146, v115, v114, s[56:57]
	v_add_f32_e32 v113, 1.0, v146
	v_add_f32_e32 v114, -1.0, v113
	v_sub_f32_e32 v115, v114, v113
	v_add_f32_e32 v115, 1.0, v115
	v_sub_f32_e32 v114, v146, v114
	v_add_f32_e32 v116, v114, v115
	v_frexp_mant_f32_e32 v117, v113
	s_mov_b32 s56, 0x3f2aaaab
	v_cvt_f64_f32_e32 v[114:115], v113
	v_frexp_exp_i32_f64_e32 v114, v[114:115]
	v_cmp_gt_f32_e64 s[56:57], s56, v117
	s_nop 1
	v_subbrev_co_u32_e64 v130, s[56:57], 0, v114, s[56:57]
	v_sub_u32_e32 v114, 0, v130
	v_ldexp_f32 v113, v113, v114
	v_ldexp_f32 v114, v116, v114
	v_add_f32_e32 v116, -1.0, v113
	v_add_f32_e32 v115, 1.0, v116
	v_sub_f32_e32 v115, v113, v115
	v_add_f32_e32 v117, v114, v115
	v_add_f32_e32 v115, 1.0, v113
	v_add_f32_e32 v118, -1.0, v115
	v_sub_f32_e32 v113, v113, v118
	v_add_f32_e32 v113, v114, v113
	v_add_f32_e32 v131, v115, v113
	v_rcp_f32_e32 v132, v131
	v_sub_f32_e32 v114, v115, v131
	v_add_f32_e32 v115, v116, v117
	v_add_f32_e32 v113, v113, v114
	v_mul_f32_e32 v134, v115, v132
	v_sub_f32_e32 v114, v116, v115
	v_mul_f32_e32 v116, v131, v134
	v_fma_f32 v118, v134, v131, -v116
	v_fmac_f32_e32 v118, v134, v113
	v_add_f32_e32 v133, v117, v114
	v_add_f32_e32 v114, v116, v118
	v_sub_f32_e32 v117, v115, v114
	v_pk_add_f32 v[128:129], v[114:115], v[116:117] neg_lo:[0,1] neg_hi:[0,1]
	v_mov_b32_e32 v119, v114
	v_pk_add_f32 v[114:115], v[128:129], v[118:119] neg_lo:[0,1] neg_hi:[0,1]
	s_mov_b32 s56, 0x3f317218
	v_add_f32_e32 v115, v133, v115
	v_add_f32_e32 v114, v114, v115
	;; [unrolled: 1-line block ×3, first 2 shown]
	v_mul_f32_e32 v133, v132, v115
	v_mul_f32_e32 v116, v131, v133
	v_fma_f32 v118, v133, v131, -v116
	v_fmac_f32_e32 v118, v133, v113
	v_sub_f32_e32 v113, v117, v115
	v_add_f32_e32 v113, v114, v113
	v_add_f32_e32 v114, v116, v118
	v_sub_f32_e32 v117, v115, v114
	v_pk_add_f32 v[128:129], v[114:115], v[116:117] neg_lo:[0,1] neg_hi:[0,1]
	v_mov_b32_e32 v119, v114
	v_pk_add_f32 v[114:115], v[128:129], v[118:119] neg_lo:[0,1] neg_hi:[0,1]
	v_cvt_f32_i32_e32 v116, v130
	v_add_f32_e32 v113, v113, v115
	v_add_f32_e32 v113, v114, v113
	v_add_f32_e32 v114, v134, v133
	v_add_f32_e32 v113, v117, v113
	v_sub_f32_e32 v115, v114, v134
	v_mul_f32_e32 v113, v132, v113
	v_sub_f32_e32 v115, v133, v115
	v_add_f32_e32 v113, v115, v113
	v_add_f32_e32 v117, v114, v113
	v_mul_f32_e32 v118, v117, v117
	v_mov_b32_e32 v115, 0x3ecc95a3
	v_fmac_f32_e32 v115, 0x3e9b6dac, v118
	v_sub_f32_e32 v114, v117, v114
	v_fmaak_f32 v115, v118, v115, 0x3f2aaada
	v_sub_f32_e32 v113, v113, v114
	v_ldexp_f32 v119, v117, 1
	v_mul_f32_e32 v117, v117, v118
	v_mov_b32_e32 v114, 0x3f317218
	v_pk_mul_f32 v[114:115], v[116:117], v[114:115]
	v_ldexp_f32 v113, v113, 1
	v_fma_f32 v117, v116, s56, -v114
	v_fmamk_f32 v118, v116, 0xb102e308, v117
	v_pk_add_f32 v[116:117], v[114:115], v[118:119]
	v_mov_b32_e32 v128, v114
	v_sub_f32_e32 v119, v117, v119
	v_sub_f32_e32 v119, v115, v119
	v_add_f32_e32 v129, v113, v119
	v_pk_add_f32 v[114:115], v[116:117], v[114:115] neg_lo:[0,1] neg_hi:[0,1]
	v_pk_add_f32 v[130:131], v[116:117], v[128:129]
	v_mov_b32_e32 v119, v116
	v_mov_b32_e32 v115, v131
	v_pk_add_f32 v[132:133], v[118:119], v[114:115] neg_lo:[0,1] neg_hi:[0,1]
	v_pk_add_f32 v[114:115], v[118:119], v[114:115]
	v_mov_b32_e32 v128, v129
	v_mov_b32_e32 v118, v115
	v_pk_add_f32 v[134:135], v[118:119], v[116:117] neg_lo:[0,1] neg_hi:[0,1]
	v_mov_b32_e32 v114, v131
	v_mov_b32_e32 v113, v134
	v_pk_add_f32 v[144:145], v[130:131], v[112:113] neg_lo:[0,1] neg_hi:[0,1]
	v_mov_b32_e32 v130, v117
	v_mov_b32_e32 v131, v134
	;; [unrolled: 1-line block ×3, first 2 shown]
	v_pk_add_f32 v[114:115], v[114:115], v[130:131] neg_lo:[0,1] neg_hi:[0,1]
	v_mov_b32_e32 v129, v116
	v_pk_add_f32 v[114:115], v[128:129], v[114:115] neg_lo:[0,1] neg_hi:[0,1]
	v_mov_b32_e32 v144, v132
	v_pk_add_f32 v[116:117], v[144:145], v[114:115]
	v_cmp_eq_f32_e64 s[56:57], s66, v146
	v_mov_b32_e32 v128, v117
	v_pk_add_f32 v[128:129], v[116:117], v[128:129]
	s_mov_b32 s66, 0x33800000
	v_pk_add_f32 v[118:119], v[118:119], v[128:129]
	v_mov_b32_e32 v115, v128
	v_mov_b32_e32 v117, v118
	v_pk_add_f32 v[130:131], v[116:117], v[132:133] neg_lo:[0,1] neg_hi:[0,1]
	v_cmp_lt_f32_e64 s[66:67], |v146|, s66
	v_sub_f32_e32 v113, v116, v130
	v_pk_add_f32 v[114:115], v[114:115], v[130:131] neg_lo:[0,1] neg_hi:[0,1]
	v_sub_f32_e32 v113, v132, v113
	v_add_f32_e32 v113, v114, v113
	v_add_f32_e32 v113, v113, v115
	;; [unrolled: 1-line block ×3, first 2 shown]
	s_or_b64 s[56:57], s[56:57], s[66:67]
	v_cndmask_b32_e64 v113, v113, v146, s[56:57]
	v_add_f32_e32 v113, v112, v113
.LBB141_330:
	s_or_b64 exec, exec, s[58:59]
	v_mov_b32_e32 v112, v113
.LBB141_331:
	s_or_b64 exec, exec, s[64:65]
	s_nop 0
	v_mov_b32_dpp v113, v112 row_shr:2 row_mask:0xf bank_mask:0xf
	v_cmp_lt_u32_e64 s[56:57], 1, v103
	s_and_saveexec_b64 s[64:65], s[56:57]
	s_cbranch_execz .LBB141_335
; %bb.332:
	v_max_f32_e32 v115, v112, v112
	v_max_f32_e32 v116, v113, v113
	v_min_f32_e32 v114, v116, v115
	v_cmp_u_f32_e64 s[56:57], v113, v113
	v_max_f32_e32 v115, v116, v115
	v_cmp_u_f32_e64 s[58:59], v112, v112
	v_cndmask_b32_e64 v114, v114, v113, s[56:57]
	v_cndmask_b32_e64 v115, v115, v113, s[56:57]
	;; [unrolled: 1-line block ×4, first 2 shown]
	s_movk_i32 s58, 0x1f8
	v_cmp_neq_f32_e64 s[56:57], v114, v112
	v_cmp_class_f32_e64 s[58:59], v114, s58
	s_or_b64 s[56:57], s[56:57], s[58:59]
	s_and_saveexec_b64 s[58:59], s[56:57]
	s_cbranch_execz .LBB141_334
; %bb.333:
	v_sub_f32_e32 v113, v114, v112
	s_mov_b32 s56, 0x3fb8aa3b
	v_mul_f32_e32 v114, 0x3fb8aa3b, v113
	v_fma_f32 v115, v113, s56, -v114
	v_rndne_f32_e32 v116, v114
	v_fmamk_f32 v115, v113, 0x32a5705f, v115
	v_sub_f32_e32 v114, v114, v116
	v_add_f32_e32 v114, v114, v115
	v_exp_f32_e32 v114, v114
	v_cvt_i32_f32_e32 v115, v116
	s_mov_b32 s56, 0xc2ce8ed0
	v_cmp_ngt_f32_e64 s[56:57], s56, v113
	s_mov_b32 s66, 0x7f800000
	v_ldexp_f32 v114, v114, v115
	v_cndmask_b32_e64 v114, 0, v114, s[56:57]
	s_mov_b32 s56, 0x42b17218
	v_mov_b32_e32 v115, 0x7f800000
	v_cmp_nlt_f32_e64 s[56:57], s56, v113
	s_nop 1
	v_cndmask_b32_e64 v146, v115, v114, s[56:57]
	v_add_f32_e32 v113, 1.0, v146
	v_add_f32_e32 v114, -1.0, v113
	v_sub_f32_e32 v115, v114, v113
	v_add_f32_e32 v115, 1.0, v115
	v_sub_f32_e32 v114, v146, v114
	v_add_f32_e32 v116, v114, v115
	v_frexp_mant_f32_e32 v117, v113
	s_mov_b32 s56, 0x3f2aaaab
	v_cvt_f64_f32_e32 v[114:115], v113
	v_frexp_exp_i32_f64_e32 v114, v[114:115]
	v_cmp_gt_f32_e64 s[56:57], s56, v117
	s_nop 1
	v_subbrev_co_u32_e64 v130, s[56:57], 0, v114, s[56:57]
	v_sub_u32_e32 v114, 0, v130
	v_ldexp_f32 v113, v113, v114
	v_ldexp_f32 v114, v116, v114
	v_add_f32_e32 v116, -1.0, v113
	v_add_f32_e32 v115, 1.0, v116
	v_sub_f32_e32 v115, v113, v115
	v_add_f32_e32 v117, v114, v115
	v_add_f32_e32 v115, 1.0, v113
	v_add_f32_e32 v118, -1.0, v115
	v_sub_f32_e32 v113, v113, v118
	v_add_f32_e32 v113, v114, v113
	v_add_f32_e32 v131, v115, v113
	v_rcp_f32_e32 v132, v131
	v_sub_f32_e32 v114, v115, v131
	v_add_f32_e32 v115, v116, v117
	v_add_f32_e32 v113, v113, v114
	v_mul_f32_e32 v134, v115, v132
	v_sub_f32_e32 v114, v116, v115
	v_mul_f32_e32 v116, v131, v134
	v_fma_f32 v118, v134, v131, -v116
	v_fmac_f32_e32 v118, v134, v113
	v_add_f32_e32 v133, v117, v114
	v_add_f32_e32 v114, v116, v118
	v_sub_f32_e32 v117, v115, v114
	v_pk_add_f32 v[128:129], v[114:115], v[116:117] neg_lo:[0,1] neg_hi:[0,1]
	v_mov_b32_e32 v119, v114
	v_pk_add_f32 v[114:115], v[128:129], v[118:119] neg_lo:[0,1] neg_hi:[0,1]
	s_mov_b32 s56, 0x3f317218
	v_add_f32_e32 v115, v133, v115
	v_add_f32_e32 v114, v114, v115
	;; [unrolled: 1-line block ×3, first 2 shown]
	v_mul_f32_e32 v133, v132, v115
	v_mul_f32_e32 v116, v131, v133
	v_fma_f32 v118, v133, v131, -v116
	v_fmac_f32_e32 v118, v133, v113
	v_sub_f32_e32 v113, v117, v115
	v_add_f32_e32 v113, v114, v113
	v_add_f32_e32 v114, v116, v118
	v_sub_f32_e32 v117, v115, v114
	v_pk_add_f32 v[128:129], v[114:115], v[116:117] neg_lo:[0,1] neg_hi:[0,1]
	v_mov_b32_e32 v119, v114
	v_pk_add_f32 v[114:115], v[128:129], v[118:119] neg_lo:[0,1] neg_hi:[0,1]
	v_cvt_f32_i32_e32 v116, v130
	v_add_f32_e32 v113, v113, v115
	v_add_f32_e32 v113, v114, v113
	;; [unrolled: 1-line block ×4, first 2 shown]
	v_sub_f32_e32 v115, v114, v134
	v_mul_f32_e32 v113, v132, v113
	v_sub_f32_e32 v115, v133, v115
	v_add_f32_e32 v113, v115, v113
	v_add_f32_e32 v117, v114, v113
	v_mul_f32_e32 v118, v117, v117
	v_mov_b32_e32 v115, 0x3ecc95a3
	v_fmac_f32_e32 v115, 0x3e9b6dac, v118
	v_sub_f32_e32 v114, v117, v114
	v_fmaak_f32 v115, v118, v115, 0x3f2aaada
	v_sub_f32_e32 v113, v113, v114
	v_ldexp_f32 v119, v117, 1
	v_mul_f32_e32 v117, v117, v118
	v_mov_b32_e32 v114, 0x3f317218
	v_pk_mul_f32 v[114:115], v[116:117], v[114:115]
	v_ldexp_f32 v113, v113, 1
	v_fma_f32 v117, v116, s56, -v114
	v_fmamk_f32 v118, v116, 0xb102e308, v117
	v_pk_add_f32 v[116:117], v[114:115], v[118:119]
	v_mov_b32_e32 v128, v114
	v_sub_f32_e32 v119, v117, v119
	v_sub_f32_e32 v119, v115, v119
	v_add_f32_e32 v129, v113, v119
	v_pk_add_f32 v[114:115], v[116:117], v[114:115] neg_lo:[0,1] neg_hi:[0,1]
	v_pk_add_f32 v[130:131], v[116:117], v[128:129]
	v_mov_b32_e32 v119, v116
	v_mov_b32_e32 v115, v131
	v_pk_add_f32 v[132:133], v[118:119], v[114:115] neg_lo:[0,1] neg_hi:[0,1]
	v_pk_add_f32 v[114:115], v[118:119], v[114:115]
	v_mov_b32_e32 v128, v129
	v_mov_b32_e32 v118, v115
	v_pk_add_f32 v[134:135], v[118:119], v[116:117] neg_lo:[0,1] neg_hi:[0,1]
	v_mov_b32_e32 v114, v131
	v_mov_b32_e32 v113, v134
	v_pk_add_f32 v[144:145], v[130:131], v[112:113] neg_lo:[0,1] neg_hi:[0,1]
	v_mov_b32_e32 v130, v117
	v_mov_b32_e32 v131, v134
	;; [unrolled: 1-line block ×3, first 2 shown]
	v_pk_add_f32 v[114:115], v[114:115], v[130:131] neg_lo:[0,1] neg_hi:[0,1]
	v_mov_b32_e32 v129, v116
	v_pk_add_f32 v[114:115], v[128:129], v[114:115] neg_lo:[0,1] neg_hi:[0,1]
	v_mov_b32_e32 v144, v132
	v_pk_add_f32 v[116:117], v[144:145], v[114:115]
	v_cmp_eq_f32_e64 s[56:57], s66, v146
	v_mov_b32_e32 v128, v117
	v_pk_add_f32 v[128:129], v[116:117], v[128:129]
	s_mov_b32 s66, 0x33800000
	v_pk_add_f32 v[118:119], v[118:119], v[128:129]
	v_mov_b32_e32 v115, v128
	v_mov_b32_e32 v117, v118
	v_pk_add_f32 v[130:131], v[116:117], v[132:133] neg_lo:[0,1] neg_hi:[0,1]
	v_cmp_lt_f32_e64 s[66:67], |v146|, s66
	v_sub_f32_e32 v113, v116, v130
	v_pk_add_f32 v[114:115], v[114:115], v[130:131] neg_lo:[0,1] neg_hi:[0,1]
	v_sub_f32_e32 v113, v132, v113
	v_add_f32_e32 v113, v114, v113
	v_add_f32_e32 v113, v113, v115
	;; [unrolled: 1-line block ×3, first 2 shown]
	s_or_b64 s[56:57], s[56:57], s[66:67]
	v_cndmask_b32_e64 v113, v113, v146, s[56:57]
	v_add_f32_e32 v113, v112, v113
.LBB141_334:
	s_or_b64 exec, exec, s[58:59]
	v_mov_b32_e32 v112, v113
.LBB141_335:
	s_or_b64 exec, exec, s[64:65]
	s_nop 0
	v_mov_b32_dpp v113, v112 row_shr:4 row_mask:0xf bank_mask:0xf
	v_cmp_lt_u32_e64 s[56:57], 3, v103
	s_and_saveexec_b64 s[64:65], s[56:57]
	s_cbranch_execz .LBB141_339
; %bb.336:
	v_max_f32_e32 v115, v112, v112
	v_max_f32_e32 v116, v113, v113
	v_min_f32_e32 v114, v116, v115
	v_cmp_u_f32_e64 s[56:57], v113, v113
	v_max_f32_e32 v115, v116, v115
	v_cmp_u_f32_e64 s[58:59], v112, v112
	v_cndmask_b32_e64 v114, v114, v113, s[56:57]
	v_cndmask_b32_e64 v115, v115, v113, s[56:57]
	;; [unrolled: 1-line block ×4, first 2 shown]
	s_movk_i32 s58, 0x1f8
	v_cmp_neq_f32_e64 s[56:57], v114, v112
	v_cmp_class_f32_e64 s[58:59], v114, s58
	s_or_b64 s[56:57], s[56:57], s[58:59]
	s_and_saveexec_b64 s[58:59], s[56:57]
	s_cbranch_execz .LBB141_338
; %bb.337:
	v_sub_f32_e32 v113, v114, v112
	s_mov_b32 s56, 0x3fb8aa3b
	v_mul_f32_e32 v114, 0x3fb8aa3b, v113
	v_fma_f32 v115, v113, s56, -v114
	v_rndne_f32_e32 v116, v114
	v_fmamk_f32 v115, v113, 0x32a5705f, v115
	v_sub_f32_e32 v114, v114, v116
	v_add_f32_e32 v114, v114, v115
	v_exp_f32_e32 v114, v114
	v_cvt_i32_f32_e32 v115, v116
	s_mov_b32 s56, 0xc2ce8ed0
	v_cmp_ngt_f32_e64 s[56:57], s56, v113
	s_mov_b32 s66, 0x7f800000
	v_ldexp_f32 v114, v114, v115
	v_cndmask_b32_e64 v114, 0, v114, s[56:57]
	s_mov_b32 s56, 0x42b17218
	v_mov_b32_e32 v115, 0x7f800000
	v_cmp_nlt_f32_e64 s[56:57], s56, v113
	s_nop 1
	v_cndmask_b32_e64 v146, v115, v114, s[56:57]
	v_add_f32_e32 v113, 1.0, v146
	v_add_f32_e32 v114, -1.0, v113
	v_sub_f32_e32 v115, v114, v113
	v_add_f32_e32 v115, 1.0, v115
	v_sub_f32_e32 v114, v146, v114
	v_add_f32_e32 v116, v114, v115
	v_frexp_mant_f32_e32 v117, v113
	s_mov_b32 s56, 0x3f2aaaab
	v_cvt_f64_f32_e32 v[114:115], v113
	v_frexp_exp_i32_f64_e32 v114, v[114:115]
	v_cmp_gt_f32_e64 s[56:57], s56, v117
	s_nop 1
	v_subbrev_co_u32_e64 v130, s[56:57], 0, v114, s[56:57]
	v_sub_u32_e32 v114, 0, v130
	v_ldexp_f32 v113, v113, v114
	v_ldexp_f32 v114, v116, v114
	v_add_f32_e32 v116, -1.0, v113
	v_add_f32_e32 v115, 1.0, v116
	v_sub_f32_e32 v115, v113, v115
	v_add_f32_e32 v117, v114, v115
	v_add_f32_e32 v115, 1.0, v113
	v_add_f32_e32 v118, -1.0, v115
	v_sub_f32_e32 v113, v113, v118
	v_add_f32_e32 v113, v114, v113
	v_add_f32_e32 v131, v115, v113
	v_rcp_f32_e32 v132, v131
	v_sub_f32_e32 v114, v115, v131
	v_add_f32_e32 v115, v116, v117
	v_add_f32_e32 v113, v113, v114
	v_mul_f32_e32 v134, v115, v132
	v_sub_f32_e32 v114, v116, v115
	v_mul_f32_e32 v116, v131, v134
	v_fma_f32 v118, v134, v131, -v116
	v_fmac_f32_e32 v118, v134, v113
	v_add_f32_e32 v133, v117, v114
	v_add_f32_e32 v114, v116, v118
	v_sub_f32_e32 v117, v115, v114
	v_pk_add_f32 v[128:129], v[114:115], v[116:117] neg_lo:[0,1] neg_hi:[0,1]
	v_mov_b32_e32 v119, v114
	v_pk_add_f32 v[114:115], v[128:129], v[118:119] neg_lo:[0,1] neg_hi:[0,1]
	s_mov_b32 s56, 0x3f317218
	v_add_f32_e32 v115, v133, v115
	v_add_f32_e32 v114, v114, v115
	;; [unrolled: 1-line block ×3, first 2 shown]
	v_mul_f32_e32 v133, v132, v115
	v_mul_f32_e32 v116, v131, v133
	v_fma_f32 v118, v133, v131, -v116
	v_fmac_f32_e32 v118, v133, v113
	v_sub_f32_e32 v113, v117, v115
	v_add_f32_e32 v113, v114, v113
	v_add_f32_e32 v114, v116, v118
	v_sub_f32_e32 v117, v115, v114
	v_pk_add_f32 v[128:129], v[114:115], v[116:117] neg_lo:[0,1] neg_hi:[0,1]
	v_mov_b32_e32 v119, v114
	v_pk_add_f32 v[114:115], v[128:129], v[118:119] neg_lo:[0,1] neg_hi:[0,1]
	v_cvt_f32_i32_e32 v116, v130
	v_add_f32_e32 v113, v113, v115
	v_add_f32_e32 v113, v114, v113
	;; [unrolled: 1-line block ×4, first 2 shown]
	v_sub_f32_e32 v115, v114, v134
	v_mul_f32_e32 v113, v132, v113
	v_sub_f32_e32 v115, v133, v115
	v_add_f32_e32 v113, v115, v113
	v_add_f32_e32 v117, v114, v113
	v_mul_f32_e32 v118, v117, v117
	v_mov_b32_e32 v115, 0x3ecc95a3
	v_fmac_f32_e32 v115, 0x3e9b6dac, v118
	v_sub_f32_e32 v114, v117, v114
	v_fmaak_f32 v115, v118, v115, 0x3f2aaada
	v_sub_f32_e32 v113, v113, v114
	v_ldexp_f32 v119, v117, 1
	v_mul_f32_e32 v117, v117, v118
	v_mov_b32_e32 v114, 0x3f317218
	v_pk_mul_f32 v[114:115], v[116:117], v[114:115]
	v_ldexp_f32 v113, v113, 1
	v_fma_f32 v117, v116, s56, -v114
	v_fmamk_f32 v118, v116, 0xb102e308, v117
	v_pk_add_f32 v[116:117], v[114:115], v[118:119]
	v_mov_b32_e32 v128, v114
	v_sub_f32_e32 v119, v117, v119
	v_sub_f32_e32 v119, v115, v119
	v_add_f32_e32 v129, v113, v119
	v_pk_add_f32 v[114:115], v[116:117], v[114:115] neg_lo:[0,1] neg_hi:[0,1]
	v_pk_add_f32 v[130:131], v[116:117], v[128:129]
	v_mov_b32_e32 v119, v116
	v_mov_b32_e32 v115, v131
	v_pk_add_f32 v[132:133], v[118:119], v[114:115] neg_lo:[0,1] neg_hi:[0,1]
	v_pk_add_f32 v[114:115], v[118:119], v[114:115]
	v_mov_b32_e32 v128, v129
	v_mov_b32_e32 v118, v115
	v_pk_add_f32 v[134:135], v[118:119], v[116:117] neg_lo:[0,1] neg_hi:[0,1]
	v_mov_b32_e32 v114, v131
	v_mov_b32_e32 v113, v134
	v_pk_add_f32 v[144:145], v[130:131], v[112:113] neg_lo:[0,1] neg_hi:[0,1]
	v_mov_b32_e32 v130, v117
	v_mov_b32_e32 v131, v134
	;; [unrolled: 1-line block ×3, first 2 shown]
	v_pk_add_f32 v[114:115], v[114:115], v[130:131] neg_lo:[0,1] neg_hi:[0,1]
	v_mov_b32_e32 v129, v116
	v_pk_add_f32 v[114:115], v[128:129], v[114:115] neg_lo:[0,1] neg_hi:[0,1]
	v_mov_b32_e32 v144, v132
	v_pk_add_f32 v[116:117], v[144:145], v[114:115]
	v_cmp_eq_f32_e64 s[56:57], s66, v146
	v_mov_b32_e32 v128, v117
	v_pk_add_f32 v[128:129], v[116:117], v[128:129]
	s_mov_b32 s66, 0x33800000
	v_pk_add_f32 v[118:119], v[118:119], v[128:129]
	v_mov_b32_e32 v115, v128
	v_mov_b32_e32 v117, v118
	v_pk_add_f32 v[130:131], v[116:117], v[132:133] neg_lo:[0,1] neg_hi:[0,1]
	v_cmp_lt_f32_e64 s[66:67], |v146|, s66
	v_sub_f32_e32 v113, v116, v130
	v_pk_add_f32 v[114:115], v[114:115], v[130:131] neg_lo:[0,1] neg_hi:[0,1]
	v_sub_f32_e32 v113, v132, v113
	v_add_f32_e32 v113, v114, v113
	v_add_f32_e32 v113, v113, v115
	;; [unrolled: 1-line block ×3, first 2 shown]
	s_or_b64 s[56:57], s[56:57], s[66:67]
	v_cndmask_b32_e64 v113, v113, v146, s[56:57]
	v_add_f32_e32 v113, v112, v113
.LBB141_338:
	s_or_b64 exec, exec, s[58:59]
	v_mov_b32_e32 v112, v113
.LBB141_339:
	s_or_b64 exec, exec, s[64:65]
	s_nop 0
	v_mov_b32_dpp v113, v112 row_shr:8 row_mask:0xf bank_mask:0xf
	v_cmp_lt_u32_e64 s[56:57], 7, v103
	s_and_saveexec_b64 s[64:65], s[56:57]
	s_cbranch_execz .LBB141_343
; %bb.340:
	v_max_f32_e32 v103, v112, v112
	v_max_f32_e32 v115, v113, v113
	v_min_f32_e32 v114, v115, v103
	v_cmp_u_f32_e64 s[56:57], v113, v113
	v_max_f32_e32 v103, v115, v103
	v_cmp_u_f32_e64 s[58:59], v112, v112
	v_cndmask_b32_e64 v114, v114, v113, s[56:57]
	v_cndmask_b32_e64 v103, v103, v113, s[56:57]
	;; [unrolled: 1-line block ×4, first 2 shown]
	s_movk_i32 s58, 0x1f8
	v_cmp_neq_f32_e64 s[56:57], v114, v103
	v_cmp_class_f32_e64 s[58:59], v114, s58
	s_or_b64 s[56:57], s[56:57], s[58:59]
	s_and_saveexec_b64 s[58:59], s[56:57]
	s_cbranch_execz .LBB141_342
; %bb.341:
	v_sub_f32_e32 v112, v114, v103
	s_mov_b32 s56, 0x3fb8aa3b
	v_mul_f32_e32 v113, 0x3fb8aa3b, v112
	v_fma_f32 v114, v112, s56, -v113
	v_rndne_f32_e32 v115, v113
	v_fmamk_f32 v114, v112, 0x32a5705f, v114
	v_sub_f32_e32 v113, v113, v115
	v_add_f32_e32 v113, v113, v114
	v_exp_f32_e32 v113, v113
	v_cvt_i32_f32_e32 v114, v115
	s_mov_b32 s56, 0xc2ce8ed0
	v_cmp_ngt_f32_e64 s[56:57], s56, v112
	s_mov_b32 s66, 0x7f800000
	v_ldexp_f32 v113, v113, v114
	v_cndmask_b32_e64 v113, 0, v113, s[56:57]
	s_mov_b32 s56, 0x42b17218
	v_mov_b32_e32 v114, 0x7f800000
	v_cmp_nlt_f32_e64 s[56:57], s56, v112
	s_nop 1
	v_cndmask_b32_e64 v144, v114, v113, s[56:57]
	v_add_f32_e32 v114, 1.0, v144
	v_add_f32_e32 v112, -1.0, v114
	v_sub_f32_e32 v113, v112, v114
	v_add_f32_e32 v113, 1.0, v113
	v_sub_f32_e32 v112, v144, v112
	v_add_f32_e32 v115, v112, v113
	v_frexp_mant_f32_e32 v116, v114
	s_mov_b32 s56, 0x3f2aaaab
	v_cvt_f64_f32_e32 v[112:113], v114
	v_frexp_exp_i32_f64_e32 v112, v[112:113]
	v_cmp_gt_f32_e64 s[56:57], s56, v116
	s_nop 1
	v_subbrev_co_u32_e64 v128, s[56:57], 0, v112, s[56:57]
	v_sub_u32_e32 v112, 0, v128
	v_ldexp_f32 v113, v114, v112
	v_add_f32_e32 v114, -1.0, v113
	v_add_f32_e32 v116, 1.0, v113
	v_ldexp_f32 v112, v115, v112
	v_add_f32_e32 v115, 1.0, v114
	v_add_f32_e32 v117, -1.0, v116
	v_sub_f32_e32 v115, v113, v115
	v_sub_f32_e32 v113, v113, v117
	v_add_f32_e32 v115, v112, v115
	v_add_f32_e32 v112, v112, v113
	;; [unrolled: 1-line block ×3, first 2 shown]
	v_rcp_f32_e32 v131, v129
	v_sub_f32_e32 v113, v116, v129
	v_add_f32_e32 v130, v112, v113
	v_add_f32_e32 v113, v114, v115
	v_mul_f32_e32 v133, v113, v131
	v_sub_f32_e32 v112, v114, v113
	v_mul_f32_e32 v114, v129, v133
	v_fma_f32 v116, v133, v129, -v114
	v_fmac_f32_e32 v116, v133, v130
	v_add_f32_e32 v132, v115, v112
	v_add_f32_e32 v112, v114, v116
	v_sub_f32_e32 v115, v113, v112
	v_pk_add_f32 v[118:119], v[112:113], v[114:115] neg_lo:[0,1] neg_hi:[0,1]
	v_mov_b32_e32 v117, v112
	v_pk_add_f32 v[112:113], v[118:119], v[116:117] neg_lo:[0,1] neg_hi:[0,1]
	s_mov_b32 s56, 0x3f317218
	v_add_f32_e32 v113, v132, v113
	v_add_f32_e32 v112, v112, v113
	v_add_f32_e32 v113, v115, v112
	v_mul_f32_e32 v132, v131, v113
	v_mul_f32_e32 v114, v129, v132
	v_fma_f32 v116, v132, v129, -v114
	v_fmac_f32_e32 v116, v132, v130
	v_sub_f32_e32 v115, v115, v113
	v_add_f32_e32 v129, v112, v115
	v_add_f32_e32 v112, v114, v116
	v_sub_f32_e32 v115, v113, v112
	v_pk_add_f32 v[118:119], v[112:113], v[114:115] neg_lo:[0,1] neg_hi:[0,1]
	v_mov_b32_e32 v117, v112
	v_pk_add_f32 v[112:113], v[118:119], v[116:117] neg_lo:[0,1] neg_hi:[0,1]
	v_cvt_f32_i32_e32 v114, v128
	v_add_f32_e32 v113, v129, v113
	v_add_f32_e32 v112, v112, v113
	;; [unrolled: 1-line block ×4, first 2 shown]
	v_sub_f32_e32 v113, v115, v133
	v_mul_f32_e32 v112, v131, v112
	v_sub_f32_e32 v113, v132, v113
	v_add_f32_e32 v112, v113, v112
	v_add_f32_e32 v116, v115, v112
	v_mul_f32_e32 v118, v116, v116
	v_mov_b32_e32 v113, 0x3ecc95a3
	v_sub_f32_e32 v115, v116, v115
	v_fmac_f32_e32 v113, 0x3e9b6dac, v118
	v_sub_f32_e32 v112, v112, v115
	v_fmaak_f32 v113, v118, v113, 0x3f2aaada
	v_ldexp_f32 v119, v112, 1
	v_mul_f32_e32 v115, v116, v118
	v_mov_b32_e32 v112, 0x3f317218
	v_pk_mul_f32 v[112:113], v[114:115], v[112:113]
	v_ldexp_f32 v117, v116, 1
	v_fma_f32 v115, v114, s56, -v112
	v_fmamk_f32 v116, v114, 0xb102e308, v115
	v_pk_add_f32 v[114:115], v[112:113], v[116:117]
	v_mov_b32_e32 v118, v112
	v_sub_f32_e32 v117, v115, v117
	v_sub_f32_e32 v117, v113, v117
	v_add_f32_e32 v119, v119, v117
	v_pk_add_f32 v[112:113], v[114:115], v[112:113] neg_lo:[0,1] neg_hi:[0,1]
	v_pk_add_f32 v[128:129], v[114:115], v[118:119]
	v_mov_b32_e32 v117, v114
	v_mov_b32_e32 v113, v129
	v_pk_add_f32 v[130:131], v[116:117], v[112:113] neg_lo:[0,1] neg_hi:[0,1]
	v_pk_add_f32 v[112:113], v[116:117], v[112:113]
	v_mov_b32_e32 v118, v119
	v_mov_b32_e32 v116, v113
	v_pk_add_f32 v[132:133], v[116:117], v[114:115] neg_lo:[0,1] neg_hi:[0,1]
	v_mov_b32_e32 v112, v129
	v_mov_b32_e32 v117, v132
	v_pk_add_f32 v[134:135], v[128:129], v[116:117] neg_lo:[0,1] neg_hi:[0,1]
	v_mov_b32_e32 v128, v115
	v_mov_b32_e32 v129, v132
	;; [unrolled: 1-line block ×3, first 2 shown]
	v_pk_add_f32 v[112:113], v[112:113], v[128:129] neg_lo:[0,1] neg_hi:[0,1]
	v_mov_b32_e32 v119, v114
	v_pk_add_f32 v[112:113], v[118:119], v[112:113] neg_lo:[0,1] neg_hi:[0,1]
	v_mov_b32_e32 v134, v130
	v_pk_add_f32 v[114:115], v[134:135], v[112:113]
	v_cmp_eq_f32_e64 s[56:57], s66, v144
	v_mov_b32_e32 v118, v115
	v_pk_add_f32 v[118:119], v[114:115], v[118:119]
	s_mov_b32 s66, 0x33800000
	v_pk_add_f32 v[116:117], v[116:117], v[118:119]
	v_mov_b32_e32 v113, v118
	v_mov_b32_e32 v115, v116
	v_pk_add_f32 v[128:129], v[114:115], v[130:131] neg_lo:[0,1] neg_hi:[0,1]
	v_cmp_lt_f32_e64 s[66:67], |v144|, s66
	v_sub_f32_e32 v114, v114, v128
	v_pk_add_f32 v[112:113], v[112:113], v[128:129] neg_lo:[0,1] neg_hi:[0,1]
	v_sub_f32_e32 v114, v130, v114
	v_add_f32_e32 v112, v112, v114
	v_add_f32_e32 v112, v112, v113
	;; [unrolled: 1-line block ×3, first 2 shown]
	s_or_b64 s[56:57], s[56:57], s[66:67]
	v_cndmask_b32_e64 v112, v112, v144, s[56:57]
	v_add_f32_e32 v113, v103, v112
.LBB141_342:
	s_or_b64 exec, exec, s[58:59]
	v_mov_b32_e32 v112, v113
.LBB141_343:
	s_or_b64 exec, exec, s[64:65]
	v_and_b32_e32 v103, 16, v3
	v_mov_b32_dpp v113, v112 row_bcast:15 row_mask:0xf bank_mask:0xf
	v_cmp_ne_u32_e64 s[56:57], 0, v103
	s_and_saveexec_b64 s[64:65], s[56:57]
	s_cbranch_execz .LBB141_347
; %bb.344:
	v_max_f32_e32 v103, v112, v112
	v_max_f32_e32 v115, v113, v113
	v_min_f32_e32 v114, v115, v103
	v_cmp_u_f32_e64 s[56:57], v113, v113
	v_max_f32_e32 v103, v115, v103
	v_cmp_u_f32_e64 s[58:59], v112, v112
	v_cndmask_b32_e64 v114, v114, v113, s[56:57]
	v_cndmask_b32_e64 v103, v103, v113, s[56:57]
	;; [unrolled: 1-line block ×4, first 2 shown]
	s_movk_i32 s58, 0x1f8
	v_cmp_neq_f32_e64 s[56:57], v114, v103
	v_cmp_class_f32_e64 s[58:59], v114, s58
	s_or_b64 s[56:57], s[56:57], s[58:59]
	s_and_saveexec_b64 s[58:59], s[56:57]
	s_cbranch_execz .LBB141_346
; %bb.345:
	v_sub_f32_e32 v112, v114, v103
	s_mov_b32 s56, 0x3fb8aa3b
	v_mul_f32_e32 v113, 0x3fb8aa3b, v112
	v_fma_f32 v114, v112, s56, -v113
	v_rndne_f32_e32 v115, v113
	v_fmamk_f32 v114, v112, 0x32a5705f, v114
	v_sub_f32_e32 v113, v113, v115
	v_add_f32_e32 v113, v113, v114
	v_exp_f32_e32 v113, v113
	v_cvt_i32_f32_e32 v114, v115
	s_mov_b32 s56, 0xc2ce8ed0
	v_cmp_ngt_f32_e64 s[56:57], s56, v112
	s_mov_b32 s66, 0x7f800000
	v_ldexp_f32 v113, v113, v114
	v_cndmask_b32_e64 v113, 0, v113, s[56:57]
	s_mov_b32 s56, 0x42b17218
	v_mov_b32_e32 v114, 0x7f800000
	v_cmp_nlt_f32_e64 s[56:57], s56, v112
	s_nop 1
	v_cndmask_b32_e64 v144, v114, v113, s[56:57]
	v_add_f32_e32 v114, 1.0, v144
	v_add_f32_e32 v112, -1.0, v114
	v_sub_f32_e32 v113, v112, v114
	v_add_f32_e32 v113, 1.0, v113
	v_sub_f32_e32 v112, v144, v112
	v_add_f32_e32 v115, v112, v113
	v_frexp_mant_f32_e32 v116, v114
	s_mov_b32 s56, 0x3f2aaaab
	v_cvt_f64_f32_e32 v[112:113], v114
	v_frexp_exp_i32_f64_e32 v112, v[112:113]
	v_cmp_gt_f32_e64 s[56:57], s56, v116
	s_nop 1
	v_subbrev_co_u32_e64 v128, s[56:57], 0, v112, s[56:57]
	v_sub_u32_e32 v112, 0, v128
	v_ldexp_f32 v113, v114, v112
	v_add_f32_e32 v114, -1.0, v113
	v_add_f32_e32 v116, 1.0, v113
	v_ldexp_f32 v112, v115, v112
	v_add_f32_e32 v115, 1.0, v114
	v_add_f32_e32 v117, -1.0, v116
	v_sub_f32_e32 v115, v113, v115
	v_sub_f32_e32 v113, v113, v117
	v_add_f32_e32 v115, v112, v115
	v_add_f32_e32 v112, v112, v113
	;; [unrolled: 1-line block ×3, first 2 shown]
	v_rcp_f32_e32 v131, v129
	v_sub_f32_e32 v113, v116, v129
	v_add_f32_e32 v130, v112, v113
	v_add_f32_e32 v113, v114, v115
	v_mul_f32_e32 v133, v113, v131
	v_sub_f32_e32 v112, v114, v113
	v_mul_f32_e32 v114, v129, v133
	v_fma_f32 v116, v133, v129, -v114
	v_fmac_f32_e32 v116, v133, v130
	v_add_f32_e32 v132, v115, v112
	v_add_f32_e32 v112, v114, v116
	v_sub_f32_e32 v115, v113, v112
	v_pk_add_f32 v[118:119], v[112:113], v[114:115] neg_lo:[0,1] neg_hi:[0,1]
	v_mov_b32_e32 v117, v112
	v_pk_add_f32 v[112:113], v[118:119], v[116:117] neg_lo:[0,1] neg_hi:[0,1]
	s_mov_b32 s56, 0x3f317218
	v_add_f32_e32 v113, v132, v113
	v_add_f32_e32 v112, v112, v113
	;; [unrolled: 1-line block ×3, first 2 shown]
	v_mul_f32_e32 v132, v131, v113
	v_mul_f32_e32 v114, v129, v132
	v_fma_f32 v116, v132, v129, -v114
	v_fmac_f32_e32 v116, v132, v130
	v_sub_f32_e32 v115, v115, v113
	v_add_f32_e32 v129, v112, v115
	v_add_f32_e32 v112, v114, v116
	v_sub_f32_e32 v115, v113, v112
	v_pk_add_f32 v[118:119], v[112:113], v[114:115] neg_lo:[0,1] neg_hi:[0,1]
	v_mov_b32_e32 v117, v112
	v_pk_add_f32 v[112:113], v[118:119], v[116:117] neg_lo:[0,1] neg_hi:[0,1]
	v_cvt_f32_i32_e32 v114, v128
	v_add_f32_e32 v113, v129, v113
	v_add_f32_e32 v112, v112, v113
	v_add_f32_e32 v112, v115, v112
	v_add_f32_e32 v115, v133, v132
	v_sub_f32_e32 v113, v115, v133
	v_mul_f32_e32 v112, v131, v112
	v_sub_f32_e32 v113, v132, v113
	v_add_f32_e32 v112, v113, v112
	v_add_f32_e32 v116, v115, v112
	v_mul_f32_e32 v118, v116, v116
	v_mov_b32_e32 v113, 0x3ecc95a3
	v_sub_f32_e32 v115, v116, v115
	v_fmac_f32_e32 v113, 0x3e9b6dac, v118
	v_sub_f32_e32 v112, v112, v115
	v_fmaak_f32 v113, v118, v113, 0x3f2aaada
	v_ldexp_f32 v119, v112, 1
	v_mul_f32_e32 v115, v116, v118
	v_mov_b32_e32 v112, 0x3f317218
	v_pk_mul_f32 v[112:113], v[114:115], v[112:113]
	v_ldexp_f32 v117, v116, 1
	v_fma_f32 v115, v114, s56, -v112
	v_fmamk_f32 v116, v114, 0xb102e308, v115
	v_pk_add_f32 v[114:115], v[112:113], v[116:117]
	v_mov_b32_e32 v118, v112
	v_sub_f32_e32 v117, v115, v117
	v_sub_f32_e32 v117, v113, v117
	v_add_f32_e32 v119, v119, v117
	v_pk_add_f32 v[112:113], v[114:115], v[112:113] neg_lo:[0,1] neg_hi:[0,1]
	v_pk_add_f32 v[128:129], v[114:115], v[118:119]
	v_mov_b32_e32 v117, v114
	v_mov_b32_e32 v113, v129
	v_pk_add_f32 v[130:131], v[116:117], v[112:113] neg_lo:[0,1] neg_hi:[0,1]
	v_pk_add_f32 v[112:113], v[116:117], v[112:113]
	v_mov_b32_e32 v118, v119
	v_mov_b32_e32 v116, v113
	v_pk_add_f32 v[132:133], v[116:117], v[114:115] neg_lo:[0,1] neg_hi:[0,1]
	v_mov_b32_e32 v112, v129
	v_mov_b32_e32 v117, v132
	v_pk_add_f32 v[134:135], v[128:129], v[116:117] neg_lo:[0,1] neg_hi:[0,1]
	v_mov_b32_e32 v128, v115
	v_mov_b32_e32 v129, v132
	;; [unrolled: 1-line block ×3, first 2 shown]
	v_pk_add_f32 v[112:113], v[112:113], v[128:129] neg_lo:[0,1] neg_hi:[0,1]
	v_mov_b32_e32 v119, v114
	v_pk_add_f32 v[112:113], v[118:119], v[112:113] neg_lo:[0,1] neg_hi:[0,1]
	v_mov_b32_e32 v134, v130
	v_pk_add_f32 v[114:115], v[134:135], v[112:113]
	v_cmp_eq_f32_e64 s[56:57], s66, v144
	v_mov_b32_e32 v118, v115
	v_pk_add_f32 v[118:119], v[114:115], v[118:119]
	s_mov_b32 s66, 0x33800000
	v_pk_add_f32 v[116:117], v[116:117], v[118:119]
	v_mov_b32_e32 v113, v118
	v_mov_b32_e32 v115, v116
	v_pk_add_f32 v[128:129], v[114:115], v[130:131] neg_lo:[0,1] neg_hi:[0,1]
	v_cmp_lt_f32_e64 s[66:67], |v144|, s66
	v_sub_f32_e32 v114, v114, v128
	v_pk_add_f32 v[112:113], v[112:113], v[128:129] neg_lo:[0,1] neg_hi:[0,1]
	v_sub_f32_e32 v114, v130, v114
	v_add_f32_e32 v112, v112, v114
	v_add_f32_e32 v112, v112, v113
	;; [unrolled: 1-line block ×3, first 2 shown]
	s_or_b64 s[56:57], s[56:57], s[66:67]
	v_cndmask_b32_e64 v112, v112, v144, s[56:57]
	v_add_f32_e32 v113, v103, v112
.LBB141_346:
	s_or_b64 exec, exec, s[58:59]
	v_mov_b32_e32 v112, v113
.LBB141_347:
	s_or_b64 exec, exec, s[64:65]
	s_nop 0
	v_mov_b32_dpp v113, v112 row_bcast:31 row_mask:0xf bank_mask:0xf
	v_cmp_lt_u32_e64 s[56:57], 31, v3
	s_and_saveexec_b64 s[64:65], s[56:57]
	s_cbranch_execz .LBB141_351
; %bb.348:
	v_max_f32_e32 v103, v112, v112
	v_max_f32_e32 v115, v113, v113
	v_min_f32_e32 v114, v115, v103
	v_cmp_u_f32_e64 s[56:57], v113, v113
	v_max_f32_e32 v103, v115, v103
	v_cmp_u_f32_e64 s[58:59], v112, v112
	v_cndmask_b32_e64 v114, v114, v113, s[56:57]
	v_cndmask_b32_e64 v103, v103, v113, s[56:57]
	;; [unrolled: 1-line block ×4, first 2 shown]
	s_movk_i32 s58, 0x1f8
	v_cmp_neq_f32_e64 s[56:57], v114, v103
	v_cmp_class_f32_e64 s[58:59], v114, s58
	s_or_b64 s[56:57], s[56:57], s[58:59]
	s_and_saveexec_b64 s[58:59], s[56:57]
	s_cbranch_execz .LBB141_350
; %bb.349:
	v_sub_f32_e32 v112, v114, v103
	s_mov_b32 s56, 0x3fb8aa3b
	v_mul_f32_e32 v113, 0x3fb8aa3b, v112
	v_fma_f32 v114, v112, s56, -v113
	v_rndne_f32_e32 v115, v113
	v_fmamk_f32 v114, v112, 0x32a5705f, v114
	v_sub_f32_e32 v113, v113, v115
	v_add_f32_e32 v113, v113, v114
	v_exp_f32_e32 v113, v113
	v_cvt_i32_f32_e32 v114, v115
	s_mov_b32 s56, 0xc2ce8ed0
	v_cmp_ngt_f32_e64 s[56:57], s56, v112
	s_mov_b32 s66, 0x7f800000
	v_ldexp_f32 v113, v113, v114
	v_cndmask_b32_e64 v113, 0, v113, s[56:57]
	s_mov_b32 s56, 0x42b17218
	v_mov_b32_e32 v114, 0x7f800000
	v_cmp_nlt_f32_e64 s[56:57], s56, v112
	s_nop 1
	v_cndmask_b32_e64 v144, v114, v113, s[56:57]
	v_add_f32_e32 v114, 1.0, v144
	v_add_f32_e32 v112, -1.0, v114
	v_sub_f32_e32 v113, v112, v114
	v_add_f32_e32 v113, 1.0, v113
	v_sub_f32_e32 v112, v144, v112
	v_add_f32_e32 v115, v112, v113
	v_frexp_mant_f32_e32 v116, v114
	s_mov_b32 s56, 0x3f2aaaab
	v_cvt_f64_f32_e32 v[112:113], v114
	v_frexp_exp_i32_f64_e32 v112, v[112:113]
	v_cmp_gt_f32_e64 s[56:57], s56, v116
	s_nop 1
	v_subbrev_co_u32_e64 v128, s[56:57], 0, v112, s[56:57]
	v_sub_u32_e32 v112, 0, v128
	v_ldexp_f32 v113, v114, v112
	v_add_f32_e32 v114, -1.0, v113
	v_add_f32_e32 v116, 1.0, v113
	v_ldexp_f32 v112, v115, v112
	v_add_f32_e32 v115, 1.0, v114
	v_add_f32_e32 v117, -1.0, v116
	v_sub_f32_e32 v115, v113, v115
	v_sub_f32_e32 v113, v113, v117
	v_add_f32_e32 v115, v112, v115
	v_add_f32_e32 v112, v112, v113
	;; [unrolled: 1-line block ×3, first 2 shown]
	v_rcp_f32_e32 v131, v129
	v_sub_f32_e32 v113, v116, v129
	v_add_f32_e32 v130, v112, v113
	v_add_f32_e32 v113, v114, v115
	v_mul_f32_e32 v133, v113, v131
	v_sub_f32_e32 v112, v114, v113
	v_mul_f32_e32 v114, v129, v133
	v_fma_f32 v116, v133, v129, -v114
	v_fmac_f32_e32 v116, v133, v130
	v_add_f32_e32 v132, v115, v112
	v_add_f32_e32 v112, v114, v116
	v_sub_f32_e32 v115, v113, v112
	v_pk_add_f32 v[118:119], v[112:113], v[114:115] neg_lo:[0,1] neg_hi:[0,1]
	v_mov_b32_e32 v117, v112
	v_pk_add_f32 v[112:113], v[118:119], v[116:117] neg_lo:[0,1] neg_hi:[0,1]
	s_mov_b32 s56, 0x3f317218
	v_add_f32_e32 v113, v132, v113
	v_add_f32_e32 v112, v112, v113
	;; [unrolled: 1-line block ×3, first 2 shown]
	v_mul_f32_e32 v132, v131, v113
	v_mul_f32_e32 v114, v129, v132
	v_fma_f32 v116, v132, v129, -v114
	v_fmac_f32_e32 v116, v132, v130
	v_sub_f32_e32 v115, v115, v113
	v_add_f32_e32 v129, v112, v115
	v_add_f32_e32 v112, v114, v116
	v_sub_f32_e32 v115, v113, v112
	v_pk_add_f32 v[118:119], v[112:113], v[114:115] neg_lo:[0,1] neg_hi:[0,1]
	v_mov_b32_e32 v117, v112
	v_pk_add_f32 v[112:113], v[118:119], v[116:117] neg_lo:[0,1] neg_hi:[0,1]
	v_cvt_f32_i32_e32 v114, v128
	v_add_f32_e32 v113, v129, v113
	v_add_f32_e32 v112, v112, v113
	;; [unrolled: 1-line block ×4, first 2 shown]
	v_sub_f32_e32 v113, v115, v133
	v_mul_f32_e32 v112, v131, v112
	v_sub_f32_e32 v113, v132, v113
	v_add_f32_e32 v112, v113, v112
	v_add_f32_e32 v116, v115, v112
	v_mul_f32_e32 v118, v116, v116
	v_mov_b32_e32 v113, 0x3ecc95a3
	v_sub_f32_e32 v115, v116, v115
	v_fmac_f32_e32 v113, 0x3e9b6dac, v118
	v_sub_f32_e32 v112, v112, v115
	v_fmaak_f32 v113, v118, v113, 0x3f2aaada
	v_ldexp_f32 v119, v112, 1
	v_mul_f32_e32 v115, v116, v118
	v_mov_b32_e32 v112, 0x3f317218
	v_pk_mul_f32 v[112:113], v[114:115], v[112:113]
	v_ldexp_f32 v117, v116, 1
	v_fma_f32 v115, v114, s56, -v112
	v_fmamk_f32 v116, v114, 0xb102e308, v115
	v_pk_add_f32 v[114:115], v[112:113], v[116:117]
	v_mov_b32_e32 v118, v112
	v_sub_f32_e32 v117, v115, v117
	v_sub_f32_e32 v117, v113, v117
	v_add_f32_e32 v119, v119, v117
	v_pk_add_f32 v[112:113], v[114:115], v[112:113] neg_lo:[0,1] neg_hi:[0,1]
	v_pk_add_f32 v[128:129], v[114:115], v[118:119]
	v_mov_b32_e32 v117, v114
	v_mov_b32_e32 v113, v129
	v_pk_add_f32 v[130:131], v[116:117], v[112:113] neg_lo:[0,1] neg_hi:[0,1]
	v_pk_add_f32 v[112:113], v[116:117], v[112:113]
	v_mov_b32_e32 v118, v119
	v_mov_b32_e32 v116, v113
	v_pk_add_f32 v[132:133], v[116:117], v[114:115] neg_lo:[0,1] neg_hi:[0,1]
	v_mov_b32_e32 v112, v129
	v_mov_b32_e32 v117, v132
	v_pk_add_f32 v[134:135], v[128:129], v[116:117] neg_lo:[0,1] neg_hi:[0,1]
	v_mov_b32_e32 v128, v115
	v_mov_b32_e32 v129, v132
	;; [unrolled: 1-line block ×3, first 2 shown]
	v_pk_add_f32 v[112:113], v[112:113], v[128:129] neg_lo:[0,1] neg_hi:[0,1]
	v_mov_b32_e32 v119, v114
	v_pk_add_f32 v[112:113], v[118:119], v[112:113] neg_lo:[0,1] neg_hi:[0,1]
	v_mov_b32_e32 v134, v130
	v_pk_add_f32 v[114:115], v[134:135], v[112:113]
	v_cmp_eq_f32_e64 s[56:57], s66, v144
	v_mov_b32_e32 v118, v115
	v_pk_add_f32 v[118:119], v[114:115], v[118:119]
	s_mov_b32 s66, 0x33800000
	v_pk_add_f32 v[116:117], v[116:117], v[118:119]
	v_mov_b32_e32 v113, v118
	v_mov_b32_e32 v115, v116
	v_pk_add_f32 v[128:129], v[114:115], v[130:131] neg_lo:[0,1] neg_hi:[0,1]
	v_cmp_lt_f32_e64 s[66:67], |v144|, s66
	v_sub_f32_e32 v114, v114, v128
	v_pk_add_f32 v[112:113], v[112:113], v[128:129] neg_lo:[0,1] neg_hi:[0,1]
	v_sub_f32_e32 v114, v130, v114
	v_add_f32_e32 v112, v112, v114
	v_add_f32_e32 v112, v112, v113
	v_add_f32_e32 v112, v116, v112
	s_or_b64 s[56:57], s[56:57], s[66:67]
	v_cndmask_b32_e64 v112, v112, v144, s[56:57]
	v_add_f32_e32 v113, v103, v112
.LBB141_350:
	s_or_b64 exec, exec, s[58:59]
	v_mov_b32_e32 v112, v113
.LBB141_351:
	s_or_b64 exec, exec, s[64:65]
	v_add_u32_e32 v103, -1, v3
	v_and_b32_e32 v113, 64, v3
	v_cmp_lt_i32_e64 s[56:57], v103, v113
	s_movk_i32 s58, 0x1f8
	s_nop 0
	v_cndmask_b32_e64 v3, v103, v3, s[56:57]
	v_lshlrev_b32_e32 v3, 2, v3
	ds_bpermute_b32 v3, v3, v112
	s_waitcnt lgkmcnt(0)
	v_max_f32_e32 v103, v3, v3
	v_min_f32_e32 v112, v103, v102
	v_max_f32_e32 v103, v103, v102
	v_cmp_u_f32_e64 s[56:57], v3, v3
	s_nop 1
	v_cndmask_b32_e64 v102, v112, v3, s[56:57]
	v_cndmask_b32_e64 v103, v103, v3, s[56:57]
	;; [unrolled: 1-line block ×4, first 2 shown]
	v_cmp_neq_f32_e64 s[54:55], v102, v2
	v_cmp_class_f32_e64 s[56:57], v102, s58
	s_or_b64 s[54:55], s[54:55], s[56:57]
	s_and_saveexec_b64 s[56:57], s[54:55]
	s_cbranch_execz .LBB141_353
; %bb.352:
	v_sub_f32_e32 v3, v102, v2
	s_mov_b32 s54, 0x3fb8aa3b
	v_mul_f32_e32 v102, 0x3fb8aa3b, v3
	v_fma_f32 v103, v3, s54, -v102
	v_rndne_f32_e32 v112, v102
	v_fmamk_f32 v103, v3, 0x32a5705f, v103
	v_sub_f32_e32 v102, v102, v112
	v_add_f32_e32 v102, v102, v103
	v_exp_f32_e32 v102, v102
	v_cvt_i32_f32_e32 v103, v112
	s_mov_b32 s54, 0xc2ce8ed0
	v_cmp_ngt_f32_e64 s[54:55], s54, v3
	s_mov_b32 s59, 0x7f800000
	v_ldexp_f32 v102, v102, v103
	v_cndmask_b32_e64 v102, 0, v102, s[54:55]
	s_mov_b32 s54, 0x42b17218
	v_mov_b32_e32 v103, 0x7f800000
	v_cmp_nlt_f32_e64 s[54:55], s54, v3
	s_nop 1
	v_cndmask_b32_e64 v134, v103, v102, s[54:55]
	v_add_f32_e32 v3, 1.0, v134
	v_add_f32_e32 v102, -1.0, v3
	v_sub_f32_e32 v103, v102, v3
	v_add_f32_e32 v103, 1.0, v103
	v_sub_f32_e32 v102, v134, v102
	v_add_f32_e32 v112, v102, v103
	v_frexp_mant_f32_e32 v113, v3
	s_mov_b32 s54, 0x3f2aaaab
	v_cvt_f64_f32_e32 v[102:103], v3
	v_frexp_exp_i32_f64_e32 v102, v[102:103]
	v_cmp_gt_f32_e64 s[54:55], s54, v113
	s_nop 1
	v_subbrev_co_u32_e64 v118, s[54:55], 0, v102, s[54:55]
	v_sub_u32_e32 v102, 0, v118
	v_ldexp_f32 v3, v3, v102
	v_ldexp_f32 v102, v112, v102
	v_add_f32_e32 v112, -1.0, v3
	v_add_f32_e32 v103, 1.0, v112
	v_sub_f32_e32 v103, v3, v103
	v_add_f32_e32 v113, v102, v103
	v_add_f32_e32 v103, 1.0, v3
	v_add_f32_e32 v114, -1.0, v103
	v_sub_f32_e32 v3, v3, v114
	v_add_f32_e32 v3, v102, v3
	v_add_f32_e32 v119, v103, v3
	v_rcp_f32_e32 v128, v119
	v_sub_f32_e32 v102, v103, v119
	v_add_f32_e32 v103, v112, v113
	v_add_f32_e32 v3, v3, v102
	v_mul_f32_e32 v130, v103, v128
	v_sub_f32_e32 v102, v112, v103
	v_mul_f32_e32 v112, v119, v130
	v_fma_f32 v114, v130, v119, -v112
	v_fmac_f32_e32 v114, v130, v3
	v_add_f32_e32 v129, v113, v102
	v_add_f32_e32 v102, v112, v114
	v_sub_f32_e32 v113, v103, v102
	v_pk_add_f32 v[116:117], v[102:103], v[112:113] neg_lo:[0,1] neg_hi:[0,1]
	v_mov_b32_e32 v115, v102
	v_pk_add_f32 v[102:103], v[116:117], v[114:115] neg_lo:[0,1] neg_hi:[0,1]
	s_mov_b32 s54, 0x3f317218
	v_add_f32_e32 v103, v129, v103
	v_add_f32_e32 v102, v102, v103
	;; [unrolled: 1-line block ×3, first 2 shown]
	v_mul_f32_e32 v129, v128, v103
	v_mul_f32_e32 v112, v119, v129
	v_fma_f32 v114, v129, v119, -v112
	v_fmac_f32_e32 v114, v129, v3
	v_sub_f32_e32 v3, v113, v103
	v_add_f32_e32 v3, v102, v3
	v_add_f32_e32 v102, v112, v114
	v_sub_f32_e32 v113, v103, v102
	v_pk_add_f32 v[116:117], v[102:103], v[112:113] neg_lo:[0,1] neg_hi:[0,1]
	v_mov_b32_e32 v115, v102
	v_pk_add_f32 v[102:103], v[116:117], v[114:115] neg_lo:[0,1] neg_hi:[0,1]
	v_cvt_f32_i32_e32 v112, v118
	v_add_f32_e32 v3, v3, v103
	v_add_f32_e32 v3, v102, v3
	v_add_f32_e32 v102, v130, v129
	v_add_f32_e32 v3, v113, v3
	v_sub_f32_e32 v103, v102, v130
	v_mul_f32_e32 v3, v128, v3
	v_sub_f32_e32 v103, v129, v103
	v_add_f32_e32 v3, v103, v3
	v_add_f32_e32 v113, v102, v3
	v_mul_f32_e32 v114, v113, v113
	v_mov_b32_e32 v103, 0x3ecc95a3
	v_fmac_f32_e32 v103, 0x3e9b6dac, v114
	v_sub_f32_e32 v102, v113, v102
	v_fmaak_f32 v103, v114, v103, 0x3f2aaada
	v_sub_f32_e32 v3, v3, v102
	v_ldexp_f32 v115, v113, 1
	v_mul_f32_e32 v113, v113, v114
	v_mov_b32_e32 v102, 0x3f317218
	v_pk_mul_f32 v[102:103], v[112:113], v[102:103]
	v_ldexp_f32 v3, v3, 1
	v_fma_f32 v113, v112, s54, -v102
	v_fmamk_f32 v114, v112, 0xb102e308, v113
	v_pk_add_f32 v[112:113], v[102:103], v[114:115]
	v_mov_b32_e32 v116, v102
	v_sub_f32_e32 v115, v113, v115
	v_sub_f32_e32 v115, v103, v115
	v_add_f32_e32 v117, v3, v115
	v_pk_add_f32 v[102:103], v[112:113], v[102:103] neg_lo:[0,1] neg_hi:[0,1]
	v_pk_add_f32 v[118:119], v[112:113], v[116:117]
	v_mov_b32_e32 v115, v112
	v_mov_b32_e32 v103, v119
	v_pk_add_f32 v[128:129], v[114:115], v[102:103] neg_lo:[0,1] neg_hi:[0,1]
	v_pk_add_f32 v[102:103], v[114:115], v[102:103]
	v_mov_b32_e32 v116, v117
	v_mov_b32_e32 v114, v103
	v_pk_add_f32 v[130:131], v[114:115], v[112:113] neg_lo:[0,1] neg_hi:[0,1]
	v_mov_b32_e32 v102, v119
	v_mov_b32_e32 v3, v130
	v_pk_add_f32 v[132:133], v[118:119], v[2:3] neg_lo:[0,1] neg_hi:[0,1]
	v_mov_b32_e32 v118, v113
	v_mov_b32_e32 v119, v130
	;; [unrolled: 1-line block ×3, first 2 shown]
	v_pk_add_f32 v[102:103], v[102:103], v[118:119] neg_lo:[0,1] neg_hi:[0,1]
	v_mov_b32_e32 v117, v112
	v_pk_add_f32 v[102:103], v[116:117], v[102:103] neg_lo:[0,1] neg_hi:[0,1]
	v_mov_b32_e32 v132, v128
	v_pk_add_f32 v[112:113], v[132:133], v[102:103]
	v_cmp_eq_f32_e64 s[54:55], s59, v134
	v_mov_b32_e32 v116, v113
	v_pk_add_f32 v[116:117], v[112:113], v[116:117]
	s_mov_b32 s59, 0x33800000
	v_pk_add_f32 v[114:115], v[114:115], v[116:117]
	v_mov_b32_e32 v103, v116
	v_mov_b32_e32 v113, v114
	v_pk_add_f32 v[118:119], v[112:113], v[128:129] neg_lo:[0,1] neg_hi:[0,1]
	v_cmp_lt_f32_e64 s[64:65], |v134|, s59
	v_sub_f32_e32 v3, v112, v118
	v_pk_add_f32 v[102:103], v[102:103], v[118:119] neg_lo:[0,1] neg_hi:[0,1]
	v_sub_f32_e32 v3, v128, v3
	v_add_f32_e32 v3, v102, v3
	v_add_f32_e32 v3, v3, v103
	;; [unrolled: 1-line block ×3, first 2 shown]
	s_or_b64 s[54:55], s[54:55], s[64:65]
	v_cndmask_b32_e64 v3, v3, v134, s[54:55]
	v_add_f32_e32 v3, v2, v3
.LBB141_353:
	s_or_b64 exec, exec, s[56:57]
	v_cndmask_b32_e64 v3, v3, v53, s[52:53]
	; wave barrier
	ds_write_b32 v101, v3
	; wave barrier
	ds_read_b32 v2, v101 offset:4
	v_max_f32_e32 v103, v3, v3
	v_cmp_u_f32_e64 s[52:53], v3, v3
	s_waitcnt lgkmcnt(0)
	v_max_f32_e32 v112, v2, v2
	v_min_f32_e32 v102, v103, v112
	v_max_f32_e32 v103, v103, v112
	v_cndmask_b32_e64 v102, v102, v3, s[52:53]
	v_cmp_u_f32_e64 s[54:55], v2, v2
	v_cndmask_b32_e64 v103, v103, v3, s[52:53]
	s_nop 0
	v_cndmask_b32_e64 v102, v102, v2, s[54:55]
	v_cndmask_b32_e64 v2, v103, v2, s[54:55]
	v_cmp_neq_f32_e64 s[52:53], v102, v2
	v_cmp_class_f32_e64 s[54:55], v102, s58
	s_or_b64 s[52:53], s[52:53], s[54:55]
	s_and_saveexec_b64 s[54:55], s[52:53]
	s_cbranch_execz .LBB141_355
; %bb.354:
	v_sub_f32_e32 v3, v102, v2
	s_mov_b32 s52, 0x3fb8aa3b
	v_mul_f32_e32 v102, 0x3fb8aa3b, v3
	v_fma_f32 v103, v3, s52, -v102
	v_rndne_f32_e32 v112, v102
	v_fmamk_f32 v103, v3, 0x32a5705f, v103
	v_sub_f32_e32 v102, v102, v112
	v_add_f32_e32 v102, v102, v103
	v_exp_f32_e32 v102, v102
	v_cvt_i32_f32_e32 v103, v112
	s_mov_b32 s52, 0xc2ce8ed0
	v_cmp_ngt_f32_e64 s[52:53], s52, v3
	s_mov_b32 s56, 0x7f800000
	v_ldexp_f32 v102, v102, v103
	v_cndmask_b32_e64 v102, 0, v102, s[52:53]
	s_mov_b32 s52, 0x42b17218
	v_mov_b32_e32 v103, 0x7f800000
	v_cmp_nlt_f32_e64 s[52:53], s52, v3
	s_nop 1
	v_cndmask_b32_e64 v134, v103, v102, s[52:53]
	v_add_f32_e32 v3, 1.0, v134
	v_add_f32_e32 v102, -1.0, v3
	v_sub_f32_e32 v103, v102, v3
	v_add_f32_e32 v103, 1.0, v103
	v_sub_f32_e32 v102, v134, v102
	v_add_f32_e32 v112, v102, v103
	v_frexp_mant_f32_e32 v113, v3
	s_mov_b32 s52, 0x3f2aaaab
	v_cvt_f64_f32_e32 v[102:103], v3
	v_frexp_exp_i32_f64_e32 v102, v[102:103]
	v_cmp_gt_f32_e64 s[52:53], s52, v113
	s_nop 1
	v_subbrev_co_u32_e64 v118, s[52:53], 0, v102, s[52:53]
	v_sub_u32_e32 v102, 0, v118
	v_ldexp_f32 v3, v3, v102
	v_ldexp_f32 v102, v112, v102
	v_add_f32_e32 v112, -1.0, v3
	v_add_f32_e32 v103, 1.0, v112
	v_sub_f32_e32 v103, v3, v103
	v_add_f32_e32 v113, v102, v103
	v_add_f32_e32 v103, 1.0, v3
	v_add_f32_e32 v114, -1.0, v103
	v_sub_f32_e32 v3, v3, v114
	v_add_f32_e32 v3, v102, v3
	v_add_f32_e32 v119, v103, v3
	v_rcp_f32_e32 v128, v119
	v_sub_f32_e32 v102, v103, v119
	v_add_f32_e32 v103, v112, v113
	v_add_f32_e32 v3, v3, v102
	v_mul_f32_e32 v130, v103, v128
	v_sub_f32_e32 v102, v112, v103
	v_mul_f32_e32 v112, v119, v130
	v_fma_f32 v114, v130, v119, -v112
	v_fmac_f32_e32 v114, v130, v3
	v_add_f32_e32 v129, v113, v102
	v_add_f32_e32 v102, v112, v114
	v_sub_f32_e32 v113, v103, v102
	v_pk_add_f32 v[116:117], v[102:103], v[112:113] neg_lo:[0,1] neg_hi:[0,1]
	v_mov_b32_e32 v115, v102
	v_pk_add_f32 v[102:103], v[116:117], v[114:115] neg_lo:[0,1] neg_hi:[0,1]
	s_mov_b32 s52, 0x3f317218
	v_add_f32_e32 v103, v129, v103
	v_add_f32_e32 v102, v102, v103
	;; [unrolled: 1-line block ×3, first 2 shown]
	v_mul_f32_e32 v129, v128, v103
	v_mul_f32_e32 v112, v119, v129
	v_fma_f32 v114, v129, v119, -v112
	v_fmac_f32_e32 v114, v129, v3
	v_sub_f32_e32 v3, v113, v103
	v_add_f32_e32 v3, v102, v3
	v_add_f32_e32 v102, v112, v114
	v_sub_f32_e32 v113, v103, v102
	v_pk_add_f32 v[116:117], v[102:103], v[112:113] neg_lo:[0,1] neg_hi:[0,1]
	v_mov_b32_e32 v115, v102
	v_pk_add_f32 v[102:103], v[116:117], v[114:115] neg_lo:[0,1] neg_hi:[0,1]
	v_cvt_f32_i32_e32 v112, v118
	v_add_f32_e32 v3, v3, v103
	v_add_f32_e32 v3, v102, v3
	;; [unrolled: 1-line block ×4, first 2 shown]
	v_sub_f32_e32 v103, v102, v130
	v_mul_f32_e32 v3, v128, v3
	v_sub_f32_e32 v103, v129, v103
	v_add_f32_e32 v3, v103, v3
	v_add_f32_e32 v113, v102, v3
	v_mul_f32_e32 v114, v113, v113
	v_mov_b32_e32 v103, 0x3ecc95a3
	v_fmac_f32_e32 v103, 0x3e9b6dac, v114
	v_sub_f32_e32 v102, v113, v102
	v_fmaak_f32 v103, v114, v103, 0x3f2aaada
	v_sub_f32_e32 v3, v3, v102
	v_ldexp_f32 v115, v113, 1
	v_mul_f32_e32 v113, v113, v114
	v_mov_b32_e32 v102, 0x3f317218
	v_pk_mul_f32 v[102:103], v[112:113], v[102:103]
	v_ldexp_f32 v3, v3, 1
	v_fma_f32 v113, v112, s52, -v102
	v_fmamk_f32 v114, v112, 0xb102e308, v113
	v_pk_add_f32 v[112:113], v[102:103], v[114:115]
	v_mov_b32_e32 v116, v102
	v_sub_f32_e32 v115, v113, v115
	v_sub_f32_e32 v115, v103, v115
	v_add_f32_e32 v117, v3, v115
	v_pk_add_f32 v[102:103], v[112:113], v[102:103] neg_lo:[0,1] neg_hi:[0,1]
	v_pk_add_f32 v[118:119], v[112:113], v[116:117]
	v_mov_b32_e32 v115, v112
	v_mov_b32_e32 v103, v119
	v_pk_add_f32 v[128:129], v[114:115], v[102:103] neg_lo:[0,1] neg_hi:[0,1]
	v_pk_add_f32 v[102:103], v[114:115], v[102:103]
	v_mov_b32_e32 v116, v117
	v_mov_b32_e32 v114, v103
	v_pk_add_f32 v[130:131], v[114:115], v[112:113] neg_lo:[0,1] neg_hi:[0,1]
	v_mov_b32_e32 v102, v119
	v_mov_b32_e32 v3, v130
	v_pk_add_f32 v[132:133], v[118:119], v[2:3] neg_lo:[0,1] neg_hi:[0,1]
	v_mov_b32_e32 v118, v113
	v_mov_b32_e32 v119, v130
	;; [unrolled: 1-line block ×3, first 2 shown]
	v_pk_add_f32 v[102:103], v[102:103], v[118:119] neg_lo:[0,1] neg_hi:[0,1]
	v_mov_b32_e32 v117, v112
	v_pk_add_f32 v[102:103], v[116:117], v[102:103] neg_lo:[0,1] neg_hi:[0,1]
	v_mov_b32_e32 v132, v128
	v_pk_add_f32 v[112:113], v[132:133], v[102:103]
	v_cmp_eq_f32_e64 s[52:53], s56, v134
	v_mov_b32_e32 v116, v113
	v_pk_add_f32 v[116:117], v[112:113], v[116:117]
	s_mov_b32 s56, 0x33800000
	v_pk_add_f32 v[114:115], v[114:115], v[116:117]
	v_mov_b32_e32 v103, v116
	v_mov_b32_e32 v113, v114
	v_pk_add_f32 v[118:119], v[112:113], v[128:129] neg_lo:[0,1] neg_hi:[0,1]
	v_cmp_lt_f32_e64 s[56:57], |v134|, s56
	v_sub_f32_e32 v3, v112, v118
	v_pk_add_f32 v[102:103], v[102:103], v[118:119] neg_lo:[0,1] neg_hi:[0,1]
	v_sub_f32_e32 v3, v128, v3
	v_add_f32_e32 v3, v102, v3
	v_add_f32_e32 v3, v3, v103
	;; [unrolled: 1-line block ×3, first 2 shown]
	s_or_b64 s[52:53], s[52:53], s[56:57]
	v_cndmask_b32_e64 v3, v3, v134, s[52:53]
	v_add_f32_e32 v3, v2, v3
.LBB141_355:
	s_or_b64 exec, exec, s[54:55]
	ds_read_b32 v2, v101 offset:8
	v_max_f32_e32 v103, v3, v3
	v_cmp_u_f32_e64 s[52:53], v3, v3
	s_movk_i32 s56, 0x1f8
	ds_write_b32 v101, v3 offset:4
	s_waitcnt lgkmcnt(0)
	v_max_f32_e32 v112, v2, v2
	v_min_f32_e32 v102, v103, v112
	v_max_f32_e32 v103, v103, v112
	v_cndmask_b32_e64 v102, v102, v3, s[52:53]
	v_cmp_u_f32_e64 s[54:55], v2, v2
	v_cndmask_b32_e64 v103, v103, v3, s[52:53]
	s_nop 0
	v_cndmask_b32_e64 v102, v102, v2, s[54:55]
	v_cndmask_b32_e64 v2, v103, v2, s[54:55]
	v_cmp_neq_f32_e64 s[52:53], v102, v2
	v_cmp_class_f32_e64 s[54:55], v102, s56
	s_or_b64 s[52:53], s[52:53], s[54:55]
	s_and_saveexec_b64 s[54:55], s[52:53]
	s_cbranch_execz .LBB141_357
; %bb.356:
	v_sub_f32_e32 v3, v102, v2
	s_mov_b32 s52, 0x3fb8aa3b
	v_mul_f32_e32 v102, 0x3fb8aa3b, v3
	v_fma_f32 v103, v3, s52, -v102
	v_rndne_f32_e32 v112, v102
	v_fmamk_f32 v103, v3, 0x32a5705f, v103
	v_sub_f32_e32 v102, v102, v112
	v_add_f32_e32 v102, v102, v103
	v_exp_f32_e32 v102, v102
	v_cvt_i32_f32_e32 v103, v112
	s_mov_b32 s52, 0xc2ce8ed0
	v_cmp_ngt_f32_e64 s[52:53], s52, v3
	s_mov_b32 s57, 0x7f800000
	v_ldexp_f32 v102, v102, v103
	v_cndmask_b32_e64 v102, 0, v102, s[52:53]
	s_mov_b32 s52, 0x42b17218
	v_mov_b32_e32 v103, 0x7f800000
	v_cmp_nlt_f32_e64 s[52:53], s52, v3
	s_nop 1
	v_cndmask_b32_e64 v134, v103, v102, s[52:53]
	v_add_f32_e32 v3, 1.0, v134
	v_add_f32_e32 v102, -1.0, v3
	v_sub_f32_e32 v103, v102, v3
	v_add_f32_e32 v103, 1.0, v103
	v_sub_f32_e32 v102, v134, v102
	v_add_f32_e32 v112, v102, v103
	v_frexp_mant_f32_e32 v113, v3
	s_mov_b32 s52, 0x3f2aaaab
	v_cvt_f64_f32_e32 v[102:103], v3
	v_frexp_exp_i32_f64_e32 v102, v[102:103]
	v_cmp_gt_f32_e64 s[52:53], s52, v113
	s_nop 1
	v_subbrev_co_u32_e64 v118, s[52:53], 0, v102, s[52:53]
	v_sub_u32_e32 v102, 0, v118
	v_ldexp_f32 v3, v3, v102
	v_ldexp_f32 v102, v112, v102
	v_add_f32_e32 v112, -1.0, v3
	v_add_f32_e32 v103, 1.0, v112
	v_sub_f32_e32 v103, v3, v103
	v_add_f32_e32 v113, v102, v103
	v_add_f32_e32 v103, 1.0, v3
	v_add_f32_e32 v114, -1.0, v103
	v_sub_f32_e32 v3, v3, v114
	v_add_f32_e32 v3, v102, v3
	v_add_f32_e32 v119, v103, v3
	v_rcp_f32_e32 v128, v119
	v_sub_f32_e32 v102, v103, v119
	v_add_f32_e32 v103, v112, v113
	v_add_f32_e32 v3, v3, v102
	v_mul_f32_e32 v130, v103, v128
	v_sub_f32_e32 v102, v112, v103
	v_mul_f32_e32 v112, v119, v130
	v_fma_f32 v114, v130, v119, -v112
	v_fmac_f32_e32 v114, v130, v3
	v_add_f32_e32 v129, v113, v102
	v_add_f32_e32 v102, v112, v114
	v_sub_f32_e32 v113, v103, v102
	v_pk_add_f32 v[116:117], v[102:103], v[112:113] neg_lo:[0,1] neg_hi:[0,1]
	v_mov_b32_e32 v115, v102
	v_pk_add_f32 v[102:103], v[116:117], v[114:115] neg_lo:[0,1] neg_hi:[0,1]
	s_mov_b32 s52, 0x3f317218
	v_add_f32_e32 v103, v129, v103
	v_add_f32_e32 v102, v102, v103
	;; [unrolled: 1-line block ×3, first 2 shown]
	v_mul_f32_e32 v129, v128, v103
	v_mul_f32_e32 v112, v119, v129
	v_fma_f32 v114, v129, v119, -v112
	v_fmac_f32_e32 v114, v129, v3
	v_sub_f32_e32 v3, v113, v103
	v_add_f32_e32 v3, v102, v3
	v_add_f32_e32 v102, v112, v114
	v_sub_f32_e32 v113, v103, v102
	v_pk_add_f32 v[116:117], v[102:103], v[112:113] neg_lo:[0,1] neg_hi:[0,1]
	v_mov_b32_e32 v115, v102
	v_pk_add_f32 v[102:103], v[116:117], v[114:115] neg_lo:[0,1] neg_hi:[0,1]
	v_cvt_f32_i32_e32 v112, v118
	v_add_f32_e32 v3, v3, v103
	v_add_f32_e32 v3, v102, v3
	;; [unrolled: 1-line block ×4, first 2 shown]
	v_sub_f32_e32 v103, v102, v130
	v_mul_f32_e32 v3, v128, v3
	v_sub_f32_e32 v103, v129, v103
	v_add_f32_e32 v3, v103, v3
	v_add_f32_e32 v113, v102, v3
	v_mul_f32_e32 v114, v113, v113
	v_mov_b32_e32 v103, 0x3ecc95a3
	v_fmac_f32_e32 v103, 0x3e9b6dac, v114
	v_sub_f32_e32 v102, v113, v102
	v_fmaak_f32 v103, v114, v103, 0x3f2aaada
	v_sub_f32_e32 v3, v3, v102
	v_ldexp_f32 v115, v113, 1
	v_mul_f32_e32 v113, v113, v114
	v_mov_b32_e32 v102, 0x3f317218
	v_pk_mul_f32 v[102:103], v[112:113], v[102:103]
	v_ldexp_f32 v3, v3, 1
	v_fma_f32 v113, v112, s52, -v102
	v_fmamk_f32 v114, v112, 0xb102e308, v113
	v_pk_add_f32 v[112:113], v[102:103], v[114:115]
	v_mov_b32_e32 v116, v102
	v_sub_f32_e32 v115, v113, v115
	v_sub_f32_e32 v115, v103, v115
	v_add_f32_e32 v117, v3, v115
	v_pk_add_f32 v[102:103], v[112:113], v[102:103] neg_lo:[0,1] neg_hi:[0,1]
	v_pk_add_f32 v[118:119], v[112:113], v[116:117]
	v_mov_b32_e32 v115, v112
	v_mov_b32_e32 v103, v119
	v_pk_add_f32 v[128:129], v[114:115], v[102:103] neg_lo:[0,1] neg_hi:[0,1]
	v_pk_add_f32 v[102:103], v[114:115], v[102:103]
	v_mov_b32_e32 v116, v117
	v_mov_b32_e32 v114, v103
	v_pk_add_f32 v[130:131], v[114:115], v[112:113] neg_lo:[0,1] neg_hi:[0,1]
	v_mov_b32_e32 v102, v119
	v_mov_b32_e32 v3, v130
	v_pk_add_f32 v[132:133], v[118:119], v[2:3] neg_lo:[0,1] neg_hi:[0,1]
	v_mov_b32_e32 v118, v113
	v_mov_b32_e32 v119, v130
	;; [unrolled: 1-line block ×3, first 2 shown]
	v_pk_add_f32 v[102:103], v[102:103], v[118:119] neg_lo:[0,1] neg_hi:[0,1]
	v_mov_b32_e32 v117, v112
	v_pk_add_f32 v[102:103], v[116:117], v[102:103] neg_lo:[0,1] neg_hi:[0,1]
	v_mov_b32_e32 v132, v128
	v_pk_add_f32 v[112:113], v[132:133], v[102:103]
	v_cmp_eq_f32_e64 s[52:53], s57, v134
	v_mov_b32_e32 v116, v113
	v_pk_add_f32 v[116:117], v[112:113], v[116:117]
	s_mov_b32 s57, 0x33800000
	v_pk_add_f32 v[114:115], v[114:115], v[116:117]
	v_mov_b32_e32 v103, v116
	v_mov_b32_e32 v113, v114
	v_pk_add_f32 v[118:119], v[112:113], v[128:129] neg_lo:[0,1] neg_hi:[0,1]
	v_cmp_lt_f32_e64 s[58:59], |v134|, s57
	v_sub_f32_e32 v3, v112, v118
	v_pk_add_f32 v[102:103], v[102:103], v[118:119] neg_lo:[0,1] neg_hi:[0,1]
	v_sub_f32_e32 v3, v128, v3
	v_add_f32_e32 v3, v102, v3
	v_add_f32_e32 v3, v3, v103
	;; [unrolled: 1-line block ×3, first 2 shown]
	s_or_b64 s[52:53], s[52:53], s[58:59]
	v_cndmask_b32_e64 v3, v3, v134, s[52:53]
	v_add_f32_e32 v3, v2, v3
.LBB141_357:
	s_or_b64 exec, exec, s[54:55]
	ds_read_b32 v2, v101 offset:12
	v_max_f32_e32 v103, v3, v3
	v_cmp_u_f32_e64 s[52:53], v3, v3
	ds_write_b32 v101, v3 offset:8
	s_waitcnt lgkmcnt(0)
	v_max_f32_e32 v112, v2, v2
	v_min_f32_e32 v102, v103, v112
	v_max_f32_e32 v103, v103, v112
	v_cndmask_b32_e64 v102, v102, v3, s[52:53]
	v_cmp_u_f32_e64 s[54:55], v2, v2
	v_cndmask_b32_e64 v103, v103, v3, s[52:53]
	s_nop 0
	v_cndmask_b32_e64 v102, v102, v2, s[54:55]
	v_cndmask_b32_e64 v2, v103, v2, s[54:55]
	v_cmp_neq_f32_e64 s[52:53], v102, v2
	v_cmp_class_f32_e64 s[54:55], v102, s56
	s_or_b64 s[52:53], s[52:53], s[54:55]
	s_and_saveexec_b64 s[54:55], s[52:53]
	s_cbranch_execz .LBB141_359
; %bb.358:
	v_sub_f32_e32 v3, v102, v2
	s_mov_b32 s52, 0x3fb8aa3b
	v_mul_f32_e32 v102, 0x3fb8aa3b, v3
	v_fma_f32 v103, v3, s52, -v102
	v_rndne_f32_e32 v112, v102
	v_fmamk_f32 v103, v3, 0x32a5705f, v103
	v_sub_f32_e32 v102, v102, v112
	v_add_f32_e32 v102, v102, v103
	v_exp_f32_e32 v102, v102
	v_cvt_i32_f32_e32 v103, v112
	s_mov_b32 s52, 0xc2ce8ed0
	v_cmp_ngt_f32_e64 s[52:53], s52, v3
	s_mov_b32 s56, 0x7f800000
	v_ldexp_f32 v102, v102, v103
	v_cndmask_b32_e64 v102, 0, v102, s[52:53]
	s_mov_b32 s52, 0x42b17218
	v_mov_b32_e32 v103, 0x7f800000
	v_cmp_nlt_f32_e64 s[52:53], s52, v3
	s_nop 1
	v_cndmask_b32_e64 v134, v103, v102, s[52:53]
	v_add_f32_e32 v3, 1.0, v134
	v_add_f32_e32 v102, -1.0, v3
	v_sub_f32_e32 v103, v102, v3
	v_add_f32_e32 v103, 1.0, v103
	v_sub_f32_e32 v102, v134, v102
	v_add_f32_e32 v112, v102, v103
	v_frexp_mant_f32_e32 v113, v3
	s_mov_b32 s52, 0x3f2aaaab
	v_cvt_f64_f32_e32 v[102:103], v3
	v_frexp_exp_i32_f64_e32 v102, v[102:103]
	v_cmp_gt_f32_e64 s[52:53], s52, v113
	s_nop 1
	v_subbrev_co_u32_e64 v118, s[52:53], 0, v102, s[52:53]
	v_sub_u32_e32 v102, 0, v118
	v_ldexp_f32 v3, v3, v102
	v_ldexp_f32 v102, v112, v102
	v_add_f32_e32 v112, -1.0, v3
	v_add_f32_e32 v103, 1.0, v112
	v_sub_f32_e32 v103, v3, v103
	v_add_f32_e32 v113, v102, v103
	v_add_f32_e32 v103, 1.0, v3
	v_add_f32_e32 v114, -1.0, v103
	v_sub_f32_e32 v3, v3, v114
	v_add_f32_e32 v3, v102, v3
	v_add_f32_e32 v119, v103, v3
	v_rcp_f32_e32 v128, v119
	v_sub_f32_e32 v102, v103, v119
	v_add_f32_e32 v103, v112, v113
	v_add_f32_e32 v3, v3, v102
	v_mul_f32_e32 v130, v103, v128
	v_sub_f32_e32 v102, v112, v103
	v_mul_f32_e32 v112, v119, v130
	v_fma_f32 v114, v130, v119, -v112
	v_fmac_f32_e32 v114, v130, v3
	v_add_f32_e32 v129, v113, v102
	v_add_f32_e32 v102, v112, v114
	v_sub_f32_e32 v113, v103, v102
	v_pk_add_f32 v[116:117], v[102:103], v[112:113] neg_lo:[0,1] neg_hi:[0,1]
	v_mov_b32_e32 v115, v102
	v_pk_add_f32 v[102:103], v[116:117], v[114:115] neg_lo:[0,1] neg_hi:[0,1]
	s_mov_b32 s52, 0x3f317218
	v_add_f32_e32 v103, v129, v103
	v_add_f32_e32 v102, v102, v103
	;; [unrolled: 1-line block ×3, first 2 shown]
	v_mul_f32_e32 v129, v128, v103
	v_mul_f32_e32 v112, v119, v129
	v_fma_f32 v114, v129, v119, -v112
	v_fmac_f32_e32 v114, v129, v3
	v_sub_f32_e32 v3, v113, v103
	v_add_f32_e32 v3, v102, v3
	v_add_f32_e32 v102, v112, v114
	v_sub_f32_e32 v113, v103, v102
	v_pk_add_f32 v[116:117], v[102:103], v[112:113] neg_lo:[0,1] neg_hi:[0,1]
	v_mov_b32_e32 v115, v102
	v_pk_add_f32 v[102:103], v[116:117], v[114:115] neg_lo:[0,1] neg_hi:[0,1]
	v_cvt_f32_i32_e32 v112, v118
	v_add_f32_e32 v3, v3, v103
	v_add_f32_e32 v3, v102, v3
	;; [unrolled: 1-line block ×4, first 2 shown]
	v_sub_f32_e32 v103, v102, v130
	v_mul_f32_e32 v3, v128, v3
	v_sub_f32_e32 v103, v129, v103
	v_add_f32_e32 v3, v103, v3
	v_add_f32_e32 v113, v102, v3
	v_mul_f32_e32 v114, v113, v113
	v_mov_b32_e32 v103, 0x3ecc95a3
	v_fmac_f32_e32 v103, 0x3e9b6dac, v114
	v_sub_f32_e32 v102, v113, v102
	v_fmaak_f32 v103, v114, v103, 0x3f2aaada
	v_sub_f32_e32 v3, v3, v102
	v_ldexp_f32 v115, v113, 1
	v_mul_f32_e32 v113, v113, v114
	v_mov_b32_e32 v102, 0x3f317218
	v_pk_mul_f32 v[102:103], v[112:113], v[102:103]
	v_ldexp_f32 v3, v3, 1
	v_fma_f32 v113, v112, s52, -v102
	v_fmamk_f32 v114, v112, 0xb102e308, v113
	v_pk_add_f32 v[112:113], v[102:103], v[114:115]
	v_mov_b32_e32 v116, v102
	v_sub_f32_e32 v115, v113, v115
	v_sub_f32_e32 v115, v103, v115
	v_add_f32_e32 v117, v3, v115
	v_pk_add_f32 v[102:103], v[112:113], v[102:103] neg_lo:[0,1] neg_hi:[0,1]
	v_pk_add_f32 v[118:119], v[112:113], v[116:117]
	v_mov_b32_e32 v115, v112
	v_mov_b32_e32 v103, v119
	v_pk_add_f32 v[128:129], v[114:115], v[102:103] neg_lo:[0,1] neg_hi:[0,1]
	v_pk_add_f32 v[102:103], v[114:115], v[102:103]
	v_mov_b32_e32 v116, v117
	v_mov_b32_e32 v114, v103
	v_pk_add_f32 v[130:131], v[114:115], v[112:113] neg_lo:[0,1] neg_hi:[0,1]
	v_mov_b32_e32 v102, v119
	v_mov_b32_e32 v3, v130
	v_pk_add_f32 v[132:133], v[118:119], v[2:3] neg_lo:[0,1] neg_hi:[0,1]
	v_mov_b32_e32 v118, v113
	v_mov_b32_e32 v119, v130
	;; [unrolled: 1-line block ×3, first 2 shown]
	v_pk_add_f32 v[102:103], v[102:103], v[118:119] neg_lo:[0,1] neg_hi:[0,1]
	v_mov_b32_e32 v117, v112
	v_pk_add_f32 v[102:103], v[116:117], v[102:103] neg_lo:[0,1] neg_hi:[0,1]
	v_mov_b32_e32 v132, v128
	v_pk_add_f32 v[112:113], v[132:133], v[102:103]
	v_cmp_eq_f32_e64 s[52:53], s56, v134
	v_mov_b32_e32 v116, v113
	v_pk_add_f32 v[116:117], v[112:113], v[116:117]
	s_mov_b32 s56, 0x33800000
	v_pk_add_f32 v[114:115], v[114:115], v[116:117]
	v_mov_b32_e32 v103, v116
	v_mov_b32_e32 v113, v114
	v_pk_add_f32 v[118:119], v[112:113], v[128:129] neg_lo:[0,1] neg_hi:[0,1]
	v_cmp_lt_f32_e64 s[56:57], |v134|, s56
	v_sub_f32_e32 v3, v112, v118
	v_pk_add_f32 v[102:103], v[102:103], v[118:119] neg_lo:[0,1] neg_hi:[0,1]
	v_sub_f32_e32 v3, v128, v3
	v_add_f32_e32 v3, v102, v3
	v_add_f32_e32 v3, v3, v103
	;; [unrolled: 1-line block ×3, first 2 shown]
	s_or_b64 s[52:53], s[52:53], s[56:57]
	v_cndmask_b32_e64 v3, v3, v134, s[52:53]
	v_add_f32_e32 v3, v2, v3
.LBB141_359:
	s_or_b64 exec, exec, s[54:55]
	ds_write_b32 v101, v3 offset:12
.LBB141_360:
	s_or_b64 exec, exec, s[60:61]
	s_waitcnt lgkmcnt(0)
	s_barrier
	s_and_saveexec_b64 s[52:53], vcc
	s_cbranch_execz .LBB141_362
; %bb.361:
	v_add_u32_e32 v2, -1, v0
	v_lshrrev_b32_e32 v3, 5, v2
	v_add_lshl_u32 v2, v3, v2, 2
	ds_read_b32 v53, v2
.LBB141_362:
	s_or_b64 exec, exec, s[52:53]
	s_and_saveexec_b64 s[52:53], vcc
	s_cbranch_execz .LBB141_366
; %bb.363:
	s_waitcnt lgkmcnt(0)
	v_max_f32_e32 v2, v53, v53
	v_min_f32_e32 v3, v2, v51
	v_cmp_u_f32_e32 vcc, v53, v53
	v_max_f32_e32 v2, v2, v51
	s_nop 0
	v_cndmask_b32_e32 v3, v3, v53, vcc
	v_cndmask_b32_e32 v2, v2, v53, vcc
	v_cndmask_b32_e64 v3, v3, v16, s[50:51]
	v_cndmask_b32_e64 v2, v2, v16, s[50:51]
	s_movk_i32 s50, 0x1f8
	v_cmp_neq_f32_e32 vcc, v3, v2
	v_cmp_class_f32_e64 s[50:51], v3, s50
	s_or_b64 vcc, vcc, s[50:51]
	s_and_saveexec_b64 s[50:51], vcc
	s_cbranch_execz .LBB141_365
; %bb.364:
	v_sub_f32_e32 v3, v3, v2
	s_mov_b32 s54, 0x3fb8aa3b
	v_mul_f32_e32 v16, 0x3fb8aa3b, v3
	v_fma_f32 v50, v3, s54, -v16
	v_rndne_f32_e32 v51, v16
	v_fmamk_f32 v50, v3, 0x32a5705f, v50
	v_sub_f32_e32 v16, v16, v51
	v_add_f32_e32 v16, v16, v50
	v_exp_f32_e32 v16, v16
	v_cvt_i32_f32_e32 v50, v51
	s_mov_b32 s54, 0xc2ce8ed0
	v_cmp_ngt_f32_e32 vcc, s54, v3
	s_mov_b32 s54, 0x42b17218
	v_ldexp_f32 v16, v16, v50
	v_cndmask_b32_e32 v16, 0, v16, vcc
	v_mov_b32_e32 v50, 0x7f800000
	v_cmp_nlt_f32_e32 vcc, s54, v3
	s_mov_b32 s54, 0x3f2aaaab
	s_mov_b32 s55, 0x7f800000
	v_cndmask_b32_e32 v101, v50, v16, vcc
	v_add_f32_e32 v3, 1.0, v101
	v_add_f32_e32 v16, -1.0, v3
	v_sub_f32_e32 v50, v16, v3
	v_add_f32_e32 v50, 1.0, v50
	v_sub_f32_e32 v16, v101, v16
	v_add_f32_e32 v16, v16, v50
	v_frexp_mant_f32_e32 v52, v3
	v_cvt_f64_f32_e32 v[50:51], v3
	v_frexp_exp_i32_f64_e32 v50, v[50:51]
	v_cmp_gt_f32_e32 vcc, s54, v52
	s_mov_b32 s54, 0x3f317218
	s_nop 0
	v_subbrev_co_u32_e32 v114, vcc, 0, v50, vcc
	v_sub_u32_e32 v50, 0, v114
	v_ldexp_f32 v3, v3, v50
	v_ldexp_f32 v16, v16, v50
	v_add_f32_e32 v50, -1.0, v3
	v_add_f32_e32 v51, 1.0, v50
	v_sub_f32_e32 v51, v3, v51
	v_add_f32_e32 v52, v16, v51
	v_add_f32_e32 v51, 1.0, v3
	v_add_f32_e32 v53, -1.0, v51
	v_sub_f32_e32 v3, v3, v53
	v_add_f32_e32 v3, v16, v3
	v_add_f32_e32 v16, v51, v3
	v_rcp_f32_e32 v115, v16
	v_sub_f32_e32 v51, v51, v16
	v_add_f32_e32 v3, v3, v51
	v_add_f32_e32 v51, v50, v52
	v_sub_f32_e32 v50, v50, v51
	v_mul_f32_e32 v117, v51, v115
	v_add_f32_e32 v116, v52, v50
	v_mul_f32_e32 v52, v16, v117
	v_fma_f32 v102, v117, v16, -v52
	v_fmac_f32_e32 v102, v117, v3
	v_add_f32_e32 v50, v52, v102
	v_sub_f32_e32 v53, v51, v50
	v_pk_add_f32 v[112:113], v[50:51], v[52:53] neg_lo:[0,1] neg_hi:[0,1]
	v_mov_b32_e32 v103, v50
	v_pk_add_f32 v[50:51], v[112:113], v[102:103] neg_lo:[0,1] neg_hi:[0,1]
	v_cmp_eq_f32_e32 vcc, s55, v101
	v_add_f32_e32 v51, v116, v51
	v_add_f32_e32 v50, v50, v51
	;; [unrolled: 1-line block ×3, first 2 shown]
	v_mul_f32_e32 v116, v115, v51
	v_mul_f32_e32 v52, v16, v116
	v_fma_f32 v102, v116, v16, -v52
	v_fmac_f32_e32 v102, v116, v3
	v_sub_f32_e32 v3, v53, v51
	v_add_f32_e32 v3, v50, v3
	v_add_f32_e32 v50, v52, v102
	v_sub_f32_e32 v53, v51, v50
	v_pk_add_f32 v[112:113], v[50:51], v[52:53] neg_lo:[0,1] neg_hi:[0,1]
	v_mov_b32_e32 v103, v50
	v_pk_add_f32 v[50:51], v[112:113], v[102:103] neg_lo:[0,1] neg_hi:[0,1]
	v_add_f32_e32 v16, v117, v116
	v_add_f32_e32 v3, v3, v51
	;; [unrolled: 1-line block ×4, first 2 shown]
	v_sub_f32_e32 v50, v16, v117
	v_mul_f32_e32 v3, v115, v3
	v_sub_f32_e32 v50, v116, v50
	v_add_f32_e32 v3, v50, v3
	v_add_f32_e32 v50, v16, v3
	v_cvt_f32_i32_e32 v52, v114
	v_mul_f32_e32 v53, v50, v50
	v_mov_b32_e32 v51, 0x3ecc95a3
	v_fmac_f32_e32 v51, 0x3e9b6dac, v53
	v_fmaak_f32 v51, v53, v51, 0x3f2aaada
	v_sub_f32_e32 v16, v50, v16
	v_ldexp_f32 v103, v50, 1
	v_mul_f32_e32 v53, v50, v53
	v_mov_b32_e32 v50, 0x3f317218
	v_pk_mul_f32 v[50:51], v[52:53], v[50:51]
	v_sub_f32_e32 v3, v3, v16
	v_fma_f32 v16, v52, s54, -v50
	v_fmamk_f32 v102, v52, 0xb102e308, v16
	v_pk_add_f32 v[52:53], v[50:51], v[102:103]
	v_ldexp_f32 v3, v3, 1
	v_sub_f32_e32 v16, v53, v103
	v_sub_f32_e32 v16, v51, v16
	v_add_f32_e32 v113, v3, v16
	v_mov_b32_e32 v112, v50
	v_pk_add_f32 v[50:51], v[52:53], v[50:51] neg_lo:[0,1] neg_hi:[0,1]
	v_pk_add_f32 v[114:115], v[52:53], v[112:113]
	v_mov_b32_e32 v103, v52
	v_mov_b32_e32 v51, v115
	v_pk_add_f32 v[116:117], v[102:103], v[50:51] neg_lo:[0,1] neg_hi:[0,1]
	v_pk_add_f32 v[50:51], v[102:103], v[50:51]
	s_mov_b32 s54, 0x33800000
	v_mov_b32_e32 v16, v51
	v_pk_add_f32 v[102:103], v[16:17], v[52:53] neg_lo:[0,1] neg_hi:[0,1]
	v_mov_b32_e32 v50, v115
	v_mov_b32_e32 v3, v102
	v_pk_add_f32 v[118:119], v[114:115], v[2:3] neg_lo:[0,1] neg_hi:[0,1]
	v_mov_b32_e32 v114, v53
	v_mov_b32_e32 v115, v102
	;; [unrolled: 1-line block ×3, first 2 shown]
	v_pk_add_f32 v[50:51], v[50:51], v[114:115] neg_lo:[0,1] neg_hi:[0,1]
	v_mov_b32_e32 v102, v113
	v_mov_b32_e32 v103, v52
	v_pk_add_f32 v[50:51], v[102:103], v[50:51] neg_lo:[0,1] neg_hi:[0,1]
	v_mov_b32_e32 v118, v116
	v_pk_add_f32 v[52:53], v[118:119], v[50:51]
	v_cmp_lt_f32_e64 s[54:55], |v101|, s54
	v_mov_b32_e32 v102, v53
	v_pk_add_f32 v[102:103], v[52:53], v[102:103]
	s_or_b64 vcc, vcc, s[54:55]
	v_pk_add_f32 v[112:113], v[16:17], v[102:103]
	v_mov_b32_e32 v51, v102
	v_mov_b32_e32 v53, v112
	v_pk_add_f32 v[114:115], v[52:53], v[116:117] neg_lo:[0,1] neg_hi:[0,1]
	s_nop 0
	v_sub_f32_e32 v3, v52, v114
	v_pk_add_f32 v[50:51], v[50:51], v[114:115] neg_lo:[0,1] neg_hi:[0,1]
	v_sub_f32_e32 v3, v116, v3
	v_add_f32_e32 v3, v50, v3
	v_add_f32_e32 v3, v3, v51
	;; [unrolled: 1-line block ×3, first 2 shown]
	v_cndmask_b32_e32 v3, v3, v101, vcc
	v_add_f32_e32 v53, v2, v3
.LBB141_365:
	s_or_b64 exec, exec, s[50:51]
	v_max_f32_e32 v2, v53, v53
	v_min_f32_e32 v50, v2, v11
	v_max_f32_e32 v52, v2, v11
	v_mov_b32_e32 v16, v53
	;;#ASMSTART
	;;#ASMEND
.LBB141_366:
	s_or_b64 exec, exec, s[52:53]
	v_cmp_u_f32_e32 vcc, v16, v16
	s_movk_i32 s50, 0x1f8
	s_nop 0
	v_cndmask_b32_e32 v2, v50, v16, vcc
	v_cndmask_b32_e64 v3, v2, v17, s[2:3]
	v_cndmask_b32_e32 v2, v52, v16, vcc
	v_cndmask_b32_e64 v2, v2, v17, s[2:3]
	v_cmp_neq_f32_e32 vcc, v3, v2
	v_cmp_class_f32_e64 s[2:3], v3, s50
	s_or_b64 vcc, vcc, s[2:3]
	v_mov_b32_e32 v17, v16
	s_and_saveexec_b64 s[2:3], vcc
	s_cbranch_execz .LBB141_368
; %bb.367:
	v_sub_f32_e32 v3, v3, v2
	s_mov_b32 s51, 0x3fb8aa3b
	v_mul_f32_e32 v11, 0x3fb8aa3b, v3
	v_fma_f32 v17, v3, s51, -v11
	v_rndne_f32_e32 v50, v11
	v_fmamk_f32 v17, v3, 0x32a5705f, v17
	v_sub_f32_e32 v11, v11, v50
	v_add_f32_e32 v11, v11, v17
	v_exp_f32_e32 v11, v11
	v_cvt_i32_f32_e32 v17, v50
	s_mov_b32 s51, 0xc2ce8ed0
	v_cmp_ngt_f32_e32 vcc, s51, v3
	s_mov_b32 s51, 0x42b17218
	v_ldexp_f32 v11, v11, v17
	v_cndmask_b32_e32 v11, 0, v11, vcc
	v_mov_b32_e32 v17, 0x7f800000
	v_cmp_nlt_f32_e32 vcc, s51, v3
	s_mov_b32 s51, 0x3f2aaaab
	s_mov_b32 s52, 0x7f800000
	v_cndmask_b32_e32 v11, v17, v11, vcc
	v_add_f32_e32 v3, 1.0, v11
	v_add_f32_e32 v17, -1.0, v3
	v_sub_f32_e32 v50, v17, v3
	v_add_f32_e32 v50, 1.0, v50
	v_sub_f32_e32 v17, v11, v17
	v_add_f32_e32 v17, v17, v50
	v_frexp_mant_f32_e32 v52, v3
	v_cvt_f64_f32_e32 v[50:51], v3
	v_frexp_exp_i32_f64_e32 v50, v[50:51]
	v_cmp_gt_f32_e32 vcc, s51, v52
	s_mov_b32 s51, 0x3f317218
	s_nop 0
	v_subbrev_co_u32_e32 v101, vcc, 0, v50, vcc
	v_sub_u32_e32 v50, 0, v101
	v_ldexp_f32 v3, v3, v50
	v_ldexp_f32 v17, v17, v50
	v_add_f32_e32 v50, -1.0, v3
	v_add_f32_e32 v51, 1.0, v50
	v_sub_f32_e32 v51, v3, v51
	v_add_f32_e32 v52, v17, v51
	v_add_f32_e32 v51, 1.0, v3
	s_waitcnt lgkmcnt(0)
	v_add_f32_e32 v53, -1.0, v51
	v_sub_f32_e32 v3, v3, v53
	v_add_f32_e32 v3, v17, v3
	v_add_f32_e32 v17, v51, v3
	v_rcp_f32_e32 v114, v17
	v_sub_f32_e32 v51, v51, v17
	v_add_f32_e32 v3, v3, v51
	v_add_f32_e32 v51, v50, v52
	v_sub_f32_e32 v50, v50, v51
	v_mul_f32_e32 v116, v51, v114
	v_add_f32_e32 v115, v52, v50
	v_mul_f32_e32 v52, v17, v116
	v_fma_f32 v102, v116, v17, -v52
	v_fmac_f32_e32 v102, v116, v3
	v_add_f32_e32 v50, v52, v102
	v_sub_f32_e32 v53, v51, v50
	v_pk_add_f32 v[112:113], v[50:51], v[52:53] neg_lo:[0,1] neg_hi:[0,1]
	v_mov_b32_e32 v103, v50
	v_pk_add_f32 v[50:51], v[112:113], v[102:103] neg_lo:[0,1] neg_hi:[0,1]
	v_cmp_eq_f32_e32 vcc, s52, v11
	v_add_f32_e32 v51, v115, v51
	v_add_f32_e32 v50, v50, v51
	;; [unrolled: 1-line block ×3, first 2 shown]
	v_mul_f32_e32 v115, v114, v51
	v_mul_f32_e32 v52, v17, v115
	v_fma_f32 v102, v115, v17, -v52
	v_fmac_f32_e32 v102, v115, v3
	v_sub_f32_e32 v3, v53, v51
	v_add_f32_e32 v3, v50, v3
	v_add_f32_e32 v50, v52, v102
	v_sub_f32_e32 v53, v51, v50
	v_pk_add_f32 v[112:113], v[50:51], v[52:53] neg_lo:[0,1] neg_hi:[0,1]
	v_mov_b32_e32 v103, v50
	v_pk_add_f32 v[50:51], v[112:113], v[102:103] neg_lo:[0,1] neg_hi:[0,1]
	v_add_f32_e32 v17, v116, v115
	v_add_f32_e32 v3, v3, v51
	;; [unrolled: 1-line block ×4, first 2 shown]
	v_sub_f32_e32 v50, v17, v116
	v_mul_f32_e32 v3, v114, v3
	v_sub_f32_e32 v50, v115, v50
	v_add_f32_e32 v3, v50, v3
	v_add_f32_e32 v50, v17, v3
	v_cvt_f32_i32_e32 v52, v101
	v_mul_f32_e32 v53, v50, v50
	v_mov_b32_e32 v51, 0x3ecc95a3
	v_fmac_f32_e32 v51, 0x3e9b6dac, v53
	v_fmaak_f32 v51, v53, v51, 0x3f2aaada
	v_sub_f32_e32 v17, v50, v17
	v_ldexp_f32 v103, v50, 1
	v_mul_f32_e32 v53, v50, v53
	v_mov_b32_e32 v50, 0x3f317218
	v_pk_mul_f32 v[50:51], v[52:53], v[50:51]
	v_sub_f32_e32 v3, v3, v17
	v_fma_f32 v17, v52, s51, -v50
	v_fmamk_f32 v102, v52, 0xb102e308, v17
	v_pk_add_f32 v[52:53], v[50:51], v[102:103]
	v_ldexp_f32 v3, v3, 1
	v_sub_f32_e32 v17, v53, v103
	v_sub_f32_e32 v17, v51, v17
	v_add_f32_e32 v113, v3, v17
	v_mov_b32_e32 v112, v50
	v_pk_add_f32 v[50:51], v[52:53], v[50:51] neg_lo:[0,1] neg_hi:[0,1]
	v_pk_add_f32 v[114:115], v[52:53], v[112:113]
	v_mov_b32_e32 v103, v52
	v_mov_b32_e32 v51, v115
	v_pk_add_f32 v[116:117], v[102:103], v[50:51] neg_lo:[0,1] neg_hi:[0,1]
	v_pk_add_f32 v[50:51], v[102:103], v[50:51]
	v_mov_b32_e32 v112, v113
	v_mov_b32_e32 v102, v51
	v_pk_add_f32 v[118:119], v[102:103], v[52:53] neg_lo:[0,1] neg_hi:[0,1]
	v_mov_b32_e32 v50, v115
	v_mov_b32_e32 v3, v118
	v_pk_add_f32 v[128:129], v[114:115], v[2:3] neg_lo:[0,1] neg_hi:[0,1]
	v_mov_b32_e32 v114, v53
	v_mov_b32_e32 v115, v118
	;; [unrolled: 1-line block ×3, first 2 shown]
	v_pk_add_f32 v[50:51], v[50:51], v[114:115] neg_lo:[0,1] neg_hi:[0,1]
	v_mov_b32_e32 v113, v52
	v_pk_add_f32 v[50:51], v[112:113], v[50:51] neg_lo:[0,1] neg_hi:[0,1]
	v_mov_b32_e32 v128, v116
	v_pk_add_f32 v[52:53], v[128:129], v[50:51]
	s_mov_b32 s51, 0x33800000
	v_mov_b32_e32 v112, v53
	v_pk_add_f32 v[112:113], v[52:53], v[112:113]
	v_cmp_lt_f32_e64 s[52:53], |v11|, s51
	v_pk_add_f32 v[102:103], v[102:103], v[112:113]
	v_mov_b32_e32 v51, v112
	v_mov_b32_e32 v53, v102
	v_pk_add_f32 v[114:115], v[52:53], v[116:117] neg_lo:[0,1] neg_hi:[0,1]
	s_or_b64 vcc, vcc, s[52:53]
	v_sub_f32_e32 v3, v52, v114
	v_pk_add_f32 v[50:51], v[50:51], v[114:115] neg_lo:[0,1] neg_hi:[0,1]
	v_sub_f32_e32 v3, v116, v3
	v_add_f32_e32 v3, v50, v3
	v_add_f32_e32 v3, v3, v51
	;; [unrolled: 1-line block ×3, first 2 shown]
	v_cndmask_b32_e32 v3, v3, v11, vcc
	v_add_f32_e32 v17, v2, v3
.LBB141_368:
	s_or_b64 exec, exec, s[2:3]
	v_max_f32_e32 v2, v17, v17
	v_min_f32_e32 v3, v2, v6
	v_cmp_u_f32_e32 vcc, v17, v17
	v_max_f32_e32 v2, v2, v6
	v_mov_b32_e32 v50, v17
	v_cndmask_b32_e32 v3, v3, v17, vcc
	v_cndmask_b32_e32 v2, v2, v17, vcc
	v_cndmask_b32_e64 v3, v3, v18, s[4:5]
	v_cndmask_b32_e64 v2, v2, v18, s[4:5]
	v_cmp_neq_f32_e32 vcc, v3, v2
	v_cmp_class_f32_e64 s[2:3], v3, s50
	s_or_b64 s[4:5], vcc, s[2:3]
	s_and_saveexec_b64 s[2:3], s[4:5]
	s_cbranch_execz .LBB141_370
; %bb.369:
	v_sub_f32_e32 v3, v3, v2
	s_mov_b32 s4, 0x3fb8aa3b
	v_mul_f32_e32 v6, 0x3fb8aa3b, v3
	v_fma_f32 v11, v3, s4, -v6
	v_rndne_f32_e32 v18, v6
	v_fmamk_f32 v11, v3, 0x32a5705f, v11
	v_sub_f32_e32 v6, v6, v18
	v_add_f32_e32 v6, v6, v11
	v_exp_f32_e32 v6, v6
	v_cvt_i32_f32_e32 v11, v18
	s_mov_b32 s4, 0xc2ce8ed0
	v_cmp_ngt_f32_e32 vcc, s4, v3
	s_mov_b32 s4, 0x42b17218
	v_ldexp_f32 v6, v6, v11
	v_cndmask_b32_e32 v6, 0, v6, vcc
	v_mov_b32_e32 v11, 0x7f800000
	v_cmp_nlt_f32_e32 vcc, s4, v3
	s_mov_b32 s4, 0x3f2aaaab
	s_mov_b32 s5, 0x7f800000
	v_cndmask_b32_e32 v11, v11, v6, vcc
	v_add_f32_e32 v3, 1.0, v11
	v_add_f32_e32 v6, -1.0, v3
	v_sub_f32_e32 v18, v6, v3
	v_add_f32_e32 v18, 1.0, v18
	v_sub_f32_e32 v6, v11, v6
	v_add_f32_e32 v6, v6, v18
	v_frexp_mant_f32_e32 v18, v3
	v_cvt_f64_f32_e32 v[50:51], v3
	v_frexp_exp_i32_f64_e32 v50, v[50:51]
	v_cmp_gt_f32_e32 vcc, s4, v18
	s_mov_b32 s4, 0x3f317218
	s_nop 0
	v_subbrev_co_u32_e32 v18, vcc, 0, v50, vcc
	v_sub_u32_e32 v50, 0, v18
	v_ldexp_f32 v3, v3, v50
	v_ldexp_f32 v6, v6, v50
	v_add_f32_e32 v50, -1.0, v3
	v_add_f32_e32 v51, 1.0, v50
	v_sub_f32_e32 v51, v3, v51
	v_add_f32_e32 v52, v6, v51
	v_add_f32_e32 v51, 1.0, v3
	s_waitcnt lgkmcnt(0)
	v_add_f32_e32 v53, -1.0, v51
	v_sub_f32_e32 v3, v3, v53
	v_add_f32_e32 v3, v6, v3
	v_add_f32_e32 v6, v51, v3
	v_rcp_f32_e32 v101, v6
	v_sub_f32_e32 v51, v51, v6
	v_add_f32_e32 v3, v3, v51
	v_add_f32_e32 v51, v50, v52
	v_sub_f32_e32 v50, v50, v51
	v_mul_f32_e32 v115, v51, v101
	v_add_f32_e32 v114, v52, v50
	v_mul_f32_e32 v52, v6, v115
	v_fma_f32 v102, v115, v6, -v52
	v_fmac_f32_e32 v102, v115, v3
	v_add_f32_e32 v50, v52, v102
	v_sub_f32_e32 v53, v51, v50
	v_pk_add_f32 v[112:113], v[50:51], v[52:53] neg_lo:[0,1] neg_hi:[0,1]
	v_mov_b32_e32 v103, v50
	v_pk_add_f32 v[50:51], v[112:113], v[102:103] neg_lo:[0,1] neg_hi:[0,1]
	v_cmp_eq_f32_e32 vcc, s5, v11
	v_add_f32_e32 v51, v114, v51
	v_add_f32_e32 v50, v50, v51
	;; [unrolled: 1-line block ×3, first 2 shown]
	v_mul_f32_e32 v114, v101, v51
	v_mul_f32_e32 v52, v6, v114
	v_fma_f32 v102, v114, v6, -v52
	v_fmac_f32_e32 v102, v114, v3
	v_sub_f32_e32 v3, v53, v51
	v_add_f32_e32 v3, v50, v3
	v_add_f32_e32 v50, v52, v102
	v_sub_f32_e32 v53, v51, v50
	v_pk_add_f32 v[112:113], v[50:51], v[52:53] neg_lo:[0,1] neg_hi:[0,1]
	v_mov_b32_e32 v103, v50
	v_pk_add_f32 v[50:51], v[112:113], v[102:103] neg_lo:[0,1] neg_hi:[0,1]
	v_add_f32_e32 v6, v115, v114
	v_add_f32_e32 v3, v3, v51
	;; [unrolled: 1-line block ×4, first 2 shown]
	v_sub_f32_e32 v50, v6, v115
	v_mul_f32_e32 v3, v101, v3
	v_sub_f32_e32 v50, v114, v50
	v_add_f32_e32 v3, v50, v3
	v_add_f32_e32 v50, v6, v3
	v_cvt_f32_i32_e32 v52, v18
	v_mul_f32_e32 v53, v50, v50
	v_mov_b32_e32 v51, 0x3ecc95a3
	v_fmac_f32_e32 v51, 0x3e9b6dac, v53
	v_fmaak_f32 v51, v53, v51, 0x3f2aaada
	v_sub_f32_e32 v6, v50, v6
	v_ldexp_f32 v103, v50, 1
	v_mul_f32_e32 v53, v50, v53
	v_mov_b32_e32 v50, 0x3f317218
	v_pk_mul_f32 v[50:51], v[52:53], v[50:51]
	v_sub_f32_e32 v3, v3, v6
	v_fma_f32 v6, v52, s4, -v50
	v_fmamk_f32 v102, v52, 0xb102e308, v6
	v_pk_add_f32 v[52:53], v[50:51], v[102:103]
	v_ldexp_f32 v3, v3, 1
	v_sub_f32_e32 v6, v53, v103
	v_sub_f32_e32 v6, v51, v6
	v_add_f32_e32 v113, v3, v6
	v_mov_b32_e32 v112, v50
	v_pk_add_f32 v[50:51], v[52:53], v[50:51] neg_lo:[0,1] neg_hi:[0,1]
	v_pk_add_f32 v[114:115], v[52:53], v[112:113]
	v_mov_b32_e32 v103, v52
	v_mov_b32_e32 v51, v115
	v_pk_add_f32 v[116:117], v[102:103], v[50:51] neg_lo:[0,1] neg_hi:[0,1]
	v_pk_add_f32 v[50:51], v[102:103], v[50:51]
	s_mov_b32 s4, 0x33800000
	v_mov_b32_e32 v6, v51
	v_pk_add_f32 v[102:103], v[6:7], v[52:53] neg_lo:[0,1] neg_hi:[0,1]
	v_mov_b32_e32 v50, v115
	v_mov_b32_e32 v3, v102
	v_pk_add_f32 v[118:119], v[114:115], v[2:3] neg_lo:[0,1] neg_hi:[0,1]
	v_mov_b32_e32 v114, v53
	v_mov_b32_e32 v115, v102
	;; [unrolled: 1-line block ×3, first 2 shown]
	v_pk_add_f32 v[50:51], v[50:51], v[114:115] neg_lo:[0,1] neg_hi:[0,1]
	v_mov_b32_e32 v102, v113
	v_mov_b32_e32 v103, v52
	v_pk_add_f32 v[50:51], v[102:103], v[50:51] neg_lo:[0,1] neg_hi:[0,1]
	v_mov_b32_e32 v118, v116
	v_pk_add_f32 v[52:53], v[118:119], v[50:51]
	v_cmp_lt_f32_e64 s[4:5], |v11|, s4
	v_mov_b32_e32 v18, v53
	v_pk_add_f32 v[102:103], v[52:53], v[18:19]
	s_or_b64 vcc, vcc, s[4:5]
	v_pk_add_f32 v[112:113], v[6:7], v[102:103]
	v_mov_b32_e32 v51, v102
	v_mov_b32_e32 v53, v112
	v_pk_add_f32 v[114:115], v[52:53], v[116:117] neg_lo:[0,1] neg_hi:[0,1]
	s_nop 0
	v_sub_f32_e32 v3, v52, v114
	v_pk_add_f32 v[50:51], v[50:51], v[114:115] neg_lo:[0,1] neg_hi:[0,1]
	v_sub_f32_e32 v3, v116, v3
	v_add_f32_e32 v3, v50, v3
	v_add_f32_e32 v3, v3, v51
	v_add_f32_e32 v3, v112, v3
	v_cndmask_b32_e32 v3, v3, v11, vcc
	v_add_f32_e32 v50, v2, v3
.LBB141_370:
	s_or_b64 exec, exec, s[2:3]
	v_max_f32_e32 v2, v50, v50
	v_min_f32_e32 v3, v2, v7
	v_cmp_u_f32_e32 vcc, v50, v50
	v_max_f32_e32 v2, v2, v7
	s_movk_i32 s4, 0x1f8
	v_cndmask_b32_e32 v3, v3, v50, vcc
	v_cndmask_b32_e32 v2, v2, v50, vcc
	v_cndmask_b32_e64 v3, v3, v19, s[6:7]
	v_cndmask_b32_e64 v2, v2, v19, s[6:7]
	v_cmp_neq_f32_e32 vcc, v3, v2
	v_cmp_class_f32_e64 s[2:3], v3, s4
	s_or_b64 s[6:7], vcc, s[2:3]
	v_mov_b32_e32 v51, v50
	s_and_saveexec_b64 s[2:3], s[6:7]
	s_cbranch_execz .LBB141_372
; %bb.371:
	v_sub_f32_e32 v3, v3, v2
	s_mov_b32 s5, 0x3fb8aa3b
	v_mul_f32_e32 v6, 0x3fb8aa3b, v3
	v_fma_f32 v7, v3, s5, -v6
	v_rndne_f32_e32 v11, v6
	v_fmamk_f32 v7, v3, 0x32a5705f, v7
	v_sub_f32_e32 v6, v6, v11
	v_add_f32_e32 v6, v6, v7
	v_exp_f32_e32 v6, v6
	v_cvt_i32_f32_e32 v7, v11
	s_mov_b32 s5, 0xc2ce8ed0
	v_cmp_ngt_f32_e32 vcc, s5, v3
	s_mov_b32 s5, 0x42b17218
	v_ldexp_f32 v6, v6, v7
	v_cndmask_b32_e32 v6, 0, v6, vcc
	v_mov_b32_e32 v7, 0x7f800000
	v_cmp_nlt_f32_e32 vcc, s5, v3
	s_mov_b32 s5, 0x3f2aaaab
	s_mov_b32 s6, 0x7f800000
	v_cndmask_b32_e32 v11, v7, v6, vcc
	v_add_f32_e32 v3, 1.0, v11
	v_add_f32_e32 v6, -1.0, v3
	v_sub_f32_e32 v7, v6, v3
	v_add_f32_e32 v7, 1.0, v7
	v_sub_f32_e32 v6, v11, v6
	v_add_f32_e32 v18, v6, v7
	v_frexp_mant_f32_e32 v19, v3
	v_cvt_f64_f32_e32 v[6:7], v3
	v_frexp_exp_i32_f64_e32 v6, v[6:7]
	v_cmp_gt_f32_e32 vcc, s5, v19
	s_mov_b32 s5, 0x3f317218
	s_nop 0
	v_subbrev_co_u32_e32 v51, vcc, 0, v6, vcc
	v_sub_u32_e32 v6, 0, v51
	v_ldexp_f32 v3, v3, v6
	v_ldexp_f32 v6, v18, v6
	v_add_f32_e32 v18, -1.0, v3
	v_add_f32_e32 v7, 1.0, v18
	v_sub_f32_e32 v7, v3, v7
	v_add_f32_e32 v19, v6, v7
	v_add_f32_e32 v7, 1.0, v3
	v_add_f32_e32 v52, -1.0, v7
	v_sub_f32_e32 v3, v3, v52
	v_add_f32_e32 v3, v6, v3
	v_add_f32_e32 v101, v7, v3
	v_rcp_f32_e32 v112, v101
	v_sub_f32_e32 v6, v7, v101
	v_add_f32_e32 v7, v18, v19
	v_add_f32_e32 v3, v3, v6
	v_mul_f32_e32 v114, v7, v112
	v_sub_f32_e32 v6, v18, v7
	v_mul_f32_e32 v18, v101, v114
	v_fma_f32 v52, v114, v101, -v18
	v_fmac_f32_e32 v52, v114, v3
	v_add_f32_e32 v113, v19, v6
	v_add_f32_e32 v6, v18, v52
	v_sub_f32_e32 v19, v7, v6
	v_pk_add_f32 v[102:103], v[6:7], v[18:19] neg_lo:[0,1] neg_hi:[0,1]
	s_waitcnt lgkmcnt(0)
	v_mov_b32_e32 v53, v6
	v_pk_add_f32 v[6:7], v[102:103], v[52:53] neg_lo:[0,1] neg_hi:[0,1]
	v_cmp_eq_f32_e32 vcc, s6, v11
	v_add_f32_e32 v7, v113, v7
	v_add_f32_e32 v6, v6, v7
	;; [unrolled: 1-line block ×3, first 2 shown]
	v_mul_f32_e32 v113, v112, v7
	v_mul_f32_e32 v18, v101, v113
	v_fma_f32 v52, v113, v101, -v18
	v_fmac_f32_e32 v52, v113, v3
	v_sub_f32_e32 v3, v19, v7
	v_add_f32_e32 v3, v6, v3
	v_add_f32_e32 v6, v18, v52
	v_sub_f32_e32 v19, v7, v6
	v_pk_add_f32 v[102:103], v[6:7], v[18:19] neg_lo:[0,1] neg_hi:[0,1]
	v_mov_b32_e32 v53, v6
	v_pk_add_f32 v[6:7], v[102:103], v[52:53] neg_lo:[0,1] neg_hi:[0,1]
	v_cvt_f32_i32_e32 v18, v51
	v_add_f32_e32 v3, v3, v7
	v_add_f32_e32 v3, v6, v3
	;; [unrolled: 1-line block ×4, first 2 shown]
	v_sub_f32_e32 v7, v6, v114
	v_mul_f32_e32 v3, v112, v3
	v_sub_f32_e32 v7, v113, v7
	v_add_f32_e32 v3, v7, v3
	v_add_f32_e32 v19, v6, v3
	v_mul_f32_e32 v52, v19, v19
	v_mov_b32_e32 v7, 0x3ecc95a3
	v_fmac_f32_e32 v7, 0x3e9b6dac, v52
	v_sub_f32_e32 v6, v19, v6
	v_fmaak_f32 v7, v52, v7, 0x3f2aaada
	v_sub_f32_e32 v3, v3, v6
	v_ldexp_f32 v53, v19, 1
	v_mul_f32_e32 v19, v19, v52
	v_mov_b32_e32 v6, 0x3f317218
	v_pk_mul_f32 v[6:7], v[18:19], v[6:7]
	v_ldexp_f32 v3, v3, 1
	v_fma_f32 v19, v18, s5, -v6
	v_fmamk_f32 v52, v18, 0xb102e308, v19
	v_pk_add_f32 v[18:19], v[6:7], v[52:53]
	v_mov_b32_e32 v102, v6
	v_sub_f32_e32 v51, v19, v53
	v_sub_f32_e32 v51, v7, v51
	v_add_f32_e32 v103, v3, v51
	v_pk_add_f32 v[6:7], v[18:19], v[6:7] neg_lo:[0,1] neg_hi:[0,1]
	v_pk_add_f32 v[112:113], v[18:19], v[102:103]
	v_mov_b32_e32 v53, v18
	v_mov_b32_e32 v7, v113
	v_pk_add_f32 v[114:115], v[52:53], v[6:7] neg_lo:[0,1] neg_hi:[0,1]
	v_pk_add_f32 v[6:7], v[52:53], v[6:7]
	v_mov_b32_e32 v102, v103
	v_mov_b32_e32 v52, v7
	v_pk_add_f32 v[116:117], v[52:53], v[18:19] neg_lo:[0,1] neg_hi:[0,1]
	v_mov_b32_e32 v6, v113
	v_mov_b32_e32 v3, v116
	v_pk_add_f32 v[118:119], v[112:113], v[2:3] neg_lo:[0,1] neg_hi:[0,1]
	v_mov_b32_e32 v112, v19
	v_mov_b32_e32 v113, v116
	v_mov_b32_e32 v115, v7
	v_pk_add_f32 v[6:7], v[6:7], v[112:113] neg_lo:[0,1] neg_hi:[0,1]
	v_mov_b32_e32 v103, v18
	v_pk_add_f32 v[6:7], v[102:103], v[6:7] neg_lo:[0,1] neg_hi:[0,1]
	v_mov_b32_e32 v118, v114
	v_pk_add_f32 v[18:19], v[118:119], v[6:7]
	s_mov_b32 s5, 0x33800000
	v_mov_b32_e32 v102, v19
	v_pk_add_f32 v[102:103], v[18:19], v[102:103]
	v_cmp_lt_f32_e64 s[6:7], |v11|, s5
	v_pk_add_f32 v[52:53], v[52:53], v[102:103]
	v_mov_b32_e32 v7, v102
	v_mov_b32_e32 v19, v52
	v_pk_add_f32 v[112:113], v[18:19], v[114:115] neg_lo:[0,1] neg_hi:[0,1]
	s_or_b64 vcc, vcc, s[6:7]
	v_sub_f32_e32 v3, v18, v112
	v_pk_add_f32 v[6:7], v[6:7], v[112:113] neg_lo:[0,1] neg_hi:[0,1]
	v_sub_f32_e32 v3, v114, v3
	v_add_f32_e32 v3, v6, v3
	v_add_f32_e32 v3, v3, v7
	v_add_f32_e32 v3, v52, v3
	v_cndmask_b32_e32 v3, v3, v11, vcc
	v_add_f32_e32 v51, v2, v3
.LBB141_372:
	s_or_b64 exec, exec, s[2:3]
	v_max_f32_e32 v2, v51, v51
	v_min_f32_e32 v3, v2, v48
	v_cmp_u_f32_e32 vcc, v51, v51
	v_max_f32_e32 v2, v2, v48
	v_mov_b32_e32 v52, v51
	v_cndmask_b32_e32 v3, v3, v51, vcc
	v_cndmask_b32_e32 v2, v2, v51, vcc
	v_cndmask_b32_e64 v3, v3, v36, s[8:9]
	v_cndmask_b32_e64 v2, v2, v36, s[8:9]
	v_cmp_neq_f32_e32 vcc, v3, v2
	v_cmp_class_f32_e64 s[2:3], v3, s4
	s_or_b64 s[4:5], vcc, s[2:3]
	s_and_saveexec_b64 s[2:3], s[4:5]
	s_cbranch_execz .LBB141_374
; %bb.373:
	v_sub_f32_e32 v3, v3, v2
	s_mov_b32 s4, 0x3fb8aa3b
	v_mul_f32_e32 v6, 0x3fb8aa3b, v3
	v_fma_f32 v7, v3, s4, -v6
	v_rndne_f32_e32 v11, v6
	v_fmamk_f32 v7, v3, 0x32a5705f, v7
	v_sub_f32_e32 v6, v6, v11
	v_add_f32_e32 v6, v6, v7
	v_exp_f32_e32 v6, v6
	v_cvt_i32_f32_e32 v7, v11
	s_mov_b32 s4, 0xc2ce8ed0
	v_cmp_ngt_f32_e32 vcc, s4, v3
	s_mov_b32 s4, 0x42b17218
	v_ldexp_f32 v6, v6, v7
	v_cndmask_b32_e32 v6, 0, v6, vcc
	v_mov_b32_e32 v7, 0x7f800000
	v_cmp_nlt_f32_e32 vcc, s4, v3
	s_mov_b32 s4, 0x3f2aaaab
	s_mov_b32 s5, 0x7f800000
	v_cndmask_b32_e32 v11, v7, v6, vcc
	v_add_f32_e32 v3, 1.0, v11
	v_add_f32_e32 v6, -1.0, v3
	v_sub_f32_e32 v7, v6, v3
	v_add_f32_e32 v7, 1.0, v7
	v_sub_f32_e32 v6, v11, v6
	v_add_f32_e32 v18, v6, v7
	v_frexp_mant_f32_e32 v19, v3
	v_cvt_f64_f32_e32 v[6:7], v3
	v_frexp_exp_i32_f64_e32 v6, v[6:7]
	v_cmp_gt_f32_e32 vcc, s4, v19
	s_mov_b32 s4, 0x3f317218
	s_nop 0
	v_subbrev_co_u32_e32 v36, vcc, 0, v6, vcc
	v_sub_u32_e32 v6, 0, v36
	v_ldexp_f32 v3, v3, v6
	v_ldexp_f32 v6, v18, v6
	v_add_f32_e32 v18, -1.0, v3
	v_add_f32_e32 v7, 1.0, v18
	v_sub_f32_e32 v7, v3, v7
	v_add_f32_e32 v19, v6, v7
	v_add_f32_e32 v7, 1.0, v3
	v_add_f32_e32 v48, -1.0, v7
	v_sub_f32_e32 v3, v3, v48
	v_add_f32_e32 v3, v6, v3
	v_add_f32_e32 v48, v7, v3
	v_rcp_f32_e32 v101, v48
	v_sub_f32_e32 v6, v7, v48
	v_add_f32_e32 v7, v18, v19
	v_add_f32_e32 v3, v3, v6
	v_mul_f32_e32 v113, v7, v101
	v_sub_f32_e32 v6, v18, v7
	v_mul_f32_e32 v18, v48, v113
	v_fma_f32 v52, v113, v48, -v18
	v_fmac_f32_e32 v52, v113, v3
	v_add_f32_e32 v112, v19, v6
	v_add_f32_e32 v6, v18, v52
	v_sub_f32_e32 v19, v7, v6
	v_pk_add_f32 v[102:103], v[6:7], v[18:19] neg_lo:[0,1] neg_hi:[0,1]
	s_waitcnt lgkmcnt(0)
	v_mov_b32_e32 v53, v6
	v_pk_add_f32 v[6:7], v[102:103], v[52:53] neg_lo:[0,1] neg_hi:[0,1]
	v_cmp_eq_f32_e32 vcc, s5, v11
	v_add_f32_e32 v7, v112, v7
	v_add_f32_e32 v6, v6, v7
	;; [unrolled: 1-line block ×3, first 2 shown]
	v_mul_f32_e32 v112, v101, v7
	v_mul_f32_e32 v18, v48, v112
	v_fma_f32 v52, v112, v48, -v18
	v_fmac_f32_e32 v52, v112, v3
	v_sub_f32_e32 v3, v19, v7
	v_add_f32_e32 v3, v6, v3
	v_add_f32_e32 v6, v18, v52
	v_sub_f32_e32 v19, v7, v6
	v_pk_add_f32 v[102:103], v[6:7], v[18:19] neg_lo:[0,1] neg_hi:[0,1]
	v_mov_b32_e32 v53, v6
	v_pk_add_f32 v[6:7], v[102:103], v[52:53] neg_lo:[0,1] neg_hi:[0,1]
	v_cvt_f32_i32_e32 v18, v36
	v_add_f32_e32 v3, v3, v7
	v_add_f32_e32 v3, v6, v3
	v_add_f32_e32 v6, v113, v112
	v_add_f32_e32 v3, v19, v3
	v_sub_f32_e32 v7, v6, v113
	v_mul_f32_e32 v3, v101, v3
	v_sub_f32_e32 v7, v112, v7
	v_add_f32_e32 v3, v7, v3
	v_add_f32_e32 v19, v6, v3
	v_mul_f32_e32 v48, v19, v19
	v_mov_b32_e32 v7, 0x3ecc95a3
	v_fmac_f32_e32 v7, 0x3e9b6dac, v48
	v_sub_f32_e32 v6, v19, v6
	v_fmaak_f32 v7, v48, v7, 0x3f2aaada
	v_sub_f32_e32 v3, v3, v6
	v_ldexp_f32 v53, v19, 1
	v_mul_f32_e32 v19, v19, v48
	v_mov_b32_e32 v6, 0x3f317218
	v_pk_mul_f32 v[6:7], v[18:19], v[6:7]
	v_ldexp_f32 v3, v3, 1
	v_fma_f32 v19, v18, s4, -v6
	v_fmamk_f32 v52, v18, 0xb102e308, v19
	v_pk_add_f32 v[18:19], v[6:7], v[52:53]
	v_mov_b32_e32 v102, v6
	v_sub_f32_e32 v36, v19, v53
	v_sub_f32_e32 v36, v7, v36
	v_add_f32_e32 v103, v3, v36
	v_pk_add_f32 v[6:7], v[18:19], v[6:7] neg_lo:[0,1] neg_hi:[0,1]
	v_pk_add_f32 v[112:113], v[18:19], v[102:103]
	v_mov_b32_e32 v53, v18
	v_mov_b32_e32 v7, v113
	v_pk_add_f32 v[114:115], v[52:53], v[6:7] neg_lo:[0,1] neg_hi:[0,1]
	v_pk_add_f32 v[6:7], v[52:53], v[6:7]
	s_mov_b32 s4, 0x33800000
	v_mov_b32_e32 v36, v7
	v_pk_add_f32 v[52:53], v[36:37], v[18:19] neg_lo:[0,1] neg_hi:[0,1]
	v_mov_b32_e32 v6, v113
	v_mov_b32_e32 v3, v52
	v_pk_add_f32 v[116:117], v[112:113], v[2:3] neg_lo:[0,1] neg_hi:[0,1]
	v_mov_b32_e32 v112, v19
	v_mov_b32_e32 v113, v52
	;; [unrolled: 1-line block ×3, first 2 shown]
	v_pk_add_f32 v[6:7], v[6:7], v[112:113] neg_lo:[0,1] neg_hi:[0,1]
	v_mov_b32_e32 v52, v103
	v_mov_b32_e32 v53, v18
	v_pk_add_f32 v[6:7], v[52:53], v[6:7] neg_lo:[0,1] neg_hi:[0,1]
	v_mov_b32_e32 v116, v114
	v_pk_add_f32 v[18:19], v[116:117], v[6:7]
	v_cmp_lt_f32_e64 s[4:5], |v11|, s4
	v_mov_b32_e32 v48, v19
	v_pk_add_f32 v[52:53], v[18:19], v[48:49]
	s_or_b64 vcc, vcc, s[4:5]
	v_pk_add_f32 v[102:103], v[36:37], v[52:53]
	v_mov_b32_e32 v7, v52
	v_mov_b32_e32 v19, v102
	v_pk_add_f32 v[112:113], v[18:19], v[114:115] neg_lo:[0,1] neg_hi:[0,1]
	s_nop 0
	v_sub_f32_e32 v3, v18, v112
	v_pk_add_f32 v[6:7], v[6:7], v[112:113] neg_lo:[0,1] neg_hi:[0,1]
	v_sub_f32_e32 v3, v114, v3
	v_add_f32_e32 v3, v6, v3
	v_add_f32_e32 v3, v3, v7
	;; [unrolled: 1-line block ×3, first 2 shown]
	v_cndmask_b32_e32 v3, v3, v11, vcc
	v_add_f32_e32 v52, v2, v3
.LBB141_374:
	s_or_b64 exec, exec, s[2:3]
	v_max_f32_e32 v2, v52, v52
	v_min_f32_e32 v3, v2, v49
	v_cmp_u_f32_e32 vcc, v52, v52
	v_max_f32_e32 v2, v2, v49
	s_movk_i32 s4, 0x1f8
	v_cndmask_b32_e32 v3, v3, v52, vcc
	v_cndmask_b32_e32 v2, v2, v52, vcc
	v_cndmask_b32_e64 v3, v3, v37, s[10:11]
	v_cndmask_b32_e64 v2, v2, v37, s[10:11]
	v_cmp_neq_f32_e32 vcc, v3, v2
	v_cmp_class_f32_e64 s[2:3], v3, s4
	s_or_b64 s[6:7], vcc, s[2:3]
	s_waitcnt lgkmcnt(0)
	v_mov_b32_e32 v53, v52
	s_and_saveexec_b64 s[2:3], s[6:7]
	s_cbranch_execz .LBB141_376
; %bb.375:
	v_sub_f32_e32 v3, v3, v2
	s_mov_b32 s5, 0x3fb8aa3b
	v_mul_f32_e32 v6, 0x3fb8aa3b, v3
	v_fma_f32 v7, v3, s5, -v6
	v_rndne_f32_e32 v11, v6
	v_fmamk_f32 v7, v3, 0x32a5705f, v7
	v_sub_f32_e32 v6, v6, v11
	v_add_f32_e32 v6, v6, v7
	v_exp_f32_e32 v6, v6
	v_cvt_i32_f32_e32 v7, v11
	s_mov_b32 s5, 0xc2ce8ed0
	v_cmp_ngt_f32_e32 vcc, s5, v3
	s_mov_b32 s5, 0x42b17218
	v_ldexp_f32 v6, v6, v7
	v_cndmask_b32_e32 v6, 0, v6, vcc
	v_mov_b32_e32 v7, 0x7f800000
	v_cmp_nlt_f32_e32 vcc, s5, v3
	s_mov_b32 s5, 0x3f2aaaab
	s_mov_b32 s6, 0x7f800000
	v_cndmask_b32_e32 v11, v7, v6, vcc
	v_add_f32_e32 v3, 1.0, v11
	v_add_f32_e32 v6, -1.0, v3
	v_sub_f32_e32 v7, v6, v3
	v_add_f32_e32 v7, 1.0, v7
	v_sub_f32_e32 v6, v11, v6
	v_add_f32_e32 v18, v6, v7
	v_frexp_mant_f32_e32 v19, v3
	v_cvt_f64_f32_e32 v[6:7], v3
	v_frexp_exp_i32_f64_e32 v6, v[6:7]
	v_cmp_gt_f32_e32 vcc, s5, v19
	s_mov_b32 s5, 0x3f317218
	s_nop 0
	v_subbrev_co_u32_e32 v53, vcc, 0, v6, vcc
	v_sub_u32_e32 v6, 0, v53
	v_ldexp_f32 v3, v3, v6
	v_ldexp_f32 v6, v18, v6
	v_add_f32_e32 v18, -1.0, v3
	v_add_f32_e32 v7, 1.0, v18
	v_sub_f32_e32 v7, v3, v7
	v_add_f32_e32 v19, v6, v7
	v_add_f32_e32 v7, 1.0, v3
	v_add_f32_e32 v36, -1.0, v7
	v_sub_f32_e32 v3, v3, v36
	v_add_f32_e32 v3, v6, v3
	v_add_f32_e32 v101, v7, v3
	v_rcp_f32_e32 v102, v101
	v_sub_f32_e32 v6, v7, v101
	v_add_f32_e32 v7, v18, v19
	v_add_f32_e32 v3, v3, v6
	v_mul_f32_e32 v112, v7, v102
	v_sub_f32_e32 v6, v18, v7
	v_mul_f32_e32 v18, v101, v112
	v_fma_f32 v36, v112, v101, -v18
	v_fmac_f32_e32 v36, v112, v3
	v_add_f32_e32 v103, v19, v6
	v_add_f32_e32 v6, v18, v36
	v_sub_f32_e32 v19, v7, v6
	v_pk_add_f32 v[48:49], v[6:7], v[18:19] neg_lo:[0,1] neg_hi:[0,1]
	v_mov_b32_e32 v37, v6
	v_pk_add_f32 v[6:7], v[48:49], v[36:37] neg_lo:[0,1] neg_hi:[0,1]
	v_cmp_eq_f32_e32 vcc, s6, v11
	v_add_f32_e32 v7, v103, v7
	v_add_f32_e32 v6, v6, v7
	;; [unrolled: 1-line block ×3, first 2 shown]
	v_mul_f32_e32 v103, v102, v7
	v_mul_f32_e32 v18, v101, v103
	v_fma_f32 v36, v103, v101, -v18
	v_fmac_f32_e32 v36, v103, v3
	v_sub_f32_e32 v3, v19, v7
	v_add_f32_e32 v3, v6, v3
	v_add_f32_e32 v6, v18, v36
	v_sub_f32_e32 v19, v7, v6
	v_pk_add_f32 v[48:49], v[6:7], v[18:19] neg_lo:[0,1] neg_hi:[0,1]
	v_mov_b32_e32 v37, v6
	v_pk_add_f32 v[6:7], v[48:49], v[36:37] neg_lo:[0,1] neg_hi:[0,1]
	v_cvt_f32_i32_e32 v18, v53
	v_add_f32_e32 v3, v3, v7
	v_add_f32_e32 v3, v6, v3
	;; [unrolled: 1-line block ×4, first 2 shown]
	v_sub_f32_e32 v7, v6, v112
	v_mul_f32_e32 v3, v102, v3
	v_sub_f32_e32 v7, v103, v7
	v_add_f32_e32 v3, v7, v3
	v_add_f32_e32 v19, v6, v3
	v_mul_f32_e32 v36, v19, v19
	v_mov_b32_e32 v7, 0x3ecc95a3
	v_fmac_f32_e32 v7, 0x3e9b6dac, v36
	v_sub_f32_e32 v6, v19, v6
	v_fmaak_f32 v7, v36, v7, 0x3f2aaada
	v_sub_f32_e32 v3, v3, v6
	v_ldexp_f32 v37, v19, 1
	v_mul_f32_e32 v19, v19, v36
	v_mov_b32_e32 v6, 0x3f317218
	v_pk_mul_f32 v[6:7], v[18:19], v[6:7]
	v_ldexp_f32 v3, v3, 1
	v_fma_f32 v19, v18, s5, -v6
	v_fmamk_f32 v36, v18, 0xb102e308, v19
	v_pk_add_f32 v[18:19], v[6:7], v[36:37]
	v_mov_b32_e32 v48, v6
	v_sub_f32_e32 v37, v19, v37
	v_sub_f32_e32 v37, v7, v37
	v_add_f32_e32 v49, v3, v37
	v_pk_add_f32 v[6:7], v[18:19], v[6:7] neg_lo:[0,1] neg_hi:[0,1]
	v_pk_add_f32 v[102:103], v[18:19], v[48:49]
	v_mov_b32_e32 v37, v18
	v_mov_b32_e32 v7, v103
	v_pk_add_f32 v[112:113], v[36:37], v[6:7] neg_lo:[0,1] neg_hi:[0,1]
	v_pk_add_f32 v[6:7], v[36:37], v[6:7]
	v_mov_b32_e32 v48, v49
	v_mov_b32_e32 v36, v7
	v_pk_add_f32 v[114:115], v[36:37], v[18:19] neg_lo:[0,1] neg_hi:[0,1]
	v_mov_b32_e32 v6, v103
	v_mov_b32_e32 v3, v114
	v_pk_add_f32 v[116:117], v[102:103], v[2:3] neg_lo:[0,1] neg_hi:[0,1]
	v_mov_b32_e32 v102, v19
	v_mov_b32_e32 v103, v114
	;; [unrolled: 1-line block ×3, first 2 shown]
	v_pk_add_f32 v[6:7], v[6:7], v[102:103] neg_lo:[0,1] neg_hi:[0,1]
	v_mov_b32_e32 v49, v18
	v_pk_add_f32 v[6:7], v[48:49], v[6:7] neg_lo:[0,1] neg_hi:[0,1]
	v_mov_b32_e32 v116, v112
	v_pk_add_f32 v[18:19], v[116:117], v[6:7]
	s_mov_b32 s5, 0x33800000
	v_mov_b32_e32 v48, v19
	v_pk_add_f32 v[48:49], v[18:19], v[48:49]
	v_cmp_lt_f32_e64 s[6:7], |v11|, s5
	v_pk_add_f32 v[36:37], v[36:37], v[48:49]
	v_mov_b32_e32 v7, v48
	v_mov_b32_e32 v19, v36
	v_pk_add_f32 v[102:103], v[18:19], v[112:113] neg_lo:[0,1] neg_hi:[0,1]
	s_or_b64 vcc, vcc, s[6:7]
	v_sub_f32_e32 v3, v18, v102
	v_pk_add_f32 v[6:7], v[6:7], v[102:103] neg_lo:[0,1] neg_hi:[0,1]
	v_sub_f32_e32 v3, v112, v3
	v_add_f32_e32 v3, v6, v3
	v_add_f32_e32 v3, v3, v7
	;; [unrolled: 1-line block ×3, first 2 shown]
	v_cndmask_b32_e32 v3, v3, v11, vcc
	v_add_f32_e32 v53, v2, v3
.LBB141_376:
	s_or_b64 exec, exec, s[2:3]
	v_max_f32_e32 v2, v53, v53
	v_min_f32_e32 v3, v2, v54
	v_cmp_u_f32_e32 vcc, v53, v53
	v_max_f32_e32 v2, v2, v54
	v_mov_b32_e32 v54, v53
	v_cndmask_b32_e32 v3, v3, v53, vcc
	v_cndmask_b32_e32 v2, v2, v53, vcc
	v_cndmask_b32_e64 v3, v3, v38, s[12:13]
	v_cndmask_b32_e64 v2, v2, v38, s[12:13]
	v_cmp_neq_f32_e32 vcc, v3, v2
	v_cmp_class_f32_e64 s[2:3], v3, s4
	s_or_b64 s[4:5], vcc, s[2:3]
	s_and_saveexec_b64 s[2:3], s[4:5]
	s_cbranch_execz .LBB141_378
; %bb.377:
	v_sub_f32_e32 v3, v3, v2
	s_mov_b32 s4, 0x3fb8aa3b
	v_mul_f32_e32 v6, 0x3fb8aa3b, v3
	v_fma_f32 v7, v3, s4, -v6
	v_rndne_f32_e32 v11, v6
	v_fmamk_f32 v7, v3, 0x32a5705f, v7
	v_sub_f32_e32 v6, v6, v11
	v_add_f32_e32 v6, v6, v7
	v_exp_f32_e32 v6, v6
	v_cvt_i32_f32_e32 v7, v11
	s_mov_b32 s4, 0xc2ce8ed0
	v_cmp_ngt_f32_e32 vcc, s4, v3
	s_mov_b32 s4, 0x42b17218
	v_ldexp_f32 v6, v6, v7
	v_cndmask_b32_e32 v6, 0, v6, vcc
	v_mov_b32_e32 v7, 0x7f800000
	v_cmp_nlt_f32_e32 vcc, s4, v3
	s_mov_b32 s4, 0x3f2aaaab
	s_mov_b32 s5, 0x7f800000
	v_cndmask_b32_e32 v11, v7, v6, vcc
	v_add_f32_e32 v3, 1.0, v11
	v_add_f32_e32 v6, -1.0, v3
	v_sub_f32_e32 v7, v6, v3
	v_add_f32_e32 v7, 1.0, v7
	v_sub_f32_e32 v6, v11, v6
	v_add_f32_e32 v18, v6, v7
	v_frexp_mant_f32_e32 v19, v3
	v_cvt_f64_f32_e32 v[6:7], v3
	v_frexp_exp_i32_f64_e32 v6, v[6:7]
	v_cmp_gt_f32_e32 vcc, s4, v19
	s_mov_b32 s4, 0x3f317218
	s_nop 0
	v_subbrev_co_u32_e32 v38, vcc, 0, v6, vcc
	v_sub_u32_e32 v6, 0, v38
	v_ldexp_f32 v3, v3, v6
	v_ldexp_f32 v6, v18, v6
	v_add_f32_e32 v18, -1.0, v3
	v_add_f32_e32 v7, 1.0, v18
	v_sub_f32_e32 v7, v3, v7
	v_add_f32_e32 v19, v6, v7
	v_add_f32_e32 v7, 1.0, v3
	v_add_f32_e32 v36, -1.0, v7
	v_sub_f32_e32 v3, v3, v36
	v_add_f32_e32 v3, v6, v3
	v_add_f32_e32 v54, v7, v3
	v_rcp_f32_e32 v101, v54
	v_sub_f32_e32 v6, v7, v54
	v_add_f32_e32 v7, v18, v19
	v_add_f32_e32 v3, v3, v6
	v_mul_f32_e32 v103, v7, v101
	v_sub_f32_e32 v6, v18, v7
	v_mul_f32_e32 v18, v54, v103
	v_fma_f32 v36, v103, v54, -v18
	v_fmac_f32_e32 v36, v103, v3
	v_add_f32_e32 v102, v19, v6
	v_add_f32_e32 v6, v18, v36
	v_sub_f32_e32 v19, v7, v6
	v_pk_add_f32 v[48:49], v[6:7], v[18:19] neg_lo:[0,1] neg_hi:[0,1]
	v_mov_b32_e32 v37, v6
	v_pk_add_f32 v[6:7], v[48:49], v[36:37] neg_lo:[0,1] neg_hi:[0,1]
	v_cmp_eq_f32_e32 vcc, s5, v11
	v_add_f32_e32 v7, v102, v7
	v_add_f32_e32 v6, v6, v7
	;; [unrolled: 1-line block ×3, first 2 shown]
	v_mul_f32_e32 v102, v101, v7
	v_mul_f32_e32 v18, v54, v102
	v_fma_f32 v36, v102, v54, -v18
	v_fmac_f32_e32 v36, v102, v3
	v_sub_f32_e32 v3, v19, v7
	v_add_f32_e32 v3, v6, v3
	v_add_f32_e32 v6, v18, v36
	v_sub_f32_e32 v19, v7, v6
	v_pk_add_f32 v[48:49], v[6:7], v[18:19] neg_lo:[0,1] neg_hi:[0,1]
	v_mov_b32_e32 v37, v6
	v_pk_add_f32 v[6:7], v[48:49], v[36:37] neg_lo:[0,1] neg_hi:[0,1]
	v_cvt_f32_i32_e32 v18, v38
	v_add_f32_e32 v3, v3, v7
	v_add_f32_e32 v3, v6, v3
	;; [unrolled: 1-line block ×4, first 2 shown]
	v_sub_f32_e32 v7, v6, v103
	v_mul_f32_e32 v3, v101, v3
	v_sub_f32_e32 v7, v102, v7
	v_add_f32_e32 v3, v7, v3
	v_add_f32_e32 v19, v6, v3
	v_mul_f32_e32 v36, v19, v19
	v_mov_b32_e32 v7, 0x3ecc95a3
	v_fmac_f32_e32 v7, 0x3e9b6dac, v36
	v_sub_f32_e32 v6, v19, v6
	v_fmaak_f32 v7, v36, v7, 0x3f2aaada
	v_sub_f32_e32 v3, v3, v6
	v_ldexp_f32 v37, v19, 1
	v_mul_f32_e32 v19, v19, v36
	v_mov_b32_e32 v6, 0x3f317218
	v_pk_mul_f32 v[6:7], v[18:19], v[6:7]
	v_ldexp_f32 v3, v3, 1
	v_fma_f32 v19, v18, s4, -v6
	v_fmamk_f32 v36, v18, 0xb102e308, v19
	v_pk_add_f32 v[18:19], v[6:7], v[36:37]
	v_mov_b32_e32 v48, v6
	v_sub_f32_e32 v37, v19, v37
	v_sub_f32_e32 v37, v7, v37
	v_add_f32_e32 v49, v3, v37
	v_pk_add_f32 v[6:7], v[18:19], v[6:7] neg_lo:[0,1] neg_hi:[0,1]
	v_pk_add_f32 v[102:103], v[18:19], v[48:49]
	v_mov_b32_e32 v37, v18
	v_mov_b32_e32 v7, v103
	v_pk_add_f32 v[112:113], v[36:37], v[6:7] neg_lo:[0,1] neg_hi:[0,1]
	v_pk_add_f32 v[6:7], v[36:37], v[6:7]
	v_mov_b32_e32 v48, v49
	v_mov_b32_e32 v36, v7
	v_pk_add_f32 v[114:115], v[36:37], v[18:19] neg_lo:[0,1] neg_hi:[0,1]
	v_mov_b32_e32 v6, v103
	v_mov_b32_e32 v3, v114
	v_pk_add_f32 v[116:117], v[102:103], v[2:3] neg_lo:[0,1] neg_hi:[0,1]
	v_mov_b32_e32 v102, v19
	v_mov_b32_e32 v103, v114
	;; [unrolled: 1-line block ×3, first 2 shown]
	v_pk_add_f32 v[6:7], v[6:7], v[102:103] neg_lo:[0,1] neg_hi:[0,1]
	v_mov_b32_e32 v49, v18
	v_pk_add_f32 v[6:7], v[48:49], v[6:7] neg_lo:[0,1] neg_hi:[0,1]
	v_mov_b32_e32 v116, v112
	v_pk_add_f32 v[18:19], v[116:117], v[6:7]
	s_mov_b32 s4, 0x33800000
	v_mov_b32_e32 v38, v19
	v_pk_add_f32 v[48:49], v[18:19], v[38:39]
	v_cmp_lt_f32_e64 s[4:5], |v11|, s4
	v_pk_add_f32 v[36:37], v[36:37], v[48:49]
	v_mov_b32_e32 v7, v48
	v_mov_b32_e32 v19, v36
	v_pk_add_f32 v[102:103], v[18:19], v[112:113] neg_lo:[0,1] neg_hi:[0,1]
	s_or_b64 vcc, vcc, s[4:5]
	v_sub_f32_e32 v3, v18, v102
	v_pk_add_f32 v[6:7], v[6:7], v[102:103] neg_lo:[0,1] neg_hi:[0,1]
	v_sub_f32_e32 v3, v112, v3
	v_add_f32_e32 v3, v6, v3
	v_add_f32_e32 v3, v3, v7
	;; [unrolled: 1-line block ×3, first 2 shown]
	v_cndmask_b32_e32 v3, v3, v11, vcc
	v_add_f32_e32 v54, v2, v3
.LBB141_378:
	s_or_b64 exec, exec, s[2:3]
	v_max_f32_e32 v2, v54, v54
	v_min_f32_e32 v3, v2, v55
	v_cmp_u_f32_e32 vcc, v54, v54
	v_max_f32_e32 v2, v2, v55
	s_movk_i32 s4, 0x1f8
	v_cndmask_b32_e32 v3, v3, v54, vcc
	v_cndmask_b32_e32 v2, v2, v54, vcc
	v_cndmask_b32_e64 v3, v3, v39, s[14:15]
	v_cndmask_b32_e64 v2, v2, v39, s[14:15]
	v_cmp_neq_f32_e32 vcc, v3, v2
	v_cmp_class_f32_e64 s[2:3], v3, s4
	s_or_b64 s[6:7], vcc, s[2:3]
	v_mov_b32_e32 v55, v54
	s_and_saveexec_b64 s[2:3], s[6:7]
	s_cbranch_execz .LBB141_380
; %bb.379:
	v_sub_f32_e32 v3, v3, v2
	s_mov_b32 s5, 0x3fb8aa3b
	v_mul_f32_e32 v6, 0x3fb8aa3b, v3
	v_fma_f32 v7, v3, s5, -v6
	v_rndne_f32_e32 v11, v6
	v_fmamk_f32 v7, v3, 0x32a5705f, v7
	v_sub_f32_e32 v6, v6, v11
	v_add_f32_e32 v6, v6, v7
	v_exp_f32_e32 v6, v6
	v_cvt_i32_f32_e32 v7, v11
	s_mov_b32 s5, 0xc2ce8ed0
	v_cmp_ngt_f32_e32 vcc, s5, v3
	s_mov_b32 s5, 0x42b17218
	v_ldexp_f32 v6, v6, v7
	v_cndmask_b32_e32 v6, 0, v6, vcc
	v_mov_b32_e32 v7, 0x7f800000
	v_cmp_nlt_f32_e32 vcc, s5, v3
	s_mov_b32 s5, 0x3f2aaaab
	s_mov_b32 s6, 0x7f800000
	v_cndmask_b32_e32 v11, v7, v6, vcc
	v_add_f32_e32 v3, 1.0, v11
	v_add_f32_e32 v6, -1.0, v3
	v_sub_f32_e32 v7, v6, v3
	v_add_f32_e32 v7, 1.0, v7
	v_sub_f32_e32 v6, v11, v6
	v_add_f32_e32 v18, v6, v7
	v_frexp_mant_f32_e32 v19, v3
	v_cvt_f64_f32_e32 v[6:7], v3
	v_frexp_exp_i32_f64_e32 v6, v[6:7]
	v_cmp_gt_f32_e32 vcc, s5, v19
	s_mov_b32 s5, 0x3f317218
	s_nop 0
	v_subbrev_co_u32_e32 v48, vcc, 0, v6, vcc
	v_sub_u32_e32 v6, 0, v48
	v_ldexp_f32 v3, v3, v6
	v_ldexp_f32 v6, v18, v6
	v_add_f32_e32 v18, -1.0, v3
	v_add_f32_e32 v7, 1.0, v18
	v_sub_f32_e32 v7, v3, v7
	v_add_f32_e32 v19, v6, v7
	v_add_f32_e32 v7, 1.0, v3
	v_add_f32_e32 v36, -1.0, v7
	v_sub_f32_e32 v3, v3, v36
	v_add_f32_e32 v3, v6, v3
	v_add_f32_e32 v49, v7, v3
	v_rcp_f32_e32 v55, v49
	v_sub_f32_e32 v6, v7, v49
	v_add_f32_e32 v7, v18, v19
	v_add_f32_e32 v3, v3, v6
	v_mul_f32_e32 v102, v7, v55
	v_sub_f32_e32 v6, v18, v7
	v_mul_f32_e32 v18, v49, v102
	v_fma_f32 v36, v102, v49, -v18
	v_fmac_f32_e32 v36, v102, v3
	v_add_f32_e32 v101, v19, v6
	v_add_f32_e32 v6, v18, v36
	v_sub_f32_e32 v19, v7, v6
	v_pk_add_f32 v[38:39], v[6:7], v[18:19] neg_lo:[0,1] neg_hi:[0,1]
	v_mov_b32_e32 v37, v6
	v_pk_add_f32 v[6:7], v[38:39], v[36:37] neg_lo:[0,1] neg_hi:[0,1]
	v_cmp_eq_f32_e32 vcc, s6, v11
	v_add_f32_e32 v7, v101, v7
	v_add_f32_e32 v6, v6, v7
	;; [unrolled: 1-line block ×3, first 2 shown]
	v_mul_f32_e32 v101, v55, v7
	v_mul_f32_e32 v18, v49, v101
	v_fma_f32 v36, v101, v49, -v18
	v_fmac_f32_e32 v36, v101, v3
	v_sub_f32_e32 v3, v19, v7
	v_add_f32_e32 v3, v6, v3
	v_add_f32_e32 v6, v18, v36
	v_sub_f32_e32 v19, v7, v6
	v_pk_add_f32 v[38:39], v[6:7], v[18:19] neg_lo:[0,1] neg_hi:[0,1]
	v_mov_b32_e32 v37, v6
	v_pk_add_f32 v[6:7], v[38:39], v[36:37] neg_lo:[0,1] neg_hi:[0,1]
	v_cvt_f32_i32_e32 v18, v48
	v_add_f32_e32 v3, v3, v7
	v_add_f32_e32 v3, v6, v3
	;; [unrolled: 1-line block ×4, first 2 shown]
	v_sub_f32_e32 v7, v6, v102
	v_mul_f32_e32 v3, v55, v3
	v_sub_f32_e32 v7, v101, v7
	v_add_f32_e32 v3, v7, v3
	v_add_f32_e32 v19, v6, v3
	v_mul_f32_e32 v36, v19, v19
	v_mov_b32_e32 v7, 0x3ecc95a3
	v_fmac_f32_e32 v7, 0x3e9b6dac, v36
	v_sub_f32_e32 v6, v19, v6
	v_fmaak_f32 v7, v36, v7, 0x3f2aaada
	v_sub_f32_e32 v3, v3, v6
	v_ldexp_f32 v37, v19, 1
	v_mul_f32_e32 v19, v19, v36
	v_mov_b32_e32 v6, 0x3f317218
	v_pk_mul_f32 v[6:7], v[18:19], v[6:7]
	v_ldexp_f32 v3, v3, 1
	v_fma_f32 v19, v18, s5, -v6
	v_fmamk_f32 v36, v18, 0xb102e308, v19
	v_pk_add_f32 v[18:19], v[6:7], v[36:37]
	v_mov_b32_e32 v38, v6
	v_sub_f32_e32 v37, v19, v37
	v_sub_f32_e32 v37, v7, v37
	v_add_f32_e32 v39, v3, v37
	v_pk_add_f32 v[6:7], v[18:19], v[6:7] neg_lo:[0,1] neg_hi:[0,1]
	v_pk_add_f32 v[48:49], v[18:19], v[38:39]
	v_mov_b32_e32 v37, v18
	v_mov_b32_e32 v7, v49
	v_pk_add_f32 v[102:103], v[36:37], v[6:7] neg_lo:[0,1] neg_hi:[0,1]
	v_pk_add_f32 v[6:7], v[36:37], v[6:7]
	v_mov_b32_e32 v38, v39
	v_mov_b32_e32 v36, v7
	v_pk_add_f32 v[112:113], v[36:37], v[18:19] neg_lo:[0,1] neg_hi:[0,1]
	v_mov_b32_e32 v6, v49
	v_mov_b32_e32 v3, v112
	v_pk_add_f32 v[114:115], v[48:49], v[2:3] neg_lo:[0,1] neg_hi:[0,1]
	v_mov_b32_e32 v48, v19
	v_mov_b32_e32 v49, v112
	;; [unrolled: 1-line block ×3, first 2 shown]
	v_pk_add_f32 v[6:7], v[6:7], v[48:49] neg_lo:[0,1] neg_hi:[0,1]
	v_mov_b32_e32 v39, v18
	v_pk_add_f32 v[6:7], v[38:39], v[6:7] neg_lo:[0,1] neg_hi:[0,1]
	v_mov_b32_e32 v114, v102
	v_pk_add_f32 v[18:19], v[114:115], v[6:7]
	s_mov_b32 s5, 0x33800000
	v_mov_b32_e32 v38, v19
	v_pk_add_f32 v[38:39], v[18:19], v[38:39]
	v_cmp_lt_f32_e64 s[6:7], |v11|, s5
	v_pk_add_f32 v[36:37], v[36:37], v[38:39]
	v_mov_b32_e32 v7, v38
	v_mov_b32_e32 v19, v36
	v_pk_add_f32 v[48:49], v[18:19], v[102:103] neg_lo:[0,1] neg_hi:[0,1]
	s_or_b64 vcc, vcc, s[6:7]
	v_sub_f32_e32 v3, v18, v48
	v_pk_add_f32 v[6:7], v[6:7], v[48:49] neg_lo:[0,1] neg_hi:[0,1]
	v_sub_f32_e32 v3, v102, v3
	v_add_f32_e32 v3, v6, v3
	v_add_f32_e32 v3, v3, v7
	;; [unrolled: 1-line block ×3, first 2 shown]
	v_cndmask_b32_e32 v3, v3, v11, vcc
	v_add_f32_e32 v55, v2, v3
.LBB141_380:
	s_or_b64 exec, exec, s[2:3]
	v_max_f32_e32 v2, v55, v55
	v_min_f32_e32 v3, v2, v64
	v_cmp_u_f32_e32 vcc, v55, v55
	v_max_f32_e32 v2, v2, v64
	v_mov_b32_e32 v64, v55
	v_cndmask_b32_e32 v3, v3, v55, vcc
	v_cndmask_b32_e32 v2, v2, v55, vcc
	v_cndmask_b32_e64 v3, v3, v32, s[16:17]
	v_cndmask_b32_e64 v2, v2, v32, s[16:17]
	v_cmp_neq_f32_e32 vcc, v3, v2
	v_cmp_class_f32_e64 s[2:3], v3, s4
	s_or_b64 s[4:5], vcc, s[2:3]
	s_and_saveexec_b64 s[2:3], s[4:5]
	s_cbranch_execz .LBB141_382
; %bb.381:
	v_sub_f32_e32 v3, v3, v2
	s_mov_b32 s4, 0x3fb8aa3b
	v_mul_f32_e32 v6, 0x3fb8aa3b, v3
	v_fma_f32 v7, v3, s4, -v6
	v_rndne_f32_e32 v11, v6
	v_fmamk_f32 v7, v3, 0x32a5705f, v7
	v_sub_f32_e32 v6, v6, v11
	v_add_f32_e32 v6, v6, v7
	v_exp_f32_e32 v6, v6
	v_cvt_i32_f32_e32 v7, v11
	s_mov_b32 s4, 0xc2ce8ed0
	v_cmp_ngt_f32_e32 vcc, s4, v3
	s_mov_b32 s4, 0x42b17218
	v_ldexp_f32 v6, v6, v7
	v_cndmask_b32_e32 v6, 0, v6, vcc
	v_mov_b32_e32 v7, 0x7f800000
	v_cmp_nlt_f32_e32 vcc, s4, v3
	s_mov_b32 s4, 0x3f2aaaab
	s_mov_b32 s5, 0x7f800000
	v_cndmask_b32_e32 v11, v7, v6, vcc
	v_add_f32_e32 v3, 1.0, v11
	v_add_f32_e32 v6, -1.0, v3
	v_sub_f32_e32 v7, v6, v3
	v_add_f32_e32 v7, 1.0, v7
	v_sub_f32_e32 v6, v11, v6
	v_add_f32_e32 v18, v6, v7
	v_frexp_mant_f32_e32 v19, v3
	v_cvt_f64_f32_e32 v[6:7], v3
	v_frexp_exp_i32_f64_e32 v6, v[6:7]
	v_cmp_gt_f32_e32 vcc, s4, v19
	s_mov_b32 s4, 0x3f317218
	s_nop 0
	v_subbrev_co_u32_e32 v32, vcc, 0, v6, vcc
	v_sub_u32_e32 v6, 0, v32
	v_ldexp_f32 v3, v3, v6
	v_ldexp_f32 v6, v18, v6
	v_add_f32_e32 v18, -1.0, v3
	v_add_f32_e32 v7, 1.0, v18
	v_sub_f32_e32 v7, v3, v7
	v_add_f32_e32 v19, v6, v7
	v_add_f32_e32 v7, 1.0, v3
	v_add_f32_e32 v36, -1.0, v7
	v_sub_f32_e32 v3, v3, v36
	v_add_f32_e32 v3, v6, v3
	v_add_f32_e32 v48, v7, v3
	v_rcp_f32_e32 v49, v48
	v_sub_f32_e32 v6, v7, v48
	v_add_f32_e32 v7, v18, v19
	v_add_f32_e32 v3, v3, v6
	v_mul_f32_e32 v101, v7, v49
	v_sub_f32_e32 v6, v18, v7
	v_mul_f32_e32 v18, v48, v101
	v_fma_f32 v36, v101, v48, -v18
	v_fmac_f32_e32 v36, v101, v3
	v_add_f32_e32 v64, v19, v6
	v_add_f32_e32 v6, v18, v36
	v_sub_f32_e32 v19, v7, v6
	v_pk_add_f32 v[38:39], v[6:7], v[18:19] neg_lo:[0,1] neg_hi:[0,1]
	v_mov_b32_e32 v37, v6
	v_pk_add_f32 v[6:7], v[38:39], v[36:37] neg_lo:[0,1] neg_hi:[0,1]
	v_cmp_eq_f32_e32 vcc, s5, v11
	v_add_f32_e32 v7, v64, v7
	v_add_f32_e32 v6, v6, v7
	;; [unrolled: 1-line block ×3, first 2 shown]
	v_mul_f32_e32 v64, v49, v7
	v_mul_f32_e32 v18, v48, v64
	v_fma_f32 v36, v64, v48, -v18
	v_fmac_f32_e32 v36, v64, v3
	v_sub_f32_e32 v3, v19, v7
	v_add_f32_e32 v3, v6, v3
	v_add_f32_e32 v6, v18, v36
	v_sub_f32_e32 v19, v7, v6
	v_pk_add_f32 v[38:39], v[6:7], v[18:19] neg_lo:[0,1] neg_hi:[0,1]
	v_mov_b32_e32 v37, v6
	v_pk_add_f32 v[6:7], v[38:39], v[36:37] neg_lo:[0,1] neg_hi:[0,1]
	v_cvt_f32_i32_e32 v18, v32
	v_add_f32_e32 v3, v3, v7
	v_add_f32_e32 v3, v6, v3
	;; [unrolled: 1-line block ×4, first 2 shown]
	v_sub_f32_e32 v7, v6, v101
	v_mul_f32_e32 v3, v49, v3
	v_sub_f32_e32 v7, v64, v7
	v_add_f32_e32 v3, v7, v3
	v_add_f32_e32 v19, v6, v3
	v_mul_f32_e32 v36, v19, v19
	v_mov_b32_e32 v7, 0x3ecc95a3
	v_fmac_f32_e32 v7, 0x3e9b6dac, v36
	v_sub_f32_e32 v6, v19, v6
	v_fmaak_f32 v7, v36, v7, 0x3f2aaada
	v_sub_f32_e32 v3, v3, v6
	v_ldexp_f32 v37, v19, 1
	v_mul_f32_e32 v19, v19, v36
	v_mov_b32_e32 v6, 0x3f317218
	v_pk_mul_f32 v[6:7], v[18:19], v[6:7]
	v_ldexp_f32 v3, v3, 1
	v_fma_f32 v19, v18, s4, -v6
	v_fmamk_f32 v36, v18, 0xb102e308, v19
	v_pk_add_f32 v[18:19], v[6:7], v[36:37]
	v_mov_b32_e32 v38, v6
	v_sub_f32_e32 v32, v19, v37
	v_sub_f32_e32 v32, v7, v32
	v_add_f32_e32 v39, v3, v32
	v_pk_add_f32 v[6:7], v[18:19], v[6:7] neg_lo:[0,1] neg_hi:[0,1]
	v_pk_add_f32 v[48:49], v[18:19], v[38:39]
	v_mov_b32_e32 v37, v18
	v_mov_b32_e32 v7, v49
	v_pk_add_f32 v[102:103], v[36:37], v[6:7] neg_lo:[0,1] neg_hi:[0,1]
	v_pk_add_f32 v[6:7], v[36:37], v[6:7]
	s_mov_b32 s4, 0x33800000
	v_mov_b32_e32 v32, v7
	v_pk_add_f32 v[36:37], v[32:33], v[18:19] neg_lo:[0,1] neg_hi:[0,1]
	v_mov_b32_e32 v6, v49
	v_mov_b32_e32 v3, v36
	v_pk_add_f32 v[112:113], v[48:49], v[2:3] neg_lo:[0,1] neg_hi:[0,1]
	v_mov_b32_e32 v48, v19
	v_mov_b32_e32 v49, v36
	;; [unrolled: 1-line block ×3, first 2 shown]
	v_pk_add_f32 v[6:7], v[6:7], v[48:49] neg_lo:[0,1] neg_hi:[0,1]
	v_mov_b32_e32 v36, v39
	v_mov_b32_e32 v37, v18
	v_pk_add_f32 v[6:7], v[36:37], v[6:7] neg_lo:[0,1] neg_hi:[0,1]
	v_mov_b32_e32 v112, v102
	v_pk_add_f32 v[18:19], v[112:113], v[6:7]
	v_cmp_lt_f32_e64 s[4:5], |v11|, s4
	v_mov_b32_e32 v36, v19
	v_pk_add_f32 v[36:37], v[18:19], v[36:37]
	s_or_b64 vcc, vcc, s[4:5]
	v_pk_add_f32 v[38:39], v[32:33], v[36:37]
	v_mov_b32_e32 v7, v36
	v_mov_b32_e32 v19, v38
	v_pk_add_f32 v[48:49], v[18:19], v[102:103] neg_lo:[0,1] neg_hi:[0,1]
	s_nop 0
	v_sub_f32_e32 v3, v18, v48
	v_pk_add_f32 v[6:7], v[6:7], v[48:49] neg_lo:[0,1] neg_hi:[0,1]
	v_sub_f32_e32 v3, v102, v3
	v_add_f32_e32 v3, v6, v3
	v_add_f32_e32 v3, v3, v7
	;; [unrolled: 1-line block ×3, first 2 shown]
	v_cndmask_b32_e32 v3, v3, v11, vcc
	v_add_f32_e32 v64, v2, v3
.LBB141_382:
	s_or_b64 exec, exec, s[2:3]
	v_max_f32_e32 v2, v64, v64
	v_min_f32_e32 v3, v2, v65
	v_cmp_u_f32_e32 vcc, v64, v64
	v_max_f32_e32 v2, v2, v65
	s_movk_i32 s4, 0x1f8
	v_cndmask_b32_e32 v3, v3, v64, vcc
	v_cndmask_b32_e32 v2, v2, v64, vcc
	v_cndmask_b32_e64 v3, v3, v33, s[18:19]
	v_cndmask_b32_e64 v2, v2, v33, s[18:19]
	v_cmp_neq_f32_e32 vcc, v3, v2
	v_cmp_class_f32_e64 s[2:3], v3, s4
	s_or_b64 s[6:7], vcc, s[2:3]
	v_mov_b32_e32 v65, v64
	s_and_saveexec_b64 s[2:3], s[6:7]
	s_cbranch_execz .LBB141_384
; %bb.383:
	v_sub_f32_e32 v3, v3, v2
	s_mov_b32 s5, 0x3fb8aa3b
	v_mul_f32_e32 v6, 0x3fb8aa3b, v3
	v_fma_f32 v7, v3, s5, -v6
	v_rndne_f32_e32 v11, v6
	v_fmamk_f32 v7, v3, 0x32a5705f, v7
	v_sub_f32_e32 v6, v6, v11
	v_add_f32_e32 v6, v6, v7
	v_exp_f32_e32 v6, v6
	v_cvt_i32_f32_e32 v7, v11
	s_mov_b32 s5, 0xc2ce8ed0
	v_cmp_ngt_f32_e32 vcc, s5, v3
	s_mov_b32 s5, 0x42b17218
	v_ldexp_f32 v6, v6, v7
	v_cndmask_b32_e32 v6, 0, v6, vcc
	v_mov_b32_e32 v7, 0x7f800000
	v_cmp_nlt_f32_e32 vcc, s5, v3
	s_mov_b32 s5, 0x3f2aaaab
	s_mov_b32 s6, 0x7f800000
	v_cndmask_b32_e32 v11, v7, v6, vcc
	v_add_f32_e32 v3, 1.0, v11
	v_add_f32_e32 v6, -1.0, v3
	v_sub_f32_e32 v7, v6, v3
	v_add_f32_e32 v7, 1.0, v7
	v_sub_f32_e32 v6, v11, v6
	v_add_f32_e32 v18, v6, v7
	v_frexp_mant_f32_e32 v19, v3
	v_cvt_f64_f32_e32 v[6:7], v3
	v_frexp_exp_i32_f64_e32 v6, v[6:7]
	v_cmp_gt_f32_e32 vcc, s5, v19
	s_mov_b32 s5, 0x3f317218
	s_nop 0
	v_subbrev_co_u32_e32 v38, vcc, 0, v6, vcc
	v_sub_u32_e32 v6, 0, v38
	v_ldexp_f32 v3, v3, v6
	v_ldexp_f32 v6, v18, v6
	v_add_f32_e32 v18, -1.0, v3
	v_add_f32_e32 v7, 1.0, v18
	v_sub_f32_e32 v7, v3, v7
	v_add_f32_e32 v19, v6, v7
	v_add_f32_e32 v7, 1.0, v3
	v_add_f32_e32 v32, -1.0, v7
	v_sub_f32_e32 v3, v3, v32
	v_add_f32_e32 v3, v6, v3
	v_add_f32_e32 v39, v7, v3
	v_rcp_f32_e32 v48, v39
	v_sub_f32_e32 v6, v7, v39
	v_add_f32_e32 v7, v18, v19
	v_add_f32_e32 v3, v3, v6
	v_mul_f32_e32 v65, v7, v48
	v_sub_f32_e32 v6, v18, v7
	v_mul_f32_e32 v18, v39, v65
	v_fma_f32 v32, v65, v39, -v18
	v_fmac_f32_e32 v32, v65, v3
	v_add_f32_e32 v49, v19, v6
	v_add_f32_e32 v6, v18, v32
	v_sub_f32_e32 v19, v7, v6
	v_pk_add_f32 v[36:37], v[6:7], v[18:19] neg_lo:[0,1] neg_hi:[0,1]
	v_mov_b32_e32 v33, v6
	v_pk_add_f32 v[6:7], v[36:37], v[32:33] neg_lo:[0,1] neg_hi:[0,1]
	v_cmp_eq_f32_e32 vcc, s6, v11
	v_add_f32_e32 v7, v49, v7
	v_add_f32_e32 v6, v6, v7
	;; [unrolled: 1-line block ×3, first 2 shown]
	v_mul_f32_e32 v49, v48, v7
	v_mul_f32_e32 v18, v39, v49
	v_fma_f32 v32, v49, v39, -v18
	v_fmac_f32_e32 v32, v49, v3
	v_sub_f32_e32 v3, v19, v7
	v_add_f32_e32 v3, v6, v3
	v_add_f32_e32 v6, v18, v32
	v_sub_f32_e32 v19, v7, v6
	v_pk_add_f32 v[36:37], v[6:7], v[18:19] neg_lo:[0,1] neg_hi:[0,1]
	v_mov_b32_e32 v33, v6
	v_pk_add_f32 v[6:7], v[36:37], v[32:33] neg_lo:[0,1] neg_hi:[0,1]
	v_cvt_f32_i32_e32 v18, v38
	v_add_f32_e32 v3, v3, v7
	v_add_f32_e32 v3, v6, v3
	;; [unrolled: 1-line block ×4, first 2 shown]
	v_sub_f32_e32 v7, v6, v65
	v_mul_f32_e32 v3, v48, v3
	v_sub_f32_e32 v7, v49, v7
	v_add_f32_e32 v3, v7, v3
	v_add_f32_e32 v19, v6, v3
	v_mul_f32_e32 v32, v19, v19
	v_mov_b32_e32 v7, 0x3ecc95a3
	v_fmac_f32_e32 v7, 0x3e9b6dac, v32
	v_sub_f32_e32 v6, v19, v6
	v_fmaak_f32 v7, v32, v7, 0x3f2aaada
	v_sub_f32_e32 v3, v3, v6
	v_ldexp_f32 v33, v19, 1
	v_mul_f32_e32 v19, v19, v32
	v_mov_b32_e32 v6, 0x3f317218
	v_pk_mul_f32 v[6:7], v[18:19], v[6:7]
	v_ldexp_f32 v3, v3, 1
	v_fma_f32 v19, v18, s5, -v6
	v_fmamk_f32 v32, v18, 0xb102e308, v19
	v_pk_add_f32 v[18:19], v[6:7], v[32:33]
	v_mov_b32_e32 v36, v6
	v_sub_f32_e32 v33, v19, v33
	v_sub_f32_e32 v33, v7, v33
	v_add_f32_e32 v37, v3, v33
	v_pk_add_f32 v[6:7], v[18:19], v[6:7] neg_lo:[0,1] neg_hi:[0,1]
	v_pk_add_f32 v[38:39], v[18:19], v[36:37]
	v_mov_b32_e32 v33, v18
	v_mov_b32_e32 v7, v39
	v_pk_add_f32 v[48:49], v[32:33], v[6:7] neg_lo:[0,1] neg_hi:[0,1]
	v_pk_add_f32 v[6:7], v[32:33], v[6:7]
	v_mov_b32_e32 v36, v37
	v_mov_b32_e32 v32, v7
	v_pk_add_f32 v[102:103], v[32:33], v[18:19] neg_lo:[0,1] neg_hi:[0,1]
	v_mov_b32_e32 v6, v39
	v_mov_b32_e32 v3, v102
	v_pk_add_f32 v[112:113], v[38:39], v[2:3] neg_lo:[0,1] neg_hi:[0,1]
	v_mov_b32_e32 v38, v19
	v_mov_b32_e32 v39, v102
	;; [unrolled: 1-line block ×3, first 2 shown]
	v_pk_add_f32 v[6:7], v[6:7], v[38:39] neg_lo:[0,1] neg_hi:[0,1]
	v_mov_b32_e32 v37, v18
	v_pk_add_f32 v[6:7], v[36:37], v[6:7] neg_lo:[0,1] neg_hi:[0,1]
	v_mov_b32_e32 v112, v48
	v_pk_add_f32 v[18:19], v[112:113], v[6:7]
	s_mov_b32 s5, 0x33800000
	v_mov_b32_e32 v36, v19
	v_pk_add_f32 v[36:37], v[18:19], v[36:37]
	v_cmp_lt_f32_e64 s[6:7], |v11|, s5
	v_pk_add_f32 v[32:33], v[32:33], v[36:37]
	v_mov_b32_e32 v7, v36
	v_mov_b32_e32 v19, v32
	v_pk_add_f32 v[38:39], v[18:19], v[48:49] neg_lo:[0,1] neg_hi:[0,1]
	s_or_b64 vcc, vcc, s[6:7]
	v_sub_f32_e32 v3, v18, v38
	v_pk_add_f32 v[6:7], v[6:7], v[38:39] neg_lo:[0,1] neg_hi:[0,1]
	v_sub_f32_e32 v3, v48, v3
	v_add_f32_e32 v3, v6, v3
	v_add_f32_e32 v3, v3, v7
	;; [unrolled: 1-line block ×3, first 2 shown]
	v_cndmask_b32_e32 v3, v3, v11, vcc
	v_add_f32_e32 v65, v2, v3
.LBB141_384:
	s_or_b64 exec, exec, s[2:3]
	v_max_f32_e32 v2, v65, v65
	v_min_f32_e32 v3, v2, v66
	v_cmp_u_f32_e32 vcc, v65, v65
	v_max_f32_e32 v2, v2, v66
	v_mov_b32_e32 v66, v65
	v_cndmask_b32_e32 v3, v3, v65, vcc
	v_cndmask_b32_e32 v2, v2, v65, vcc
	v_cndmask_b32_e64 v3, v3, v34, s[20:21]
	v_cndmask_b32_e64 v2, v2, v34, s[20:21]
	v_cmp_neq_f32_e32 vcc, v3, v2
	v_cmp_class_f32_e64 s[2:3], v3, s4
	s_or_b64 s[4:5], vcc, s[2:3]
	s_and_saveexec_b64 s[2:3], s[4:5]
	s_cbranch_execz .LBB141_386
; %bb.385:
	v_sub_f32_e32 v3, v3, v2
	s_mov_b32 s4, 0x3fb8aa3b
	v_mul_f32_e32 v6, 0x3fb8aa3b, v3
	v_fma_f32 v7, v3, s4, -v6
	v_rndne_f32_e32 v11, v6
	v_fmamk_f32 v7, v3, 0x32a5705f, v7
	v_sub_f32_e32 v6, v6, v11
	v_add_f32_e32 v6, v6, v7
	v_exp_f32_e32 v6, v6
	v_cvt_i32_f32_e32 v7, v11
	s_mov_b32 s4, 0xc2ce8ed0
	v_cmp_ngt_f32_e32 vcc, s4, v3
	s_mov_b32 s4, 0x42b17218
	v_ldexp_f32 v6, v6, v7
	v_cndmask_b32_e32 v6, 0, v6, vcc
	v_mov_b32_e32 v7, 0x7f800000
	v_cmp_nlt_f32_e32 vcc, s4, v3
	s_mov_b32 s4, 0x3f2aaaab
	s_mov_b32 s5, 0x7f800000
	v_cndmask_b32_e32 v11, v7, v6, vcc
	v_add_f32_e32 v3, 1.0, v11
	v_add_f32_e32 v6, -1.0, v3
	v_sub_f32_e32 v7, v6, v3
	v_add_f32_e32 v7, 1.0, v7
	v_sub_f32_e32 v6, v11, v6
	v_add_f32_e32 v18, v6, v7
	v_frexp_mant_f32_e32 v19, v3
	v_cvt_f64_f32_e32 v[6:7], v3
	v_frexp_exp_i32_f64_e32 v6, v[6:7]
	v_cmp_gt_f32_e32 vcc, s4, v19
	s_mov_b32 s4, 0x3f317218
	s_nop 0
	v_subbrev_co_u32_e32 v34, vcc, 0, v6, vcc
	v_sub_u32_e32 v6, 0, v34
	v_ldexp_f32 v3, v3, v6
	v_ldexp_f32 v6, v18, v6
	v_add_f32_e32 v18, -1.0, v3
	v_add_f32_e32 v7, 1.0, v18
	v_sub_f32_e32 v7, v3, v7
	v_add_f32_e32 v19, v6, v7
	v_add_f32_e32 v7, 1.0, v3
	v_add_f32_e32 v32, -1.0, v7
	v_sub_f32_e32 v3, v3, v32
	v_add_f32_e32 v3, v6, v3
	v_add_f32_e32 v38, v7, v3
	v_rcp_f32_e32 v39, v38
	v_sub_f32_e32 v6, v7, v38
	v_add_f32_e32 v7, v18, v19
	v_add_f32_e32 v3, v3, v6
	v_mul_f32_e32 v49, v7, v39
	v_sub_f32_e32 v6, v18, v7
	v_mul_f32_e32 v18, v38, v49
	v_fma_f32 v32, v49, v38, -v18
	v_fmac_f32_e32 v32, v49, v3
	v_add_f32_e32 v48, v19, v6
	v_add_f32_e32 v6, v18, v32
	v_sub_f32_e32 v19, v7, v6
	v_pk_add_f32 v[36:37], v[6:7], v[18:19] neg_lo:[0,1] neg_hi:[0,1]
	v_mov_b32_e32 v33, v6
	v_pk_add_f32 v[6:7], v[36:37], v[32:33] neg_lo:[0,1] neg_hi:[0,1]
	v_cmp_eq_f32_e32 vcc, s5, v11
	v_add_f32_e32 v7, v48, v7
	v_add_f32_e32 v6, v6, v7
	;; [unrolled: 1-line block ×3, first 2 shown]
	v_mul_f32_e32 v48, v39, v7
	v_mul_f32_e32 v18, v38, v48
	v_fma_f32 v32, v48, v38, -v18
	v_fmac_f32_e32 v32, v48, v3
	v_sub_f32_e32 v3, v19, v7
	v_add_f32_e32 v3, v6, v3
	v_add_f32_e32 v6, v18, v32
	v_sub_f32_e32 v19, v7, v6
	v_pk_add_f32 v[36:37], v[6:7], v[18:19] neg_lo:[0,1] neg_hi:[0,1]
	v_mov_b32_e32 v33, v6
	v_pk_add_f32 v[6:7], v[36:37], v[32:33] neg_lo:[0,1] neg_hi:[0,1]
	v_cvt_f32_i32_e32 v18, v34
	v_add_f32_e32 v3, v3, v7
	v_add_f32_e32 v3, v6, v3
	;; [unrolled: 1-line block ×4, first 2 shown]
	v_sub_f32_e32 v7, v6, v49
	v_mul_f32_e32 v3, v39, v3
	v_sub_f32_e32 v7, v48, v7
	v_add_f32_e32 v3, v7, v3
	v_add_f32_e32 v19, v6, v3
	v_mul_f32_e32 v32, v19, v19
	v_mov_b32_e32 v7, 0x3ecc95a3
	v_fmac_f32_e32 v7, 0x3e9b6dac, v32
	v_sub_f32_e32 v6, v19, v6
	v_fmaak_f32 v7, v32, v7, 0x3f2aaada
	v_sub_f32_e32 v3, v3, v6
	v_ldexp_f32 v33, v19, 1
	v_mul_f32_e32 v19, v19, v32
	v_mov_b32_e32 v6, 0x3f317218
	v_pk_mul_f32 v[6:7], v[18:19], v[6:7]
	v_ldexp_f32 v3, v3, 1
	v_fma_f32 v19, v18, s4, -v6
	v_fmamk_f32 v32, v18, 0xb102e308, v19
	v_pk_add_f32 v[18:19], v[6:7], v[32:33]
	v_mov_b32_e32 v36, v6
	v_sub_f32_e32 v33, v19, v33
	v_sub_f32_e32 v33, v7, v33
	v_add_f32_e32 v37, v3, v33
	v_pk_add_f32 v[6:7], v[18:19], v[6:7] neg_lo:[0,1] neg_hi:[0,1]
	v_pk_add_f32 v[38:39], v[18:19], v[36:37]
	v_mov_b32_e32 v33, v18
	v_mov_b32_e32 v7, v39
	v_pk_add_f32 v[48:49], v[32:33], v[6:7] neg_lo:[0,1] neg_hi:[0,1]
	v_pk_add_f32 v[6:7], v[32:33], v[6:7]
	v_mov_b32_e32 v36, v37
	v_mov_b32_e32 v32, v7
	v_pk_add_f32 v[102:103], v[32:33], v[18:19] neg_lo:[0,1] neg_hi:[0,1]
	v_mov_b32_e32 v6, v39
	v_mov_b32_e32 v3, v102
	v_pk_add_f32 v[112:113], v[38:39], v[2:3] neg_lo:[0,1] neg_hi:[0,1]
	v_mov_b32_e32 v38, v19
	v_mov_b32_e32 v39, v102
	;; [unrolled: 1-line block ×3, first 2 shown]
	v_pk_add_f32 v[6:7], v[6:7], v[38:39] neg_lo:[0,1] neg_hi:[0,1]
	v_mov_b32_e32 v37, v18
	v_pk_add_f32 v[6:7], v[36:37], v[6:7] neg_lo:[0,1] neg_hi:[0,1]
	v_mov_b32_e32 v112, v48
	v_pk_add_f32 v[18:19], v[112:113], v[6:7]
	s_mov_b32 s4, 0x33800000
	v_mov_b32_e32 v34, v19
	v_pk_add_f32 v[36:37], v[18:19], v[34:35]
	v_cmp_lt_f32_e64 s[4:5], |v11|, s4
	v_pk_add_f32 v[32:33], v[32:33], v[36:37]
	v_mov_b32_e32 v7, v36
	v_mov_b32_e32 v19, v32
	v_pk_add_f32 v[38:39], v[18:19], v[48:49] neg_lo:[0,1] neg_hi:[0,1]
	s_or_b64 vcc, vcc, s[4:5]
	v_sub_f32_e32 v3, v18, v38
	v_pk_add_f32 v[6:7], v[6:7], v[38:39] neg_lo:[0,1] neg_hi:[0,1]
	v_sub_f32_e32 v3, v48, v3
	v_add_f32_e32 v3, v6, v3
	v_add_f32_e32 v3, v3, v7
	v_add_f32_e32 v3, v32, v3
	v_cndmask_b32_e32 v3, v3, v11, vcc
	v_add_f32_e32 v66, v2, v3
.LBB141_386:
	s_or_b64 exec, exec, s[2:3]
	v_max_f32_e32 v2, v66, v66
	v_min_f32_e32 v3, v2, v67
	v_cmp_u_f32_e32 vcc, v66, v66
	v_max_f32_e32 v2, v2, v67
	s_movk_i32 s4, 0x1f8
	v_cndmask_b32_e32 v3, v3, v66, vcc
	v_cndmask_b32_e32 v2, v2, v66, vcc
	v_cndmask_b32_e64 v3, v3, v35, s[22:23]
	v_cndmask_b32_e64 v2, v2, v35, s[22:23]
	v_cmp_neq_f32_e32 vcc, v3, v2
	v_cmp_class_f32_e64 s[2:3], v3, s4
	s_or_b64 s[6:7], vcc, s[2:3]
	v_mov_b32_e32 v67, v66
	s_and_saveexec_b64 s[2:3], s[6:7]
	s_cbranch_execz .LBB141_388
; %bb.387:
	v_sub_f32_e32 v3, v3, v2
	s_mov_b32 s5, 0x3fb8aa3b
	v_mul_f32_e32 v6, 0x3fb8aa3b, v3
	v_fma_f32 v7, v3, s5, -v6
	v_rndne_f32_e32 v11, v6
	v_fmamk_f32 v7, v3, 0x32a5705f, v7
	v_sub_f32_e32 v6, v6, v11
	v_add_f32_e32 v6, v6, v7
	v_exp_f32_e32 v6, v6
	v_cvt_i32_f32_e32 v7, v11
	s_mov_b32 s5, 0xc2ce8ed0
	v_cmp_ngt_f32_e32 vcc, s5, v3
	s_mov_b32 s5, 0x42b17218
	v_ldexp_f32 v6, v6, v7
	v_cndmask_b32_e32 v6, 0, v6, vcc
	v_mov_b32_e32 v7, 0x7f800000
	v_cmp_nlt_f32_e32 vcc, s5, v3
	s_mov_b32 s5, 0x3f2aaaab
	s_mov_b32 s6, 0x7f800000
	v_cndmask_b32_e32 v11, v7, v6, vcc
	v_add_f32_e32 v3, 1.0, v11
	v_add_f32_e32 v6, -1.0, v3
	v_sub_f32_e32 v7, v6, v3
	v_add_f32_e32 v7, 1.0, v7
	v_sub_f32_e32 v6, v11, v6
	v_add_f32_e32 v18, v6, v7
	v_frexp_mant_f32_e32 v19, v3
	v_cvt_f64_f32_e32 v[6:7], v3
	v_frexp_exp_i32_f64_e32 v6, v[6:7]
	v_cmp_gt_f32_e32 vcc, s5, v19
	s_mov_b32 s5, 0x3f317218
	s_nop 0
	v_subbrev_co_u32_e32 v36, vcc, 0, v6, vcc
	v_sub_u32_e32 v6, 0, v36
	v_ldexp_f32 v3, v3, v6
	v_ldexp_f32 v6, v18, v6
	v_add_f32_e32 v18, -1.0, v3
	v_add_f32_e32 v7, 1.0, v18
	v_sub_f32_e32 v7, v3, v7
	v_add_f32_e32 v19, v6, v7
	v_add_f32_e32 v7, 1.0, v3
	v_add_f32_e32 v32, -1.0, v7
	v_sub_f32_e32 v3, v3, v32
	v_add_f32_e32 v3, v6, v3
	v_add_f32_e32 v37, v7, v3
	v_rcp_f32_e32 v38, v37
	v_sub_f32_e32 v6, v7, v37
	v_add_f32_e32 v7, v18, v19
	v_add_f32_e32 v3, v3, v6
	v_mul_f32_e32 v48, v7, v38
	v_sub_f32_e32 v6, v18, v7
	v_mul_f32_e32 v18, v37, v48
	v_fma_f32 v32, v48, v37, -v18
	v_fmac_f32_e32 v32, v48, v3
	v_add_f32_e32 v39, v19, v6
	v_add_f32_e32 v6, v18, v32
	v_sub_f32_e32 v19, v7, v6
	v_pk_add_f32 v[34:35], v[6:7], v[18:19] neg_lo:[0,1] neg_hi:[0,1]
	v_mov_b32_e32 v33, v6
	v_pk_add_f32 v[6:7], v[34:35], v[32:33] neg_lo:[0,1] neg_hi:[0,1]
	v_cmp_eq_f32_e32 vcc, s6, v11
	v_add_f32_e32 v7, v39, v7
	v_add_f32_e32 v6, v6, v7
	;; [unrolled: 1-line block ×3, first 2 shown]
	v_mul_f32_e32 v39, v38, v7
	v_mul_f32_e32 v18, v37, v39
	v_fma_f32 v32, v39, v37, -v18
	v_fmac_f32_e32 v32, v39, v3
	v_sub_f32_e32 v3, v19, v7
	v_add_f32_e32 v3, v6, v3
	v_add_f32_e32 v6, v18, v32
	v_sub_f32_e32 v19, v7, v6
	v_pk_add_f32 v[34:35], v[6:7], v[18:19] neg_lo:[0,1] neg_hi:[0,1]
	v_mov_b32_e32 v33, v6
	v_pk_add_f32 v[6:7], v[34:35], v[32:33] neg_lo:[0,1] neg_hi:[0,1]
	v_cvt_f32_i32_e32 v18, v36
	v_add_f32_e32 v3, v3, v7
	v_add_f32_e32 v3, v6, v3
	;; [unrolled: 1-line block ×4, first 2 shown]
	v_sub_f32_e32 v7, v6, v48
	v_mul_f32_e32 v3, v38, v3
	v_sub_f32_e32 v7, v39, v7
	v_add_f32_e32 v3, v7, v3
	v_add_f32_e32 v19, v6, v3
	v_mul_f32_e32 v32, v19, v19
	v_mov_b32_e32 v7, 0x3ecc95a3
	v_fmac_f32_e32 v7, 0x3e9b6dac, v32
	v_sub_f32_e32 v6, v19, v6
	v_fmaak_f32 v7, v32, v7, 0x3f2aaada
	v_sub_f32_e32 v3, v3, v6
	v_ldexp_f32 v33, v19, 1
	v_mul_f32_e32 v19, v19, v32
	v_mov_b32_e32 v6, 0x3f317218
	v_pk_mul_f32 v[6:7], v[18:19], v[6:7]
	v_ldexp_f32 v3, v3, 1
	v_fma_f32 v19, v18, s5, -v6
	v_fmamk_f32 v32, v18, 0xb102e308, v19
	v_pk_add_f32 v[18:19], v[6:7], v[32:33]
	v_mov_b32_e32 v34, v6
	v_sub_f32_e32 v33, v19, v33
	v_sub_f32_e32 v33, v7, v33
	v_add_f32_e32 v35, v3, v33
	v_pk_add_f32 v[6:7], v[18:19], v[6:7] neg_lo:[0,1] neg_hi:[0,1]
	v_pk_add_f32 v[36:37], v[18:19], v[34:35]
	v_mov_b32_e32 v33, v18
	v_mov_b32_e32 v7, v37
	v_pk_add_f32 v[38:39], v[32:33], v[6:7] neg_lo:[0,1] neg_hi:[0,1]
	v_pk_add_f32 v[6:7], v[32:33], v[6:7]
	v_mov_b32_e32 v34, v35
	v_mov_b32_e32 v32, v7
	v_pk_add_f32 v[48:49], v[32:33], v[18:19] neg_lo:[0,1] neg_hi:[0,1]
	v_mov_b32_e32 v6, v37
	v_mov_b32_e32 v3, v48
	v_pk_add_f32 v[102:103], v[36:37], v[2:3] neg_lo:[0,1] neg_hi:[0,1]
	v_mov_b32_e32 v36, v19
	v_mov_b32_e32 v37, v48
	;; [unrolled: 1-line block ×3, first 2 shown]
	v_pk_add_f32 v[6:7], v[6:7], v[36:37] neg_lo:[0,1] neg_hi:[0,1]
	v_mov_b32_e32 v35, v18
	v_pk_add_f32 v[6:7], v[34:35], v[6:7] neg_lo:[0,1] neg_hi:[0,1]
	v_mov_b32_e32 v102, v38
	v_pk_add_f32 v[18:19], v[102:103], v[6:7]
	s_mov_b32 s5, 0x33800000
	v_mov_b32_e32 v34, v19
	v_pk_add_f32 v[34:35], v[18:19], v[34:35]
	v_cmp_lt_f32_e64 s[6:7], |v11|, s5
	v_pk_add_f32 v[32:33], v[32:33], v[34:35]
	v_mov_b32_e32 v7, v34
	v_mov_b32_e32 v19, v32
	v_pk_add_f32 v[36:37], v[18:19], v[38:39] neg_lo:[0,1] neg_hi:[0,1]
	s_or_b64 vcc, vcc, s[6:7]
	v_sub_f32_e32 v3, v18, v36
	v_pk_add_f32 v[6:7], v[6:7], v[36:37] neg_lo:[0,1] neg_hi:[0,1]
	v_sub_f32_e32 v3, v38, v3
	v_add_f32_e32 v3, v6, v3
	v_add_f32_e32 v3, v3, v7
	;; [unrolled: 1-line block ×3, first 2 shown]
	v_cndmask_b32_e32 v3, v3, v11, vcc
	v_add_f32_e32 v67, v2, v3
.LBB141_388:
	s_or_b64 exec, exec, s[2:3]
	v_max_f32_e32 v2, v67, v67
	v_min_f32_e32 v3, v2, v68
	v_cmp_u_f32_e32 vcc, v67, v67
	v_max_f32_e32 v2, v2, v68
	v_mov_b32_e32 v68, v67
	v_cndmask_b32_e32 v3, v3, v67, vcc
	v_cndmask_b32_e32 v2, v2, v67, vcc
	v_cndmask_b32_e64 v3, v3, v28, s[24:25]
	v_cndmask_b32_e64 v2, v2, v28, s[24:25]
	v_cmp_neq_f32_e32 vcc, v3, v2
	v_cmp_class_f32_e64 s[2:3], v3, s4
	s_or_b64 s[4:5], vcc, s[2:3]
	s_and_saveexec_b64 s[2:3], s[4:5]
	s_cbranch_execz .LBB141_390
; %bb.389:
	v_sub_f32_e32 v3, v3, v2
	s_mov_b32 s4, 0x3fb8aa3b
	v_mul_f32_e32 v6, 0x3fb8aa3b, v3
	v_fma_f32 v7, v3, s4, -v6
	v_rndne_f32_e32 v11, v6
	v_fmamk_f32 v7, v3, 0x32a5705f, v7
	v_sub_f32_e32 v6, v6, v11
	v_add_f32_e32 v6, v6, v7
	v_exp_f32_e32 v6, v6
	v_cvt_i32_f32_e32 v7, v11
	s_mov_b32 s4, 0xc2ce8ed0
	v_cmp_ngt_f32_e32 vcc, s4, v3
	s_mov_b32 s4, 0x42b17218
	v_ldexp_f32 v6, v6, v7
	v_cndmask_b32_e32 v6, 0, v6, vcc
	v_mov_b32_e32 v7, 0x7f800000
	v_cmp_nlt_f32_e32 vcc, s4, v3
	s_mov_b32 s4, 0x3f2aaaab
	s_mov_b32 s5, 0x7f800000
	v_cndmask_b32_e32 v11, v7, v6, vcc
	v_add_f32_e32 v3, 1.0, v11
	v_add_f32_e32 v6, -1.0, v3
	v_sub_f32_e32 v7, v6, v3
	v_add_f32_e32 v7, 1.0, v7
	v_sub_f32_e32 v6, v11, v6
	v_add_f32_e32 v18, v6, v7
	v_frexp_mant_f32_e32 v19, v3
	v_cvt_f64_f32_e32 v[6:7], v3
	v_frexp_exp_i32_f64_e32 v6, v[6:7]
	v_cmp_gt_f32_e32 vcc, s4, v19
	s_mov_b32 s4, 0x3f317218
	s_nop 0
	v_subbrev_co_u32_e32 v28, vcc, 0, v6, vcc
	v_sub_u32_e32 v6, 0, v28
	v_ldexp_f32 v3, v3, v6
	v_ldexp_f32 v6, v18, v6
	v_add_f32_e32 v18, -1.0, v3
	v_add_f32_e32 v7, 1.0, v18
	v_sub_f32_e32 v7, v3, v7
	v_add_f32_e32 v19, v6, v7
	v_add_f32_e32 v7, 1.0, v3
	v_add_f32_e32 v32, -1.0, v7
	v_sub_f32_e32 v3, v3, v32
	v_add_f32_e32 v3, v6, v3
	v_add_f32_e32 v36, v7, v3
	v_rcp_f32_e32 v37, v36
	v_sub_f32_e32 v6, v7, v36
	v_add_f32_e32 v7, v18, v19
	v_add_f32_e32 v3, v3, v6
	v_mul_f32_e32 v39, v7, v37
	v_sub_f32_e32 v6, v18, v7
	v_mul_f32_e32 v18, v36, v39
	v_fma_f32 v32, v39, v36, -v18
	v_fmac_f32_e32 v32, v39, v3
	v_add_f32_e32 v38, v19, v6
	v_add_f32_e32 v6, v18, v32
	v_sub_f32_e32 v19, v7, v6
	v_pk_add_f32 v[34:35], v[6:7], v[18:19] neg_lo:[0,1] neg_hi:[0,1]
	v_mov_b32_e32 v33, v6
	v_pk_add_f32 v[6:7], v[34:35], v[32:33] neg_lo:[0,1] neg_hi:[0,1]
	v_cmp_eq_f32_e32 vcc, s5, v11
	v_add_f32_e32 v7, v38, v7
	v_add_f32_e32 v6, v6, v7
	;; [unrolled: 1-line block ×3, first 2 shown]
	v_mul_f32_e32 v38, v37, v7
	v_mul_f32_e32 v18, v36, v38
	v_fma_f32 v32, v38, v36, -v18
	v_fmac_f32_e32 v32, v38, v3
	v_sub_f32_e32 v3, v19, v7
	v_add_f32_e32 v3, v6, v3
	v_add_f32_e32 v6, v18, v32
	v_sub_f32_e32 v19, v7, v6
	v_pk_add_f32 v[34:35], v[6:7], v[18:19] neg_lo:[0,1] neg_hi:[0,1]
	v_mov_b32_e32 v33, v6
	v_pk_add_f32 v[6:7], v[34:35], v[32:33] neg_lo:[0,1] neg_hi:[0,1]
	v_cvt_f32_i32_e32 v18, v28
	v_add_f32_e32 v3, v3, v7
	v_add_f32_e32 v3, v6, v3
	;; [unrolled: 1-line block ×4, first 2 shown]
	v_sub_f32_e32 v7, v6, v39
	v_mul_f32_e32 v3, v37, v3
	v_sub_f32_e32 v7, v38, v7
	v_add_f32_e32 v3, v7, v3
	v_add_f32_e32 v19, v6, v3
	v_mul_f32_e32 v32, v19, v19
	v_mov_b32_e32 v7, 0x3ecc95a3
	v_fmac_f32_e32 v7, 0x3e9b6dac, v32
	v_sub_f32_e32 v6, v19, v6
	v_fmaak_f32 v7, v32, v7, 0x3f2aaada
	v_sub_f32_e32 v3, v3, v6
	v_ldexp_f32 v33, v19, 1
	v_mul_f32_e32 v19, v19, v32
	v_mov_b32_e32 v6, 0x3f317218
	v_pk_mul_f32 v[6:7], v[18:19], v[6:7]
	v_ldexp_f32 v3, v3, 1
	v_fma_f32 v19, v18, s4, -v6
	v_fmamk_f32 v32, v18, 0xb102e308, v19
	v_pk_add_f32 v[18:19], v[6:7], v[32:33]
	v_mov_b32_e32 v34, v6
	v_sub_f32_e32 v28, v19, v33
	v_sub_f32_e32 v28, v7, v28
	v_add_f32_e32 v35, v3, v28
	v_pk_add_f32 v[6:7], v[18:19], v[6:7] neg_lo:[0,1] neg_hi:[0,1]
	v_pk_add_f32 v[36:37], v[18:19], v[34:35]
	v_mov_b32_e32 v33, v18
	v_mov_b32_e32 v7, v37
	v_pk_add_f32 v[38:39], v[32:33], v[6:7] neg_lo:[0,1] neg_hi:[0,1]
	v_pk_add_f32 v[6:7], v[32:33], v[6:7]
	s_mov_b32 s4, 0x33800000
	v_mov_b32_e32 v28, v7
	v_pk_add_f32 v[32:33], v[28:29], v[18:19] neg_lo:[0,1] neg_hi:[0,1]
	v_mov_b32_e32 v6, v37
	v_mov_b32_e32 v3, v32
	v_pk_add_f32 v[48:49], v[36:37], v[2:3] neg_lo:[0,1] neg_hi:[0,1]
	v_mov_b32_e32 v36, v19
	v_mov_b32_e32 v37, v32
	;; [unrolled: 1-line block ×3, first 2 shown]
	v_pk_add_f32 v[6:7], v[6:7], v[36:37] neg_lo:[0,1] neg_hi:[0,1]
	v_mov_b32_e32 v32, v35
	v_mov_b32_e32 v33, v18
	v_pk_add_f32 v[6:7], v[32:33], v[6:7] neg_lo:[0,1] neg_hi:[0,1]
	v_mov_b32_e32 v48, v38
	v_pk_add_f32 v[18:19], v[48:49], v[6:7]
	v_cmp_lt_f32_e64 s[4:5], |v11|, s4
	v_mov_b32_e32 v32, v19
	v_pk_add_f32 v[32:33], v[18:19], v[32:33]
	s_or_b64 vcc, vcc, s[4:5]
	v_pk_add_f32 v[34:35], v[28:29], v[32:33]
	v_mov_b32_e32 v7, v32
	v_mov_b32_e32 v19, v34
	v_pk_add_f32 v[36:37], v[18:19], v[38:39] neg_lo:[0,1] neg_hi:[0,1]
	s_nop 0
	v_sub_f32_e32 v3, v18, v36
	v_pk_add_f32 v[6:7], v[6:7], v[36:37] neg_lo:[0,1] neg_hi:[0,1]
	v_sub_f32_e32 v3, v38, v3
	v_add_f32_e32 v3, v6, v3
	v_add_f32_e32 v3, v3, v7
	;; [unrolled: 1-line block ×3, first 2 shown]
	v_cndmask_b32_e32 v3, v3, v11, vcc
	v_add_f32_e32 v68, v2, v3
.LBB141_390:
	s_or_b64 exec, exec, s[2:3]
	v_max_f32_e32 v2, v68, v68
	v_min_f32_e32 v3, v2, v69
	v_cmp_u_f32_e32 vcc, v68, v68
	v_max_f32_e32 v2, v2, v69
	s_movk_i32 s4, 0x1f8
	v_cndmask_b32_e32 v3, v3, v68, vcc
	v_cndmask_b32_e32 v2, v2, v68, vcc
	v_cndmask_b32_e64 v3, v3, v29, s[26:27]
	v_cndmask_b32_e64 v2, v2, v29, s[26:27]
	v_cmp_neq_f32_e32 vcc, v3, v2
	v_cmp_class_f32_e64 s[2:3], v3, s4
	s_or_b64 s[6:7], vcc, s[2:3]
	v_mov_b32_e32 v69, v68
	s_and_saveexec_b64 s[2:3], s[6:7]
	s_cbranch_execz .LBB141_392
; %bb.391:
	v_sub_f32_e32 v3, v3, v2
	s_mov_b32 s5, 0x3fb8aa3b
	v_mul_f32_e32 v6, 0x3fb8aa3b, v3
	v_fma_f32 v7, v3, s5, -v6
	v_rndne_f32_e32 v11, v6
	v_fmamk_f32 v7, v3, 0x32a5705f, v7
	v_sub_f32_e32 v6, v6, v11
	v_add_f32_e32 v6, v6, v7
	v_exp_f32_e32 v6, v6
	v_cvt_i32_f32_e32 v7, v11
	s_mov_b32 s5, 0xc2ce8ed0
	v_cmp_ngt_f32_e32 vcc, s5, v3
	s_mov_b32 s5, 0x42b17218
	v_ldexp_f32 v6, v6, v7
	v_cndmask_b32_e32 v6, 0, v6, vcc
	v_mov_b32_e32 v7, 0x7f800000
	v_cmp_nlt_f32_e32 vcc, s5, v3
	s_mov_b32 s5, 0x3f2aaaab
	s_mov_b32 s6, 0x7f800000
	v_cndmask_b32_e32 v11, v7, v6, vcc
	v_add_f32_e32 v3, 1.0, v11
	v_add_f32_e32 v6, -1.0, v3
	v_sub_f32_e32 v7, v6, v3
	v_add_f32_e32 v7, 1.0, v7
	v_sub_f32_e32 v6, v11, v6
	v_add_f32_e32 v18, v6, v7
	v_frexp_mant_f32_e32 v19, v3
	v_cvt_f64_f32_e32 v[6:7], v3
	v_frexp_exp_i32_f64_e32 v6, v[6:7]
	v_cmp_gt_f32_e32 vcc, s5, v19
	s_mov_b32 s5, 0x3f317218
	s_nop 0
	v_subbrev_co_u32_e32 v34, vcc, 0, v6, vcc
	v_sub_u32_e32 v6, 0, v34
	v_ldexp_f32 v3, v3, v6
	v_ldexp_f32 v6, v18, v6
	v_add_f32_e32 v18, -1.0, v3
	v_add_f32_e32 v7, 1.0, v18
	v_sub_f32_e32 v7, v3, v7
	v_add_f32_e32 v19, v6, v7
	v_add_f32_e32 v7, 1.0, v3
	v_add_f32_e32 v28, -1.0, v7
	v_sub_f32_e32 v3, v3, v28
	v_add_f32_e32 v3, v6, v3
	v_add_f32_e32 v35, v7, v3
	v_rcp_f32_e32 v36, v35
	v_sub_f32_e32 v6, v7, v35
	v_add_f32_e32 v7, v18, v19
	v_add_f32_e32 v3, v3, v6
	v_mul_f32_e32 v38, v7, v36
	v_sub_f32_e32 v6, v18, v7
	v_mul_f32_e32 v18, v35, v38
	v_fma_f32 v28, v38, v35, -v18
	v_fmac_f32_e32 v28, v38, v3
	v_add_f32_e32 v37, v19, v6
	v_add_f32_e32 v6, v18, v28
	v_sub_f32_e32 v19, v7, v6
	v_pk_add_f32 v[32:33], v[6:7], v[18:19] neg_lo:[0,1] neg_hi:[0,1]
	v_mov_b32_e32 v29, v6
	v_pk_add_f32 v[6:7], v[32:33], v[28:29] neg_lo:[0,1] neg_hi:[0,1]
	v_cmp_eq_f32_e32 vcc, s6, v11
	v_add_f32_e32 v7, v37, v7
	v_add_f32_e32 v6, v6, v7
	;; [unrolled: 1-line block ×3, first 2 shown]
	v_mul_f32_e32 v37, v36, v7
	v_mul_f32_e32 v18, v35, v37
	v_fma_f32 v28, v37, v35, -v18
	v_fmac_f32_e32 v28, v37, v3
	v_sub_f32_e32 v3, v19, v7
	v_add_f32_e32 v3, v6, v3
	v_add_f32_e32 v6, v18, v28
	v_sub_f32_e32 v19, v7, v6
	v_pk_add_f32 v[32:33], v[6:7], v[18:19] neg_lo:[0,1] neg_hi:[0,1]
	v_mov_b32_e32 v29, v6
	v_pk_add_f32 v[6:7], v[32:33], v[28:29] neg_lo:[0,1] neg_hi:[0,1]
	v_cvt_f32_i32_e32 v18, v34
	v_add_f32_e32 v3, v3, v7
	v_add_f32_e32 v3, v6, v3
	;; [unrolled: 1-line block ×4, first 2 shown]
	v_sub_f32_e32 v7, v6, v38
	v_mul_f32_e32 v3, v36, v3
	v_sub_f32_e32 v7, v37, v7
	v_add_f32_e32 v3, v7, v3
	v_add_f32_e32 v19, v6, v3
	v_mul_f32_e32 v28, v19, v19
	v_mov_b32_e32 v7, 0x3ecc95a3
	v_fmac_f32_e32 v7, 0x3e9b6dac, v28
	v_sub_f32_e32 v6, v19, v6
	v_fmaak_f32 v7, v28, v7, 0x3f2aaada
	v_sub_f32_e32 v3, v3, v6
	v_ldexp_f32 v29, v19, 1
	v_mul_f32_e32 v19, v19, v28
	v_mov_b32_e32 v6, 0x3f317218
	v_pk_mul_f32 v[6:7], v[18:19], v[6:7]
	v_ldexp_f32 v3, v3, 1
	v_fma_f32 v19, v18, s5, -v6
	v_fmamk_f32 v28, v18, 0xb102e308, v19
	v_pk_add_f32 v[18:19], v[6:7], v[28:29]
	v_mov_b32_e32 v32, v6
	v_sub_f32_e32 v29, v19, v29
	v_sub_f32_e32 v29, v7, v29
	v_add_f32_e32 v33, v3, v29
	v_pk_add_f32 v[6:7], v[18:19], v[6:7] neg_lo:[0,1] neg_hi:[0,1]
	v_pk_add_f32 v[34:35], v[18:19], v[32:33]
	v_mov_b32_e32 v29, v18
	v_mov_b32_e32 v7, v35
	v_pk_add_f32 v[36:37], v[28:29], v[6:7] neg_lo:[0,1] neg_hi:[0,1]
	v_pk_add_f32 v[6:7], v[28:29], v[6:7]
	v_mov_b32_e32 v32, v33
	v_mov_b32_e32 v28, v7
	v_pk_add_f32 v[38:39], v[28:29], v[18:19] neg_lo:[0,1] neg_hi:[0,1]
	v_mov_b32_e32 v6, v35
	v_mov_b32_e32 v3, v38
	v_pk_add_f32 v[48:49], v[34:35], v[2:3] neg_lo:[0,1] neg_hi:[0,1]
	v_mov_b32_e32 v34, v19
	v_mov_b32_e32 v35, v38
	;; [unrolled: 1-line block ×3, first 2 shown]
	v_pk_add_f32 v[6:7], v[6:7], v[34:35] neg_lo:[0,1] neg_hi:[0,1]
	v_mov_b32_e32 v33, v18
	v_pk_add_f32 v[6:7], v[32:33], v[6:7] neg_lo:[0,1] neg_hi:[0,1]
	v_mov_b32_e32 v48, v36
	v_pk_add_f32 v[18:19], v[48:49], v[6:7]
	s_mov_b32 s5, 0x33800000
	v_mov_b32_e32 v32, v19
	v_pk_add_f32 v[32:33], v[18:19], v[32:33]
	v_cmp_lt_f32_e64 s[6:7], |v11|, s5
	v_pk_add_f32 v[28:29], v[28:29], v[32:33]
	v_mov_b32_e32 v7, v32
	v_mov_b32_e32 v19, v28
	v_pk_add_f32 v[34:35], v[18:19], v[36:37] neg_lo:[0,1] neg_hi:[0,1]
	s_or_b64 vcc, vcc, s[6:7]
	v_sub_f32_e32 v3, v18, v34
	v_pk_add_f32 v[6:7], v[6:7], v[34:35] neg_lo:[0,1] neg_hi:[0,1]
	v_sub_f32_e32 v3, v36, v3
	v_add_f32_e32 v3, v6, v3
	v_add_f32_e32 v3, v3, v7
	;; [unrolled: 1-line block ×3, first 2 shown]
	v_cndmask_b32_e32 v3, v3, v11, vcc
	v_add_f32_e32 v69, v2, v3
.LBB141_392:
	s_or_b64 exec, exec, s[2:3]
	v_max_f32_e32 v2, v69, v69
	v_min_f32_e32 v3, v2, v70
	v_cmp_u_f32_e32 vcc, v69, v69
	v_max_f32_e32 v2, v2, v70
	v_mov_b32_e32 v70, v69
	v_cndmask_b32_e32 v3, v3, v69, vcc
	v_cndmask_b32_e32 v2, v2, v69, vcc
	v_cndmask_b32_e64 v3, v3, v30, s[28:29]
	v_cndmask_b32_e64 v2, v2, v30, s[28:29]
	v_cmp_neq_f32_e32 vcc, v3, v2
	v_cmp_class_f32_e64 s[2:3], v3, s4
	s_or_b64 s[4:5], vcc, s[2:3]
	s_and_saveexec_b64 s[2:3], s[4:5]
	s_cbranch_execz .LBB141_394
; %bb.393:
	v_sub_f32_e32 v3, v3, v2
	s_mov_b32 s4, 0x3fb8aa3b
	v_mul_f32_e32 v6, 0x3fb8aa3b, v3
	v_fma_f32 v7, v3, s4, -v6
	v_rndne_f32_e32 v11, v6
	v_fmamk_f32 v7, v3, 0x32a5705f, v7
	v_sub_f32_e32 v6, v6, v11
	v_add_f32_e32 v6, v6, v7
	v_exp_f32_e32 v6, v6
	v_cvt_i32_f32_e32 v7, v11
	s_mov_b32 s4, 0xc2ce8ed0
	v_cmp_ngt_f32_e32 vcc, s4, v3
	s_mov_b32 s4, 0x42b17218
	v_ldexp_f32 v6, v6, v7
	v_cndmask_b32_e32 v6, 0, v6, vcc
	v_mov_b32_e32 v7, 0x7f800000
	v_cmp_nlt_f32_e32 vcc, s4, v3
	s_mov_b32 s4, 0x3f2aaaab
	s_mov_b32 s5, 0x7f800000
	v_cndmask_b32_e32 v11, v7, v6, vcc
	v_add_f32_e32 v3, 1.0, v11
	v_add_f32_e32 v6, -1.0, v3
	v_sub_f32_e32 v7, v6, v3
	v_add_f32_e32 v7, 1.0, v7
	v_sub_f32_e32 v6, v11, v6
	v_add_f32_e32 v18, v6, v7
	v_frexp_mant_f32_e32 v19, v3
	v_cvt_f64_f32_e32 v[6:7], v3
	v_frexp_exp_i32_f64_e32 v6, v[6:7]
	v_cmp_gt_f32_e32 vcc, s4, v19
	s_mov_b32 s4, 0x3f317218
	s_nop 0
	v_subbrev_co_u32_e32 v30, vcc, 0, v6, vcc
	v_sub_u32_e32 v6, 0, v30
	v_ldexp_f32 v3, v3, v6
	v_ldexp_f32 v6, v18, v6
	v_add_f32_e32 v18, -1.0, v3
	v_add_f32_e32 v7, 1.0, v18
	v_sub_f32_e32 v7, v3, v7
	v_add_f32_e32 v19, v6, v7
	v_add_f32_e32 v7, 1.0, v3
	v_add_f32_e32 v28, -1.0, v7
	v_sub_f32_e32 v3, v3, v28
	v_add_f32_e32 v3, v6, v3
	v_add_f32_e32 v34, v7, v3
	v_rcp_f32_e32 v35, v34
	v_sub_f32_e32 v6, v7, v34
	v_add_f32_e32 v7, v18, v19
	v_add_f32_e32 v3, v3, v6
	v_mul_f32_e32 v37, v7, v35
	v_sub_f32_e32 v6, v18, v7
	v_mul_f32_e32 v18, v34, v37
	v_fma_f32 v28, v37, v34, -v18
	v_fmac_f32_e32 v28, v37, v3
	v_add_f32_e32 v36, v19, v6
	v_add_f32_e32 v6, v18, v28
	v_sub_f32_e32 v19, v7, v6
	v_pk_add_f32 v[32:33], v[6:7], v[18:19] neg_lo:[0,1] neg_hi:[0,1]
	v_mov_b32_e32 v29, v6
	v_pk_add_f32 v[6:7], v[32:33], v[28:29] neg_lo:[0,1] neg_hi:[0,1]
	v_cmp_eq_f32_e32 vcc, s5, v11
	v_add_f32_e32 v7, v36, v7
	v_add_f32_e32 v6, v6, v7
	;; [unrolled: 1-line block ×3, first 2 shown]
	v_mul_f32_e32 v36, v35, v7
	v_mul_f32_e32 v18, v34, v36
	v_fma_f32 v28, v36, v34, -v18
	v_fmac_f32_e32 v28, v36, v3
	v_sub_f32_e32 v3, v19, v7
	v_add_f32_e32 v3, v6, v3
	v_add_f32_e32 v6, v18, v28
	v_sub_f32_e32 v19, v7, v6
	v_pk_add_f32 v[32:33], v[6:7], v[18:19] neg_lo:[0,1] neg_hi:[0,1]
	v_mov_b32_e32 v29, v6
	v_pk_add_f32 v[6:7], v[32:33], v[28:29] neg_lo:[0,1] neg_hi:[0,1]
	v_cvt_f32_i32_e32 v18, v30
	v_add_f32_e32 v3, v3, v7
	v_add_f32_e32 v3, v6, v3
	;; [unrolled: 1-line block ×4, first 2 shown]
	v_sub_f32_e32 v7, v6, v37
	v_mul_f32_e32 v3, v35, v3
	v_sub_f32_e32 v7, v36, v7
	v_add_f32_e32 v3, v7, v3
	v_add_f32_e32 v19, v6, v3
	v_mul_f32_e32 v28, v19, v19
	v_mov_b32_e32 v7, 0x3ecc95a3
	v_fmac_f32_e32 v7, 0x3e9b6dac, v28
	v_sub_f32_e32 v6, v19, v6
	v_fmaak_f32 v7, v28, v7, 0x3f2aaada
	v_sub_f32_e32 v3, v3, v6
	v_ldexp_f32 v29, v19, 1
	v_mul_f32_e32 v19, v19, v28
	v_mov_b32_e32 v6, 0x3f317218
	v_pk_mul_f32 v[6:7], v[18:19], v[6:7]
	v_ldexp_f32 v3, v3, 1
	v_fma_f32 v19, v18, s4, -v6
	v_fmamk_f32 v28, v18, 0xb102e308, v19
	v_pk_add_f32 v[18:19], v[6:7], v[28:29]
	v_mov_b32_e32 v32, v6
	v_sub_f32_e32 v29, v19, v29
	v_sub_f32_e32 v29, v7, v29
	v_add_f32_e32 v33, v3, v29
	v_pk_add_f32 v[6:7], v[18:19], v[6:7] neg_lo:[0,1] neg_hi:[0,1]
	v_pk_add_f32 v[34:35], v[18:19], v[32:33]
	v_mov_b32_e32 v29, v18
	v_mov_b32_e32 v7, v35
	v_pk_add_f32 v[36:37], v[28:29], v[6:7] neg_lo:[0,1] neg_hi:[0,1]
	v_pk_add_f32 v[6:7], v[28:29], v[6:7]
	v_mov_b32_e32 v32, v33
	v_mov_b32_e32 v28, v7
	v_pk_add_f32 v[38:39], v[28:29], v[18:19] neg_lo:[0,1] neg_hi:[0,1]
	v_mov_b32_e32 v6, v35
	v_mov_b32_e32 v3, v38
	v_pk_add_f32 v[48:49], v[34:35], v[2:3] neg_lo:[0,1] neg_hi:[0,1]
	v_mov_b32_e32 v34, v19
	v_mov_b32_e32 v35, v38
	;; [unrolled: 1-line block ×3, first 2 shown]
	v_pk_add_f32 v[6:7], v[6:7], v[34:35] neg_lo:[0,1] neg_hi:[0,1]
	v_mov_b32_e32 v33, v18
	v_pk_add_f32 v[6:7], v[32:33], v[6:7] neg_lo:[0,1] neg_hi:[0,1]
	v_mov_b32_e32 v48, v36
	v_pk_add_f32 v[18:19], v[48:49], v[6:7]
	s_mov_b32 s4, 0x33800000
	v_mov_b32_e32 v30, v19
	v_pk_add_f32 v[32:33], v[18:19], v[30:31]
	v_cmp_lt_f32_e64 s[4:5], |v11|, s4
	v_pk_add_f32 v[28:29], v[28:29], v[32:33]
	v_mov_b32_e32 v7, v32
	v_mov_b32_e32 v19, v28
	v_pk_add_f32 v[34:35], v[18:19], v[36:37] neg_lo:[0,1] neg_hi:[0,1]
	s_or_b64 vcc, vcc, s[4:5]
	v_sub_f32_e32 v3, v18, v34
	v_pk_add_f32 v[6:7], v[6:7], v[34:35] neg_lo:[0,1] neg_hi:[0,1]
	v_sub_f32_e32 v3, v36, v3
	v_add_f32_e32 v3, v6, v3
	v_add_f32_e32 v3, v3, v7
	;; [unrolled: 1-line block ×3, first 2 shown]
	v_cndmask_b32_e32 v3, v3, v11, vcc
	v_add_f32_e32 v70, v2, v3
.LBB141_394:
	s_or_b64 exec, exec, s[2:3]
	v_max_f32_e32 v2, v70, v70
	v_min_f32_e32 v3, v2, v71
	v_cmp_u_f32_e32 vcc, v70, v70
	v_max_f32_e32 v2, v2, v71
	s_movk_i32 s4, 0x1f8
	v_cndmask_b32_e32 v3, v3, v70, vcc
	v_cndmask_b32_e32 v2, v2, v70, vcc
	v_cndmask_b32_e64 v3, v3, v31, s[30:31]
	v_cndmask_b32_e64 v2, v2, v31, s[30:31]
	v_cmp_neq_f32_e32 vcc, v3, v2
	v_cmp_class_f32_e64 s[2:3], v3, s4
	s_or_b64 s[6:7], vcc, s[2:3]
	v_mov_b32_e32 v71, v70
	s_and_saveexec_b64 s[2:3], s[6:7]
	s_cbranch_execz .LBB141_396
; %bb.395:
	v_sub_f32_e32 v3, v3, v2
	s_mov_b32 s5, 0x3fb8aa3b
	v_mul_f32_e32 v6, 0x3fb8aa3b, v3
	v_fma_f32 v7, v3, s5, -v6
	v_rndne_f32_e32 v11, v6
	v_fmamk_f32 v7, v3, 0x32a5705f, v7
	v_sub_f32_e32 v6, v6, v11
	v_add_f32_e32 v6, v6, v7
	v_exp_f32_e32 v6, v6
	v_cvt_i32_f32_e32 v7, v11
	s_mov_b32 s5, 0xc2ce8ed0
	v_cmp_ngt_f32_e32 vcc, s5, v3
	s_mov_b32 s5, 0x42b17218
	v_ldexp_f32 v6, v6, v7
	v_cndmask_b32_e32 v6, 0, v6, vcc
	v_mov_b32_e32 v7, 0x7f800000
	v_cmp_nlt_f32_e32 vcc, s5, v3
	s_mov_b32 s5, 0x3f2aaaab
	s_mov_b32 s6, 0x7f800000
	v_cndmask_b32_e32 v11, v7, v6, vcc
	v_add_f32_e32 v3, 1.0, v11
	v_add_f32_e32 v6, -1.0, v3
	v_sub_f32_e32 v7, v6, v3
	v_add_f32_e32 v7, 1.0, v7
	v_sub_f32_e32 v6, v11, v6
	v_add_f32_e32 v18, v6, v7
	v_frexp_mant_f32_e32 v19, v3
	v_cvt_f64_f32_e32 v[6:7], v3
	v_frexp_exp_i32_f64_e32 v6, v[6:7]
	v_cmp_gt_f32_e32 vcc, s5, v19
	s_mov_b32 s5, 0x3f317218
	s_nop 0
	v_subbrev_co_u32_e32 v32, vcc, 0, v6, vcc
	v_sub_u32_e32 v6, 0, v32
	v_ldexp_f32 v3, v3, v6
	v_ldexp_f32 v6, v18, v6
	v_add_f32_e32 v18, -1.0, v3
	v_add_f32_e32 v7, 1.0, v18
	v_sub_f32_e32 v7, v3, v7
	v_add_f32_e32 v19, v6, v7
	v_add_f32_e32 v7, 1.0, v3
	v_add_f32_e32 v28, -1.0, v7
	v_sub_f32_e32 v3, v3, v28
	v_add_f32_e32 v3, v6, v3
	v_add_f32_e32 v33, v7, v3
	v_rcp_f32_e32 v34, v33
	v_sub_f32_e32 v6, v7, v33
	v_add_f32_e32 v7, v18, v19
	v_add_f32_e32 v3, v3, v6
	v_mul_f32_e32 v36, v7, v34
	v_sub_f32_e32 v6, v18, v7
	v_mul_f32_e32 v18, v33, v36
	v_fma_f32 v28, v36, v33, -v18
	v_fmac_f32_e32 v28, v36, v3
	v_add_f32_e32 v35, v19, v6
	v_add_f32_e32 v6, v18, v28
	v_sub_f32_e32 v19, v7, v6
	v_pk_add_f32 v[30:31], v[6:7], v[18:19] neg_lo:[0,1] neg_hi:[0,1]
	v_mov_b32_e32 v29, v6
	v_pk_add_f32 v[6:7], v[30:31], v[28:29] neg_lo:[0,1] neg_hi:[0,1]
	v_cmp_eq_f32_e32 vcc, s6, v11
	v_add_f32_e32 v7, v35, v7
	v_add_f32_e32 v6, v6, v7
	;; [unrolled: 1-line block ×3, first 2 shown]
	v_mul_f32_e32 v35, v34, v7
	v_mul_f32_e32 v18, v33, v35
	v_fma_f32 v28, v35, v33, -v18
	v_fmac_f32_e32 v28, v35, v3
	v_sub_f32_e32 v3, v19, v7
	v_add_f32_e32 v3, v6, v3
	v_add_f32_e32 v6, v18, v28
	v_sub_f32_e32 v19, v7, v6
	v_pk_add_f32 v[30:31], v[6:7], v[18:19] neg_lo:[0,1] neg_hi:[0,1]
	v_mov_b32_e32 v29, v6
	v_pk_add_f32 v[6:7], v[30:31], v[28:29] neg_lo:[0,1] neg_hi:[0,1]
	v_cvt_f32_i32_e32 v18, v32
	v_add_f32_e32 v3, v3, v7
	v_add_f32_e32 v3, v6, v3
	;; [unrolled: 1-line block ×4, first 2 shown]
	v_sub_f32_e32 v7, v6, v36
	v_mul_f32_e32 v3, v34, v3
	v_sub_f32_e32 v7, v35, v7
	v_add_f32_e32 v3, v7, v3
	v_add_f32_e32 v19, v6, v3
	v_mul_f32_e32 v28, v19, v19
	v_mov_b32_e32 v7, 0x3ecc95a3
	v_fmac_f32_e32 v7, 0x3e9b6dac, v28
	v_sub_f32_e32 v6, v19, v6
	v_fmaak_f32 v7, v28, v7, 0x3f2aaada
	v_sub_f32_e32 v3, v3, v6
	v_ldexp_f32 v29, v19, 1
	v_mul_f32_e32 v19, v19, v28
	v_mov_b32_e32 v6, 0x3f317218
	v_pk_mul_f32 v[6:7], v[18:19], v[6:7]
	v_ldexp_f32 v3, v3, 1
	v_fma_f32 v19, v18, s5, -v6
	v_fmamk_f32 v28, v18, 0xb102e308, v19
	v_pk_add_f32 v[18:19], v[6:7], v[28:29]
	v_mov_b32_e32 v30, v6
	v_sub_f32_e32 v29, v19, v29
	v_sub_f32_e32 v29, v7, v29
	v_add_f32_e32 v31, v3, v29
	v_pk_add_f32 v[6:7], v[18:19], v[6:7] neg_lo:[0,1] neg_hi:[0,1]
	v_pk_add_f32 v[32:33], v[18:19], v[30:31]
	v_mov_b32_e32 v29, v18
	v_mov_b32_e32 v7, v33
	v_pk_add_f32 v[34:35], v[28:29], v[6:7] neg_lo:[0,1] neg_hi:[0,1]
	v_pk_add_f32 v[6:7], v[28:29], v[6:7]
	v_mov_b32_e32 v30, v31
	v_mov_b32_e32 v28, v7
	v_pk_add_f32 v[36:37], v[28:29], v[18:19] neg_lo:[0,1] neg_hi:[0,1]
	v_mov_b32_e32 v6, v33
	v_mov_b32_e32 v3, v36
	v_pk_add_f32 v[38:39], v[32:33], v[2:3] neg_lo:[0,1] neg_hi:[0,1]
	v_mov_b32_e32 v32, v19
	v_mov_b32_e32 v33, v36
	v_mov_b32_e32 v35, v7
	v_pk_add_f32 v[6:7], v[6:7], v[32:33] neg_lo:[0,1] neg_hi:[0,1]
	v_mov_b32_e32 v31, v18
	v_pk_add_f32 v[6:7], v[30:31], v[6:7] neg_lo:[0,1] neg_hi:[0,1]
	v_mov_b32_e32 v38, v34
	v_pk_add_f32 v[18:19], v[38:39], v[6:7]
	s_mov_b32 s5, 0x33800000
	v_mov_b32_e32 v30, v19
	v_pk_add_f32 v[30:31], v[18:19], v[30:31]
	v_cmp_lt_f32_e64 s[6:7], |v11|, s5
	v_pk_add_f32 v[28:29], v[28:29], v[30:31]
	v_mov_b32_e32 v7, v30
	v_mov_b32_e32 v19, v28
	v_pk_add_f32 v[32:33], v[18:19], v[34:35] neg_lo:[0,1] neg_hi:[0,1]
	s_or_b64 vcc, vcc, s[6:7]
	v_sub_f32_e32 v3, v18, v32
	v_pk_add_f32 v[6:7], v[6:7], v[32:33] neg_lo:[0,1] neg_hi:[0,1]
	v_sub_f32_e32 v3, v34, v3
	v_add_f32_e32 v3, v6, v3
	v_add_f32_e32 v3, v3, v7
	;; [unrolled: 1-line block ×3, first 2 shown]
	v_cndmask_b32_e32 v3, v3, v11, vcc
	v_add_f32_e32 v71, v2, v3
.LBB141_396:
	s_or_b64 exec, exec, s[2:3]
	v_max_f32_e32 v2, v71, v71
	v_min_f32_e32 v3, v2, v80
	v_cmp_u_f32_e32 vcc, v71, v71
	v_max_f32_e32 v2, v2, v80
	v_mov_b32_e32 v80, v71
	v_cndmask_b32_e32 v3, v3, v71, vcc
	v_cndmask_b32_e32 v2, v2, v71, vcc
	v_cndmask_b32_e64 v3, v3, v24, s[34:35]
	v_cndmask_b32_e64 v2, v2, v24, s[34:35]
	v_cmp_neq_f32_e32 vcc, v3, v2
	v_cmp_class_f32_e64 s[2:3], v3, s4
	s_or_b64 s[4:5], vcc, s[2:3]
	s_and_saveexec_b64 s[2:3], s[4:5]
	s_cbranch_execz .LBB141_398
; %bb.397:
	v_sub_f32_e32 v3, v3, v2
	s_mov_b32 s4, 0x3fb8aa3b
	v_mul_f32_e32 v6, 0x3fb8aa3b, v3
	v_fma_f32 v7, v3, s4, -v6
	v_rndne_f32_e32 v11, v6
	v_fmamk_f32 v7, v3, 0x32a5705f, v7
	v_sub_f32_e32 v6, v6, v11
	v_add_f32_e32 v6, v6, v7
	v_exp_f32_e32 v6, v6
	v_cvt_i32_f32_e32 v7, v11
	s_mov_b32 s4, 0xc2ce8ed0
	v_cmp_ngt_f32_e32 vcc, s4, v3
	s_mov_b32 s4, 0x42b17218
	v_ldexp_f32 v6, v6, v7
	v_cndmask_b32_e32 v6, 0, v6, vcc
	v_mov_b32_e32 v7, 0x7f800000
	v_cmp_nlt_f32_e32 vcc, s4, v3
	s_mov_b32 s4, 0x3f2aaaab
	s_mov_b32 s5, 0x7f800000
	v_cndmask_b32_e32 v11, v7, v6, vcc
	v_add_f32_e32 v3, 1.0, v11
	v_add_f32_e32 v6, -1.0, v3
	v_sub_f32_e32 v7, v6, v3
	v_add_f32_e32 v7, 1.0, v7
	v_sub_f32_e32 v6, v11, v6
	v_add_f32_e32 v18, v6, v7
	v_frexp_mant_f32_e32 v19, v3
	v_cvt_f64_f32_e32 v[6:7], v3
	v_frexp_exp_i32_f64_e32 v6, v[6:7]
	v_cmp_gt_f32_e32 vcc, s4, v19
	s_mov_b32 s4, 0x3f317218
	s_nop 0
	v_subbrev_co_u32_e32 v24, vcc, 0, v6, vcc
	v_sub_u32_e32 v6, 0, v24
	v_ldexp_f32 v3, v3, v6
	v_ldexp_f32 v6, v18, v6
	v_add_f32_e32 v18, -1.0, v3
	v_add_f32_e32 v7, 1.0, v18
	v_sub_f32_e32 v7, v3, v7
	v_add_f32_e32 v19, v6, v7
	v_add_f32_e32 v7, 1.0, v3
	v_add_f32_e32 v28, -1.0, v7
	v_sub_f32_e32 v3, v3, v28
	v_add_f32_e32 v3, v6, v3
	v_add_f32_e32 v32, v7, v3
	v_rcp_f32_e32 v33, v32
	v_sub_f32_e32 v6, v7, v32
	v_add_f32_e32 v7, v18, v19
	v_add_f32_e32 v3, v3, v6
	v_mul_f32_e32 v35, v7, v33
	v_sub_f32_e32 v6, v18, v7
	v_mul_f32_e32 v18, v32, v35
	v_fma_f32 v28, v35, v32, -v18
	v_fmac_f32_e32 v28, v35, v3
	v_add_f32_e32 v34, v19, v6
	v_add_f32_e32 v6, v18, v28
	v_sub_f32_e32 v19, v7, v6
	v_pk_add_f32 v[30:31], v[6:7], v[18:19] neg_lo:[0,1] neg_hi:[0,1]
	v_mov_b32_e32 v29, v6
	v_pk_add_f32 v[6:7], v[30:31], v[28:29] neg_lo:[0,1] neg_hi:[0,1]
	v_cmp_eq_f32_e32 vcc, s5, v11
	v_add_f32_e32 v7, v34, v7
	v_add_f32_e32 v6, v6, v7
	;; [unrolled: 1-line block ×3, first 2 shown]
	v_mul_f32_e32 v34, v33, v7
	v_mul_f32_e32 v18, v32, v34
	v_fma_f32 v28, v34, v32, -v18
	v_fmac_f32_e32 v28, v34, v3
	v_sub_f32_e32 v3, v19, v7
	v_add_f32_e32 v3, v6, v3
	v_add_f32_e32 v6, v18, v28
	v_sub_f32_e32 v19, v7, v6
	v_pk_add_f32 v[30:31], v[6:7], v[18:19] neg_lo:[0,1] neg_hi:[0,1]
	v_mov_b32_e32 v29, v6
	v_pk_add_f32 v[6:7], v[30:31], v[28:29] neg_lo:[0,1] neg_hi:[0,1]
	v_cvt_f32_i32_e32 v18, v24
	v_add_f32_e32 v3, v3, v7
	v_add_f32_e32 v3, v6, v3
	;; [unrolled: 1-line block ×4, first 2 shown]
	v_sub_f32_e32 v7, v6, v35
	v_mul_f32_e32 v3, v33, v3
	v_sub_f32_e32 v7, v34, v7
	v_add_f32_e32 v3, v7, v3
	v_add_f32_e32 v19, v6, v3
	v_mul_f32_e32 v28, v19, v19
	v_mov_b32_e32 v7, 0x3ecc95a3
	v_fmac_f32_e32 v7, 0x3e9b6dac, v28
	v_sub_f32_e32 v6, v19, v6
	v_fmaak_f32 v7, v28, v7, 0x3f2aaada
	v_sub_f32_e32 v3, v3, v6
	v_ldexp_f32 v29, v19, 1
	v_mul_f32_e32 v19, v19, v28
	v_mov_b32_e32 v6, 0x3f317218
	v_pk_mul_f32 v[6:7], v[18:19], v[6:7]
	v_ldexp_f32 v3, v3, 1
	v_fma_f32 v19, v18, s4, -v6
	v_fmamk_f32 v28, v18, 0xb102e308, v19
	v_pk_add_f32 v[18:19], v[6:7], v[28:29]
	v_mov_b32_e32 v30, v6
	v_sub_f32_e32 v24, v19, v29
	v_sub_f32_e32 v24, v7, v24
	v_add_f32_e32 v31, v3, v24
	v_pk_add_f32 v[6:7], v[18:19], v[6:7] neg_lo:[0,1] neg_hi:[0,1]
	v_pk_add_f32 v[32:33], v[18:19], v[30:31]
	v_mov_b32_e32 v29, v18
	v_mov_b32_e32 v7, v33
	v_pk_add_f32 v[34:35], v[28:29], v[6:7] neg_lo:[0,1] neg_hi:[0,1]
	v_pk_add_f32 v[6:7], v[28:29], v[6:7]
	s_mov_b32 s4, 0x33800000
	v_mov_b32_e32 v24, v7
	v_pk_add_f32 v[28:29], v[24:25], v[18:19] neg_lo:[0,1] neg_hi:[0,1]
	v_mov_b32_e32 v6, v33
	v_mov_b32_e32 v3, v28
	v_pk_add_f32 v[36:37], v[32:33], v[2:3] neg_lo:[0,1] neg_hi:[0,1]
	v_mov_b32_e32 v32, v19
	v_mov_b32_e32 v33, v28
	;; [unrolled: 1-line block ×3, first 2 shown]
	v_pk_add_f32 v[6:7], v[6:7], v[32:33] neg_lo:[0,1] neg_hi:[0,1]
	v_mov_b32_e32 v28, v31
	v_mov_b32_e32 v29, v18
	v_pk_add_f32 v[6:7], v[28:29], v[6:7] neg_lo:[0,1] neg_hi:[0,1]
	v_mov_b32_e32 v36, v34
	v_pk_add_f32 v[18:19], v[36:37], v[6:7]
	v_cmp_lt_f32_e64 s[4:5], |v11|, s4
	v_mov_b32_e32 v28, v19
	v_pk_add_f32 v[28:29], v[18:19], v[28:29]
	s_or_b64 vcc, vcc, s[4:5]
	v_pk_add_f32 v[30:31], v[24:25], v[28:29]
	v_mov_b32_e32 v7, v28
	v_mov_b32_e32 v19, v30
	v_pk_add_f32 v[32:33], v[18:19], v[34:35] neg_lo:[0,1] neg_hi:[0,1]
	s_nop 0
	v_sub_f32_e32 v3, v18, v32
	v_pk_add_f32 v[6:7], v[6:7], v[32:33] neg_lo:[0,1] neg_hi:[0,1]
	v_sub_f32_e32 v3, v34, v3
	v_add_f32_e32 v3, v6, v3
	v_add_f32_e32 v3, v3, v7
	;; [unrolled: 1-line block ×3, first 2 shown]
	v_cndmask_b32_e32 v3, v3, v11, vcc
	v_add_f32_e32 v80, v2, v3
.LBB141_398:
	s_or_b64 exec, exec, s[2:3]
	v_max_f32_e32 v2, v80, v80
	v_min_f32_e32 v3, v2, v81
	v_cmp_u_f32_e32 vcc, v80, v80
	v_max_f32_e32 v2, v2, v81
	s_movk_i32 s4, 0x1f8
	v_cndmask_b32_e32 v3, v3, v80, vcc
	v_cndmask_b32_e32 v2, v2, v80, vcc
	v_cndmask_b32_e64 v3, v3, v25, s[36:37]
	v_cndmask_b32_e64 v2, v2, v25, s[36:37]
	v_cmp_neq_f32_e32 vcc, v3, v2
	v_cmp_class_f32_e64 s[2:3], v3, s4
	s_or_b64 s[6:7], vcc, s[2:3]
	v_mov_b32_e32 v81, v80
	s_and_saveexec_b64 s[2:3], s[6:7]
	s_cbranch_execz .LBB141_400
; %bb.399:
	v_sub_f32_e32 v3, v3, v2
	s_mov_b32 s5, 0x3fb8aa3b
	v_mul_f32_e32 v6, 0x3fb8aa3b, v3
	v_fma_f32 v7, v3, s5, -v6
	v_rndne_f32_e32 v11, v6
	v_fmamk_f32 v7, v3, 0x32a5705f, v7
	v_sub_f32_e32 v6, v6, v11
	v_add_f32_e32 v6, v6, v7
	v_exp_f32_e32 v6, v6
	v_cvt_i32_f32_e32 v7, v11
	s_mov_b32 s5, 0xc2ce8ed0
	v_cmp_ngt_f32_e32 vcc, s5, v3
	s_mov_b32 s5, 0x42b17218
	v_ldexp_f32 v6, v6, v7
	v_cndmask_b32_e32 v6, 0, v6, vcc
	v_mov_b32_e32 v7, 0x7f800000
	v_cmp_nlt_f32_e32 vcc, s5, v3
	s_mov_b32 s5, 0x3f2aaaab
	s_mov_b32 s6, 0x7f800000
	v_cndmask_b32_e32 v11, v7, v6, vcc
	v_add_f32_e32 v3, 1.0, v11
	v_add_f32_e32 v6, -1.0, v3
	v_sub_f32_e32 v7, v6, v3
	v_add_f32_e32 v7, 1.0, v7
	v_sub_f32_e32 v6, v11, v6
	v_add_f32_e32 v18, v6, v7
	v_frexp_mant_f32_e32 v19, v3
	v_cvt_f64_f32_e32 v[6:7], v3
	v_frexp_exp_i32_f64_e32 v6, v[6:7]
	v_cmp_gt_f32_e32 vcc, s5, v19
	s_mov_b32 s5, 0x3f317218
	s_nop 0
	v_subbrev_co_u32_e32 v30, vcc, 0, v6, vcc
	v_sub_u32_e32 v6, 0, v30
	v_ldexp_f32 v3, v3, v6
	v_ldexp_f32 v6, v18, v6
	v_add_f32_e32 v18, -1.0, v3
	v_add_f32_e32 v7, 1.0, v18
	v_sub_f32_e32 v7, v3, v7
	v_add_f32_e32 v19, v6, v7
	v_add_f32_e32 v7, 1.0, v3
	v_add_f32_e32 v24, -1.0, v7
	v_sub_f32_e32 v3, v3, v24
	v_add_f32_e32 v3, v6, v3
	v_add_f32_e32 v31, v7, v3
	v_rcp_f32_e32 v32, v31
	v_sub_f32_e32 v6, v7, v31
	v_add_f32_e32 v7, v18, v19
	v_add_f32_e32 v3, v3, v6
	v_mul_f32_e32 v34, v7, v32
	v_sub_f32_e32 v6, v18, v7
	v_mul_f32_e32 v18, v31, v34
	v_fma_f32 v24, v34, v31, -v18
	v_fmac_f32_e32 v24, v34, v3
	v_add_f32_e32 v33, v19, v6
	v_add_f32_e32 v6, v18, v24
	v_sub_f32_e32 v19, v7, v6
	v_pk_add_f32 v[28:29], v[6:7], v[18:19] neg_lo:[0,1] neg_hi:[0,1]
	v_mov_b32_e32 v25, v6
	v_pk_add_f32 v[6:7], v[28:29], v[24:25] neg_lo:[0,1] neg_hi:[0,1]
	v_cmp_eq_f32_e32 vcc, s6, v11
	v_add_f32_e32 v7, v33, v7
	v_add_f32_e32 v6, v6, v7
	;; [unrolled: 1-line block ×3, first 2 shown]
	v_mul_f32_e32 v33, v32, v7
	v_mul_f32_e32 v18, v31, v33
	v_fma_f32 v24, v33, v31, -v18
	v_fmac_f32_e32 v24, v33, v3
	v_sub_f32_e32 v3, v19, v7
	v_add_f32_e32 v3, v6, v3
	v_add_f32_e32 v6, v18, v24
	v_sub_f32_e32 v19, v7, v6
	v_pk_add_f32 v[28:29], v[6:7], v[18:19] neg_lo:[0,1] neg_hi:[0,1]
	v_mov_b32_e32 v25, v6
	v_pk_add_f32 v[6:7], v[28:29], v[24:25] neg_lo:[0,1] neg_hi:[0,1]
	v_cvt_f32_i32_e32 v18, v30
	v_add_f32_e32 v3, v3, v7
	v_add_f32_e32 v3, v6, v3
	;; [unrolled: 1-line block ×4, first 2 shown]
	v_sub_f32_e32 v7, v6, v34
	v_mul_f32_e32 v3, v32, v3
	v_sub_f32_e32 v7, v33, v7
	v_add_f32_e32 v3, v7, v3
	v_add_f32_e32 v19, v6, v3
	v_mul_f32_e32 v24, v19, v19
	v_mov_b32_e32 v7, 0x3ecc95a3
	v_fmac_f32_e32 v7, 0x3e9b6dac, v24
	v_sub_f32_e32 v6, v19, v6
	v_fmaak_f32 v7, v24, v7, 0x3f2aaada
	v_sub_f32_e32 v3, v3, v6
	v_ldexp_f32 v25, v19, 1
	v_mul_f32_e32 v19, v19, v24
	v_mov_b32_e32 v6, 0x3f317218
	v_pk_mul_f32 v[6:7], v[18:19], v[6:7]
	v_ldexp_f32 v3, v3, 1
	v_fma_f32 v19, v18, s5, -v6
	v_fmamk_f32 v24, v18, 0xb102e308, v19
	v_pk_add_f32 v[18:19], v[6:7], v[24:25]
	v_mov_b32_e32 v28, v6
	v_sub_f32_e32 v25, v19, v25
	v_sub_f32_e32 v25, v7, v25
	v_add_f32_e32 v29, v3, v25
	v_pk_add_f32 v[6:7], v[18:19], v[6:7] neg_lo:[0,1] neg_hi:[0,1]
	v_pk_add_f32 v[30:31], v[18:19], v[28:29]
	v_mov_b32_e32 v25, v18
	v_mov_b32_e32 v7, v31
	v_pk_add_f32 v[32:33], v[24:25], v[6:7] neg_lo:[0,1] neg_hi:[0,1]
	v_pk_add_f32 v[6:7], v[24:25], v[6:7]
	v_mov_b32_e32 v28, v29
	v_mov_b32_e32 v24, v7
	v_pk_add_f32 v[34:35], v[24:25], v[18:19] neg_lo:[0,1] neg_hi:[0,1]
	v_mov_b32_e32 v6, v31
	v_mov_b32_e32 v3, v34
	v_pk_add_f32 v[36:37], v[30:31], v[2:3] neg_lo:[0,1] neg_hi:[0,1]
	v_mov_b32_e32 v30, v19
	v_mov_b32_e32 v31, v34
	;; [unrolled: 1-line block ×3, first 2 shown]
	v_pk_add_f32 v[6:7], v[6:7], v[30:31] neg_lo:[0,1] neg_hi:[0,1]
	v_mov_b32_e32 v29, v18
	v_pk_add_f32 v[6:7], v[28:29], v[6:7] neg_lo:[0,1] neg_hi:[0,1]
	v_mov_b32_e32 v36, v32
	v_pk_add_f32 v[18:19], v[36:37], v[6:7]
	s_mov_b32 s5, 0x33800000
	v_mov_b32_e32 v28, v19
	v_pk_add_f32 v[28:29], v[18:19], v[28:29]
	v_cmp_lt_f32_e64 s[6:7], |v11|, s5
	v_pk_add_f32 v[24:25], v[24:25], v[28:29]
	v_mov_b32_e32 v7, v28
	v_mov_b32_e32 v19, v24
	v_pk_add_f32 v[30:31], v[18:19], v[32:33] neg_lo:[0,1] neg_hi:[0,1]
	s_or_b64 vcc, vcc, s[6:7]
	v_sub_f32_e32 v3, v18, v30
	v_pk_add_f32 v[6:7], v[6:7], v[30:31] neg_lo:[0,1] neg_hi:[0,1]
	v_sub_f32_e32 v3, v32, v3
	v_add_f32_e32 v3, v6, v3
	v_add_f32_e32 v3, v3, v7
	;; [unrolled: 1-line block ×3, first 2 shown]
	v_cndmask_b32_e32 v3, v3, v11, vcc
	v_add_f32_e32 v81, v2, v3
.LBB141_400:
	s_or_b64 exec, exec, s[2:3]
	v_max_f32_e32 v2, v81, v81
	v_min_f32_e32 v3, v2, v82
	v_cmp_u_f32_e32 vcc, v81, v81
	v_max_f32_e32 v2, v2, v82
	v_mov_b32_e32 v82, v81
	v_cndmask_b32_e32 v3, v3, v81, vcc
	v_cndmask_b32_e32 v2, v2, v81, vcc
	v_cndmask_b32_e64 v3, v3, v26, s[38:39]
	v_cndmask_b32_e64 v2, v2, v26, s[38:39]
	v_cmp_neq_f32_e32 vcc, v3, v2
	v_cmp_class_f32_e64 s[2:3], v3, s4
	s_or_b64 s[4:5], vcc, s[2:3]
	s_and_saveexec_b64 s[2:3], s[4:5]
	s_cbranch_execz .LBB141_402
; %bb.401:
	v_sub_f32_e32 v3, v3, v2
	s_mov_b32 s4, 0x3fb8aa3b
	v_mul_f32_e32 v6, 0x3fb8aa3b, v3
	v_fma_f32 v7, v3, s4, -v6
	v_rndne_f32_e32 v11, v6
	v_fmamk_f32 v7, v3, 0x32a5705f, v7
	v_sub_f32_e32 v6, v6, v11
	v_add_f32_e32 v6, v6, v7
	v_exp_f32_e32 v6, v6
	v_cvt_i32_f32_e32 v7, v11
	s_mov_b32 s4, 0xc2ce8ed0
	v_cmp_ngt_f32_e32 vcc, s4, v3
	s_mov_b32 s4, 0x42b17218
	v_ldexp_f32 v6, v6, v7
	v_cndmask_b32_e32 v6, 0, v6, vcc
	v_mov_b32_e32 v7, 0x7f800000
	v_cmp_nlt_f32_e32 vcc, s4, v3
	s_mov_b32 s4, 0x3f2aaaab
	s_mov_b32 s5, 0x7f800000
	v_cndmask_b32_e32 v11, v7, v6, vcc
	v_add_f32_e32 v3, 1.0, v11
	v_add_f32_e32 v6, -1.0, v3
	v_sub_f32_e32 v7, v6, v3
	v_add_f32_e32 v7, 1.0, v7
	v_sub_f32_e32 v6, v11, v6
	v_add_f32_e32 v18, v6, v7
	v_frexp_mant_f32_e32 v19, v3
	v_cvt_f64_f32_e32 v[6:7], v3
	v_frexp_exp_i32_f64_e32 v6, v[6:7]
	v_cmp_gt_f32_e32 vcc, s4, v19
	s_mov_b32 s4, 0x3f317218
	s_nop 0
	v_subbrev_co_u32_e32 v26, vcc, 0, v6, vcc
	v_sub_u32_e32 v6, 0, v26
	v_ldexp_f32 v3, v3, v6
	v_ldexp_f32 v6, v18, v6
	v_add_f32_e32 v18, -1.0, v3
	v_add_f32_e32 v7, 1.0, v18
	v_sub_f32_e32 v7, v3, v7
	v_add_f32_e32 v19, v6, v7
	v_add_f32_e32 v7, 1.0, v3
	v_add_f32_e32 v24, -1.0, v7
	v_sub_f32_e32 v3, v3, v24
	v_add_f32_e32 v3, v6, v3
	v_add_f32_e32 v30, v7, v3
	v_rcp_f32_e32 v31, v30
	v_sub_f32_e32 v6, v7, v30
	v_add_f32_e32 v7, v18, v19
	v_add_f32_e32 v3, v3, v6
	v_mul_f32_e32 v33, v7, v31
	v_sub_f32_e32 v6, v18, v7
	v_mul_f32_e32 v18, v30, v33
	v_fma_f32 v24, v33, v30, -v18
	v_fmac_f32_e32 v24, v33, v3
	v_add_f32_e32 v32, v19, v6
	v_add_f32_e32 v6, v18, v24
	v_sub_f32_e32 v19, v7, v6
	v_pk_add_f32 v[28:29], v[6:7], v[18:19] neg_lo:[0,1] neg_hi:[0,1]
	v_mov_b32_e32 v25, v6
	v_pk_add_f32 v[6:7], v[28:29], v[24:25] neg_lo:[0,1] neg_hi:[0,1]
	v_cmp_eq_f32_e32 vcc, s5, v11
	v_add_f32_e32 v7, v32, v7
	v_add_f32_e32 v6, v6, v7
	;; [unrolled: 1-line block ×3, first 2 shown]
	v_mul_f32_e32 v32, v31, v7
	v_mul_f32_e32 v18, v30, v32
	v_fma_f32 v24, v32, v30, -v18
	v_fmac_f32_e32 v24, v32, v3
	v_sub_f32_e32 v3, v19, v7
	v_add_f32_e32 v3, v6, v3
	v_add_f32_e32 v6, v18, v24
	v_sub_f32_e32 v19, v7, v6
	v_pk_add_f32 v[28:29], v[6:7], v[18:19] neg_lo:[0,1] neg_hi:[0,1]
	v_mov_b32_e32 v25, v6
	v_pk_add_f32 v[6:7], v[28:29], v[24:25] neg_lo:[0,1] neg_hi:[0,1]
	v_cvt_f32_i32_e32 v18, v26
	v_add_f32_e32 v3, v3, v7
	v_add_f32_e32 v3, v6, v3
	;; [unrolled: 1-line block ×4, first 2 shown]
	v_sub_f32_e32 v7, v6, v33
	v_mul_f32_e32 v3, v31, v3
	v_sub_f32_e32 v7, v32, v7
	v_add_f32_e32 v3, v7, v3
	v_add_f32_e32 v19, v6, v3
	v_mul_f32_e32 v24, v19, v19
	v_mov_b32_e32 v7, 0x3ecc95a3
	v_fmac_f32_e32 v7, 0x3e9b6dac, v24
	v_sub_f32_e32 v6, v19, v6
	v_fmaak_f32 v7, v24, v7, 0x3f2aaada
	v_sub_f32_e32 v3, v3, v6
	v_ldexp_f32 v25, v19, 1
	v_mul_f32_e32 v19, v19, v24
	v_mov_b32_e32 v6, 0x3f317218
	v_pk_mul_f32 v[6:7], v[18:19], v[6:7]
	v_ldexp_f32 v3, v3, 1
	v_fma_f32 v19, v18, s4, -v6
	v_fmamk_f32 v24, v18, 0xb102e308, v19
	v_pk_add_f32 v[18:19], v[6:7], v[24:25]
	v_mov_b32_e32 v28, v6
	v_sub_f32_e32 v25, v19, v25
	v_sub_f32_e32 v25, v7, v25
	v_add_f32_e32 v29, v3, v25
	v_pk_add_f32 v[6:7], v[18:19], v[6:7] neg_lo:[0,1] neg_hi:[0,1]
	v_pk_add_f32 v[30:31], v[18:19], v[28:29]
	v_mov_b32_e32 v25, v18
	v_mov_b32_e32 v7, v31
	v_pk_add_f32 v[32:33], v[24:25], v[6:7] neg_lo:[0,1] neg_hi:[0,1]
	v_pk_add_f32 v[6:7], v[24:25], v[6:7]
	v_mov_b32_e32 v28, v29
	v_mov_b32_e32 v24, v7
	v_pk_add_f32 v[34:35], v[24:25], v[18:19] neg_lo:[0,1] neg_hi:[0,1]
	v_mov_b32_e32 v6, v31
	v_mov_b32_e32 v3, v34
	v_pk_add_f32 v[36:37], v[30:31], v[2:3] neg_lo:[0,1] neg_hi:[0,1]
	v_mov_b32_e32 v30, v19
	v_mov_b32_e32 v31, v34
	;; [unrolled: 1-line block ×3, first 2 shown]
	v_pk_add_f32 v[6:7], v[6:7], v[30:31] neg_lo:[0,1] neg_hi:[0,1]
	v_mov_b32_e32 v29, v18
	v_pk_add_f32 v[6:7], v[28:29], v[6:7] neg_lo:[0,1] neg_hi:[0,1]
	v_mov_b32_e32 v36, v32
	v_pk_add_f32 v[18:19], v[36:37], v[6:7]
	s_mov_b32 s4, 0x33800000
	v_mov_b32_e32 v26, v19
	v_pk_add_f32 v[28:29], v[18:19], v[26:27]
	v_cmp_lt_f32_e64 s[4:5], |v11|, s4
	v_pk_add_f32 v[24:25], v[24:25], v[28:29]
	v_mov_b32_e32 v7, v28
	v_mov_b32_e32 v19, v24
	v_pk_add_f32 v[30:31], v[18:19], v[32:33] neg_lo:[0,1] neg_hi:[0,1]
	s_or_b64 vcc, vcc, s[4:5]
	v_sub_f32_e32 v3, v18, v30
	v_pk_add_f32 v[6:7], v[6:7], v[30:31] neg_lo:[0,1] neg_hi:[0,1]
	v_sub_f32_e32 v3, v32, v3
	v_add_f32_e32 v3, v6, v3
	v_add_f32_e32 v3, v3, v7
	v_add_f32_e32 v3, v24, v3
	v_cndmask_b32_e32 v3, v3, v11, vcc
	v_add_f32_e32 v82, v2, v3
.LBB141_402:
	s_or_b64 exec, exec, s[2:3]
	v_max_f32_e32 v2, v82, v82
	v_min_f32_e32 v3, v2, v83
	v_cmp_u_f32_e32 vcc, v82, v82
	v_max_f32_e32 v2, v2, v83
	s_movk_i32 s4, 0x1f8
	v_cndmask_b32_e32 v3, v3, v82, vcc
	v_cndmask_b32_e32 v2, v2, v82, vcc
	v_cndmask_b32_e64 v3, v3, v27, s[40:41]
	v_cndmask_b32_e64 v2, v2, v27, s[40:41]
	v_cmp_neq_f32_e32 vcc, v3, v2
	v_cmp_class_f32_e64 s[2:3], v3, s4
	s_or_b64 s[6:7], vcc, s[2:3]
	v_mov_b32_e32 v83, v82
	s_and_saveexec_b64 s[2:3], s[6:7]
	s_cbranch_execz .LBB141_404
; %bb.403:
	v_sub_f32_e32 v3, v3, v2
	s_mov_b32 s5, 0x3fb8aa3b
	v_mul_f32_e32 v6, 0x3fb8aa3b, v3
	v_fma_f32 v7, v3, s5, -v6
	v_rndne_f32_e32 v11, v6
	v_fmamk_f32 v7, v3, 0x32a5705f, v7
	v_sub_f32_e32 v6, v6, v11
	v_add_f32_e32 v6, v6, v7
	v_exp_f32_e32 v6, v6
	v_cvt_i32_f32_e32 v7, v11
	s_mov_b32 s5, 0xc2ce8ed0
	v_cmp_ngt_f32_e32 vcc, s5, v3
	s_mov_b32 s5, 0x42b17218
	v_ldexp_f32 v6, v6, v7
	v_cndmask_b32_e32 v6, 0, v6, vcc
	v_mov_b32_e32 v7, 0x7f800000
	v_cmp_nlt_f32_e32 vcc, s5, v3
	s_mov_b32 s5, 0x3f2aaaab
	s_mov_b32 s6, 0x7f800000
	v_cndmask_b32_e32 v11, v7, v6, vcc
	v_add_f32_e32 v3, 1.0, v11
	v_add_f32_e32 v6, -1.0, v3
	v_sub_f32_e32 v7, v6, v3
	v_add_f32_e32 v7, 1.0, v7
	v_sub_f32_e32 v6, v11, v6
	v_add_f32_e32 v18, v6, v7
	v_frexp_mant_f32_e32 v19, v3
	v_cvt_f64_f32_e32 v[6:7], v3
	v_frexp_exp_i32_f64_e32 v6, v[6:7]
	v_cmp_gt_f32_e32 vcc, s5, v19
	s_mov_b32 s5, 0x3f317218
	s_nop 0
	v_subbrev_co_u32_e32 v28, vcc, 0, v6, vcc
	v_sub_u32_e32 v6, 0, v28
	v_ldexp_f32 v3, v3, v6
	v_ldexp_f32 v6, v18, v6
	v_add_f32_e32 v18, -1.0, v3
	v_add_f32_e32 v7, 1.0, v18
	v_sub_f32_e32 v7, v3, v7
	v_add_f32_e32 v19, v6, v7
	v_add_f32_e32 v7, 1.0, v3
	v_add_f32_e32 v24, -1.0, v7
	v_sub_f32_e32 v3, v3, v24
	v_add_f32_e32 v3, v6, v3
	v_add_f32_e32 v29, v7, v3
	v_rcp_f32_e32 v30, v29
	v_sub_f32_e32 v6, v7, v29
	v_add_f32_e32 v7, v18, v19
	v_add_f32_e32 v3, v3, v6
	v_mul_f32_e32 v32, v7, v30
	v_sub_f32_e32 v6, v18, v7
	v_mul_f32_e32 v18, v29, v32
	v_fma_f32 v24, v32, v29, -v18
	v_fmac_f32_e32 v24, v32, v3
	v_add_f32_e32 v31, v19, v6
	v_add_f32_e32 v6, v18, v24
	v_sub_f32_e32 v19, v7, v6
	v_pk_add_f32 v[26:27], v[6:7], v[18:19] neg_lo:[0,1] neg_hi:[0,1]
	v_mov_b32_e32 v25, v6
	v_pk_add_f32 v[6:7], v[26:27], v[24:25] neg_lo:[0,1] neg_hi:[0,1]
	v_cmp_eq_f32_e32 vcc, s6, v11
	v_add_f32_e32 v7, v31, v7
	v_add_f32_e32 v6, v6, v7
	;; [unrolled: 1-line block ×3, first 2 shown]
	v_mul_f32_e32 v31, v30, v7
	v_mul_f32_e32 v18, v29, v31
	v_fma_f32 v24, v31, v29, -v18
	v_fmac_f32_e32 v24, v31, v3
	v_sub_f32_e32 v3, v19, v7
	v_add_f32_e32 v3, v6, v3
	v_add_f32_e32 v6, v18, v24
	v_sub_f32_e32 v19, v7, v6
	v_pk_add_f32 v[26:27], v[6:7], v[18:19] neg_lo:[0,1] neg_hi:[0,1]
	v_mov_b32_e32 v25, v6
	v_pk_add_f32 v[6:7], v[26:27], v[24:25] neg_lo:[0,1] neg_hi:[0,1]
	v_cvt_f32_i32_e32 v18, v28
	v_add_f32_e32 v3, v3, v7
	v_add_f32_e32 v3, v6, v3
	;; [unrolled: 1-line block ×4, first 2 shown]
	v_sub_f32_e32 v7, v6, v32
	v_mul_f32_e32 v3, v30, v3
	v_sub_f32_e32 v7, v31, v7
	v_add_f32_e32 v3, v7, v3
	v_add_f32_e32 v19, v6, v3
	v_mul_f32_e32 v24, v19, v19
	v_mov_b32_e32 v7, 0x3ecc95a3
	v_fmac_f32_e32 v7, 0x3e9b6dac, v24
	v_sub_f32_e32 v6, v19, v6
	v_fmaak_f32 v7, v24, v7, 0x3f2aaada
	v_sub_f32_e32 v3, v3, v6
	v_ldexp_f32 v25, v19, 1
	v_mul_f32_e32 v19, v19, v24
	v_mov_b32_e32 v6, 0x3f317218
	v_pk_mul_f32 v[6:7], v[18:19], v[6:7]
	v_ldexp_f32 v3, v3, 1
	v_fma_f32 v19, v18, s5, -v6
	v_fmamk_f32 v24, v18, 0xb102e308, v19
	v_pk_add_f32 v[18:19], v[6:7], v[24:25]
	v_mov_b32_e32 v26, v6
	v_sub_f32_e32 v25, v19, v25
	v_sub_f32_e32 v25, v7, v25
	v_add_f32_e32 v27, v3, v25
	v_pk_add_f32 v[6:7], v[18:19], v[6:7] neg_lo:[0,1] neg_hi:[0,1]
	v_pk_add_f32 v[28:29], v[18:19], v[26:27]
	v_mov_b32_e32 v25, v18
	v_mov_b32_e32 v7, v29
	v_pk_add_f32 v[30:31], v[24:25], v[6:7] neg_lo:[0,1] neg_hi:[0,1]
	v_pk_add_f32 v[6:7], v[24:25], v[6:7]
	v_mov_b32_e32 v26, v27
	v_mov_b32_e32 v24, v7
	v_pk_add_f32 v[32:33], v[24:25], v[18:19] neg_lo:[0,1] neg_hi:[0,1]
	v_mov_b32_e32 v6, v29
	v_mov_b32_e32 v3, v32
	v_pk_add_f32 v[34:35], v[28:29], v[2:3] neg_lo:[0,1] neg_hi:[0,1]
	v_mov_b32_e32 v28, v19
	v_mov_b32_e32 v29, v32
	;; [unrolled: 1-line block ×3, first 2 shown]
	v_pk_add_f32 v[6:7], v[6:7], v[28:29] neg_lo:[0,1] neg_hi:[0,1]
	v_mov_b32_e32 v27, v18
	v_pk_add_f32 v[6:7], v[26:27], v[6:7] neg_lo:[0,1] neg_hi:[0,1]
	v_mov_b32_e32 v34, v30
	v_pk_add_f32 v[18:19], v[34:35], v[6:7]
	s_mov_b32 s5, 0x33800000
	v_mov_b32_e32 v26, v19
	v_pk_add_f32 v[26:27], v[18:19], v[26:27]
	v_cmp_lt_f32_e64 s[6:7], |v11|, s5
	v_pk_add_f32 v[24:25], v[24:25], v[26:27]
	v_mov_b32_e32 v7, v26
	v_mov_b32_e32 v19, v24
	v_pk_add_f32 v[28:29], v[18:19], v[30:31] neg_lo:[0,1] neg_hi:[0,1]
	s_or_b64 vcc, vcc, s[6:7]
	v_sub_f32_e32 v3, v18, v28
	v_pk_add_f32 v[6:7], v[6:7], v[28:29] neg_lo:[0,1] neg_hi:[0,1]
	v_sub_f32_e32 v3, v30, v3
	v_add_f32_e32 v3, v6, v3
	v_add_f32_e32 v3, v3, v7
	v_add_f32_e32 v3, v24, v3
	v_cndmask_b32_e32 v3, v3, v11, vcc
	v_add_f32_e32 v83, v2, v3
.LBB141_404:
	s_or_b64 exec, exec, s[2:3]
	v_max_f32_e32 v2, v83, v83
	v_min_f32_e32 v3, v2, v84
	v_cmp_u_f32_e32 vcc, v83, v83
	v_max_f32_e32 v2, v2, v84
	v_mov_b32_e32 v84, v83
	v_cndmask_b32_e32 v3, v3, v83, vcc
	v_cndmask_b32_e32 v2, v2, v83, vcc
	v_cndmask_b32_e64 v3, v3, v20, s[42:43]
	v_cndmask_b32_e64 v2, v2, v20, s[42:43]
	v_cmp_neq_f32_e32 vcc, v3, v2
	v_cmp_class_f32_e64 s[2:3], v3, s4
	s_or_b64 s[4:5], vcc, s[2:3]
	s_and_saveexec_b64 s[2:3], s[4:5]
	s_cbranch_execz .LBB141_406
; %bb.405:
	v_sub_f32_e32 v3, v3, v2
	s_mov_b32 s4, 0x3fb8aa3b
	v_mul_f32_e32 v6, 0x3fb8aa3b, v3
	v_fma_f32 v7, v3, s4, -v6
	v_rndne_f32_e32 v11, v6
	v_fmamk_f32 v7, v3, 0x32a5705f, v7
	v_sub_f32_e32 v6, v6, v11
	v_add_f32_e32 v6, v6, v7
	v_exp_f32_e32 v6, v6
	v_cvt_i32_f32_e32 v7, v11
	s_mov_b32 s4, 0xc2ce8ed0
	v_cmp_ngt_f32_e32 vcc, s4, v3
	s_mov_b32 s4, 0x42b17218
	v_ldexp_f32 v6, v6, v7
	v_cndmask_b32_e32 v6, 0, v6, vcc
	v_mov_b32_e32 v7, 0x7f800000
	v_cmp_nlt_f32_e32 vcc, s4, v3
	s_mov_b32 s4, 0x3f2aaaab
	s_mov_b32 s5, 0x7f800000
	v_cndmask_b32_e32 v11, v7, v6, vcc
	v_add_f32_e32 v3, 1.0, v11
	v_add_f32_e32 v6, -1.0, v3
	v_sub_f32_e32 v7, v6, v3
	v_add_f32_e32 v7, 1.0, v7
	v_sub_f32_e32 v6, v11, v6
	v_add_f32_e32 v18, v6, v7
	v_frexp_mant_f32_e32 v19, v3
	v_cvt_f64_f32_e32 v[6:7], v3
	v_frexp_exp_i32_f64_e32 v6, v[6:7]
	v_cmp_gt_f32_e32 vcc, s4, v19
	s_mov_b32 s4, 0x3f317218
	s_nop 0
	v_subbrev_co_u32_e32 v20, vcc, 0, v6, vcc
	v_sub_u32_e32 v6, 0, v20
	v_ldexp_f32 v3, v3, v6
	v_ldexp_f32 v6, v18, v6
	v_add_f32_e32 v18, -1.0, v3
	v_add_f32_e32 v7, 1.0, v18
	v_sub_f32_e32 v7, v3, v7
	v_add_f32_e32 v19, v6, v7
	v_add_f32_e32 v7, 1.0, v3
	v_add_f32_e32 v24, -1.0, v7
	v_sub_f32_e32 v3, v3, v24
	v_add_f32_e32 v3, v6, v3
	v_add_f32_e32 v28, v7, v3
	v_rcp_f32_e32 v29, v28
	v_sub_f32_e32 v6, v7, v28
	v_add_f32_e32 v7, v18, v19
	v_add_f32_e32 v3, v3, v6
	v_mul_f32_e32 v31, v7, v29
	v_sub_f32_e32 v6, v18, v7
	v_mul_f32_e32 v18, v28, v31
	v_fma_f32 v24, v31, v28, -v18
	v_fmac_f32_e32 v24, v31, v3
	v_add_f32_e32 v30, v19, v6
	v_add_f32_e32 v6, v18, v24
	v_sub_f32_e32 v19, v7, v6
	v_pk_add_f32 v[26:27], v[6:7], v[18:19] neg_lo:[0,1] neg_hi:[0,1]
	v_mov_b32_e32 v25, v6
	v_pk_add_f32 v[6:7], v[26:27], v[24:25] neg_lo:[0,1] neg_hi:[0,1]
	v_cmp_eq_f32_e32 vcc, s5, v11
	v_add_f32_e32 v7, v30, v7
	v_add_f32_e32 v6, v6, v7
	;; [unrolled: 1-line block ×3, first 2 shown]
	v_mul_f32_e32 v30, v29, v7
	v_mul_f32_e32 v18, v28, v30
	v_fma_f32 v24, v30, v28, -v18
	v_fmac_f32_e32 v24, v30, v3
	v_sub_f32_e32 v3, v19, v7
	v_add_f32_e32 v3, v6, v3
	v_add_f32_e32 v6, v18, v24
	v_sub_f32_e32 v19, v7, v6
	v_pk_add_f32 v[26:27], v[6:7], v[18:19] neg_lo:[0,1] neg_hi:[0,1]
	v_mov_b32_e32 v25, v6
	v_pk_add_f32 v[6:7], v[26:27], v[24:25] neg_lo:[0,1] neg_hi:[0,1]
	v_cvt_f32_i32_e32 v18, v20
	v_add_f32_e32 v3, v3, v7
	v_add_f32_e32 v3, v6, v3
	;; [unrolled: 1-line block ×4, first 2 shown]
	v_sub_f32_e32 v7, v6, v31
	v_mul_f32_e32 v3, v29, v3
	v_sub_f32_e32 v7, v30, v7
	v_add_f32_e32 v3, v7, v3
	v_add_f32_e32 v19, v6, v3
	v_mul_f32_e32 v24, v19, v19
	v_mov_b32_e32 v7, 0x3ecc95a3
	v_fmac_f32_e32 v7, 0x3e9b6dac, v24
	v_sub_f32_e32 v6, v19, v6
	v_fmaak_f32 v7, v24, v7, 0x3f2aaada
	v_sub_f32_e32 v3, v3, v6
	v_ldexp_f32 v25, v19, 1
	v_mul_f32_e32 v19, v19, v24
	v_mov_b32_e32 v6, 0x3f317218
	v_pk_mul_f32 v[6:7], v[18:19], v[6:7]
	v_ldexp_f32 v3, v3, 1
	v_fma_f32 v19, v18, s4, -v6
	v_fmamk_f32 v24, v18, 0xb102e308, v19
	v_pk_add_f32 v[18:19], v[6:7], v[24:25]
	v_mov_b32_e32 v26, v6
	v_sub_f32_e32 v20, v19, v25
	v_sub_f32_e32 v20, v7, v20
	v_add_f32_e32 v27, v3, v20
	v_pk_add_f32 v[6:7], v[18:19], v[6:7] neg_lo:[0,1] neg_hi:[0,1]
	v_pk_add_f32 v[28:29], v[18:19], v[26:27]
	v_mov_b32_e32 v25, v18
	v_mov_b32_e32 v7, v29
	v_pk_add_f32 v[30:31], v[24:25], v[6:7] neg_lo:[0,1] neg_hi:[0,1]
	v_pk_add_f32 v[6:7], v[24:25], v[6:7]
	s_mov_b32 s4, 0x33800000
	v_mov_b32_e32 v20, v7
	v_pk_add_f32 v[24:25], v[20:21], v[18:19] neg_lo:[0,1] neg_hi:[0,1]
	v_mov_b32_e32 v6, v29
	v_mov_b32_e32 v3, v24
	v_pk_add_f32 v[32:33], v[28:29], v[2:3] neg_lo:[0,1] neg_hi:[0,1]
	v_mov_b32_e32 v28, v19
	v_mov_b32_e32 v29, v24
	;; [unrolled: 1-line block ×3, first 2 shown]
	v_pk_add_f32 v[6:7], v[6:7], v[28:29] neg_lo:[0,1] neg_hi:[0,1]
	v_mov_b32_e32 v24, v27
	v_mov_b32_e32 v25, v18
	v_pk_add_f32 v[6:7], v[24:25], v[6:7] neg_lo:[0,1] neg_hi:[0,1]
	v_mov_b32_e32 v32, v30
	v_pk_add_f32 v[18:19], v[32:33], v[6:7]
	v_cmp_lt_f32_e64 s[4:5], |v11|, s4
	v_mov_b32_e32 v24, v19
	v_pk_add_f32 v[24:25], v[18:19], v[24:25]
	s_or_b64 vcc, vcc, s[4:5]
	v_pk_add_f32 v[26:27], v[20:21], v[24:25]
	v_mov_b32_e32 v7, v24
	v_mov_b32_e32 v19, v26
	v_pk_add_f32 v[28:29], v[18:19], v[30:31] neg_lo:[0,1] neg_hi:[0,1]
	s_nop 0
	v_sub_f32_e32 v3, v18, v28
	v_pk_add_f32 v[6:7], v[6:7], v[28:29] neg_lo:[0,1] neg_hi:[0,1]
	v_sub_f32_e32 v3, v30, v3
	v_add_f32_e32 v3, v6, v3
	v_add_f32_e32 v3, v3, v7
	;; [unrolled: 1-line block ×3, first 2 shown]
	v_cndmask_b32_e32 v3, v3, v11, vcc
	v_add_f32_e32 v84, v2, v3
.LBB141_406:
	s_or_b64 exec, exec, s[2:3]
	v_max_f32_e32 v2, v84, v84
	v_min_f32_e32 v3, v2, v85
	v_cmp_u_f32_e32 vcc, v84, v84
	v_max_f32_e32 v2, v2, v85
	s_movk_i32 s4, 0x1f8
	v_cndmask_b32_e32 v3, v3, v84, vcc
	v_cndmask_b32_e32 v2, v2, v84, vcc
	v_cndmask_b32_e64 v3, v3, v21, s[44:45]
	v_cndmask_b32_e64 v2, v2, v21, s[44:45]
	v_cmp_neq_f32_e32 vcc, v3, v2
	v_cmp_class_f32_e64 s[2:3], v3, s4
	s_or_b64 s[6:7], vcc, s[2:3]
	v_mov_b32_e32 v85, v84
	s_and_saveexec_b64 s[2:3], s[6:7]
	s_cbranch_execz .LBB141_408
; %bb.407:
	v_sub_f32_e32 v3, v3, v2
	s_mov_b32 s5, 0x3fb8aa3b
	v_mul_f32_e32 v6, 0x3fb8aa3b, v3
	v_fma_f32 v7, v3, s5, -v6
	v_rndne_f32_e32 v11, v6
	v_fmamk_f32 v7, v3, 0x32a5705f, v7
	v_sub_f32_e32 v6, v6, v11
	v_add_f32_e32 v6, v6, v7
	v_exp_f32_e32 v6, v6
	v_cvt_i32_f32_e32 v7, v11
	s_mov_b32 s5, 0xc2ce8ed0
	v_cmp_ngt_f32_e32 vcc, s5, v3
	s_mov_b32 s5, 0x42b17218
	v_ldexp_f32 v6, v6, v7
	v_cndmask_b32_e32 v6, 0, v6, vcc
	v_mov_b32_e32 v7, 0x7f800000
	v_cmp_nlt_f32_e32 vcc, s5, v3
	s_mov_b32 s5, 0x3f2aaaab
	s_mov_b32 s6, 0x7f800000
	v_cndmask_b32_e32 v11, v7, v6, vcc
	v_add_f32_e32 v3, 1.0, v11
	v_add_f32_e32 v6, -1.0, v3
	v_sub_f32_e32 v7, v6, v3
	v_add_f32_e32 v7, 1.0, v7
	v_sub_f32_e32 v6, v11, v6
	v_add_f32_e32 v18, v6, v7
	v_frexp_mant_f32_e32 v19, v3
	v_cvt_f64_f32_e32 v[6:7], v3
	v_frexp_exp_i32_f64_e32 v6, v[6:7]
	v_cmp_gt_f32_e32 vcc, s5, v19
	s_mov_b32 s5, 0x3f317218
	s_nop 0
	v_subbrev_co_u32_e32 v26, vcc, 0, v6, vcc
	v_sub_u32_e32 v6, 0, v26
	v_ldexp_f32 v3, v3, v6
	v_ldexp_f32 v6, v18, v6
	v_add_f32_e32 v18, -1.0, v3
	v_add_f32_e32 v7, 1.0, v18
	v_sub_f32_e32 v7, v3, v7
	v_add_f32_e32 v19, v6, v7
	v_add_f32_e32 v7, 1.0, v3
	v_add_f32_e32 v20, -1.0, v7
	v_sub_f32_e32 v3, v3, v20
	v_add_f32_e32 v3, v6, v3
	v_add_f32_e32 v27, v7, v3
	v_rcp_f32_e32 v28, v27
	v_sub_f32_e32 v6, v7, v27
	v_add_f32_e32 v7, v18, v19
	v_add_f32_e32 v3, v3, v6
	v_mul_f32_e32 v30, v7, v28
	v_sub_f32_e32 v6, v18, v7
	v_mul_f32_e32 v18, v27, v30
	v_fma_f32 v20, v30, v27, -v18
	v_fmac_f32_e32 v20, v30, v3
	v_add_f32_e32 v29, v19, v6
	v_add_f32_e32 v6, v18, v20
	v_sub_f32_e32 v19, v7, v6
	v_pk_add_f32 v[24:25], v[6:7], v[18:19] neg_lo:[0,1] neg_hi:[0,1]
	v_mov_b32_e32 v21, v6
	v_pk_add_f32 v[6:7], v[24:25], v[20:21] neg_lo:[0,1] neg_hi:[0,1]
	v_cmp_eq_f32_e32 vcc, s6, v11
	v_add_f32_e32 v7, v29, v7
	v_add_f32_e32 v6, v6, v7
	;; [unrolled: 1-line block ×3, first 2 shown]
	v_mul_f32_e32 v29, v28, v7
	v_mul_f32_e32 v18, v27, v29
	v_fma_f32 v20, v29, v27, -v18
	v_fmac_f32_e32 v20, v29, v3
	v_sub_f32_e32 v3, v19, v7
	v_add_f32_e32 v3, v6, v3
	v_add_f32_e32 v6, v18, v20
	v_sub_f32_e32 v19, v7, v6
	v_pk_add_f32 v[24:25], v[6:7], v[18:19] neg_lo:[0,1] neg_hi:[0,1]
	v_mov_b32_e32 v21, v6
	v_pk_add_f32 v[6:7], v[24:25], v[20:21] neg_lo:[0,1] neg_hi:[0,1]
	v_cvt_f32_i32_e32 v18, v26
	v_add_f32_e32 v3, v3, v7
	v_add_f32_e32 v3, v6, v3
	;; [unrolled: 1-line block ×4, first 2 shown]
	v_sub_f32_e32 v7, v6, v30
	v_mul_f32_e32 v3, v28, v3
	v_sub_f32_e32 v7, v29, v7
	v_add_f32_e32 v3, v7, v3
	v_add_f32_e32 v19, v6, v3
	v_mul_f32_e32 v20, v19, v19
	v_mov_b32_e32 v7, 0x3ecc95a3
	v_fmac_f32_e32 v7, 0x3e9b6dac, v20
	v_sub_f32_e32 v6, v19, v6
	v_fmaak_f32 v7, v20, v7, 0x3f2aaada
	v_sub_f32_e32 v3, v3, v6
	v_ldexp_f32 v21, v19, 1
	v_mul_f32_e32 v19, v19, v20
	v_mov_b32_e32 v6, 0x3f317218
	v_pk_mul_f32 v[6:7], v[18:19], v[6:7]
	v_ldexp_f32 v3, v3, 1
	v_fma_f32 v19, v18, s5, -v6
	v_fmamk_f32 v20, v18, 0xb102e308, v19
	v_pk_add_f32 v[18:19], v[6:7], v[20:21]
	v_mov_b32_e32 v24, v6
	v_sub_f32_e32 v21, v19, v21
	v_sub_f32_e32 v21, v7, v21
	v_add_f32_e32 v25, v3, v21
	v_pk_add_f32 v[6:7], v[18:19], v[6:7] neg_lo:[0,1] neg_hi:[0,1]
	v_pk_add_f32 v[26:27], v[18:19], v[24:25]
	v_mov_b32_e32 v21, v18
	v_mov_b32_e32 v7, v27
	v_pk_add_f32 v[28:29], v[20:21], v[6:7] neg_lo:[0,1] neg_hi:[0,1]
	v_pk_add_f32 v[6:7], v[20:21], v[6:7]
	v_mov_b32_e32 v24, v25
	v_mov_b32_e32 v20, v7
	v_pk_add_f32 v[30:31], v[20:21], v[18:19] neg_lo:[0,1] neg_hi:[0,1]
	v_mov_b32_e32 v6, v27
	v_mov_b32_e32 v3, v30
	v_pk_add_f32 v[32:33], v[26:27], v[2:3] neg_lo:[0,1] neg_hi:[0,1]
	v_mov_b32_e32 v26, v19
	v_mov_b32_e32 v27, v30
	;; [unrolled: 1-line block ×3, first 2 shown]
	v_pk_add_f32 v[6:7], v[6:7], v[26:27] neg_lo:[0,1] neg_hi:[0,1]
	v_mov_b32_e32 v25, v18
	v_pk_add_f32 v[6:7], v[24:25], v[6:7] neg_lo:[0,1] neg_hi:[0,1]
	v_mov_b32_e32 v32, v28
	v_pk_add_f32 v[18:19], v[32:33], v[6:7]
	s_mov_b32 s5, 0x33800000
	v_mov_b32_e32 v24, v19
	v_pk_add_f32 v[24:25], v[18:19], v[24:25]
	v_cmp_lt_f32_e64 s[6:7], |v11|, s5
	v_pk_add_f32 v[20:21], v[20:21], v[24:25]
	v_mov_b32_e32 v7, v24
	v_mov_b32_e32 v19, v20
	v_pk_add_f32 v[26:27], v[18:19], v[28:29] neg_lo:[0,1] neg_hi:[0,1]
	s_or_b64 vcc, vcc, s[6:7]
	v_sub_f32_e32 v3, v18, v26
	v_pk_add_f32 v[6:7], v[6:7], v[26:27] neg_lo:[0,1] neg_hi:[0,1]
	v_sub_f32_e32 v3, v28, v3
	v_add_f32_e32 v3, v6, v3
	v_add_f32_e32 v3, v3, v7
	;; [unrolled: 1-line block ×3, first 2 shown]
	v_cndmask_b32_e32 v3, v3, v11, vcc
	v_add_f32_e32 v85, v2, v3
.LBB141_408:
	s_or_b64 exec, exec, s[2:3]
	v_max_f32_e32 v2, v85, v85
	v_min_f32_e32 v3, v2, v86
	v_cmp_u_f32_e32 vcc, v85, v85
	v_max_f32_e32 v2, v2, v86
	v_mov_b32_e32 v86, v85
	v_cndmask_b32_e32 v3, v3, v85, vcc
	v_cndmask_b32_e32 v2, v2, v85, vcc
	v_cndmask_b32_e64 v3, v3, v22, s[46:47]
	v_cndmask_b32_e64 v2, v2, v22, s[46:47]
	v_cmp_neq_f32_e32 vcc, v3, v2
	v_cmp_class_f32_e64 s[2:3], v3, s4
	s_or_b64 s[4:5], vcc, s[2:3]
	s_and_saveexec_b64 s[2:3], s[4:5]
	s_cbranch_execz .LBB141_410
; %bb.409:
	v_sub_f32_e32 v3, v3, v2
	s_mov_b32 s4, 0x3fb8aa3b
	v_mul_f32_e32 v6, 0x3fb8aa3b, v3
	v_fma_f32 v7, v3, s4, -v6
	v_rndne_f32_e32 v11, v6
	v_fmamk_f32 v7, v3, 0x32a5705f, v7
	v_sub_f32_e32 v6, v6, v11
	v_add_f32_e32 v6, v6, v7
	v_exp_f32_e32 v6, v6
	v_cvt_i32_f32_e32 v7, v11
	s_mov_b32 s4, 0xc2ce8ed0
	v_cmp_ngt_f32_e32 vcc, s4, v3
	s_mov_b32 s4, 0x42b17218
	v_ldexp_f32 v6, v6, v7
	v_cndmask_b32_e32 v6, 0, v6, vcc
	v_mov_b32_e32 v7, 0x7f800000
	v_cmp_nlt_f32_e32 vcc, s4, v3
	s_mov_b32 s4, 0x3f2aaaab
	s_mov_b32 s5, 0x7f800000
	v_cndmask_b32_e32 v11, v7, v6, vcc
	v_add_f32_e32 v3, 1.0, v11
	v_add_f32_e32 v6, -1.0, v3
	v_sub_f32_e32 v7, v6, v3
	v_add_f32_e32 v7, 1.0, v7
	v_sub_f32_e32 v6, v11, v6
	v_add_f32_e32 v18, v6, v7
	v_frexp_mant_f32_e32 v19, v3
	v_cvt_f64_f32_e32 v[6:7], v3
	v_frexp_exp_i32_f64_e32 v6, v[6:7]
	v_cmp_gt_f32_e32 vcc, s4, v19
	s_mov_b32 s4, 0x3f317218
	s_nop 0
	v_subbrev_co_u32_e32 v22, vcc, 0, v6, vcc
	v_sub_u32_e32 v6, 0, v22
	v_ldexp_f32 v3, v3, v6
	v_ldexp_f32 v6, v18, v6
	v_add_f32_e32 v18, -1.0, v3
	v_add_f32_e32 v7, 1.0, v18
	v_sub_f32_e32 v7, v3, v7
	v_add_f32_e32 v19, v6, v7
	v_add_f32_e32 v7, 1.0, v3
	v_add_f32_e32 v20, -1.0, v7
	v_sub_f32_e32 v3, v3, v20
	v_add_f32_e32 v3, v6, v3
	v_add_f32_e32 v26, v7, v3
	v_rcp_f32_e32 v27, v26
	v_sub_f32_e32 v6, v7, v26
	v_add_f32_e32 v7, v18, v19
	v_add_f32_e32 v3, v3, v6
	v_mul_f32_e32 v29, v7, v27
	v_sub_f32_e32 v6, v18, v7
	v_mul_f32_e32 v18, v26, v29
	v_fma_f32 v20, v29, v26, -v18
	v_fmac_f32_e32 v20, v29, v3
	v_add_f32_e32 v28, v19, v6
	v_add_f32_e32 v6, v18, v20
	v_sub_f32_e32 v19, v7, v6
	v_pk_add_f32 v[24:25], v[6:7], v[18:19] neg_lo:[0,1] neg_hi:[0,1]
	v_mov_b32_e32 v21, v6
	v_pk_add_f32 v[6:7], v[24:25], v[20:21] neg_lo:[0,1] neg_hi:[0,1]
	v_cmp_eq_f32_e32 vcc, s5, v11
	v_add_f32_e32 v7, v28, v7
	v_add_f32_e32 v6, v6, v7
	;; [unrolled: 1-line block ×3, first 2 shown]
	v_mul_f32_e32 v28, v27, v7
	v_mul_f32_e32 v18, v26, v28
	v_fma_f32 v20, v28, v26, -v18
	v_fmac_f32_e32 v20, v28, v3
	v_sub_f32_e32 v3, v19, v7
	v_add_f32_e32 v3, v6, v3
	v_add_f32_e32 v6, v18, v20
	v_sub_f32_e32 v19, v7, v6
	v_pk_add_f32 v[24:25], v[6:7], v[18:19] neg_lo:[0,1] neg_hi:[0,1]
	v_mov_b32_e32 v21, v6
	v_pk_add_f32 v[6:7], v[24:25], v[20:21] neg_lo:[0,1] neg_hi:[0,1]
	v_cvt_f32_i32_e32 v18, v22
	v_add_f32_e32 v3, v3, v7
	v_add_f32_e32 v3, v6, v3
	;; [unrolled: 1-line block ×4, first 2 shown]
	v_sub_f32_e32 v7, v6, v29
	v_mul_f32_e32 v3, v27, v3
	v_sub_f32_e32 v7, v28, v7
	v_add_f32_e32 v3, v7, v3
	v_add_f32_e32 v19, v6, v3
	v_mul_f32_e32 v20, v19, v19
	v_mov_b32_e32 v7, 0x3ecc95a3
	v_fmac_f32_e32 v7, 0x3e9b6dac, v20
	v_sub_f32_e32 v6, v19, v6
	v_fmaak_f32 v7, v20, v7, 0x3f2aaada
	v_sub_f32_e32 v3, v3, v6
	v_ldexp_f32 v21, v19, 1
	v_mul_f32_e32 v19, v19, v20
	v_mov_b32_e32 v6, 0x3f317218
	v_pk_mul_f32 v[6:7], v[18:19], v[6:7]
	v_ldexp_f32 v3, v3, 1
	v_fma_f32 v19, v18, s4, -v6
	v_fmamk_f32 v20, v18, 0xb102e308, v19
	v_pk_add_f32 v[18:19], v[6:7], v[20:21]
	v_mov_b32_e32 v24, v6
	v_sub_f32_e32 v21, v19, v21
	v_sub_f32_e32 v21, v7, v21
	v_add_f32_e32 v25, v3, v21
	v_pk_add_f32 v[6:7], v[18:19], v[6:7] neg_lo:[0,1] neg_hi:[0,1]
	v_pk_add_f32 v[26:27], v[18:19], v[24:25]
	v_mov_b32_e32 v21, v18
	v_mov_b32_e32 v7, v27
	v_pk_add_f32 v[28:29], v[20:21], v[6:7] neg_lo:[0,1] neg_hi:[0,1]
	v_pk_add_f32 v[6:7], v[20:21], v[6:7]
	v_mov_b32_e32 v24, v25
	v_mov_b32_e32 v20, v7
	v_pk_add_f32 v[30:31], v[20:21], v[18:19] neg_lo:[0,1] neg_hi:[0,1]
	v_mov_b32_e32 v6, v27
	v_mov_b32_e32 v3, v30
	v_pk_add_f32 v[32:33], v[26:27], v[2:3] neg_lo:[0,1] neg_hi:[0,1]
	v_mov_b32_e32 v26, v19
	v_mov_b32_e32 v27, v30
	;; [unrolled: 1-line block ×3, first 2 shown]
	v_pk_add_f32 v[6:7], v[6:7], v[26:27] neg_lo:[0,1] neg_hi:[0,1]
	v_mov_b32_e32 v25, v18
	v_pk_add_f32 v[6:7], v[24:25], v[6:7] neg_lo:[0,1] neg_hi:[0,1]
	v_mov_b32_e32 v32, v28
	v_pk_add_f32 v[18:19], v[32:33], v[6:7]
	s_mov_b32 s4, 0x33800000
	v_mov_b32_e32 v22, v19
	v_pk_add_f32 v[24:25], v[18:19], v[22:23]
	v_cmp_lt_f32_e64 s[4:5], |v11|, s4
	v_pk_add_f32 v[20:21], v[20:21], v[24:25]
	v_mov_b32_e32 v7, v24
	v_mov_b32_e32 v19, v20
	v_pk_add_f32 v[26:27], v[18:19], v[28:29] neg_lo:[0,1] neg_hi:[0,1]
	s_or_b64 vcc, vcc, s[4:5]
	v_sub_f32_e32 v3, v18, v26
	v_pk_add_f32 v[6:7], v[6:7], v[26:27] neg_lo:[0,1] neg_hi:[0,1]
	v_sub_f32_e32 v3, v28, v3
	v_add_f32_e32 v3, v6, v3
	v_add_f32_e32 v3, v3, v7
	;; [unrolled: 1-line block ×3, first 2 shown]
	v_cndmask_b32_e32 v3, v3, v11, vcc
	v_add_f32_e32 v86, v2, v3
.LBB141_410:
	s_or_b64 exec, exec, s[2:3]
	v_max_f32_e32 v2, v86, v86
	v_min_f32_e32 v3, v2, v87
	v_cmp_u_f32_e32 vcc, v86, v86
	v_max_f32_e32 v2, v2, v87
	s_movk_i32 s2, 0x1f8
	v_cndmask_b32_e32 v3, v3, v86, vcc
	v_cndmask_b32_e32 v2, v2, v86, vcc
	v_cndmask_b32_e64 v3, v3, v23, s[48:49]
	v_cndmask_b32_e64 v2, v2, v23, s[48:49]
	v_cmp_neq_f32_e32 vcc, v3, v2
	v_cmp_class_f32_e64 s[2:3], v3, s2
	s_or_b64 s[4:5], vcc, s[2:3]
	v_mov_b32_e32 v87, v86
	s_and_saveexec_b64 s[2:3], s[4:5]
	s_cbranch_execz .LBB141_412
; %bb.411:
	v_sub_f32_e32 v3, v3, v2
	s_mov_b32 s4, 0x3fb8aa3b
	v_mul_f32_e32 v6, 0x3fb8aa3b, v3
	v_fma_f32 v7, v3, s4, -v6
	v_rndne_f32_e32 v11, v6
	v_fmamk_f32 v7, v3, 0x32a5705f, v7
	v_sub_f32_e32 v6, v6, v11
	v_add_f32_e32 v6, v6, v7
	v_exp_f32_e32 v6, v6
	v_cvt_i32_f32_e32 v7, v11
	s_mov_b32 s4, 0xc2ce8ed0
	v_cmp_ngt_f32_e32 vcc, s4, v3
	s_mov_b32 s4, 0x42b17218
	v_ldexp_f32 v6, v6, v7
	v_cndmask_b32_e32 v6, 0, v6, vcc
	v_mov_b32_e32 v7, 0x7f800000
	v_cmp_nlt_f32_e32 vcc, s4, v3
	s_mov_b32 s4, 0x3f2aaaab
	s_mov_b32 s5, 0x7f800000
	v_cndmask_b32_e32 v11, v7, v6, vcc
	v_add_f32_e32 v3, 1.0, v11
	v_add_f32_e32 v6, -1.0, v3
	v_sub_f32_e32 v7, v6, v3
	v_add_f32_e32 v7, 1.0, v7
	v_sub_f32_e32 v6, v11, v6
	v_add_f32_e32 v18, v6, v7
	v_frexp_mant_f32_e32 v19, v3
	v_cvt_f64_f32_e32 v[6:7], v3
	v_frexp_exp_i32_f64_e32 v6, v[6:7]
	v_cmp_gt_f32_e32 vcc, s4, v19
	s_mov_b32 s4, 0x3f317218
	s_nop 0
	v_subbrev_co_u32_e32 v24, vcc, 0, v6, vcc
	v_sub_u32_e32 v6, 0, v24
	v_ldexp_f32 v3, v3, v6
	v_ldexp_f32 v6, v18, v6
	v_add_f32_e32 v18, -1.0, v3
	v_add_f32_e32 v7, 1.0, v18
	v_sub_f32_e32 v7, v3, v7
	v_add_f32_e32 v19, v6, v7
	v_add_f32_e32 v7, 1.0, v3
	v_add_f32_e32 v20, -1.0, v7
	v_sub_f32_e32 v3, v3, v20
	v_add_f32_e32 v3, v6, v3
	v_add_f32_e32 v25, v7, v3
	v_rcp_f32_e32 v26, v25
	v_sub_f32_e32 v6, v7, v25
	v_add_f32_e32 v7, v18, v19
	v_add_f32_e32 v3, v3, v6
	v_mul_f32_e32 v28, v7, v26
	v_sub_f32_e32 v6, v18, v7
	v_mul_f32_e32 v18, v25, v28
	v_fma_f32 v20, v28, v25, -v18
	v_fmac_f32_e32 v20, v28, v3
	v_add_f32_e32 v27, v19, v6
	v_add_f32_e32 v6, v18, v20
	v_sub_f32_e32 v19, v7, v6
	v_pk_add_f32 v[22:23], v[6:7], v[18:19] neg_lo:[0,1] neg_hi:[0,1]
	v_mov_b32_e32 v21, v6
	v_pk_add_f32 v[6:7], v[22:23], v[20:21] neg_lo:[0,1] neg_hi:[0,1]
	v_cmp_eq_f32_e32 vcc, s5, v11
	v_add_f32_e32 v7, v27, v7
	v_add_f32_e32 v6, v6, v7
	;; [unrolled: 1-line block ×3, first 2 shown]
	v_mul_f32_e32 v27, v26, v7
	v_mul_f32_e32 v18, v25, v27
	v_fma_f32 v20, v27, v25, -v18
	v_fmac_f32_e32 v20, v27, v3
	v_sub_f32_e32 v3, v19, v7
	v_add_f32_e32 v3, v6, v3
	v_add_f32_e32 v6, v18, v20
	v_sub_f32_e32 v19, v7, v6
	v_pk_add_f32 v[22:23], v[6:7], v[18:19] neg_lo:[0,1] neg_hi:[0,1]
	v_mov_b32_e32 v21, v6
	v_pk_add_f32 v[6:7], v[22:23], v[20:21] neg_lo:[0,1] neg_hi:[0,1]
	v_cvt_f32_i32_e32 v18, v24
	v_add_f32_e32 v3, v3, v7
	v_add_f32_e32 v3, v6, v3
	;; [unrolled: 1-line block ×4, first 2 shown]
	v_sub_f32_e32 v7, v6, v28
	v_mul_f32_e32 v3, v26, v3
	v_sub_f32_e32 v7, v27, v7
	v_add_f32_e32 v3, v7, v3
	v_add_f32_e32 v19, v6, v3
	v_mul_f32_e32 v20, v19, v19
	v_mov_b32_e32 v7, 0x3ecc95a3
	v_fmac_f32_e32 v7, 0x3e9b6dac, v20
	v_sub_f32_e32 v6, v19, v6
	v_fmaak_f32 v7, v20, v7, 0x3f2aaada
	v_sub_f32_e32 v3, v3, v6
	v_ldexp_f32 v21, v19, 1
	v_mul_f32_e32 v19, v19, v20
	v_mov_b32_e32 v6, 0x3f317218
	v_pk_mul_f32 v[6:7], v[18:19], v[6:7]
	v_ldexp_f32 v3, v3, 1
	v_fma_f32 v19, v18, s4, -v6
	v_fmamk_f32 v20, v18, 0xb102e308, v19
	v_pk_add_f32 v[18:19], v[6:7], v[20:21]
	v_mov_b32_e32 v22, v6
	v_sub_f32_e32 v21, v19, v21
	v_sub_f32_e32 v21, v7, v21
	v_add_f32_e32 v23, v3, v21
	v_pk_add_f32 v[6:7], v[18:19], v[6:7] neg_lo:[0,1] neg_hi:[0,1]
	v_pk_add_f32 v[24:25], v[18:19], v[22:23]
	v_mov_b32_e32 v21, v18
	v_mov_b32_e32 v7, v25
	v_pk_add_f32 v[26:27], v[20:21], v[6:7] neg_lo:[0,1] neg_hi:[0,1]
	v_pk_add_f32 v[6:7], v[20:21], v[6:7]
	v_mov_b32_e32 v22, v23
	v_mov_b32_e32 v20, v7
	v_pk_add_f32 v[28:29], v[20:21], v[18:19] neg_lo:[0,1] neg_hi:[0,1]
	v_mov_b32_e32 v6, v25
	v_mov_b32_e32 v3, v28
	v_pk_add_f32 v[30:31], v[24:25], v[2:3] neg_lo:[0,1] neg_hi:[0,1]
	v_mov_b32_e32 v24, v19
	v_mov_b32_e32 v25, v28
	;; [unrolled: 1-line block ×3, first 2 shown]
	v_pk_add_f32 v[6:7], v[6:7], v[24:25] neg_lo:[0,1] neg_hi:[0,1]
	v_mov_b32_e32 v23, v18
	v_pk_add_f32 v[6:7], v[22:23], v[6:7] neg_lo:[0,1] neg_hi:[0,1]
	v_mov_b32_e32 v30, v26
	v_pk_add_f32 v[18:19], v[30:31], v[6:7]
	s_mov_b32 s4, 0x33800000
	v_mov_b32_e32 v22, v19
	v_pk_add_f32 v[22:23], v[18:19], v[22:23]
	v_cmp_lt_f32_e64 s[4:5], |v11|, s4
	v_pk_add_f32 v[20:21], v[20:21], v[22:23]
	v_mov_b32_e32 v7, v22
	v_mov_b32_e32 v19, v20
	v_pk_add_f32 v[24:25], v[18:19], v[26:27] neg_lo:[0,1] neg_hi:[0,1]
	s_or_b64 vcc, vcc, s[4:5]
	v_sub_f32_e32 v3, v18, v24
	v_pk_add_f32 v[6:7], v[6:7], v[24:25] neg_lo:[0,1] neg_hi:[0,1]
	v_sub_f32_e32 v3, v26, v3
	v_add_f32_e32 v3, v6, v3
	v_add_f32_e32 v3, v3, v7
	;; [unrolled: 1-line block ×3, first 2 shown]
	v_cndmask_b32_e32 v3, v3, v11, vcc
	v_add_f32_e32 v87, v2, v3
.LBB141_412:
	s_or_b64 exec, exec, s[2:3]
	s_movk_i32 s2, 0xff
	v_cmp_eq_u32_e32 vcc, s2, v0
	s_and_saveexec_b64 s[2:3], vcc
	s_cbranch_execz .LBB141_414
; %bb.413:
	v_mov_b32_e32 v3, 2
	v_mov_b32_e32 v2, v87
	flat_store_dwordx2 v[96:97], v[2:3] offset:512 sc1
.LBB141_414:
	s_or_b64 exec, exec, s[2:3]
	v_mov_b64_e32 v[48:49], v[16:17]
.LBB141_415:
	v_lshl_add_u64 v[2:3], v[12:13], 2, v[14:15]
	v_lshl_add_u64 v[32:33], s[62:63], 2, v[2:3]
	s_waitcnt lgkmcnt(0)
	s_barrier
	s_and_saveexec_b64 s[2:3], s[0:1]
	s_xor_b64 s[0:1], exec, s[2:3]
	s_cbranch_execz .LBB141_417
; %bb.416:
	v_mov_b32_e32 v11, 0
	ds_write_b128 v1, v[48:51]
	ds_write_b128 v1, v[52:55] offset:16
	ds_write_b128 v1, v[64:67] offset:32
	;; [unrolled: 1-line block ×5, first 2 shown]
	s_waitcnt lgkmcnt(0)
	s_barrier
	ds_read2st64_b32 v[0:1], v10 offset1:4
	ds_read2st64_b32 v[2:3], v10 offset0:8 offset1:12
	ds_read2st64_b32 v[4:5], v10 offset0:16 offset1:20
	;; [unrolled: 1-line block ×11, first 2 shown]
	v_lshl_add_u64 v[10:11], v[32:33], 0, v[10:11]
	s_movk_i32 s2, 0x1000
	s_waitcnt lgkmcnt(0)
	flat_store_dword v[10:11], v0
	flat_store_dword v[10:11], v1 offset:1024
	flat_store_dword v[10:11], v2 offset:2048
	;; [unrolled: 1-line block ×3, first 2 shown]
	v_add_co_u32_e32 v0, vcc, s2, v10
	s_movk_i32 s2, 0x2000
	s_nop 0
	v_addc_co_u32_e32 v1, vcc, 0, v11, vcc
	flat_store_dword v[0:1], v4
	flat_store_dword v[0:1], v5 offset:1024
	flat_store_dword v[0:1], v6 offset:2048
	;; [unrolled: 1-line block ×3, first 2 shown]
	v_add_co_u32_e32 v0, vcc, s2, v10
	s_movk_i32 s2, 0x3000
	s_nop 0
	v_addc_co_u32_e32 v1, vcc, 0, v11, vcc
	flat_store_dword v[0:1], v8
	flat_store_dword v[0:1], v9 offset:1024
	flat_store_dword v[0:1], v12 offset:2048
	;; [unrolled: 1-line block ×3, first 2 shown]
	v_add_co_u32_e32 v0, vcc, s2, v10
                                        ; implicit-def: $vgpr2_vgpr3_vgpr4_vgpr5
                                        ; implicit-def: $vgpr6_vgpr7_vgpr8_vgpr9
                                        ; implicit-def: $vgpr98_vgpr99
                                        ; implicit-def: $vgpr87
                                        ; implicit-def: $vgpr82_vgpr83
                                        ; implicit-def: $vgpr70_vgpr71
                                        ; implicit-def: $vgpr66_vgpr67
                                        ; implicit-def: $vgpr54_vgpr55
                                        ; implicit-def: $vgpr50_vgpr51
                                        ; implicit-def: $vgpr32_vgpr33
                                        ; implicit-def: $vgpr100
	s_nop 1
	v_addc_co_u32_e32 v1, vcc, 0, v11, vcc
	flat_store_dword v[0:1], v14
	flat_store_dword v[0:1], v15 offset:1024
	flat_store_dword v[0:1], v16 offset:2048
	;; [unrolled: 1-line block ×3, first 2 shown]
	v_add_co_u32_e32 v0, vcc, 0x4000, v10
	s_nop 1
	v_addc_co_u32_e32 v1, vcc, 0, v11, vcc
	flat_store_dword v[0:1], v18
	flat_store_dword v[0:1], v19 offset:1024
	flat_store_dword v[0:1], v20 offset:2048
	;; [unrolled: 1-line block ×3, first 2 shown]
	v_add_co_u32_e32 v0, vcc, 0x5000, v10
                                        ; implicit-def: $vgpr10
	s_nop 1
	v_addc_co_u32_e32 v1, vcc, 0, v11, vcc
	flat_store_dword v[0:1], v22
	flat_store_dword v[0:1], v23 offset:1024
	flat_store_dword v[0:1], v24 offset:2048
	;; [unrolled: 1-line block ×3, first 2 shown]
                                        ; implicit-def: $vgpr0
                                        ; implicit-def: $vgpr1
.LBB141_417:
	s_andn2_saveexec_b64 s[2:3], s[0:1]
	s_cbranch_execz .LBB141_556
; %bb.418:
	ds_write_b128 v1, v[48:51]
	ds_write_b128 v1, v[52:55] offset:16
	ds_write_b128 v1, v[64:67] offset:32
	;; [unrolled: 1-line block ×5, first 2 shown]
	s_waitcnt lgkmcnt(0)
	s_barrier
	ds_read2st64_b32 v[2:3], v10 offset1:4
	ds_read2st64_b32 v[6:7], v10 offset0:8 offset1:12
	ds_read2st64_b32 v[12:13], v10 offset0:16 offset1:20
	;; [unrolled: 1-line block ×11, first 2 shown]
	v_mov_b32_e32 v11, 0
	v_lshl_add_u64 v[32:33], v[32:33], 0, v[10:11]
	v_cmp_lt_u32_e32 vcc, v0, v98
	s_and_saveexec_b64 s[0:1], vcc
	s_cbranch_execz .LBB141_420
; %bb.419:
	s_waitcnt lgkmcnt(0)
	flat_store_dword v[32:33], v2
.LBB141_420:
	s_or_b64 exec, exec, s[0:1]
	v_add_u32_e32 v1, 0x100, v0
	v_cmp_lt_u32_e32 vcc, v1, v98
	s_and_saveexec_b64 s[0:1], vcc
	s_cbranch_execz .LBB141_422
; %bb.421:
	s_waitcnt lgkmcnt(0)
	flat_store_dword v[32:33], v3 offset:1024
.LBB141_422:
	s_or_b64 exec, exec, s[0:1]
	v_add_u32_e32 v1, 0x200, v0
	v_cmp_lt_u32_e32 vcc, v1, v98
	s_and_saveexec_b64 s[0:1], vcc
	s_cbranch_execz .LBB141_424
; %bb.423:
	s_waitcnt lgkmcnt(0)
	flat_store_dword v[32:33], v6 offset:2048
.LBB141_424:
	;; [unrolled: 9-line block ×3, first 2 shown]
	s_or_b64 exec, exec, s[0:1]
	v_or_b32_e32 v1, 0x400, v0
	v_cmp_lt_u32_e32 vcc, v1, v98
	s_and_saveexec_b64 s[0:1], vcc
	s_cbranch_execz .LBB141_428
; %bb.427:
	v_add_co_u32_e32 v34, vcc, 0x1000, v32
	s_nop 1
	v_addc_co_u32_e32 v35, vcc, 0, v33, vcc
	s_waitcnt lgkmcnt(0)
	flat_store_dword v[34:35], v12
.LBB141_428:
	s_or_b64 exec, exec, s[0:1]
	v_add_u32_e32 v1, 0x500, v0
	v_cmp_lt_u32_e32 vcc, v1, v98
	s_and_saveexec_b64 s[0:1], vcc
	s_cbranch_execz .LBB141_430
; %bb.429:
	v_add_co_u32_e32 v34, vcc, 0x1000, v32
	s_nop 1
	v_addc_co_u32_e32 v35, vcc, 0, v33, vcc
	s_waitcnt lgkmcnt(0)
	flat_store_dword v[34:35], v13 offset:1024
.LBB141_430:
	s_or_b64 exec, exec, s[0:1]
	v_add_u32_e32 v1, 0x600, v0
	v_cmp_lt_u32_e32 vcc, v1, v98
	s_and_saveexec_b64 s[0:1], vcc
	s_cbranch_execz .LBB141_432
; %bb.431:
	v_add_co_u32_e32 v34, vcc, 0x1000, v32
	s_nop 1
	v_addc_co_u32_e32 v35, vcc, 0, v33, vcc
	s_waitcnt lgkmcnt(0)
	flat_store_dword v[34:35], v22 offset:2048
.LBB141_432:
	s_or_b64 exec, exec, s[0:1]
	v_add_u32_e32 v1, 0x700, v0
	v_cmp_lt_u32_e32 vcc, v1, v98
	s_and_saveexec_b64 s[0:1], vcc
	s_cbranch_execz .LBB141_434
; %bb.433:
	v_add_co_u32_e32 v34, vcc, 0x1000, v32
	s_nop 1
	v_addc_co_u32_e32 v35, vcc, 0, v33, vcc
	s_waitcnt lgkmcnt(0)
	flat_store_dword v[34:35], v23 offset:3072
.LBB141_434:
	s_or_b64 exec, exec, s[0:1]
	v_or_b32_e32 v1, 0x800, v0
	v_cmp_lt_u32_e32 vcc, v1, v98
	s_and_saveexec_b64 s[0:1], vcc
	s_cbranch_execz .LBB141_436
; %bb.435:
	v_add_co_u32_e32 v34, vcc, 0x2000, v32
	s_nop 1
	v_addc_co_u32_e32 v35, vcc, 0, v33, vcc
	s_waitcnt lgkmcnt(0)
	flat_store_dword v[34:35], v20
.LBB141_436:
	s_or_b64 exec, exec, s[0:1]
	v_add_u32_e32 v1, 0x900, v0
	v_cmp_lt_u32_e32 vcc, v1, v98
	s_and_saveexec_b64 s[0:1], vcc
	s_cbranch_execz .LBB141_438
; %bb.437:
	v_add_co_u32_e32 v34, vcc, 0x2000, v32
	s_nop 1
	v_addc_co_u32_e32 v35, vcc, 0, v33, vcc
	s_waitcnt lgkmcnt(0)
	flat_store_dword v[34:35], v21 offset:1024
.LBB141_438:
	s_or_b64 exec, exec, s[0:1]
	v_add_u32_e32 v1, 0xa00, v0
	v_cmp_lt_u32_e32 vcc, v1, v98
	s_and_saveexec_b64 s[0:1], vcc
	s_cbranch_execz .LBB141_440
; %bb.439:
	v_add_co_u32_e32 v34, vcc, 0x2000, v32
	s_nop 1
	v_addc_co_u32_e32 v35, vcc, 0, v33, vcc
	s_waitcnt lgkmcnt(0)
	flat_store_dword v[34:35], v24 offset:2048
.LBB141_440:
	s_or_b64 exec, exec, s[0:1]
	v_add_u32_e32 v1, 0xb00, v0
	v_cmp_lt_u32_e32 vcc, v1, v98
	s_and_saveexec_b64 s[0:1], vcc
	s_cbranch_execz .LBB141_442
; %bb.441:
	v_add_co_u32_e32 v34, vcc, 0x2000, v32
	s_nop 1
	v_addc_co_u32_e32 v35, vcc, 0, v33, vcc
	s_waitcnt lgkmcnt(0)
	flat_store_dword v[34:35], v25 offset:3072
.LBB141_442:
	;; [unrolled: 48-line block ×5, first 2 shown]
	s_or_b64 exec, exec, s[0:1]
	v_cmp_lt_u64_e32 vcc, 1, v[8:9]
	s_and_saveexec_b64 s[4:5], vcc
	s_cbranch_execz .LBB141_555
; %bb.467:
	s_add_u32 s0, 0, 0xaaaa0000
	s_addc_u32 s1, 0, 42
	s_add_i32 s1, s1, 0xaaaaa80
	s_mul_hi_u32 s9, s0, 0xffffffe8
	s_sub_i32 s9, s9, s0
	s_mul_i32 s10, s1, 0xffffffe8
	s_mul_i32 s6, s0, 0xffffffe8
	s_add_i32 s9, s9, s10
	s_mul_hi_u32 s7, s1, s6
	s_mul_i32 s8, s1, s6
	s_mul_i32 s11, s0, s9
	s_mul_hi_u32 s6, s0, s6
	s_mul_hi_u32 s10, s0, s9
	s_add_u32 s6, s6, s11
	s_addc_u32 s10, 0, s10
	s_add_u32 s6, s6, s8
	s_mul_hi_u32 s11, s1, s9
	s_addc_u32 s6, s10, s7
	s_addc_u32 s7, s11, 0
	s_mul_i32 s8, s1, s9
	s_add_u32 s6, s6, s8
	v_mov_b32_e32 v10, s6
	s_addc_u32 s7, 0, s7
	v_add_co_u32_e32 v36, vcc, s0, v10
	s_cmp_lg_u64 vcc, 0
	v_lshl_add_u64 v[8:9], v[98:99], 0, -1
	s_addc_u32 s6, s1, s7
	v_mov_b32_e32 v1, v11
	v_mad_u64_u32 v[10:11], s[0:1], v8, s6, 0
	v_mul_hi_u32 v32, v8, v36
	v_mov_b32_e32 v33, 0
	v_lshl_add_u64 v[10:11], v[32:33], 0, v[10:11]
	v_mad_u64_u32 v[36:37], s[0:1], v9, v36, 0
	v_add_co_u32_e32 v10, vcc, v10, v36
	v_mad_u64_u32 v[34:35], s[0:1], v9, s6, 0
	s_nop 0
	v_addc_co_u32_e32 v32, vcc, v11, v37, vcc
	s_nop 1
	v_addc_co_u32_e32 v35, vcc, 0, v35, vcc
	v_lshl_add_u64 v[10:11], v[32:33], 0, v[34:35]
	v_mad_u64_u32 v[32:33], s[0:1], v10, 24, 0
	v_mov_b32_e32 v34, v33
	v_mad_u64_u32 v[34:35], s[0:1], v11, 24, v[34:35]
	v_sub_co_u32_e32 v36, vcc, v8, v32
	v_cmp_lt_u32_e64 s[0:1], 23, v36
	s_nop 0
	v_subb_co_u32_e32 v37, vcc, v9, v34, vcc
	v_subrev_co_u32_e32 v32, vcc, 24, v36
	v_lshl_add_u64 v[34:35], v[10:11], 0, 1
	s_nop 0
	v_subbrev_co_u32_e32 v33, vcc, 0, v37, vcc
	v_cmp_lt_u32_e32 vcc, 23, v32
	s_nop 1
	v_cndmask_b32_e64 v32, 0, -1, vcc
	v_cmp_eq_u32_e32 vcc, 0, v33
	s_nop 1
	v_cndmask_b32_e32 v38, -1, v32, vcc
	v_lshl_add_u64 v[32:33], v[10:11], 0, 2
	v_cmp_ne_u32_e32 vcc, 0, v38
	s_nop 1
	v_cndmask_b32_e32 v33, v35, v33, vcc
	v_cndmask_b32_e64 v35, 0, -1, s[0:1]
	v_cmp_eq_u32_e64 s[0:1], 0, v37
	v_cndmask_b32_e32 v32, v34, v32, vcc
	s_nop 0
	v_cndmask_b32_e64 v35, -1, v35, s[0:1]
	v_cmp_ne_u32_e64 s[0:1], 0, v35
	s_nop 1
	v_cndmask_b32_e64 v11, v11, v33, s[0:1]
	v_cndmask_b32_e64 v10, v10, v32, s[0:1]
	v_cmp_eq_u64_e32 vcc, v[10:11], v[0:1]
	s_and_b64 exec, exec, vcc
	s_cbranch_execz .LBB141_555
; %bb.468:
	v_mul_hi_u32_u24_e32 v1, 24, v0
	v_sub_co_u32_e32 v0, vcc, v8, v100
	s_mov_b64 s[0:1], 0
	s_nop 0
	v_subb_co_u32_e32 v1, vcc, v9, v1, vcc
	v_cmp_lt_i64_e32 vcc, 11, v[0:1]
	s_mov_b64 s[12:13], 0
	s_mov_b64 s[10:11], 0
	;; [unrolled: 1-line block ×3, first 2 shown]
	s_and_saveexec_b64 s[6:7], vcc
	s_xor_b64 s[6:7], exec, s[6:7]
	s_cbranch_execnz .LBB141_474
; %bb.469:
	s_andn2_saveexec_b64 s[6:7], s[6:7]
	s_cbranch_execnz .LBB141_519
.LBB141_470:
	s_or_b64 exec, exec, s[6:7]
	s_and_saveexec_b64 s[6:7], s[12:13]
	s_cbranch_execnz .LBB141_534
.LBB141_471:
	s_or_b64 exec, exec, s[6:7]
	s_and_saveexec_b64 s[6:7], s[10:11]
	s_cbranch_execnz .LBB141_535
.LBB141_472:
	s_or_b64 exec, exec, s[6:7]
	s_and_saveexec_b64 s[6:7], s[8:9]
	s_xor_b64 s[6:7], exec, s[6:7]
	s_cbranch_execnz .LBB141_536
.LBB141_473:
	s_or_b64 exec, exec, s[6:7]
	s_and_b64 exec, exec, s[0:1]
	s_cbranch_execnz .LBB141_537
	s_branch .LBB141_555
.LBB141_474:
	v_cmp_lt_i64_e32 vcc, 17, v[0:1]
	s_and_saveexec_b64 s[14:15], vcc
	s_xor_b64 s[14:15], exec, s[14:15]
	s_cbranch_execz .LBB141_496
; %bb.475:
	v_cmp_lt_i64_e32 vcc, 20, v[0:1]
                                        ; implicit-def: $vgpr15
	s_and_saveexec_b64 s[16:17], vcc
	s_xor_b64 s[16:17], exec, s[16:17]
	s_cbranch_execz .LBB141_485
; %bb.476:
	v_cmp_lt_i64_e32 vcc, 21, v[0:1]
	s_mov_b64 s[18:19], 0
                                        ; implicit-def: $vgpr15
	s_and_saveexec_b64 s[8:9], vcc
	s_xor_b64 s[8:9], exec, s[8:9]
	s_cbranch_execz .LBB141_482
; %bb.477:
	v_cmp_lt_i64_e32 vcc, 22, v[0:1]
	s_and_saveexec_b64 s[18:19], vcc
	s_xor_b64 s[18:19], exec, s[18:19]
	s_cbranch_execz .LBB141_479
; %bb.478:
	s_waitcnt lgkmcnt(0)
	flat_store_dword v[4:5], v31
                                        ; implicit-def: $vgpr30
.LBB141_479:
	s_or_saveexec_b64 s[18:19], s[18:19]
	s_mov_b64 s[20:21], 0
	s_xor_b64 exec, exec, s[18:19]
; %bb.480:
	s_mov_b64 s[20:21], exec
; %bb.481:
	s_or_b64 exec, exec, s[18:19]
	s_and_b64 s[18:19], s[20:21], exec
	s_waitcnt lgkmcnt(0)
	v_mov_b32_e32 v15, v30
                                        ; implicit-def: $vgpr17
.LBB141_482:
	s_andn2_saveexec_b64 s[8:9], s[8:9]
; %bb.483:
	s_mov_b64 s[10:11], exec
                                        ; implicit-def: $vgpr15
; %bb.484:
	s_or_b64 exec, exec, s[8:9]
	s_and_b64 s[8:9], s[18:19], exec
	s_and_b64 s[10:11], s[10:11], exec
                                        ; implicit-def: $vgpr26_vgpr27
.LBB141_485:
	s_andn2_saveexec_b64 s[16:17], s[16:17]
	s_cbranch_execz .LBB141_495
; %bb.486:
	v_cmp_lt_i64_e32 vcc, 18, v[0:1]
	s_mov_b64 s[18:19], 0
	s_and_saveexec_b64 s[12:13], vcc
	s_xor_b64 s[12:13], exec, s[12:13]
	s_cbranch_execz .LBB141_492
; %bb.487:
	v_cmp_lt_i64_e32 vcc, 19, v[0:1]
	s_and_saveexec_b64 s[20:21], vcc
	s_xor_b64 s[20:21], exec, s[20:21]
; %bb.488:
	s_mov_b64 s[18:19], exec
                                        ; implicit-def: $vgpr26_vgpr27
; %bb.489:
	s_andn2_saveexec_b64 s[20:21], s[20:21]
	s_cbranch_execz .LBB141_491
; %bb.490:
	s_waitcnt lgkmcnt(0)
	flat_store_dword v[4:5], v27
                                        ; implicit-def: $vgpr16
.LBB141_491:
	s_or_b64 exec, exec, s[20:21]
	s_and_b64 s[18:19], s[18:19], exec
                                        ; implicit-def: $vgpr26_vgpr27
.LBB141_492:
	s_andn2_saveexec_b64 s[12:13], s[12:13]
	s_cbranch_execz .LBB141_494
; %bb.493:
	s_waitcnt lgkmcnt(0)
	flat_store_dword v[4:5], v26
                                        ; implicit-def: $vgpr16
.LBB141_494:
	s_or_b64 exec, exec, s[12:13]
	s_and_b64 s[12:13], s[18:19], exec
                                        ; implicit-def: $vgpr15
.LBB141_495:
	s_or_b64 exec, exec, s[16:17]
	s_and_b64 s[8:9], s[8:9], exec
	s_and_b64 s[10:11], s[10:11], exec
	;; [unrolled: 1-line block ×3, first 2 shown]
                                        ; implicit-def: $vgpr18
                                        ; implicit-def: $vgpr28_vgpr29
.LBB141_496:
	s_andn2_saveexec_b64 s[14:15], s[14:15]
	s_cbranch_execz .LBB141_518
; %bb.497:
	v_cmp_lt_i64_e32 vcc, 14, v[0:1]
	s_mov_b64 s[16:17], s[8:9]
	s_and_saveexec_b64 s[18:19], vcc
	s_xor_b64 s[18:19], exec, s[18:19]
	s_cbranch_execz .LBB141_507
; %bb.498:
	v_cmp_lt_i64_e32 vcc, 15, v[0:1]
	s_and_saveexec_b64 s[16:17], vcc
	s_xor_b64 s[16:17], exec, s[16:17]
	s_cbranch_execz .LBB141_504
; %bb.499:
	v_cmp_lt_i64_e32 vcc, 16, v[0:1]
	s_and_saveexec_b64 s[20:21], vcc
	s_xor_b64 s[20:21], exec, s[20:21]
	s_cbranch_execz .LBB141_501
; %bb.500:
	s_waitcnt lgkmcnt(0)
	flat_store_dword v[4:5], v29
                                        ; implicit-def: $vgpr28_vgpr29
.LBB141_501:
	s_andn2_saveexec_b64 s[20:21], s[20:21]
	s_cbranch_execz .LBB141_503
; %bb.502:
	s_waitcnt lgkmcnt(0)
	flat_store_dword v[4:5], v28
.LBB141_503:
	s_or_b64 exec, exec, s[20:21]
                                        ; implicit-def: $vgpr15
.LBB141_504:
	s_or_saveexec_b64 s[16:17], s[16:17]
	s_mov_b64 s[20:21], s[8:9]
	s_xor_b64 exec, exec, s[16:17]
; %bb.505:
	s_or_b64 s[20:21], s[8:9], exec
; %bb.506:
	s_or_b64 exec, exec, s[16:17]
	s_andn2_b64 s[16:17], s[8:9], exec
	s_and_b64 s[20:21], s[20:21], exec
	s_or_b64 s[16:17], s[16:17], s[20:21]
                                        ; implicit-def: $vgpr18
.LBB141_507:
	s_or_saveexec_b64 s[18:19], s[18:19]
	s_mov_b64 s[20:21], s[10:11]
                                        ; implicit-def: $vgpr17
	s_xor_b64 exec, exec, s[18:19]
	s_cbranch_execz .LBB141_517
; %bb.508:
	v_cmp_lt_i64_e32 vcc, 12, v[0:1]
	s_mov_b64 s[22:23], s[10:11]
	s_mov_b64 s[24:25], s[16:17]
                                        ; implicit-def: $vgpr17
	s_and_saveexec_b64 s[20:21], vcc
	s_xor_b64 s[20:21], exec, s[20:21]
	s_cbranch_execz .LBB141_514
; %bb.509:
	v_cmp_lt_i64_e32 vcc, 13, v[0:1]
	s_mov_b64 s[22:23], s[16:17]
	s_and_saveexec_b64 s[24:25], vcc
	s_xor_b64 s[24:25], exec, s[24:25]
; %bb.510:
	s_or_b64 s[22:23], s[16:17], exec
                                        ; implicit-def: $vgpr19
; %bb.511:
	s_or_saveexec_b64 s[24:25], s[24:25]
	s_mov_b64 s[26:27], s[10:11]
	s_xor_b64 exec, exec, s[24:25]
; %bb.512:
	s_or_b64 s[26:27], s[10:11], exec
                                        ; implicit-def: $vgpr14
; %bb.513:
	s_or_b64 exec, exec, s[24:25]
	s_andn2_b64 s[24:25], s[16:17], exec
	s_and_b64 s[22:23], s[22:23], exec
	s_or_b64 s[24:25], s[24:25], s[22:23]
	s_andn2_b64 s[22:23], s[10:11], exec
	s_and_b64 s[26:27], s[26:27], exec
	s_or_b64 s[22:23], s[22:23], s[26:27]
	s_waitcnt lgkmcnt(0)
	v_mov_b32_e32 v15, v14
	v_mov_b32_e32 v17, v19
                                        ; implicit-def: $vgpr18
.LBB141_514:
	s_andn2_saveexec_b64 s[20:21], s[20:21]
	s_cbranch_execz .LBB141_516
; %bb.515:
	s_or_b64 s[22:23], s[22:23], exec
                                        ; implicit-def: $vgpr15
	s_waitcnt lgkmcnt(0)
	v_mov_b32_e32 v17, v18
.LBB141_516:
	s_or_b64 exec, exec, s[20:21]
	s_andn2_b64 s[16:17], s[16:17], exec
	s_and_b64 s[20:21], s[24:25], exec
	s_or_b64 s[16:17], s[16:17], s[20:21]
	s_andn2_b64 s[20:21], s[10:11], exec
	s_and_b64 s[22:23], s[22:23], exec
	s_or_b64 s[20:21], s[20:21], s[22:23]
.LBB141_517:
	s_or_b64 exec, exec, s[18:19]
	s_andn2_b64 s[8:9], s[8:9], exec
	s_and_b64 s[16:17], s[16:17], exec
	s_or_b64 s[8:9], s[8:9], s[16:17]
	s_andn2_b64 s[10:11], s[10:11], exec
	s_and_b64 s[16:17], s[20:21], exec
	s_or_b64 s[10:11], s[10:11], s[16:17]
.LBB141_518:
	s_or_b64 exec, exec, s[14:15]
	s_and_b64 s[8:9], s[8:9], exec
	s_and_b64 s[10:11], s[10:11], exec
	;; [unrolled: 1-line block ×3, first 2 shown]
                                        ; implicit-def: $vgpr22
                                        ; implicit-def: $vgpr20
                                        ; implicit-def: $vgpr24
	s_andn2_saveexec_b64 s[6:7], s[6:7]
	s_cbranch_execz .LBB141_470
.LBB141_519:
	v_cmp_lt_i64_e32 vcc, 5, v[0:1]
	s_mov_b64 s[16:17], -1
	s_mov_b64 s[14:15], s[12:13]
	s_mov_b64 s[18:19], s[10:11]
	s_mov_b64 s[20:21], s[8:9]
                                        ; implicit-def: $vgpr15
                                        ; implicit-def: $vgpr17
	s_and_saveexec_b64 s[0:1], vcc
	s_cbranch_execz .LBB141_533
; %bb.520:
	v_cmp_lt_i64_e32 vcc, 8, v[0:1]
	s_mov_b64 s[14:15], s[12:13]
                                        ; implicit-def: $vgpr16
	s_and_saveexec_b64 s[16:17], vcc
	s_xor_b64 s[16:17], exec, s[16:17]
	s_cbranch_execz .LBB141_528
; %bb.521:
	v_cmp_lt_i64_e32 vcc, 9, v[0:1]
	s_and_saveexec_b64 s[14:15], vcc
	s_xor_b64 s[14:15], exec, s[14:15]
	s_cbranch_execz .LBB141_525
; %bb.522:
	v_cmp_lt_i64_e32 vcc, 10, v[0:1]
	s_and_saveexec_b64 s[18:19], vcc
	s_xor_b64 s[18:19], exec, s[18:19]
	s_andn2_saveexec_b64 s[18:19], s[18:19]
	s_cbranch_execz .LBB141_524
; %bb.523:
	s_waitcnt lgkmcnt(0)
	v_mov_b32_e32 v25, v24
.LBB141_524:
	s_or_b64 exec, exec, s[18:19]
                                        ; implicit-def: $vgpr21
.LBB141_525:
	s_andn2_saveexec_b64 s[14:15], s[14:15]
	s_cbranch_execz .LBB141_527
; %bb.526:
	s_waitcnt lgkmcnt(0)
	v_mov_b32_e32 v25, v21
.LBB141_527:
	s_or_b64 exec, exec, s[14:15]
	s_or_b64 s[14:15], s[12:13], exec
	s_waitcnt lgkmcnt(0)
	v_mov_b32_e32 v16, v25
                                        ; implicit-def: $vgpr22
                                        ; implicit-def: $vgpr20
.LBB141_528:
	s_or_saveexec_b64 s[16:17], s[16:17]
	s_mov_b64 s[18:19], s[10:11]
	s_mov_b64 s[22:23], s[8:9]
                                        ; implicit-def: $vgpr15
	s_xor_b64 exec, exec, s[16:17]
	s_cbranch_execz .LBB141_532
; %bb.529:
	v_cmp_lt_i64_e32 vcc, 6, v[0:1]
	s_mov_b64 s[22:23], -1
	s_mov_b64 s[20:21], s[14:15]
	s_mov_b64 s[18:19], s[10:11]
	s_and_saveexec_b64 s[24:25], vcc
; %bb.530:
	v_cmp_lt_i64_e32 vcc, 7, v[0:1]
	s_andn2_b64 s[20:21], s[14:15], exec
	s_and_b64 s[26:27], vcc, exec
	s_xor_b64 s[22:23], exec, -1
	s_or_b64 s[18:19], s[10:11], exec
	s_or_b64 s[20:21], s[20:21], s[26:27]
; %bb.531:
	s_or_b64 exec, exec, s[24:25]
	s_andn2_b64 s[24:25], s[8:9], exec
	s_and_b64 s[22:23], s[22:23], exec
	s_or_b64 s[22:23], s[24:25], s[22:23]
	s_andn2_b64 s[24:25], s[10:11], exec
	s_and_b64 s[18:19], s[18:19], exec
	s_andn2_b64 s[14:15], s[14:15], exec
	s_and_b64 s[20:21], s[20:21], exec
	s_or_b64 s[18:19], s[24:25], s[18:19]
	s_or_b64 s[14:15], s[14:15], s[20:21]
	s_waitcnt lgkmcnt(0)
	v_mov_b32_e32 v15, v22
	v_mov_b32_e32 v17, v23
	;; [unrolled: 1-line block ×3, first 2 shown]
.LBB141_532:
	s_or_b64 exec, exec, s[16:17]
	s_andn2_b64 s[20:21], s[8:9], exec
	s_and_b64 s[22:23], s[22:23], exec
	s_or_b64 s[20:21], s[20:21], s[22:23]
	s_andn2_b64 s[22:23], s[10:11], exec
	s_and_b64 s[18:19], s[18:19], exec
	s_or_b64 s[18:19], s[22:23], s[18:19]
	s_andn2_b64 s[22:23], s[12:13], exec
	s_and_b64 s[14:15], s[14:15], exec
	s_xor_b64 s[16:17], exec, -1
	s_or_b64 s[14:15], s[22:23], s[14:15]
.LBB141_533:
	s_or_b64 exec, exec, s[0:1]
	s_and_b64 s[0:1], s[16:17], exec
	s_andn2_b64 s[8:9], s[8:9], exec
	s_and_b64 s[16:17], s[20:21], exec
	s_or_b64 s[8:9], s[8:9], s[16:17]
	s_andn2_b64 s[10:11], s[10:11], exec
	s_and_b64 s[16:17], s[18:19], exec
	s_andn2_b64 s[12:13], s[12:13], exec
	s_and_b64 s[14:15], s[14:15], exec
	s_or_b64 s[10:11], s[10:11], s[16:17]
	s_or_b64 s[12:13], s[12:13], s[14:15]
	s_or_b64 exec, exec, s[6:7]
	s_and_saveexec_b64 s[6:7], s[12:13]
	s_cbranch_execz .LBB141_471
.LBB141_534:
	s_andn2_b64 s[10:11], s[10:11], exec
	s_waitcnt lgkmcnt(0)
	flat_store_dword v[4:5], v16
                                        ; implicit-def: $vgpr15
                                        ; implicit-def: $vgpr17
	s_or_b64 exec, exec, s[6:7]
	s_and_saveexec_b64 s[6:7], s[10:11]
	s_cbranch_execz .LBB141_472
.LBB141_535:
	s_waitcnt lgkmcnt(0)
	flat_store_dword v[4:5], v17
                                        ; implicit-def: $vgpr15
	s_or_b64 exec, exec, s[6:7]
	s_and_saveexec_b64 s[6:7], s[8:9]
	s_xor_b64 s[6:7], exec, s[6:7]
	s_cbranch_execz .LBB141_473
.LBB141_536:
	s_waitcnt lgkmcnt(0)
	flat_store_dword v[4:5], v15
	s_or_b64 exec, exec, s[6:7]
	s_and_b64 exec, exec, s[0:1]
	s_cbranch_execz .LBB141_555
.LBB141_537:
	v_cmp_lt_i64_e32 vcc, 2, v[0:1]
	s_and_saveexec_b64 s[0:1], vcc
	s_xor_b64 s[0:1], exec, s[0:1]
	s_cbranch_execz .LBB141_547
; %bb.538:
	v_cmp_lt_i64_e32 vcc, 3, v[0:1]
	s_and_saveexec_b64 s[6:7], vcc
	s_xor_b64 s[6:7], exec, s[6:7]
	s_cbranch_execz .LBB141_544
; %bb.539:
	;; [unrolled: 5-line block ×3, first 2 shown]
	s_waitcnt lgkmcnt(0)
	flat_store_dword v[4:5], v13
                                        ; implicit-def: $vgpr4_vgpr5
                                        ; implicit-def: $vgpr12_vgpr13
.LBB141_541:
	s_andn2_saveexec_b64 s[8:9], s[8:9]
	s_cbranch_execz .LBB141_543
; %bb.542:
	s_waitcnt lgkmcnt(0)
	flat_store_dword v[4:5], v12
.LBB141_543:
	s_or_b64 exec, exec, s[8:9]
                                        ; implicit-def: $vgpr4_vgpr5
                                        ; implicit-def: $vgpr6_vgpr7
.LBB141_544:
	s_andn2_saveexec_b64 s[6:7], s[6:7]
	s_cbranch_execz .LBB141_546
; %bb.545:
	s_waitcnt lgkmcnt(0)
	flat_store_dword v[4:5], v7
.LBB141_546:
	s_or_b64 exec, exec, s[6:7]
                                        ; implicit-def: $vgpr0_vgpr1
                                        ; implicit-def: $vgpr4_vgpr5
                                        ; implicit-def: $vgpr6_vgpr7
                                        ; implicit-def: $vgpr2_vgpr3
.LBB141_547:
	s_andn2_saveexec_b64 s[0:1], s[0:1]
	s_cbranch_execz .LBB141_555
; %bb.548:
	v_cmp_lt_i64_e32 vcc, 1, v[0:1]
	s_and_saveexec_b64 s[0:1], vcc
	s_xor_b64 s[0:1], exec, s[0:1]
	s_cbranch_execz .LBB141_550
; %bb.549:
	s_waitcnt lgkmcnt(0)
	flat_store_dword v[4:5], v6
                                        ; implicit-def: $vgpr4_vgpr5
                                        ; implicit-def: $vgpr2_vgpr3
                                        ; implicit-def: $vgpr0_vgpr1
.LBB141_550:
	s_andn2_saveexec_b64 s[0:1], s[0:1]
	s_cbranch_execz .LBB141_555
; %bb.551:
	v_cmp_ne_u64_e32 vcc, 1, v[0:1]
	s_and_saveexec_b64 s[0:1], vcc
	s_xor_b64 s[0:1], exec, s[0:1]
	s_cbranch_execz .LBB141_553
; %bb.552:
	s_waitcnt lgkmcnt(0)
	flat_store_dword v[4:5], v2
                                        ; implicit-def: $vgpr4_vgpr5
                                        ; implicit-def: $vgpr2_vgpr3
.LBB141_553:
	s_andn2_saveexec_b64 s[0:1], s[0:1]
	s_cbranch_execz .LBB141_555
; %bb.554:
	s_waitcnt lgkmcnt(0)
	flat_store_dword v[4:5], v3
.LBB141_555:
	s_or_b64 exec, exec, s[4:5]
.LBB141_556:
	s_or_b64 exec, exec, s[2:3]
	v_readlane_b32 s30, v40, 0
	v_readlane_b32 s31, v40, 1
	s_or_saveexec_b64 s[0:1], -1
	scratch_load_dword v40, off, s32        ; 4-byte Folded Reload
	s_mov_b64 exec, s[0:1]
	s_waitcnt vmcnt(0) lgkmcnt(0)
	s_setpc_b64 s[30:31]
.Lfunc_end141:
	.size	_ZZZN7rocprim17ROCPRIM_400000_NS6detail9scan_implILNS1_25lookback_scan_determinismE0ELb0ELb0ENS0_14default_configEPKfPffZZZN2at6native31launch_logcumsumexp_cuda_kernelERKNS8_10TensorBaseESC_lENKUlvE_clEvENKUlvE0_clEvEUlffE_fEEDaPvRmT3_T4_T5_mT6_P12ihipStream_tbENKUlT_T0_E_clISt17integral_constantIbLb1EESS_IbLb0EEEEDaSO_SP_ENKUlSO_E_clINS1_13target_configIS4_NS1_20scan_config_selectorIfEENS1_11comp_targetILNS1_3genE5ELNS1_11target_archE942ELNS1_3gpuE9ELNS1_3repE0EEELNS0_4arch9wavefront6targetE1EEEEEDaSO_, .Lfunc_end141-_ZZZN7rocprim17ROCPRIM_400000_NS6detail9scan_implILNS1_25lookback_scan_determinismE0ELb0ELb0ENS0_14default_configEPKfPffZZZN2at6native31launch_logcumsumexp_cuda_kernelERKNS8_10TensorBaseESC_lENKUlvE_clEvENKUlvE0_clEvEUlffE_fEEDaPvRmT3_T4_T5_mT6_P12ihipStream_tbENKUlT_T0_E_clISt17integral_constantIbLb1EESS_IbLb0EEEEDaSO_SP_ENKUlSO_E_clINS1_13target_configIS4_NS1_20scan_config_selectorIfEENS1_11comp_targetILNS1_3genE5ELNS1_11target_archE942ELNS1_3gpuE9ELNS1_3repE0EEELNS0_4arch9wavefront6targetE1EEEEEDaSO_
                                        ; -- End function
	.section	.AMDGPU.csdata,"",@progbits
; Function info:
; codeLenInByte = 121376
; NumSgprs: 84
; NumVgprs: 184
; NumAgprs: 0
; TotalNumVgprs: 184
; ScratchSize: 8
; MemoryBound: 0
	.section	.text._ZN7rocprim17ROCPRIM_400000_NS6detail17trampoline_kernelINS0_14default_configENS1_20scan_config_selectorIfEEZZNS1_9scan_implILNS1_25lookback_scan_determinismE0ELb0ELb0ES3_PKfPffZZZN2at6native31launch_logcumsumexp_cuda_kernelERKNSB_10TensorBaseESF_lENKUlvE_clEvENKUlvE0_clEvEUlffE_fEEDaPvRmT3_T4_T5_mT6_P12ihipStream_tbENKUlT_T0_E_clISt17integral_constantIbLb1EESV_IbLb0EEEEDaSR_SS_EUlSR_E_NS1_11comp_targetILNS1_3genE5ELNS1_11target_archE942ELNS1_3gpuE9ELNS1_3repE0EEENS1_30default_config_static_selectorELNS0_4arch9wavefront6targetE1EEEvT1_,"axG",@progbits,_ZN7rocprim17ROCPRIM_400000_NS6detail17trampoline_kernelINS0_14default_configENS1_20scan_config_selectorIfEEZZNS1_9scan_implILNS1_25lookback_scan_determinismE0ELb0ELb0ES3_PKfPffZZZN2at6native31launch_logcumsumexp_cuda_kernelERKNSB_10TensorBaseESF_lENKUlvE_clEvENKUlvE0_clEvEUlffE_fEEDaPvRmT3_T4_T5_mT6_P12ihipStream_tbENKUlT_T0_E_clISt17integral_constantIbLb1EESV_IbLb0EEEEDaSR_SS_EUlSR_E_NS1_11comp_targetILNS1_3genE5ELNS1_11target_archE942ELNS1_3gpuE9ELNS1_3repE0EEENS1_30default_config_static_selectorELNS0_4arch9wavefront6targetE1EEEvT1_,comdat
	.globl	_ZN7rocprim17ROCPRIM_400000_NS6detail17trampoline_kernelINS0_14default_configENS1_20scan_config_selectorIfEEZZNS1_9scan_implILNS1_25lookback_scan_determinismE0ELb0ELb0ES3_PKfPffZZZN2at6native31launch_logcumsumexp_cuda_kernelERKNSB_10TensorBaseESF_lENKUlvE_clEvENKUlvE0_clEvEUlffE_fEEDaPvRmT3_T4_T5_mT6_P12ihipStream_tbENKUlT_T0_E_clISt17integral_constantIbLb1EESV_IbLb0EEEEDaSR_SS_EUlSR_E_NS1_11comp_targetILNS1_3genE5ELNS1_11target_archE942ELNS1_3gpuE9ELNS1_3repE0EEENS1_30default_config_static_selectorELNS0_4arch9wavefront6targetE1EEEvT1_ ; -- Begin function _ZN7rocprim17ROCPRIM_400000_NS6detail17trampoline_kernelINS0_14default_configENS1_20scan_config_selectorIfEEZZNS1_9scan_implILNS1_25lookback_scan_determinismE0ELb0ELb0ES3_PKfPffZZZN2at6native31launch_logcumsumexp_cuda_kernelERKNSB_10TensorBaseESF_lENKUlvE_clEvENKUlvE0_clEvEUlffE_fEEDaPvRmT3_T4_T5_mT6_P12ihipStream_tbENKUlT_T0_E_clISt17integral_constantIbLb1EESV_IbLb0EEEEDaSR_SS_EUlSR_E_NS1_11comp_targetILNS1_3genE5ELNS1_11target_archE942ELNS1_3gpuE9ELNS1_3repE0EEENS1_30default_config_static_selectorELNS0_4arch9wavefront6targetE1EEEvT1_
	.p2align	8
	.type	_ZN7rocprim17ROCPRIM_400000_NS6detail17trampoline_kernelINS0_14default_configENS1_20scan_config_selectorIfEEZZNS1_9scan_implILNS1_25lookback_scan_determinismE0ELb0ELb0ES3_PKfPffZZZN2at6native31launch_logcumsumexp_cuda_kernelERKNSB_10TensorBaseESF_lENKUlvE_clEvENKUlvE0_clEvEUlffE_fEEDaPvRmT3_T4_T5_mT6_P12ihipStream_tbENKUlT_T0_E_clISt17integral_constantIbLb1EESV_IbLb0EEEEDaSR_SS_EUlSR_E_NS1_11comp_targetILNS1_3genE5ELNS1_11target_archE942ELNS1_3gpuE9ELNS1_3repE0EEENS1_30default_config_static_selectorELNS0_4arch9wavefront6targetE1EEEvT1_,@function
_ZN7rocprim17ROCPRIM_400000_NS6detail17trampoline_kernelINS0_14default_configENS1_20scan_config_selectorIfEEZZNS1_9scan_implILNS1_25lookback_scan_determinismE0ELb0ELb0ES3_PKfPffZZZN2at6native31launch_logcumsumexp_cuda_kernelERKNSB_10TensorBaseESF_lENKUlvE_clEvENKUlvE0_clEvEUlffE_fEEDaPvRmT3_T4_T5_mT6_P12ihipStream_tbENKUlT_T0_E_clISt17integral_constantIbLb1EESV_IbLb0EEEEDaSR_SS_EUlSR_E_NS1_11comp_targetILNS1_3genE5ELNS1_11target_archE942ELNS1_3gpuE9ELNS1_3repE0EEENS1_30default_config_static_selectorELNS0_4arch9wavefront6targetE1EEEvT1_: ; @_ZN7rocprim17ROCPRIM_400000_NS6detail17trampoline_kernelINS0_14default_configENS1_20scan_config_selectorIfEEZZNS1_9scan_implILNS1_25lookback_scan_determinismE0ELb0ELb0ES3_PKfPffZZZN2at6native31launch_logcumsumexp_cuda_kernelERKNSB_10TensorBaseESF_lENKUlvE_clEvENKUlvE0_clEvEUlffE_fEEDaPvRmT3_T4_T5_mT6_P12ihipStream_tbENKUlT_T0_E_clISt17integral_constantIbLb1EESV_IbLb0EEEEDaSR_SS_EUlSR_E_NS1_11comp_targetILNS1_3genE5ELNS1_11target_archE942ELNS1_3gpuE9ELNS1_3repE0EEENS1_30default_config_static_selectorELNS0_4arch9wavefront6targetE1EEEvT1_
; %bb.0:
	s_load_dwordx8 s[4:11], s[0:1], 0x0
	s_load_dwordx8 s[12:19], s[0:1], 0x20
	s_mov_b64 s[20:21], src_private_base
	v_mov_b32_e32 v31, v0
	v_mov_b32_e32 v0, 0
	s_waitcnt lgkmcnt(0)
	v_mov_b64_e32 v[2:3], s[4:5]
	v_mov_b64_e32 v[4:5], s[6:7]
	scratch_store_dwordx4 off, v[2:5], off
	v_mov_b32_e32 v1, s21
	s_movk_i32 s32, 0x70
	v_mov_b64_e32 v[2:3], s[8:9]
	v_mov_b64_e32 v[4:5], s[10:11]
	s_load_dwordx8 s[4:11], s[0:1], 0x40
	scratch_store_dwordx4 off, v[2:5], off offset:16
	s_nop 1
	v_mov_b64_e32 v[2:3], s[12:13]
	v_mov_b64_e32 v[4:5], s[14:15]
	scratch_store_dwordx4 off, v[2:5], off offset:32
	s_mov_b32 s12, s2
	s_nop 0
	v_mov_b64_e32 v[2:3], s[16:17]
	v_mov_b64_e32 v[4:5], s[18:19]
	scratch_store_dwordx4 off, v[2:5], off offset:48
	s_waitcnt lgkmcnt(0)
	s_nop 0
	v_mov_b64_e32 v[2:3], s[4:5]
	v_mov_b64_e32 v[4:5], s[6:7]
	scratch_store_dwordx4 off, v[2:5], off offset:64
	s_nop 1
	v_mov_b64_e32 v[2:3], s[8:9]
	v_mov_b64_e32 v[4:5], s[10:11]
	s_add_u32 s8, s0, 0x60
	s_addc_u32 s9, s1, 0
	scratch_store_dwordx4 off, v[2:5], off offset:80
	s_getpc_b64 s[0:1]
	s_add_u32 s0, s0, _ZZZN7rocprim17ROCPRIM_400000_NS6detail9scan_implILNS1_25lookback_scan_determinismE0ELb0ELb0ENS0_14default_configEPKfPffZZZN2at6native31launch_logcumsumexp_cuda_kernelERKNS8_10TensorBaseESC_lENKUlvE_clEvENKUlvE0_clEvEUlffE_fEEDaPvRmT3_T4_T5_mT6_P12ihipStream_tbENKUlT_T0_E_clISt17integral_constantIbLb1EESS_IbLb0EEEEDaSO_SP_ENKUlSO_E_clINS1_13target_configIS4_NS1_20scan_config_selectorIfEENS1_11comp_targetILNS1_3genE5ELNS1_11target_archE942ELNS1_3gpuE9ELNS1_3repE0EEELNS0_4arch9wavefront6targetE1EEEEEDaSO_@rel32@lo+4
	s_addc_u32 s1, s1, _ZZZN7rocprim17ROCPRIM_400000_NS6detail9scan_implILNS1_25lookback_scan_determinismE0ELb0ELb0ENS0_14default_configEPKfPffZZZN2at6native31launch_logcumsumexp_cuda_kernelERKNS8_10TensorBaseESC_lENKUlvE_clEvENKUlvE0_clEvEUlffE_fEEDaPvRmT3_T4_T5_mT6_P12ihipStream_tbENKUlT_T0_E_clISt17integral_constantIbLb1EESS_IbLb0EEEEDaSO_SP_ENKUlSO_E_clINS1_13target_configIS4_NS1_20scan_config_selectorIfEENS1_11comp_targetILNS1_3genE5ELNS1_11target_archE942ELNS1_3gpuE9ELNS1_3repE0EEELNS0_4arch9wavefront6targetE1EEEEEDaSO_@rel32@hi+12
	s_swappc_b64 s[30:31], s[0:1]
	s_endpgm
	.section	.rodata,"a",@progbits
	.p2align	6, 0x0
	.amdhsa_kernel _ZN7rocprim17ROCPRIM_400000_NS6detail17trampoline_kernelINS0_14default_configENS1_20scan_config_selectorIfEEZZNS1_9scan_implILNS1_25lookback_scan_determinismE0ELb0ELb0ES3_PKfPffZZZN2at6native31launch_logcumsumexp_cuda_kernelERKNSB_10TensorBaseESF_lENKUlvE_clEvENKUlvE0_clEvEUlffE_fEEDaPvRmT3_T4_T5_mT6_P12ihipStream_tbENKUlT_T0_E_clISt17integral_constantIbLb1EESV_IbLb0EEEEDaSR_SS_EUlSR_E_NS1_11comp_targetILNS1_3genE5ELNS1_11target_archE942ELNS1_3gpuE9ELNS1_3repE0EEENS1_30default_config_static_selectorELNS0_4arch9wavefront6targetE1EEEvT1_
		.amdhsa_group_segment_fixed_size 24576
		.amdhsa_private_segment_fixed_size 120
		.amdhsa_kernarg_size 352
		.amdhsa_user_sgpr_count 2
		.amdhsa_user_sgpr_dispatch_ptr 0
		.amdhsa_user_sgpr_queue_ptr 0
		.amdhsa_user_sgpr_kernarg_segment_ptr 1
		.amdhsa_user_sgpr_dispatch_id 0
		.amdhsa_user_sgpr_kernarg_preload_length 0
		.amdhsa_user_sgpr_kernarg_preload_offset 0
		.amdhsa_user_sgpr_private_segment_size 0
		.amdhsa_uses_dynamic_stack 0
		.amdhsa_enable_private_segment 1
		.amdhsa_system_sgpr_workgroup_id_x 1
		.amdhsa_system_sgpr_workgroup_id_y 0
		.amdhsa_system_sgpr_workgroup_id_z 0
		.amdhsa_system_sgpr_workgroup_info 0
		.amdhsa_system_vgpr_workitem_id 0
		.amdhsa_next_free_vgpr 184
		.amdhsa_next_free_sgpr 78
		.amdhsa_accum_offset 184
		.amdhsa_reserve_vcc 1
		.amdhsa_float_round_mode_32 0
		.amdhsa_float_round_mode_16_64 0
		.amdhsa_float_denorm_mode_32 3
		.amdhsa_float_denorm_mode_16_64 3
		.amdhsa_dx10_clamp 1
		.amdhsa_ieee_mode 1
		.amdhsa_fp16_overflow 0
		.amdhsa_tg_split 0
		.amdhsa_exception_fp_ieee_invalid_op 0
		.amdhsa_exception_fp_denorm_src 0
		.amdhsa_exception_fp_ieee_div_zero 0
		.amdhsa_exception_fp_ieee_overflow 0
		.amdhsa_exception_fp_ieee_underflow 0
		.amdhsa_exception_fp_ieee_inexact 0
		.amdhsa_exception_int_div_zero 0
	.end_amdhsa_kernel
	.section	.text._ZN7rocprim17ROCPRIM_400000_NS6detail17trampoline_kernelINS0_14default_configENS1_20scan_config_selectorIfEEZZNS1_9scan_implILNS1_25lookback_scan_determinismE0ELb0ELb0ES3_PKfPffZZZN2at6native31launch_logcumsumexp_cuda_kernelERKNSB_10TensorBaseESF_lENKUlvE_clEvENKUlvE0_clEvEUlffE_fEEDaPvRmT3_T4_T5_mT6_P12ihipStream_tbENKUlT_T0_E_clISt17integral_constantIbLb1EESV_IbLb0EEEEDaSR_SS_EUlSR_E_NS1_11comp_targetILNS1_3genE5ELNS1_11target_archE942ELNS1_3gpuE9ELNS1_3repE0EEENS1_30default_config_static_selectorELNS0_4arch9wavefront6targetE1EEEvT1_,"axG",@progbits,_ZN7rocprim17ROCPRIM_400000_NS6detail17trampoline_kernelINS0_14default_configENS1_20scan_config_selectorIfEEZZNS1_9scan_implILNS1_25lookback_scan_determinismE0ELb0ELb0ES3_PKfPffZZZN2at6native31launch_logcumsumexp_cuda_kernelERKNSB_10TensorBaseESF_lENKUlvE_clEvENKUlvE0_clEvEUlffE_fEEDaPvRmT3_T4_T5_mT6_P12ihipStream_tbENKUlT_T0_E_clISt17integral_constantIbLb1EESV_IbLb0EEEEDaSR_SS_EUlSR_E_NS1_11comp_targetILNS1_3genE5ELNS1_11target_archE942ELNS1_3gpuE9ELNS1_3repE0EEENS1_30default_config_static_selectorELNS0_4arch9wavefront6targetE1EEEvT1_,comdat
.Lfunc_end142:
	.size	_ZN7rocprim17ROCPRIM_400000_NS6detail17trampoline_kernelINS0_14default_configENS1_20scan_config_selectorIfEEZZNS1_9scan_implILNS1_25lookback_scan_determinismE0ELb0ELb0ES3_PKfPffZZZN2at6native31launch_logcumsumexp_cuda_kernelERKNSB_10TensorBaseESF_lENKUlvE_clEvENKUlvE0_clEvEUlffE_fEEDaPvRmT3_T4_T5_mT6_P12ihipStream_tbENKUlT_T0_E_clISt17integral_constantIbLb1EESV_IbLb0EEEEDaSR_SS_EUlSR_E_NS1_11comp_targetILNS1_3genE5ELNS1_11target_archE942ELNS1_3gpuE9ELNS1_3repE0EEENS1_30default_config_static_selectorELNS0_4arch9wavefront6targetE1EEEvT1_, .Lfunc_end142-_ZN7rocprim17ROCPRIM_400000_NS6detail17trampoline_kernelINS0_14default_configENS1_20scan_config_selectorIfEEZZNS1_9scan_implILNS1_25lookback_scan_determinismE0ELb0ELb0ES3_PKfPffZZZN2at6native31launch_logcumsumexp_cuda_kernelERKNSB_10TensorBaseESF_lENKUlvE_clEvENKUlvE0_clEvEUlffE_fEEDaPvRmT3_T4_T5_mT6_P12ihipStream_tbENKUlT_T0_E_clISt17integral_constantIbLb1EESV_IbLb0EEEEDaSR_SS_EUlSR_E_NS1_11comp_targetILNS1_3genE5ELNS1_11target_archE942ELNS1_3gpuE9ELNS1_3repE0EEENS1_30default_config_static_selectorELNS0_4arch9wavefront6targetE1EEEvT1_
                                        ; -- End function
	.section	.AMDGPU.csdata,"",@progbits
; Kernel info:
; codeLenInByte = 208
; NumSgprs: 84
; NumVgprs: 184
; NumAgprs: 0
; TotalNumVgprs: 184
; ScratchSize: 120
; MemoryBound: 0
; FloatMode: 240
; IeeeMode: 1
; LDSByteSize: 24576 bytes/workgroup (compile time only)
; SGPRBlocks: 10
; VGPRBlocks: 22
; NumSGPRsForWavesPerEU: 84
; NumVGPRsForWavesPerEU: 184
; AccumOffset: 184
; Occupancy: 2
; WaveLimiterHint : 1
; COMPUTE_PGM_RSRC2:SCRATCH_EN: 1
; COMPUTE_PGM_RSRC2:USER_SGPR: 2
; COMPUTE_PGM_RSRC2:TRAP_HANDLER: 0
; COMPUTE_PGM_RSRC2:TGID_X_EN: 1
; COMPUTE_PGM_RSRC2:TGID_Y_EN: 0
; COMPUTE_PGM_RSRC2:TGID_Z_EN: 0
; COMPUTE_PGM_RSRC2:TIDIG_COMP_CNT: 0
; COMPUTE_PGM_RSRC3_GFX90A:ACCUM_OFFSET: 45
; COMPUTE_PGM_RSRC3_GFX90A:TG_SPLIT: 0
	.section	.text._ZN7rocprim17ROCPRIM_400000_NS6detail17trampoline_kernelINS0_14default_configENS1_20scan_config_selectorIfEEZZNS1_9scan_implILNS1_25lookback_scan_determinismE0ELb0ELb0ES3_PKfPffZZZN2at6native31launch_logcumsumexp_cuda_kernelERKNSB_10TensorBaseESF_lENKUlvE_clEvENKUlvE0_clEvEUlffE_fEEDaPvRmT3_T4_T5_mT6_P12ihipStream_tbENKUlT_T0_E_clISt17integral_constantIbLb1EESV_IbLb0EEEEDaSR_SS_EUlSR_E_NS1_11comp_targetILNS1_3genE4ELNS1_11target_archE910ELNS1_3gpuE8ELNS1_3repE0EEENS1_30default_config_static_selectorELNS0_4arch9wavefront6targetE1EEEvT1_,"axG",@progbits,_ZN7rocprim17ROCPRIM_400000_NS6detail17trampoline_kernelINS0_14default_configENS1_20scan_config_selectorIfEEZZNS1_9scan_implILNS1_25lookback_scan_determinismE0ELb0ELb0ES3_PKfPffZZZN2at6native31launch_logcumsumexp_cuda_kernelERKNSB_10TensorBaseESF_lENKUlvE_clEvENKUlvE0_clEvEUlffE_fEEDaPvRmT3_T4_T5_mT6_P12ihipStream_tbENKUlT_T0_E_clISt17integral_constantIbLb1EESV_IbLb0EEEEDaSR_SS_EUlSR_E_NS1_11comp_targetILNS1_3genE4ELNS1_11target_archE910ELNS1_3gpuE8ELNS1_3repE0EEENS1_30default_config_static_selectorELNS0_4arch9wavefront6targetE1EEEvT1_,comdat
	.globl	_ZN7rocprim17ROCPRIM_400000_NS6detail17trampoline_kernelINS0_14default_configENS1_20scan_config_selectorIfEEZZNS1_9scan_implILNS1_25lookback_scan_determinismE0ELb0ELb0ES3_PKfPffZZZN2at6native31launch_logcumsumexp_cuda_kernelERKNSB_10TensorBaseESF_lENKUlvE_clEvENKUlvE0_clEvEUlffE_fEEDaPvRmT3_T4_T5_mT6_P12ihipStream_tbENKUlT_T0_E_clISt17integral_constantIbLb1EESV_IbLb0EEEEDaSR_SS_EUlSR_E_NS1_11comp_targetILNS1_3genE4ELNS1_11target_archE910ELNS1_3gpuE8ELNS1_3repE0EEENS1_30default_config_static_selectorELNS0_4arch9wavefront6targetE1EEEvT1_ ; -- Begin function _ZN7rocprim17ROCPRIM_400000_NS6detail17trampoline_kernelINS0_14default_configENS1_20scan_config_selectorIfEEZZNS1_9scan_implILNS1_25lookback_scan_determinismE0ELb0ELb0ES3_PKfPffZZZN2at6native31launch_logcumsumexp_cuda_kernelERKNSB_10TensorBaseESF_lENKUlvE_clEvENKUlvE0_clEvEUlffE_fEEDaPvRmT3_T4_T5_mT6_P12ihipStream_tbENKUlT_T0_E_clISt17integral_constantIbLb1EESV_IbLb0EEEEDaSR_SS_EUlSR_E_NS1_11comp_targetILNS1_3genE4ELNS1_11target_archE910ELNS1_3gpuE8ELNS1_3repE0EEENS1_30default_config_static_selectorELNS0_4arch9wavefront6targetE1EEEvT1_
	.p2align	8
	.type	_ZN7rocprim17ROCPRIM_400000_NS6detail17trampoline_kernelINS0_14default_configENS1_20scan_config_selectorIfEEZZNS1_9scan_implILNS1_25lookback_scan_determinismE0ELb0ELb0ES3_PKfPffZZZN2at6native31launch_logcumsumexp_cuda_kernelERKNSB_10TensorBaseESF_lENKUlvE_clEvENKUlvE0_clEvEUlffE_fEEDaPvRmT3_T4_T5_mT6_P12ihipStream_tbENKUlT_T0_E_clISt17integral_constantIbLb1EESV_IbLb0EEEEDaSR_SS_EUlSR_E_NS1_11comp_targetILNS1_3genE4ELNS1_11target_archE910ELNS1_3gpuE8ELNS1_3repE0EEENS1_30default_config_static_selectorELNS0_4arch9wavefront6targetE1EEEvT1_,@function
_ZN7rocprim17ROCPRIM_400000_NS6detail17trampoline_kernelINS0_14default_configENS1_20scan_config_selectorIfEEZZNS1_9scan_implILNS1_25lookback_scan_determinismE0ELb0ELb0ES3_PKfPffZZZN2at6native31launch_logcumsumexp_cuda_kernelERKNSB_10TensorBaseESF_lENKUlvE_clEvENKUlvE0_clEvEUlffE_fEEDaPvRmT3_T4_T5_mT6_P12ihipStream_tbENKUlT_T0_E_clISt17integral_constantIbLb1EESV_IbLb0EEEEDaSR_SS_EUlSR_E_NS1_11comp_targetILNS1_3genE4ELNS1_11target_archE910ELNS1_3gpuE8ELNS1_3repE0EEENS1_30default_config_static_selectorELNS0_4arch9wavefront6targetE1EEEvT1_: ; @_ZN7rocprim17ROCPRIM_400000_NS6detail17trampoline_kernelINS0_14default_configENS1_20scan_config_selectorIfEEZZNS1_9scan_implILNS1_25lookback_scan_determinismE0ELb0ELb0ES3_PKfPffZZZN2at6native31launch_logcumsumexp_cuda_kernelERKNSB_10TensorBaseESF_lENKUlvE_clEvENKUlvE0_clEvEUlffE_fEEDaPvRmT3_T4_T5_mT6_P12ihipStream_tbENKUlT_T0_E_clISt17integral_constantIbLb1EESV_IbLb0EEEEDaSR_SS_EUlSR_E_NS1_11comp_targetILNS1_3genE4ELNS1_11target_archE910ELNS1_3gpuE8ELNS1_3repE0EEENS1_30default_config_static_selectorELNS0_4arch9wavefront6targetE1EEEvT1_
; %bb.0:
	.section	.rodata,"a",@progbits
	.p2align	6, 0x0
	.amdhsa_kernel _ZN7rocprim17ROCPRIM_400000_NS6detail17trampoline_kernelINS0_14default_configENS1_20scan_config_selectorIfEEZZNS1_9scan_implILNS1_25lookback_scan_determinismE0ELb0ELb0ES3_PKfPffZZZN2at6native31launch_logcumsumexp_cuda_kernelERKNSB_10TensorBaseESF_lENKUlvE_clEvENKUlvE0_clEvEUlffE_fEEDaPvRmT3_T4_T5_mT6_P12ihipStream_tbENKUlT_T0_E_clISt17integral_constantIbLb1EESV_IbLb0EEEEDaSR_SS_EUlSR_E_NS1_11comp_targetILNS1_3genE4ELNS1_11target_archE910ELNS1_3gpuE8ELNS1_3repE0EEENS1_30default_config_static_selectorELNS0_4arch9wavefront6targetE1EEEvT1_
		.amdhsa_group_segment_fixed_size 0
		.amdhsa_private_segment_fixed_size 0
		.amdhsa_kernarg_size 96
		.amdhsa_user_sgpr_count 2
		.amdhsa_user_sgpr_dispatch_ptr 0
		.amdhsa_user_sgpr_queue_ptr 0
		.amdhsa_user_sgpr_kernarg_segment_ptr 1
		.amdhsa_user_sgpr_dispatch_id 0
		.amdhsa_user_sgpr_kernarg_preload_length 0
		.amdhsa_user_sgpr_kernarg_preload_offset 0
		.amdhsa_user_sgpr_private_segment_size 0
		.amdhsa_uses_dynamic_stack 0
		.amdhsa_enable_private_segment 0
		.amdhsa_system_sgpr_workgroup_id_x 1
		.amdhsa_system_sgpr_workgroup_id_y 0
		.amdhsa_system_sgpr_workgroup_id_z 0
		.amdhsa_system_sgpr_workgroup_info 0
		.amdhsa_system_vgpr_workitem_id 0
		.amdhsa_next_free_vgpr 1
		.amdhsa_next_free_sgpr 0
		.amdhsa_accum_offset 4
		.amdhsa_reserve_vcc 0
		.amdhsa_float_round_mode_32 0
		.amdhsa_float_round_mode_16_64 0
		.amdhsa_float_denorm_mode_32 3
		.amdhsa_float_denorm_mode_16_64 3
		.amdhsa_dx10_clamp 1
		.amdhsa_ieee_mode 1
		.amdhsa_fp16_overflow 0
		.amdhsa_tg_split 0
		.amdhsa_exception_fp_ieee_invalid_op 0
		.amdhsa_exception_fp_denorm_src 0
		.amdhsa_exception_fp_ieee_div_zero 0
		.amdhsa_exception_fp_ieee_overflow 0
		.amdhsa_exception_fp_ieee_underflow 0
		.amdhsa_exception_fp_ieee_inexact 0
		.amdhsa_exception_int_div_zero 0
	.end_amdhsa_kernel
	.section	.text._ZN7rocprim17ROCPRIM_400000_NS6detail17trampoline_kernelINS0_14default_configENS1_20scan_config_selectorIfEEZZNS1_9scan_implILNS1_25lookback_scan_determinismE0ELb0ELb0ES3_PKfPffZZZN2at6native31launch_logcumsumexp_cuda_kernelERKNSB_10TensorBaseESF_lENKUlvE_clEvENKUlvE0_clEvEUlffE_fEEDaPvRmT3_T4_T5_mT6_P12ihipStream_tbENKUlT_T0_E_clISt17integral_constantIbLb1EESV_IbLb0EEEEDaSR_SS_EUlSR_E_NS1_11comp_targetILNS1_3genE4ELNS1_11target_archE910ELNS1_3gpuE8ELNS1_3repE0EEENS1_30default_config_static_selectorELNS0_4arch9wavefront6targetE1EEEvT1_,"axG",@progbits,_ZN7rocprim17ROCPRIM_400000_NS6detail17trampoline_kernelINS0_14default_configENS1_20scan_config_selectorIfEEZZNS1_9scan_implILNS1_25lookback_scan_determinismE0ELb0ELb0ES3_PKfPffZZZN2at6native31launch_logcumsumexp_cuda_kernelERKNSB_10TensorBaseESF_lENKUlvE_clEvENKUlvE0_clEvEUlffE_fEEDaPvRmT3_T4_T5_mT6_P12ihipStream_tbENKUlT_T0_E_clISt17integral_constantIbLb1EESV_IbLb0EEEEDaSR_SS_EUlSR_E_NS1_11comp_targetILNS1_3genE4ELNS1_11target_archE910ELNS1_3gpuE8ELNS1_3repE0EEENS1_30default_config_static_selectorELNS0_4arch9wavefront6targetE1EEEvT1_,comdat
.Lfunc_end143:
	.size	_ZN7rocprim17ROCPRIM_400000_NS6detail17trampoline_kernelINS0_14default_configENS1_20scan_config_selectorIfEEZZNS1_9scan_implILNS1_25lookback_scan_determinismE0ELb0ELb0ES3_PKfPffZZZN2at6native31launch_logcumsumexp_cuda_kernelERKNSB_10TensorBaseESF_lENKUlvE_clEvENKUlvE0_clEvEUlffE_fEEDaPvRmT3_T4_T5_mT6_P12ihipStream_tbENKUlT_T0_E_clISt17integral_constantIbLb1EESV_IbLb0EEEEDaSR_SS_EUlSR_E_NS1_11comp_targetILNS1_3genE4ELNS1_11target_archE910ELNS1_3gpuE8ELNS1_3repE0EEENS1_30default_config_static_selectorELNS0_4arch9wavefront6targetE1EEEvT1_, .Lfunc_end143-_ZN7rocprim17ROCPRIM_400000_NS6detail17trampoline_kernelINS0_14default_configENS1_20scan_config_selectorIfEEZZNS1_9scan_implILNS1_25lookback_scan_determinismE0ELb0ELb0ES3_PKfPffZZZN2at6native31launch_logcumsumexp_cuda_kernelERKNSB_10TensorBaseESF_lENKUlvE_clEvENKUlvE0_clEvEUlffE_fEEDaPvRmT3_T4_T5_mT6_P12ihipStream_tbENKUlT_T0_E_clISt17integral_constantIbLb1EESV_IbLb0EEEEDaSR_SS_EUlSR_E_NS1_11comp_targetILNS1_3genE4ELNS1_11target_archE910ELNS1_3gpuE8ELNS1_3repE0EEENS1_30default_config_static_selectorELNS0_4arch9wavefront6targetE1EEEvT1_
                                        ; -- End function
	.section	.AMDGPU.csdata,"",@progbits
; Kernel info:
; codeLenInByte = 0
; NumSgprs: 6
; NumVgprs: 0
; NumAgprs: 0
; TotalNumVgprs: 0
; ScratchSize: 0
; MemoryBound: 0
; FloatMode: 240
; IeeeMode: 1
; LDSByteSize: 0 bytes/workgroup (compile time only)
; SGPRBlocks: 0
; VGPRBlocks: 0
; NumSGPRsForWavesPerEU: 6
; NumVGPRsForWavesPerEU: 1
; AccumOffset: 4
; Occupancy: 8
; WaveLimiterHint : 0
; COMPUTE_PGM_RSRC2:SCRATCH_EN: 0
; COMPUTE_PGM_RSRC2:USER_SGPR: 2
; COMPUTE_PGM_RSRC2:TRAP_HANDLER: 0
; COMPUTE_PGM_RSRC2:TGID_X_EN: 1
; COMPUTE_PGM_RSRC2:TGID_Y_EN: 0
; COMPUTE_PGM_RSRC2:TGID_Z_EN: 0
; COMPUTE_PGM_RSRC2:TIDIG_COMP_CNT: 0
; COMPUTE_PGM_RSRC3_GFX90A:ACCUM_OFFSET: 0
; COMPUTE_PGM_RSRC3_GFX90A:TG_SPLIT: 0
	.section	.text._ZN7rocprim17ROCPRIM_400000_NS6detail17trampoline_kernelINS0_14default_configENS1_20scan_config_selectorIfEEZZNS1_9scan_implILNS1_25lookback_scan_determinismE0ELb0ELb0ES3_PKfPffZZZN2at6native31launch_logcumsumexp_cuda_kernelERKNSB_10TensorBaseESF_lENKUlvE_clEvENKUlvE0_clEvEUlffE_fEEDaPvRmT3_T4_T5_mT6_P12ihipStream_tbENKUlT_T0_E_clISt17integral_constantIbLb1EESV_IbLb0EEEEDaSR_SS_EUlSR_E_NS1_11comp_targetILNS1_3genE3ELNS1_11target_archE908ELNS1_3gpuE7ELNS1_3repE0EEENS1_30default_config_static_selectorELNS0_4arch9wavefront6targetE1EEEvT1_,"axG",@progbits,_ZN7rocprim17ROCPRIM_400000_NS6detail17trampoline_kernelINS0_14default_configENS1_20scan_config_selectorIfEEZZNS1_9scan_implILNS1_25lookback_scan_determinismE0ELb0ELb0ES3_PKfPffZZZN2at6native31launch_logcumsumexp_cuda_kernelERKNSB_10TensorBaseESF_lENKUlvE_clEvENKUlvE0_clEvEUlffE_fEEDaPvRmT3_T4_T5_mT6_P12ihipStream_tbENKUlT_T0_E_clISt17integral_constantIbLb1EESV_IbLb0EEEEDaSR_SS_EUlSR_E_NS1_11comp_targetILNS1_3genE3ELNS1_11target_archE908ELNS1_3gpuE7ELNS1_3repE0EEENS1_30default_config_static_selectorELNS0_4arch9wavefront6targetE1EEEvT1_,comdat
	.globl	_ZN7rocprim17ROCPRIM_400000_NS6detail17trampoline_kernelINS0_14default_configENS1_20scan_config_selectorIfEEZZNS1_9scan_implILNS1_25lookback_scan_determinismE0ELb0ELb0ES3_PKfPffZZZN2at6native31launch_logcumsumexp_cuda_kernelERKNSB_10TensorBaseESF_lENKUlvE_clEvENKUlvE0_clEvEUlffE_fEEDaPvRmT3_T4_T5_mT6_P12ihipStream_tbENKUlT_T0_E_clISt17integral_constantIbLb1EESV_IbLb0EEEEDaSR_SS_EUlSR_E_NS1_11comp_targetILNS1_3genE3ELNS1_11target_archE908ELNS1_3gpuE7ELNS1_3repE0EEENS1_30default_config_static_selectorELNS0_4arch9wavefront6targetE1EEEvT1_ ; -- Begin function _ZN7rocprim17ROCPRIM_400000_NS6detail17trampoline_kernelINS0_14default_configENS1_20scan_config_selectorIfEEZZNS1_9scan_implILNS1_25lookback_scan_determinismE0ELb0ELb0ES3_PKfPffZZZN2at6native31launch_logcumsumexp_cuda_kernelERKNSB_10TensorBaseESF_lENKUlvE_clEvENKUlvE0_clEvEUlffE_fEEDaPvRmT3_T4_T5_mT6_P12ihipStream_tbENKUlT_T0_E_clISt17integral_constantIbLb1EESV_IbLb0EEEEDaSR_SS_EUlSR_E_NS1_11comp_targetILNS1_3genE3ELNS1_11target_archE908ELNS1_3gpuE7ELNS1_3repE0EEENS1_30default_config_static_selectorELNS0_4arch9wavefront6targetE1EEEvT1_
	.p2align	8
	.type	_ZN7rocprim17ROCPRIM_400000_NS6detail17trampoline_kernelINS0_14default_configENS1_20scan_config_selectorIfEEZZNS1_9scan_implILNS1_25lookback_scan_determinismE0ELb0ELb0ES3_PKfPffZZZN2at6native31launch_logcumsumexp_cuda_kernelERKNSB_10TensorBaseESF_lENKUlvE_clEvENKUlvE0_clEvEUlffE_fEEDaPvRmT3_T4_T5_mT6_P12ihipStream_tbENKUlT_T0_E_clISt17integral_constantIbLb1EESV_IbLb0EEEEDaSR_SS_EUlSR_E_NS1_11comp_targetILNS1_3genE3ELNS1_11target_archE908ELNS1_3gpuE7ELNS1_3repE0EEENS1_30default_config_static_selectorELNS0_4arch9wavefront6targetE1EEEvT1_,@function
_ZN7rocprim17ROCPRIM_400000_NS6detail17trampoline_kernelINS0_14default_configENS1_20scan_config_selectorIfEEZZNS1_9scan_implILNS1_25lookback_scan_determinismE0ELb0ELb0ES3_PKfPffZZZN2at6native31launch_logcumsumexp_cuda_kernelERKNSB_10TensorBaseESF_lENKUlvE_clEvENKUlvE0_clEvEUlffE_fEEDaPvRmT3_T4_T5_mT6_P12ihipStream_tbENKUlT_T0_E_clISt17integral_constantIbLb1EESV_IbLb0EEEEDaSR_SS_EUlSR_E_NS1_11comp_targetILNS1_3genE3ELNS1_11target_archE908ELNS1_3gpuE7ELNS1_3repE0EEENS1_30default_config_static_selectorELNS0_4arch9wavefront6targetE1EEEvT1_: ; @_ZN7rocprim17ROCPRIM_400000_NS6detail17trampoline_kernelINS0_14default_configENS1_20scan_config_selectorIfEEZZNS1_9scan_implILNS1_25lookback_scan_determinismE0ELb0ELb0ES3_PKfPffZZZN2at6native31launch_logcumsumexp_cuda_kernelERKNSB_10TensorBaseESF_lENKUlvE_clEvENKUlvE0_clEvEUlffE_fEEDaPvRmT3_T4_T5_mT6_P12ihipStream_tbENKUlT_T0_E_clISt17integral_constantIbLb1EESV_IbLb0EEEEDaSR_SS_EUlSR_E_NS1_11comp_targetILNS1_3genE3ELNS1_11target_archE908ELNS1_3gpuE7ELNS1_3repE0EEENS1_30default_config_static_selectorELNS0_4arch9wavefront6targetE1EEEvT1_
; %bb.0:
	.section	.rodata,"a",@progbits
	.p2align	6, 0x0
	.amdhsa_kernel _ZN7rocprim17ROCPRIM_400000_NS6detail17trampoline_kernelINS0_14default_configENS1_20scan_config_selectorIfEEZZNS1_9scan_implILNS1_25lookback_scan_determinismE0ELb0ELb0ES3_PKfPffZZZN2at6native31launch_logcumsumexp_cuda_kernelERKNSB_10TensorBaseESF_lENKUlvE_clEvENKUlvE0_clEvEUlffE_fEEDaPvRmT3_T4_T5_mT6_P12ihipStream_tbENKUlT_T0_E_clISt17integral_constantIbLb1EESV_IbLb0EEEEDaSR_SS_EUlSR_E_NS1_11comp_targetILNS1_3genE3ELNS1_11target_archE908ELNS1_3gpuE7ELNS1_3repE0EEENS1_30default_config_static_selectorELNS0_4arch9wavefront6targetE1EEEvT1_
		.amdhsa_group_segment_fixed_size 0
		.amdhsa_private_segment_fixed_size 0
		.amdhsa_kernarg_size 96
		.amdhsa_user_sgpr_count 2
		.amdhsa_user_sgpr_dispatch_ptr 0
		.amdhsa_user_sgpr_queue_ptr 0
		.amdhsa_user_sgpr_kernarg_segment_ptr 1
		.amdhsa_user_sgpr_dispatch_id 0
		.amdhsa_user_sgpr_kernarg_preload_length 0
		.amdhsa_user_sgpr_kernarg_preload_offset 0
		.amdhsa_user_sgpr_private_segment_size 0
		.amdhsa_uses_dynamic_stack 0
		.amdhsa_enable_private_segment 0
		.amdhsa_system_sgpr_workgroup_id_x 1
		.amdhsa_system_sgpr_workgroup_id_y 0
		.amdhsa_system_sgpr_workgroup_id_z 0
		.amdhsa_system_sgpr_workgroup_info 0
		.amdhsa_system_vgpr_workitem_id 0
		.amdhsa_next_free_vgpr 1
		.amdhsa_next_free_sgpr 0
		.amdhsa_accum_offset 4
		.amdhsa_reserve_vcc 0
		.amdhsa_float_round_mode_32 0
		.amdhsa_float_round_mode_16_64 0
		.amdhsa_float_denorm_mode_32 3
		.amdhsa_float_denorm_mode_16_64 3
		.amdhsa_dx10_clamp 1
		.amdhsa_ieee_mode 1
		.amdhsa_fp16_overflow 0
		.amdhsa_tg_split 0
		.amdhsa_exception_fp_ieee_invalid_op 0
		.amdhsa_exception_fp_denorm_src 0
		.amdhsa_exception_fp_ieee_div_zero 0
		.amdhsa_exception_fp_ieee_overflow 0
		.amdhsa_exception_fp_ieee_underflow 0
		.amdhsa_exception_fp_ieee_inexact 0
		.amdhsa_exception_int_div_zero 0
	.end_amdhsa_kernel
	.section	.text._ZN7rocprim17ROCPRIM_400000_NS6detail17trampoline_kernelINS0_14default_configENS1_20scan_config_selectorIfEEZZNS1_9scan_implILNS1_25lookback_scan_determinismE0ELb0ELb0ES3_PKfPffZZZN2at6native31launch_logcumsumexp_cuda_kernelERKNSB_10TensorBaseESF_lENKUlvE_clEvENKUlvE0_clEvEUlffE_fEEDaPvRmT3_T4_T5_mT6_P12ihipStream_tbENKUlT_T0_E_clISt17integral_constantIbLb1EESV_IbLb0EEEEDaSR_SS_EUlSR_E_NS1_11comp_targetILNS1_3genE3ELNS1_11target_archE908ELNS1_3gpuE7ELNS1_3repE0EEENS1_30default_config_static_selectorELNS0_4arch9wavefront6targetE1EEEvT1_,"axG",@progbits,_ZN7rocprim17ROCPRIM_400000_NS6detail17trampoline_kernelINS0_14default_configENS1_20scan_config_selectorIfEEZZNS1_9scan_implILNS1_25lookback_scan_determinismE0ELb0ELb0ES3_PKfPffZZZN2at6native31launch_logcumsumexp_cuda_kernelERKNSB_10TensorBaseESF_lENKUlvE_clEvENKUlvE0_clEvEUlffE_fEEDaPvRmT3_T4_T5_mT6_P12ihipStream_tbENKUlT_T0_E_clISt17integral_constantIbLb1EESV_IbLb0EEEEDaSR_SS_EUlSR_E_NS1_11comp_targetILNS1_3genE3ELNS1_11target_archE908ELNS1_3gpuE7ELNS1_3repE0EEENS1_30default_config_static_selectorELNS0_4arch9wavefront6targetE1EEEvT1_,comdat
.Lfunc_end144:
	.size	_ZN7rocprim17ROCPRIM_400000_NS6detail17trampoline_kernelINS0_14default_configENS1_20scan_config_selectorIfEEZZNS1_9scan_implILNS1_25lookback_scan_determinismE0ELb0ELb0ES3_PKfPffZZZN2at6native31launch_logcumsumexp_cuda_kernelERKNSB_10TensorBaseESF_lENKUlvE_clEvENKUlvE0_clEvEUlffE_fEEDaPvRmT3_T4_T5_mT6_P12ihipStream_tbENKUlT_T0_E_clISt17integral_constantIbLb1EESV_IbLb0EEEEDaSR_SS_EUlSR_E_NS1_11comp_targetILNS1_3genE3ELNS1_11target_archE908ELNS1_3gpuE7ELNS1_3repE0EEENS1_30default_config_static_selectorELNS0_4arch9wavefront6targetE1EEEvT1_, .Lfunc_end144-_ZN7rocprim17ROCPRIM_400000_NS6detail17trampoline_kernelINS0_14default_configENS1_20scan_config_selectorIfEEZZNS1_9scan_implILNS1_25lookback_scan_determinismE0ELb0ELb0ES3_PKfPffZZZN2at6native31launch_logcumsumexp_cuda_kernelERKNSB_10TensorBaseESF_lENKUlvE_clEvENKUlvE0_clEvEUlffE_fEEDaPvRmT3_T4_T5_mT6_P12ihipStream_tbENKUlT_T0_E_clISt17integral_constantIbLb1EESV_IbLb0EEEEDaSR_SS_EUlSR_E_NS1_11comp_targetILNS1_3genE3ELNS1_11target_archE908ELNS1_3gpuE7ELNS1_3repE0EEENS1_30default_config_static_selectorELNS0_4arch9wavefront6targetE1EEEvT1_
                                        ; -- End function
	.section	.AMDGPU.csdata,"",@progbits
; Kernel info:
; codeLenInByte = 0
; NumSgprs: 6
; NumVgprs: 0
; NumAgprs: 0
; TotalNumVgprs: 0
; ScratchSize: 0
; MemoryBound: 0
; FloatMode: 240
; IeeeMode: 1
; LDSByteSize: 0 bytes/workgroup (compile time only)
; SGPRBlocks: 0
; VGPRBlocks: 0
; NumSGPRsForWavesPerEU: 6
; NumVGPRsForWavesPerEU: 1
; AccumOffset: 4
; Occupancy: 8
; WaveLimiterHint : 0
; COMPUTE_PGM_RSRC2:SCRATCH_EN: 0
; COMPUTE_PGM_RSRC2:USER_SGPR: 2
; COMPUTE_PGM_RSRC2:TRAP_HANDLER: 0
; COMPUTE_PGM_RSRC2:TGID_X_EN: 1
; COMPUTE_PGM_RSRC2:TGID_Y_EN: 0
; COMPUTE_PGM_RSRC2:TGID_Z_EN: 0
; COMPUTE_PGM_RSRC2:TIDIG_COMP_CNT: 0
; COMPUTE_PGM_RSRC3_GFX90A:ACCUM_OFFSET: 0
; COMPUTE_PGM_RSRC3_GFX90A:TG_SPLIT: 0
	.section	.text._ZN7rocprim17ROCPRIM_400000_NS6detail17trampoline_kernelINS0_14default_configENS1_20scan_config_selectorIfEEZZNS1_9scan_implILNS1_25lookback_scan_determinismE0ELb0ELb0ES3_PKfPffZZZN2at6native31launch_logcumsumexp_cuda_kernelERKNSB_10TensorBaseESF_lENKUlvE_clEvENKUlvE0_clEvEUlffE_fEEDaPvRmT3_T4_T5_mT6_P12ihipStream_tbENKUlT_T0_E_clISt17integral_constantIbLb1EESV_IbLb0EEEEDaSR_SS_EUlSR_E_NS1_11comp_targetILNS1_3genE2ELNS1_11target_archE906ELNS1_3gpuE6ELNS1_3repE0EEENS1_30default_config_static_selectorELNS0_4arch9wavefront6targetE1EEEvT1_,"axG",@progbits,_ZN7rocprim17ROCPRIM_400000_NS6detail17trampoline_kernelINS0_14default_configENS1_20scan_config_selectorIfEEZZNS1_9scan_implILNS1_25lookback_scan_determinismE0ELb0ELb0ES3_PKfPffZZZN2at6native31launch_logcumsumexp_cuda_kernelERKNSB_10TensorBaseESF_lENKUlvE_clEvENKUlvE0_clEvEUlffE_fEEDaPvRmT3_T4_T5_mT6_P12ihipStream_tbENKUlT_T0_E_clISt17integral_constantIbLb1EESV_IbLb0EEEEDaSR_SS_EUlSR_E_NS1_11comp_targetILNS1_3genE2ELNS1_11target_archE906ELNS1_3gpuE6ELNS1_3repE0EEENS1_30default_config_static_selectorELNS0_4arch9wavefront6targetE1EEEvT1_,comdat
	.globl	_ZN7rocprim17ROCPRIM_400000_NS6detail17trampoline_kernelINS0_14default_configENS1_20scan_config_selectorIfEEZZNS1_9scan_implILNS1_25lookback_scan_determinismE0ELb0ELb0ES3_PKfPffZZZN2at6native31launch_logcumsumexp_cuda_kernelERKNSB_10TensorBaseESF_lENKUlvE_clEvENKUlvE0_clEvEUlffE_fEEDaPvRmT3_T4_T5_mT6_P12ihipStream_tbENKUlT_T0_E_clISt17integral_constantIbLb1EESV_IbLb0EEEEDaSR_SS_EUlSR_E_NS1_11comp_targetILNS1_3genE2ELNS1_11target_archE906ELNS1_3gpuE6ELNS1_3repE0EEENS1_30default_config_static_selectorELNS0_4arch9wavefront6targetE1EEEvT1_ ; -- Begin function _ZN7rocprim17ROCPRIM_400000_NS6detail17trampoline_kernelINS0_14default_configENS1_20scan_config_selectorIfEEZZNS1_9scan_implILNS1_25lookback_scan_determinismE0ELb0ELb0ES3_PKfPffZZZN2at6native31launch_logcumsumexp_cuda_kernelERKNSB_10TensorBaseESF_lENKUlvE_clEvENKUlvE0_clEvEUlffE_fEEDaPvRmT3_T4_T5_mT6_P12ihipStream_tbENKUlT_T0_E_clISt17integral_constantIbLb1EESV_IbLb0EEEEDaSR_SS_EUlSR_E_NS1_11comp_targetILNS1_3genE2ELNS1_11target_archE906ELNS1_3gpuE6ELNS1_3repE0EEENS1_30default_config_static_selectorELNS0_4arch9wavefront6targetE1EEEvT1_
	.p2align	8
	.type	_ZN7rocprim17ROCPRIM_400000_NS6detail17trampoline_kernelINS0_14default_configENS1_20scan_config_selectorIfEEZZNS1_9scan_implILNS1_25lookback_scan_determinismE0ELb0ELb0ES3_PKfPffZZZN2at6native31launch_logcumsumexp_cuda_kernelERKNSB_10TensorBaseESF_lENKUlvE_clEvENKUlvE0_clEvEUlffE_fEEDaPvRmT3_T4_T5_mT6_P12ihipStream_tbENKUlT_T0_E_clISt17integral_constantIbLb1EESV_IbLb0EEEEDaSR_SS_EUlSR_E_NS1_11comp_targetILNS1_3genE2ELNS1_11target_archE906ELNS1_3gpuE6ELNS1_3repE0EEENS1_30default_config_static_selectorELNS0_4arch9wavefront6targetE1EEEvT1_,@function
_ZN7rocprim17ROCPRIM_400000_NS6detail17trampoline_kernelINS0_14default_configENS1_20scan_config_selectorIfEEZZNS1_9scan_implILNS1_25lookback_scan_determinismE0ELb0ELb0ES3_PKfPffZZZN2at6native31launch_logcumsumexp_cuda_kernelERKNSB_10TensorBaseESF_lENKUlvE_clEvENKUlvE0_clEvEUlffE_fEEDaPvRmT3_T4_T5_mT6_P12ihipStream_tbENKUlT_T0_E_clISt17integral_constantIbLb1EESV_IbLb0EEEEDaSR_SS_EUlSR_E_NS1_11comp_targetILNS1_3genE2ELNS1_11target_archE906ELNS1_3gpuE6ELNS1_3repE0EEENS1_30default_config_static_selectorELNS0_4arch9wavefront6targetE1EEEvT1_: ; @_ZN7rocprim17ROCPRIM_400000_NS6detail17trampoline_kernelINS0_14default_configENS1_20scan_config_selectorIfEEZZNS1_9scan_implILNS1_25lookback_scan_determinismE0ELb0ELb0ES3_PKfPffZZZN2at6native31launch_logcumsumexp_cuda_kernelERKNSB_10TensorBaseESF_lENKUlvE_clEvENKUlvE0_clEvEUlffE_fEEDaPvRmT3_T4_T5_mT6_P12ihipStream_tbENKUlT_T0_E_clISt17integral_constantIbLb1EESV_IbLb0EEEEDaSR_SS_EUlSR_E_NS1_11comp_targetILNS1_3genE2ELNS1_11target_archE906ELNS1_3gpuE6ELNS1_3repE0EEENS1_30default_config_static_selectorELNS0_4arch9wavefront6targetE1EEEvT1_
; %bb.0:
	.section	.rodata,"a",@progbits
	.p2align	6, 0x0
	.amdhsa_kernel _ZN7rocprim17ROCPRIM_400000_NS6detail17trampoline_kernelINS0_14default_configENS1_20scan_config_selectorIfEEZZNS1_9scan_implILNS1_25lookback_scan_determinismE0ELb0ELb0ES3_PKfPffZZZN2at6native31launch_logcumsumexp_cuda_kernelERKNSB_10TensorBaseESF_lENKUlvE_clEvENKUlvE0_clEvEUlffE_fEEDaPvRmT3_T4_T5_mT6_P12ihipStream_tbENKUlT_T0_E_clISt17integral_constantIbLb1EESV_IbLb0EEEEDaSR_SS_EUlSR_E_NS1_11comp_targetILNS1_3genE2ELNS1_11target_archE906ELNS1_3gpuE6ELNS1_3repE0EEENS1_30default_config_static_selectorELNS0_4arch9wavefront6targetE1EEEvT1_
		.amdhsa_group_segment_fixed_size 0
		.amdhsa_private_segment_fixed_size 0
		.amdhsa_kernarg_size 96
		.amdhsa_user_sgpr_count 2
		.amdhsa_user_sgpr_dispatch_ptr 0
		.amdhsa_user_sgpr_queue_ptr 0
		.amdhsa_user_sgpr_kernarg_segment_ptr 1
		.amdhsa_user_sgpr_dispatch_id 0
		.amdhsa_user_sgpr_kernarg_preload_length 0
		.amdhsa_user_sgpr_kernarg_preload_offset 0
		.amdhsa_user_sgpr_private_segment_size 0
		.amdhsa_uses_dynamic_stack 0
		.amdhsa_enable_private_segment 0
		.amdhsa_system_sgpr_workgroup_id_x 1
		.amdhsa_system_sgpr_workgroup_id_y 0
		.amdhsa_system_sgpr_workgroup_id_z 0
		.amdhsa_system_sgpr_workgroup_info 0
		.amdhsa_system_vgpr_workitem_id 0
		.amdhsa_next_free_vgpr 1
		.amdhsa_next_free_sgpr 0
		.amdhsa_accum_offset 4
		.amdhsa_reserve_vcc 0
		.amdhsa_float_round_mode_32 0
		.amdhsa_float_round_mode_16_64 0
		.amdhsa_float_denorm_mode_32 3
		.amdhsa_float_denorm_mode_16_64 3
		.amdhsa_dx10_clamp 1
		.amdhsa_ieee_mode 1
		.amdhsa_fp16_overflow 0
		.amdhsa_tg_split 0
		.amdhsa_exception_fp_ieee_invalid_op 0
		.amdhsa_exception_fp_denorm_src 0
		.amdhsa_exception_fp_ieee_div_zero 0
		.amdhsa_exception_fp_ieee_overflow 0
		.amdhsa_exception_fp_ieee_underflow 0
		.amdhsa_exception_fp_ieee_inexact 0
		.amdhsa_exception_int_div_zero 0
	.end_amdhsa_kernel
	.section	.text._ZN7rocprim17ROCPRIM_400000_NS6detail17trampoline_kernelINS0_14default_configENS1_20scan_config_selectorIfEEZZNS1_9scan_implILNS1_25lookback_scan_determinismE0ELb0ELb0ES3_PKfPffZZZN2at6native31launch_logcumsumexp_cuda_kernelERKNSB_10TensorBaseESF_lENKUlvE_clEvENKUlvE0_clEvEUlffE_fEEDaPvRmT3_T4_T5_mT6_P12ihipStream_tbENKUlT_T0_E_clISt17integral_constantIbLb1EESV_IbLb0EEEEDaSR_SS_EUlSR_E_NS1_11comp_targetILNS1_3genE2ELNS1_11target_archE906ELNS1_3gpuE6ELNS1_3repE0EEENS1_30default_config_static_selectorELNS0_4arch9wavefront6targetE1EEEvT1_,"axG",@progbits,_ZN7rocprim17ROCPRIM_400000_NS6detail17trampoline_kernelINS0_14default_configENS1_20scan_config_selectorIfEEZZNS1_9scan_implILNS1_25lookback_scan_determinismE0ELb0ELb0ES3_PKfPffZZZN2at6native31launch_logcumsumexp_cuda_kernelERKNSB_10TensorBaseESF_lENKUlvE_clEvENKUlvE0_clEvEUlffE_fEEDaPvRmT3_T4_T5_mT6_P12ihipStream_tbENKUlT_T0_E_clISt17integral_constantIbLb1EESV_IbLb0EEEEDaSR_SS_EUlSR_E_NS1_11comp_targetILNS1_3genE2ELNS1_11target_archE906ELNS1_3gpuE6ELNS1_3repE0EEENS1_30default_config_static_selectorELNS0_4arch9wavefront6targetE1EEEvT1_,comdat
.Lfunc_end145:
	.size	_ZN7rocprim17ROCPRIM_400000_NS6detail17trampoline_kernelINS0_14default_configENS1_20scan_config_selectorIfEEZZNS1_9scan_implILNS1_25lookback_scan_determinismE0ELb0ELb0ES3_PKfPffZZZN2at6native31launch_logcumsumexp_cuda_kernelERKNSB_10TensorBaseESF_lENKUlvE_clEvENKUlvE0_clEvEUlffE_fEEDaPvRmT3_T4_T5_mT6_P12ihipStream_tbENKUlT_T0_E_clISt17integral_constantIbLb1EESV_IbLb0EEEEDaSR_SS_EUlSR_E_NS1_11comp_targetILNS1_3genE2ELNS1_11target_archE906ELNS1_3gpuE6ELNS1_3repE0EEENS1_30default_config_static_selectorELNS0_4arch9wavefront6targetE1EEEvT1_, .Lfunc_end145-_ZN7rocprim17ROCPRIM_400000_NS6detail17trampoline_kernelINS0_14default_configENS1_20scan_config_selectorIfEEZZNS1_9scan_implILNS1_25lookback_scan_determinismE0ELb0ELb0ES3_PKfPffZZZN2at6native31launch_logcumsumexp_cuda_kernelERKNSB_10TensorBaseESF_lENKUlvE_clEvENKUlvE0_clEvEUlffE_fEEDaPvRmT3_T4_T5_mT6_P12ihipStream_tbENKUlT_T0_E_clISt17integral_constantIbLb1EESV_IbLb0EEEEDaSR_SS_EUlSR_E_NS1_11comp_targetILNS1_3genE2ELNS1_11target_archE906ELNS1_3gpuE6ELNS1_3repE0EEENS1_30default_config_static_selectorELNS0_4arch9wavefront6targetE1EEEvT1_
                                        ; -- End function
	.section	.AMDGPU.csdata,"",@progbits
; Kernel info:
; codeLenInByte = 0
; NumSgprs: 6
; NumVgprs: 0
; NumAgprs: 0
; TotalNumVgprs: 0
; ScratchSize: 0
; MemoryBound: 0
; FloatMode: 240
; IeeeMode: 1
; LDSByteSize: 0 bytes/workgroup (compile time only)
; SGPRBlocks: 0
; VGPRBlocks: 0
; NumSGPRsForWavesPerEU: 6
; NumVGPRsForWavesPerEU: 1
; AccumOffset: 4
; Occupancy: 8
; WaveLimiterHint : 0
; COMPUTE_PGM_RSRC2:SCRATCH_EN: 0
; COMPUTE_PGM_RSRC2:USER_SGPR: 2
; COMPUTE_PGM_RSRC2:TRAP_HANDLER: 0
; COMPUTE_PGM_RSRC2:TGID_X_EN: 1
; COMPUTE_PGM_RSRC2:TGID_Y_EN: 0
; COMPUTE_PGM_RSRC2:TGID_Z_EN: 0
; COMPUTE_PGM_RSRC2:TIDIG_COMP_CNT: 0
; COMPUTE_PGM_RSRC3_GFX90A:ACCUM_OFFSET: 0
; COMPUTE_PGM_RSRC3_GFX90A:TG_SPLIT: 0
	.section	.text._ZN7rocprim17ROCPRIM_400000_NS6detail17trampoline_kernelINS0_14default_configENS1_20scan_config_selectorIfEEZZNS1_9scan_implILNS1_25lookback_scan_determinismE0ELb0ELb0ES3_PKfPffZZZN2at6native31launch_logcumsumexp_cuda_kernelERKNSB_10TensorBaseESF_lENKUlvE_clEvENKUlvE0_clEvEUlffE_fEEDaPvRmT3_T4_T5_mT6_P12ihipStream_tbENKUlT_T0_E_clISt17integral_constantIbLb1EESV_IbLb0EEEEDaSR_SS_EUlSR_E_NS1_11comp_targetILNS1_3genE10ELNS1_11target_archE1201ELNS1_3gpuE5ELNS1_3repE0EEENS1_30default_config_static_selectorELNS0_4arch9wavefront6targetE1EEEvT1_,"axG",@progbits,_ZN7rocprim17ROCPRIM_400000_NS6detail17trampoline_kernelINS0_14default_configENS1_20scan_config_selectorIfEEZZNS1_9scan_implILNS1_25lookback_scan_determinismE0ELb0ELb0ES3_PKfPffZZZN2at6native31launch_logcumsumexp_cuda_kernelERKNSB_10TensorBaseESF_lENKUlvE_clEvENKUlvE0_clEvEUlffE_fEEDaPvRmT3_T4_T5_mT6_P12ihipStream_tbENKUlT_T0_E_clISt17integral_constantIbLb1EESV_IbLb0EEEEDaSR_SS_EUlSR_E_NS1_11comp_targetILNS1_3genE10ELNS1_11target_archE1201ELNS1_3gpuE5ELNS1_3repE0EEENS1_30default_config_static_selectorELNS0_4arch9wavefront6targetE1EEEvT1_,comdat
	.globl	_ZN7rocprim17ROCPRIM_400000_NS6detail17trampoline_kernelINS0_14default_configENS1_20scan_config_selectorIfEEZZNS1_9scan_implILNS1_25lookback_scan_determinismE0ELb0ELb0ES3_PKfPffZZZN2at6native31launch_logcumsumexp_cuda_kernelERKNSB_10TensorBaseESF_lENKUlvE_clEvENKUlvE0_clEvEUlffE_fEEDaPvRmT3_T4_T5_mT6_P12ihipStream_tbENKUlT_T0_E_clISt17integral_constantIbLb1EESV_IbLb0EEEEDaSR_SS_EUlSR_E_NS1_11comp_targetILNS1_3genE10ELNS1_11target_archE1201ELNS1_3gpuE5ELNS1_3repE0EEENS1_30default_config_static_selectorELNS0_4arch9wavefront6targetE1EEEvT1_ ; -- Begin function _ZN7rocprim17ROCPRIM_400000_NS6detail17trampoline_kernelINS0_14default_configENS1_20scan_config_selectorIfEEZZNS1_9scan_implILNS1_25lookback_scan_determinismE0ELb0ELb0ES3_PKfPffZZZN2at6native31launch_logcumsumexp_cuda_kernelERKNSB_10TensorBaseESF_lENKUlvE_clEvENKUlvE0_clEvEUlffE_fEEDaPvRmT3_T4_T5_mT6_P12ihipStream_tbENKUlT_T0_E_clISt17integral_constantIbLb1EESV_IbLb0EEEEDaSR_SS_EUlSR_E_NS1_11comp_targetILNS1_3genE10ELNS1_11target_archE1201ELNS1_3gpuE5ELNS1_3repE0EEENS1_30default_config_static_selectorELNS0_4arch9wavefront6targetE1EEEvT1_
	.p2align	8
	.type	_ZN7rocprim17ROCPRIM_400000_NS6detail17trampoline_kernelINS0_14default_configENS1_20scan_config_selectorIfEEZZNS1_9scan_implILNS1_25lookback_scan_determinismE0ELb0ELb0ES3_PKfPffZZZN2at6native31launch_logcumsumexp_cuda_kernelERKNSB_10TensorBaseESF_lENKUlvE_clEvENKUlvE0_clEvEUlffE_fEEDaPvRmT3_T4_T5_mT6_P12ihipStream_tbENKUlT_T0_E_clISt17integral_constantIbLb1EESV_IbLb0EEEEDaSR_SS_EUlSR_E_NS1_11comp_targetILNS1_3genE10ELNS1_11target_archE1201ELNS1_3gpuE5ELNS1_3repE0EEENS1_30default_config_static_selectorELNS0_4arch9wavefront6targetE1EEEvT1_,@function
_ZN7rocprim17ROCPRIM_400000_NS6detail17trampoline_kernelINS0_14default_configENS1_20scan_config_selectorIfEEZZNS1_9scan_implILNS1_25lookback_scan_determinismE0ELb0ELb0ES3_PKfPffZZZN2at6native31launch_logcumsumexp_cuda_kernelERKNSB_10TensorBaseESF_lENKUlvE_clEvENKUlvE0_clEvEUlffE_fEEDaPvRmT3_T4_T5_mT6_P12ihipStream_tbENKUlT_T0_E_clISt17integral_constantIbLb1EESV_IbLb0EEEEDaSR_SS_EUlSR_E_NS1_11comp_targetILNS1_3genE10ELNS1_11target_archE1201ELNS1_3gpuE5ELNS1_3repE0EEENS1_30default_config_static_selectorELNS0_4arch9wavefront6targetE1EEEvT1_: ; @_ZN7rocprim17ROCPRIM_400000_NS6detail17trampoline_kernelINS0_14default_configENS1_20scan_config_selectorIfEEZZNS1_9scan_implILNS1_25lookback_scan_determinismE0ELb0ELb0ES3_PKfPffZZZN2at6native31launch_logcumsumexp_cuda_kernelERKNSB_10TensorBaseESF_lENKUlvE_clEvENKUlvE0_clEvEUlffE_fEEDaPvRmT3_T4_T5_mT6_P12ihipStream_tbENKUlT_T0_E_clISt17integral_constantIbLb1EESV_IbLb0EEEEDaSR_SS_EUlSR_E_NS1_11comp_targetILNS1_3genE10ELNS1_11target_archE1201ELNS1_3gpuE5ELNS1_3repE0EEENS1_30default_config_static_selectorELNS0_4arch9wavefront6targetE1EEEvT1_
; %bb.0:
	.section	.rodata,"a",@progbits
	.p2align	6, 0x0
	.amdhsa_kernel _ZN7rocprim17ROCPRIM_400000_NS6detail17trampoline_kernelINS0_14default_configENS1_20scan_config_selectorIfEEZZNS1_9scan_implILNS1_25lookback_scan_determinismE0ELb0ELb0ES3_PKfPffZZZN2at6native31launch_logcumsumexp_cuda_kernelERKNSB_10TensorBaseESF_lENKUlvE_clEvENKUlvE0_clEvEUlffE_fEEDaPvRmT3_T4_T5_mT6_P12ihipStream_tbENKUlT_T0_E_clISt17integral_constantIbLb1EESV_IbLb0EEEEDaSR_SS_EUlSR_E_NS1_11comp_targetILNS1_3genE10ELNS1_11target_archE1201ELNS1_3gpuE5ELNS1_3repE0EEENS1_30default_config_static_selectorELNS0_4arch9wavefront6targetE1EEEvT1_
		.amdhsa_group_segment_fixed_size 0
		.amdhsa_private_segment_fixed_size 0
		.amdhsa_kernarg_size 96
		.amdhsa_user_sgpr_count 2
		.amdhsa_user_sgpr_dispatch_ptr 0
		.amdhsa_user_sgpr_queue_ptr 0
		.amdhsa_user_sgpr_kernarg_segment_ptr 1
		.amdhsa_user_sgpr_dispatch_id 0
		.amdhsa_user_sgpr_kernarg_preload_length 0
		.amdhsa_user_sgpr_kernarg_preload_offset 0
		.amdhsa_user_sgpr_private_segment_size 0
		.amdhsa_uses_dynamic_stack 0
		.amdhsa_enable_private_segment 0
		.amdhsa_system_sgpr_workgroup_id_x 1
		.amdhsa_system_sgpr_workgroup_id_y 0
		.amdhsa_system_sgpr_workgroup_id_z 0
		.amdhsa_system_sgpr_workgroup_info 0
		.amdhsa_system_vgpr_workitem_id 0
		.amdhsa_next_free_vgpr 1
		.amdhsa_next_free_sgpr 0
		.amdhsa_accum_offset 4
		.amdhsa_reserve_vcc 0
		.amdhsa_float_round_mode_32 0
		.amdhsa_float_round_mode_16_64 0
		.amdhsa_float_denorm_mode_32 3
		.amdhsa_float_denorm_mode_16_64 3
		.amdhsa_dx10_clamp 1
		.amdhsa_ieee_mode 1
		.amdhsa_fp16_overflow 0
		.amdhsa_tg_split 0
		.amdhsa_exception_fp_ieee_invalid_op 0
		.amdhsa_exception_fp_denorm_src 0
		.amdhsa_exception_fp_ieee_div_zero 0
		.amdhsa_exception_fp_ieee_overflow 0
		.amdhsa_exception_fp_ieee_underflow 0
		.amdhsa_exception_fp_ieee_inexact 0
		.amdhsa_exception_int_div_zero 0
	.end_amdhsa_kernel
	.section	.text._ZN7rocprim17ROCPRIM_400000_NS6detail17trampoline_kernelINS0_14default_configENS1_20scan_config_selectorIfEEZZNS1_9scan_implILNS1_25lookback_scan_determinismE0ELb0ELb0ES3_PKfPffZZZN2at6native31launch_logcumsumexp_cuda_kernelERKNSB_10TensorBaseESF_lENKUlvE_clEvENKUlvE0_clEvEUlffE_fEEDaPvRmT3_T4_T5_mT6_P12ihipStream_tbENKUlT_T0_E_clISt17integral_constantIbLb1EESV_IbLb0EEEEDaSR_SS_EUlSR_E_NS1_11comp_targetILNS1_3genE10ELNS1_11target_archE1201ELNS1_3gpuE5ELNS1_3repE0EEENS1_30default_config_static_selectorELNS0_4arch9wavefront6targetE1EEEvT1_,"axG",@progbits,_ZN7rocprim17ROCPRIM_400000_NS6detail17trampoline_kernelINS0_14default_configENS1_20scan_config_selectorIfEEZZNS1_9scan_implILNS1_25lookback_scan_determinismE0ELb0ELb0ES3_PKfPffZZZN2at6native31launch_logcumsumexp_cuda_kernelERKNSB_10TensorBaseESF_lENKUlvE_clEvENKUlvE0_clEvEUlffE_fEEDaPvRmT3_T4_T5_mT6_P12ihipStream_tbENKUlT_T0_E_clISt17integral_constantIbLb1EESV_IbLb0EEEEDaSR_SS_EUlSR_E_NS1_11comp_targetILNS1_3genE10ELNS1_11target_archE1201ELNS1_3gpuE5ELNS1_3repE0EEENS1_30default_config_static_selectorELNS0_4arch9wavefront6targetE1EEEvT1_,comdat
.Lfunc_end146:
	.size	_ZN7rocprim17ROCPRIM_400000_NS6detail17trampoline_kernelINS0_14default_configENS1_20scan_config_selectorIfEEZZNS1_9scan_implILNS1_25lookback_scan_determinismE0ELb0ELb0ES3_PKfPffZZZN2at6native31launch_logcumsumexp_cuda_kernelERKNSB_10TensorBaseESF_lENKUlvE_clEvENKUlvE0_clEvEUlffE_fEEDaPvRmT3_T4_T5_mT6_P12ihipStream_tbENKUlT_T0_E_clISt17integral_constantIbLb1EESV_IbLb0EEEEDaSR_SS_EUlSR_E_NS1_11comp_targetILNS1_3genE10ELNS1_11target_archE1201ELNS1_3gpuE5ELNS1_3repE0EEENS1_30default_config_static_selectorELNS0_4arch9wavefront6targetE1EEEvT1_, .Lfunc_end146-_ZN7rocprim17ROCPRIM_400000_NS6detail17trampoline_kernelINS0_14default_configENS1_20scan_config_selectorIfEEZZNS1_9scan_implILNS1_25lookback_scan_determinismE0ELb0ELb0ES3_PKfPffZZZN2at6native31launch_logcumsumexp_cuda_kernelERKNSB_10TensorBaseESF_lENKUlvE_clEvENKUlvE0_clEvEUlffE_fEEDaPvRmT3_T4_T5_mT6_P12ihipStream_tbENKUlT_T0_E_clISt17integral_constantIbLb1EESV_IbLb0EEEEDaSR_SS_EUlSR_E_NS1_11comp_targetILNS1_3genE10ELNS1_11target_archE1201ELNS1_3gpuE5ELNS1_3repE0EEENS1_30default_config_static_selectorELNS0_4arch9wavefront6targetE1EEEvT1_
                                        ; -- End function
	.section	.AMDGPU.csdata,"",@progbits
; Kernel info:
; codeLenInByte = 0
; NumSgprs: 6
; NumVgprs: 0
; NumAgprs: 0
; TotalNumVgprs: 0
; ScratchSize: 0
; MemoryBound: 0
; FloatMode: 240
; IeeeMode: 1
; LDSByteSize: 0 bytes/workgroup (compile time only)
; SGPRBlocks: 0
; VGPRBlocks: 0
; NumSGPRsForWavesPerEU: 6
; NumVGPRsForWavesPerEU: 1
; AccumOffset: 4
; Occupancy: 8
; WaveLimiterHint : 0
; COMPUTE_PGM_RSRC2:SCRATCH_EN: 0
; COMPUTE_PGM_RSRC2:USER_SGPR: 2
; COMPUTE_PGM_RSRC2:TRAP_HANDLER: 0
; COMPUTE_PGM_RSRC2:TGID_X_EN: 1
; COMPUTE_PGM_RSRC2:TGID_Y_EN: 0
; COMPUTE_PGM_RSRC2:TGID_Z_EN: 0
; COMPUTE_PGM_RSRC2:TIDIG_COMP_CNT: 0
; COMPUTE_PGM_RSRC3_GFX90A:ACCUM_OFFSET: 0
; COMPUTE_PGM_RSRC3_GFX90A:TG_SPLIT: 0
	.section	.text._ZN7rocprim17ROCPRIM_400000_NS6detail17trampoline_kernelINS0_14default_configENS1_20scan_config_selectorIfEEZZNS1_9scan_implILNS1_25lookback_scan_determinismE0ELb0ELb0ES3_PKfPffZZZN2at6native31launch_logcumsumexp_cuda_kernelERKNSB_10TensorBaseESF_lENKUlvE_clEvENKUlvE0_clEvEUlffE_fEEDaPvRmT3_T4_T5_mT6_P12ihipStream_tbENKUlT_T0_E_clISt17integral_constantIbLb1EESV_IbLb0EEEEDaSR_SS_EUlSR_E_NS1_11comp_targetILNS1_3genE10ELNS1_11target_archE1200ELNS1_3gpuE4ELNS1_3repE0EEENS1_30default_config_static_selectorELNS0_4arch9wavefront6targetE1EEEvT1_,"axG",@progbits,_ZN7rocprim17ROCPRIM_400000_NS6detail17trampoline_kernelINS0_14default_configENS1_20scan_config_selectorIfEEZZNS1_9scan_implILNS1_25lookback_scan_determinismE0ELb0ELb0ES3_PKfPffZZZN2at6native31launch_logcumsumexp_cuda_kernelERKNSB_10TensorBaseESF_lENKUlvE_clEvENKUlvE0_clEvEUlffE_fEEDaPvRmT3_T4_T5_mT6_P12ihipStream_tbENKUlT_T0_E_clISt17integral_constantIbLb1EESV_IbLb0EEEEDaSR_SS_EUlSR_E_NS1_11comp_targetILNS1_3genE10ELNS1_11target_archE1200ELNS1_3gpuE4ELNS1_3repE0EEENS1_30default_config_static_selectorELNS0_4arch9wavefront6targetE1EEEvT1_,comdat
	.globl	_ZN7rocprim17ROCPRIM_400000_NS6detail17trampoline_kernelINS0_14default_configENS1_20scan_config_selectorIfEEZZNS1_9scan_implILNS1_25lookback_scan_determinismE0ELb0ELb0ES3_PKfPffZZZN2at6native31launch_logcumsumexp_cuda_kernelERKNSB_10TensorBaseESF_lENKUlvE_clEvENKUlvE0_clEvEUlffE_fEEDaPvRmT3_T4_T5_mT6_P12ihipStream_tbENKUlT_T0_E_clISt17integral_constantIbLb1EESV_IbLb0EEEEDaSR_SS_EUlSR_E_NS1_11comp_targetILNS1_3genE10ELNS1_11target_archE1200ELNS1_3gpuE4ELNS1_3repE0EEENS1_30default_config_static_selectorELNS0_4arch9wavefront6targetE1EEEvT1_ ; -- Begin function _ZN7rocprim17ROCPRIM_400000_NS6detail17trampoline_kernelINS0_14default_configENS1_20scan_config_selectorIfEEZZNS1_9scan_implILNS1_25lookback_scan_determinismE0ELb0ELb0ES3_PKfPffZZZN2at6native31launch_logcumsumexp_cuda_kernelERKNSB_10TensorBaseESF_lENKUlvE_clEvENKUlvE0_clEvEUlffE_fEEDaPvRmT3_T4_T5_mT6_P12ihipStream_tbENKUlT_T0_E_clISt17integral_constantIbLb1EESV_IbLb0EEEEDaSR_SS_EUlSR_E_NS1_11comp_targetILNS1_3genE10ELNS1_11target_archE1200ELNS1_3gpuE4ELNS1_3repE0EEENS1_30default_config_static_selectorELNS0_4arch9wavefront6targetE1EEEvT1_
	.p2align	8
	.type	_ZN7rocprim17ROCPRIM_400000_NS6detail17trampoline_kernelINS0_14default_configENS1_20scan_config_selectorIfEEZZNS1_9scan_implILNS1_25lookback_scan_determinismE0ELb0ELb0ES3_PKfPffZZZN2at6native31launch_logcumsumexp_cuda_kernelERKNSB_10TensorBaseESF_lENKUlvE_clEvENKUlvE0_clEvEUlffE_fEEDaPvRmT3_T4_T5_mT6_P12ihipStream_tbENKUlT_T0_E_clISt17integral_constantIbLb1EESV_IbLb0EEEEDaSR_SS_EUlSR_E_NS1_11comp_targetILNS1_3genE10ELNS1_11target_archE1200ELNS1_3gpuE4ELNS1_3repE0EEENS1_30default_config_static_selectorELNS0_4arch9wavefront6targetE1EEEvT1_,@function
_ZN7rocprim17ROCPRIM_400000_NS6detail17trampoline_kernelINS0_14default_configENS1_20scan_config_selectorIfEEZZNS1_9scan_implILNS1_25lookback_scan_determinismE0ELb0ELb0ES3_PKfPffZZZN2at6native31launch_logcumsumexp_cuda_kernelERKNSB_10TensorBaseESF_lENKUlvE_clEvENKUlvE0_clEvEUlffE_fEEDaPvRmT3_T4_T5_mT6_P12ihipStream_tbENKUlT_T0_E_clISt17integral_constantIbLb1EESV_IbLb0EEEEDaSR_SS_EUlSR_E_NS1_11comp_targetILNS1_3genE10ELNS1_11target_archE1200ELNS1_3gpuE4ELNS1_3repE0EEENS1_30default_config_static_selectorELNS0_4arch9wavefront6targetE1EEEvT1_: ; @_ZN7rocprim17ROCPRIM_400000_NS6detail17trampoline_kernelINS0_14default_configENS1_20scan_config_selectorIfEEZZNS1_9scan_implILNS1_25lookback_scan_determinismE0ELb0ELb0ES3_PKfPffZZZN2at6native31launch_logcumsumexp_cuda_kernelERKNSB_10TensorBaseESF_lENKUlvE_clEvENKUlvE0_clEvEUlffE_fEEDaPvRmT3_T4_T5_mT6_P12ihipStream_tbENKUlT_T0_E_clISt17integral_constantIbLb1EESV_IbLb0EEEEDaSR_SS_EUlSR_E_NS1_11comp_targetILNS1_3genE10ELNS1_11target_archE1200ELNS1_3gpuE4ELNS1_3repE0EEENS1_30default_config_static_selectorELNS0_4arch9wavefront6targetE1EEEvT1_
; %bb.0:
	.section	.rodata,"a",@progbits
	.p2align	6, 0x0
	.amdhsa_kernel _ZN7rocprim17ROCPRIM_400000_NS6detail17trampoline_kernelINS0_14default_configENS1_20scan_config_selectorIfEEZZNS1_9scan_implILNS1_25lookback_scan_determinismE0ELb0ELb0ES3_PKfPffZZZN2at6native31launch_logcumsumexp_cuda_kernelERKNSB_10TensorBaseESF_lENKUlvE_clEvENKUlvE0_clEvEUlffE_fEEDaPvRmT3_T4_T5_mT6_P12ihipStream_tbENKUlT_T0_E_clISt17integral_constantIbLb1EESV_IbLb0EEEEDaSR_SS_EUlSR_E_NS1_11comp_targetILNS1_3genE10ELNS1_11target_archE1200ELNS1_3gpuE4ELNS1_3repE0EEENS1_30default_config_static_selectorELNS0_4arch9wavefront6targetE1EEEvT1_
		.amdhsa_group_segment_fixed_size 0
		.amdhsa_private_segment_fixed_size 0
		.amdhsa_kernarg_size 96
		.amdhsa_user_sgpr_count 2
		.amdhsa_user_sgpr_dispatch_ptr 0
		.amdhsa_user_sgpr_queue_ptr 0
		.amdhsa_user_sgpr_kernarg_segment_ptr 1
		.amdhsa_user_sgpr_dispatch_id 0
		.amdhsa_user_sgpr_kernarg_preload_length 0
		.amdhsa_user_sgpr_kernarg_preload_offset 0
		.amdhsa_user_sgpr_private_segment_size 0
		.amdhsa_uses_dynamic_stack 0
		.amdhsa_enable_private_segment 0
		.amdhsa_system_sgpr_workgroup_id_x 1
		.amdhsa_system_sgpr_workgroup_id_y 0
		.amdhsa_system_sgpr_workgroup_id_z 0
		.amdhsa_system_sgpr_workgroup_info 0
		.amdhsa_system_vgpr_workitem_id 0
		.amdhsa_next_free_vgpr 1
		.amdhsa_next_free_sgpr 0
		.amdhsa_accum_offset 4
		.amdhsa_reserve_vcc 0
		.amdhsa_float_round_mode_32 0
		.amdhsa_float_round_mode_16_64 0
		.amdhsa_float_denorm_mode_32 3
		.amdhsa_float_denorm_mode_16_64 3
		.amdhsa_dx10_clamp 1
		.amdhsa_ieee_mode 1
		.amdhsa_fp16_overflow 0
		.amdhsa_tg_split 0
		.amdhsa_exception_fp_ieee_invalid_op 0
		.amdhsa_exception_fp_denorm_src 0
		.amdhsa_exception_fp_ieee_div_zero 0
		.amdhsa_exception_fp_ieee_overflow 0
		.amdhsa_exception_fp_ieee_underflow 0
		.amdhsa_exception_fp_ieee_inexact 0
		.amdhsa_exception_int_div_zero 0
	.end_amdhsa_kernel
	.section	.text._ZN7rocprim17ROCPRIM_400000_NS6detail17trampoline_kernelINS0_14default_configENS1_20scan_config_selectorIfEEZZNS1_9scan_implILNS1_25lookback_scan_determinismE0ELb0ELb0ES3_PKfPffZZZN2at6native31launch_logcumsumexp_cuda_kernelERKNSB_10TensorBaseESF_lENKUlvE_clEvENKUlvE0_clEvEUlffE_fEEDaPvRmT3_T4_T5_mT6_P12ihipStream_tbENKUlT_T0_E_clISt17integral_constantIbLb1EESV_IbLb0EEEEDaSR_SS_EUlSR_E_NS1_11comp_targetILNS1_3genE10ELNS1_11target_archE1200ELNS1_3gpuE4ELNS1_3repE0EEENS1_30default_config_static_selectorELNS0_4arch9wavefront6targetE1EEEvT1_,"axG",@progbits,_ZN7rocprim17ROCPRIM_400000_NS6detail17trampoline_kernelINS0_14default_configENS1_20scan_config_selectorIfEEZZNS1_9scan_implILNS1_25lookback_scan_determinismE0ELb0ELb0ES3_PKfPffZZZN2at6native31launch_logcumsumexp_cuda_kernelERKNSB_10TensorBaseESF_lENKUlvE_clEvENKUlvE0_clEvEUlffE_fEEDaPvRmT3_T4_T5_mT6_P12ihipStream_tbENKUlT_T0_E_clISt17integral_constantIbLb1EESV_IbLb0EEEEDaSR_SS_EUlSR_E_NS1_11comp_targetILNS1_3genE10ELNS1_11target_archE1200ELNS1_3gpuE4ELNS1_3repE0EEENS1_30default_config_static_selectorELNS0_4arch9wavefront6targetE1EEEvT1_,comdat
.Lfunc_end147:
	.size	_ZN7rocprim17ROCPRIM_400000_NS6detail17trampoline_kernelINS0_14default_configENS1_20scan_config_selectorIfEEZZNS1_9scan_implILNS1_25lookback_scan_determinismE0ELb0ELb0ES3_PKfPffZZZN2at6native31launch_logcumsumexp_cuda_kernelERKNSB_10TensorBaseESF_lENKUlvE_clEvENKUlvE0_clEvEUlffE_fEEDaPvRmT3_T4_T5_mT6_P12ihipStream_tbENKUlT_T0_E_clISt17integral_constantIbLb1EESV_IbLb0EEEEDaSR_SS_EUlSR_E_NS1_11comp_targetILNS1_3genE10ELNS1_11target_archE1200ELNS1_3gpuE4ELNS1_3repE0EEENS1_30default_config_static_selectorELNS0_4arch9wavefront6targetE1EEEvT1_, .Lfunc_end147-_ZN7rocprim17ROCPRIM_400000_NS6detail17trampoline_kernelINS0_14default_configENS1_20scan_config_selectorIfEEZZNS1_9scan_implILNS1_25lookback_scan_determinismE0ELb0ELb0ES3_PKfPffZZZN2at6native31launch_logcumsumexp_cuda_kernelERKNSB_10TensorBaseESF_lENKUlvE_clEvENKUlvE0_clEvEUlffE_fEEDaPvRmT3_T4_T5_mT6_P12ihipStream_tbENKUlT_T0_E_clISt17integral_constantIbLb1EESV_IbLb0EEEEDaSR_SS_EUlSR_E_NS1_11comp_targetILNS1_3genE10ELNS1_11target_archE1200ELNS1_3gpuE4ELNS1_3repE0EEENS1_30default_config_static_selectorELNS0_4arch9wavefront6targetE1EEEvT1_
                                        ; -- End function
	.section	.AMDGPU.csdata,"",@progbits
; Kernel info:
; codeLenInByte = 0
; NumSgprs: 6
; NumVgprs: 0
; NumAgprs: 0
; TotalNumVgprs: 0
; ScratchSize: 0
; MemoryBound: 0
; FloatMode: 240
; IeeeMode: 1
; LDSByteSize: 0 bytes/workgroup (compile time only)
; SGPRBlocks: 0
; VGPRBlocks: 0
; NumSGPRsForWavesPerEU: 6
; NumVGPRsForWavesPerEU: 1
; AccumOffset: 4
; Occupancy: 8
; WaveLimiterHint : 0
; COMPUTE_PGM_RSRC2:SCRATCH_EN: 0
; COMPUTE_PGM_RSRC2:USER_SGPR: 2
; COMPUTE_PGM_RSRC2:TRAP_HANDLER: 0
; COMPUTE_PGM_RSRC2:TGID_X_EN: 1
; COMPUTE_PGM_RSRC2:TGID_Y_EN: 0
; COMPUTE_PGM_RSRC2:TGID_Z_EN: 0
; COMPUTE_PGM_RSRC2:TIDIG_COMP_CNT: 0
; COMPUTE_PGM_RSRC3_GFX90A:ACCUM_OFFSET: 0
; COMPUTE_PGM_RSRC3_GFX90A:TG_SPLIT: 0
	.section	.text._ZN7rocprim17ROCPRIM_400000_NS6detail17trampoline_kernelINS0_14default_configENS1_20scan_config_selectorIfEEZZNS1_9scan_implILNS1_25lookback_scan_determinismE0ELb0ELb0ES3_PKfPffZZZN2at6native31launch_logcumsumexp_cuda_kernelERKNSB_10TensorBaseESF_lENKUlvE_clEvENKUlvE0_clEvEUlffE_fEEDaPvRmT3_T4_T5_mT6_P12ihipStream_tbENKUlT_T0_E_clISt17integral_constantIbLb1EESV_IbLb0EEEEDaSR_SS_EUlSR_E_NS1_11comp_targetILNS1_3genE9ELNS1_11target_archE1100ELNS1_3gpuE3ELNS1_3repE0EEENS1_30default_config_static_selectorELNS0_4arch9wavefront6targetE1EEEvT1_,"axG",@progbits,_ZN7rocprim17ROCPRIM_400000_NS6detail17trampoline_kernelINS0_14default_configENS1_20scan_config_selectorIfEEZZNS1_9scan_implILNS1_25lookback_scan_determinismE0ELb0ELb0ES3_PKfPffZZZN2at6native31launch_logcumsumexp_cuda_kernelERKNSB_10TensorBaseESF_lENKUlvE_clEvENKUlvE0_clEvEUlffE_fEEDaPvRmT3_T4_T5_mT6_P12ihipStream_tbENKUlT_T0_E_clISt17integral_constantIbLb1EESV_IbLb0EEEEDaSR_SS_EUlSR_E_NS1_11comp_targetILNS1_3genE9ELNS1_11target_archE1100ELNS1_3gpuE3ELNS1_3repE0EEENS1_30default_config_static_selectorELNS0_4arch9wavefront6targetE1EEEvT1_,comdat
	.globl	_ZN7rocprim17ROCPRIM_400000_NS6detail17trampoline_kernelINS0_14default_configENS1_20scan_config_selectorIfEEZZNS1_9scan_implILNS1_25lookback_scan_determinismE0ELb0ELb0ES3_PKfPffZZZN2at6native31launch_logcumsumexp_cuda_kernelERKNSB_10TensorBaseESF_lENKUlvE_clEvENKUlvE0_clEvEUlffE_fEEDaPvRmT3_T4_T5_mT6_P12ihipStream_tbENKUlT_T0_E_clISt17integral_constantIbLb1EESV_IbLb0EEEEDaSR_SS_EUlSR_E_NS1_11comp_targetILNS1_3genE9ELNS1_11target_archE1100ELNS1_3gpuE3ELNS1_3repE0EEENS1_30default_config_static_selectorELNS0_4arch9wavefront6targetE1EEEvT1_ ; -- Begin function _ZN7rocprim17ROCPRIM_400000_NS6detail17trampoline_kernelINS0_14default_configENS1_20scan_config_selectorIfEEZZNS1_9scan_implILNS1_25lookback_scan_determinismE0ELb0ELb0ES3_PKfPffZZZN2at6native31launch_logcumsumexp_cuda_kernelERKNSB_10TensorBaseESF_lENKUlvE_clEvENKUlvE0_clEvEUlffE_fEEDaPvRmT3_T4_T5_mT6_P12ihipStream_tbENKUlT_T0_E_clISt17integral_constantIbLb1EESV_IbLb0EEEEDaSR_SS_EUlSR_E_NS1_11comp_targetILNS1_3genE9ELNS1_11target_archE1100ELNS1_3gpuE3ELNS1_3repE0EEENS1_30default_config_static_selectorELNS0_4arch9wavefront6targetE1EEEvT1_
	.p2align	8
	.type	_ZN7rocprim17ROCPRIM_400000_NS6detail17trampoline_kernelINS0_14default_configENS1_20scan_config_selectorIfEEZZNS1_9scan_implILNS1_25lookback_scan_determinismE0ELb0ELb0ES3_PKfPffZZZN2at6native31launch_logcumsumexp_cuda_kernelERKNSB_10TensorBaseESF_lENKUlvE_clEvENKUlvE0_clEvEUlffE_fEEDaPvRmT3_T4_T5_mT6_P12ihipStream_tbENKUlT_T0_E_clISt17integral_constantIbLb1EESV_IbLb0EEEEDaSR_SS_EUlSR_E_NS1_11comp_targetILNS1_3genE9ELNS1_11target_archE1100ELNS1_3gpuE3ELNS1_3repE0EEENS1_30default_config_static_selectorELNS0_4arch9wavefront6targetE1EEEvT1_,@function
_ZN7rocprim17ROCPRIM_400000_NS6detail17trampoline_kernelINS0_14default_configENS1_20scan_config_selectorIfEEZZNS1_9scan_implILNS1_25lookback_scan_determinismE0ELb0ELb0ES3_PKfPffZZZN2at6native31launch_logcumsumexp_cuda_kernelERKNSB_10TensorBaseESF_lENKUlvE_clEvENKUlvE0_clEvEUlffE_fEEDaPvRmT3_T4_T5_mT6_P12ihipStream_tbENKUlT_T0_E_clISt17integral_constantIbLb1EESV_IbLb0EEEEDaSR_SS_EUlSR_E_NS1_11comp_targetILNS1_3genE9ELNS1_11target_archE1100ELNS1_3gpuE3ELNS1_3repE0EEENS1_30default_config_static_selectorELNS0_4arch9wavefront6targetE1EEEvT1_: ; @_ZN7rocprim17ROCPRIM_400000_NS6detail17trampoline_kernelINS0_14default_configENS1_20scan_config_selectorIfEEZZNS1_9scan_implILNS1_25lookback_scan_determinismE0ELb0ELb0ES3_PKfPffZZZN2at6native31launch_logcumsumexp_cuda_kernelERKNSB_10TensorBaseESF_lENKUlvE_clEvENKUlvE0_clEvEUlffE_fEEDaPvRmT3_T4_T5_mT6_P12ihipStream_tbENKUlT_T0_E_clISt17integral_constantIbLb1EESV_IbLb0EEEEDaSR_SS_EUlSR_E_NS1_11comp_targetILNS1_3genE9ELNS1_11target_archE1100ELNS1_3gpuE3ELNS1_3repE0EEENS1_30default_config_static_selectorELNS0_4arch9wavefront6targetE1EEEvT1_
; %bb.0:
	.section	.rodata,"a",@progbits
	.p2align	6, 0x0
	.amdhsa_kernel _ZN7rocprim17ROCPRIM_400000_NS6detail17trampoline_kernelINS0_14default_configENS1_20scan_config_selectorIfEEZZNS1_9scan_implILNS1_25lookback_scan_determinismE0ELb0ELb0ES3_PKfPffZZZN2at6native31launch_logcumsumexp_cuda_kernelERKNSB_10TensorBaseESF_lENKUlvE_clEvENKUlvE0_clEvEUlffE_fEEDaPvRmT3_T4_T5_mT6_P12ihipStream_tbENKUlT_T0_E_clISt17integral_constantIbLb1EESV_IbLb0EEEEDaSR_SS_EUlSR_E_NS1_11comp_targetILNS1_3genE9ELNS1_11target_archE1100ELNS1_3gpuE3ELNS1_3repE0EEENS1_30default_config_static_selectorELNS0_4arch9wavefront6targetE1EEEvT1_
		.amdhsa_group_segment_fixed_size 0
		.amdhsa_private_segment_fixed_size 0
		.amdhsa_kernarg_size 96
		.amdhsa_user_sgpr_count 2
		.amdhsa_user_sgpr_dispatch_ptr 0
		.amdhsa_user_sgpr_queue_ptr 0
		.amdhsa_user_sgpr_kernarg_segment_ptr 1
		.amdhsa_user_sgpr_dispatch_id 0
		.amdhsa_user_sgpr_kernarg_preload_length 0
		.amdhsa_user_sgpr_kernarg_preload_offset 0
		.amdhsa_user_sgpr_private_segment_size 0
		.amdhsa_uses_dynamic_stack 0
		.amdhsa_enable_private_segment 0
		.amdhsa_system_sgpr_workgroup_id_x 1
		.amdhsa_system_sgpr_workgroup_id_y 0
		.amdhsa_system_sgpr_workgroup_id_z 0
		.amdhsa_system_sgpr_workgroup_info 0
		.amdhsa_system_vgpr_workitem_id 0
		.amdhsa_next_free_vgpr 1
		.amdhsa_next_free_sgpr 0
		.amdhsa_accum_offset 4
		.amdhsa_reserve_vcc 0
		.amdhsa_float_round_mode_32 0
		.amdhsa_float_round_mode_16_64 0
		.amdhsa_float_denorm_mode_32 3
		.amdhsa_float_denorm_mode_16_64 3
		.amdhsa_dx10_clamp 1
		.amdhsa_ieee_mode 1
		.amdhsa_fp16_overflow 0
		.amdhsa_tg_split 0
		.amdhsa_exception_fp_ieee_invalid_op 0
		.amdhsa_exception_fp_denorm_src 0
		.amdhsa_exception_fp_ieee_div_zero 0
		.amdhsa_exception_fp_ieee_overflow 0
		.amdhsa_exception_fp_ieee_underflow 0
		.amdhsa_exception_fp_ieee_inexact 0
		.amdhsa_exception_int_div_zero 0
	.end_amdhsa_kernel
	.section	.text._ZN7rocprim17ROCPRIM_400000_NS6detail17trampoline_kernelINS0_14default_configENS1_20scan_config_selectorIfEEZZNS1_9scan_implILNS1_25lookback_scan_determinismE0ELb0ELb0ES3_PKfPffZZZN2at6native31launch_logcumsumexp_cuda_kernelERKNSB_10TensorBaseESF_lENKUlvE_clEvENKUlvE0_clEvEUlffE_fEEDaPvRmT3_T4_T5_mT6_P12ihipStream_tbENKUlT_T0_E_clISt17integral_constantIbLb1EESV_IbLb0EEEEDaSR_SS_EUlSR_E_NS1_11comp_targetILNS1_3genE9ELNS1_11target_archE1100ELNS1_3gpuE3ELNS1_3repE0EEENS1_30default_config_static_selectorELNS0_4arch9wavefront6targetE1EEEvT1_,"axG",@progbits,_ZN7rocprim17ROCPRIM_400000_NS6detail17trampoline_kernelINS0_14default_configENS1_20scan_config_selectorIfEEZZNS1_9scan_implILNS1_25lookback_scan_determinismE0ELb0ELb0ES3_PKfPffZZZN2at6native31launch_logcumsumexp_cuda_kernelERKNSB_10TensorBaseESF_lENKUlvE_clEvENKUlvE0_clEvEUlffE_fEEDaPvRmT3_T4_T5_mT6_P12ihipStream_tbENKUlT_T0_E_clISt17integral_constantIbLb1EESV_IbLb0EEEEDaSR_SS_EUlSR_E_NS1_11comp_targetILNS1_3genE9ELNS1_11target_archE1100ELNS1_3gpuE3ELNS1_3repE0EEENS1_30default_config_static_selectorELNS0_4arch9wavefront6targetE1EEEvT1_,comdat
.Lfunc_end148:
	.size	_ZN7rocprim17ROCPRIM_400000_NS6detail17trampoline_kernelINS0_14default_configENS1_20scan_config_selectorIfEEZZNS1_9scan_implILNS1_25lookback_scan_determinismE0ELb0ELb0ES3_PKfPffZZZN2at6native31launch_logcumsumexp_cuda_kernelERKNSB_10TensorBaseESF_lENKUlvE_clEvENKUlvE0_clEvEUlffE_fEEDaPvRmT3_T4_T5_mT6_P12ihipStream_tbENKUlT_T0_E_clISt17integral_constantIbLb1EESV_IbLb0EEEEDaSR_SS_EUlSR_E_NS1_11comp_targetILNS1_3genE9ELNS1_11target_archE1100ELNS1_3gpuE3ELNS1_3repE0EEENS1_30default_config_static_selectorELNS0_4arch9wavefront6targetE1EEEvT1_, .Lfunc_end148-_ZN7rocprim17ROCPRIM_400000_NS6detail17trampoline_kernelINS0_14default_configENS1_20scan_config_selectorIfEEZZNS1_9scan_implILNS1_25lookback_scan_determinismE0ELb0ELb0ES3_PKfPffZZZN2at6native31launch_logcumsumexp_cuda_kernelERKNSB_10TensorBaseESF_lENKUlvE_clEvENKUlvE0_clEvEUlffE_fEEDaPvRmT3_T4_T5_mT6_P12ihipStream_tbENKUlT_T0_E_clISt17integral_constantIbLb1EESV_IbLb0EEEEDaSR_SS_EUlSR_E_NS1_11comp_targetILNS1_3genE9ELNS1_11target_archE1100ELNS1_3gpuE3ELNS1_3repE0EEENS1_30default_config_static_selectorELNS0_4arch9wavefront6targetE1EEEvT1_
                                        ; -- End function
	.section	.AMDGPU.csdata,"",@progbits
; Kernel info:
; codeLenInByte = 0
; NumSgprs: 6
; NumVgprs: 0
; NumAgprs: 0
; TotalNumVgprs: 0
; ScratchSize: 0
; MemoryBound: 0
; FloatMode: 240
; IeeeMode: 1
; LDSByteSize: 0 bytes/workgroup (compile time only)
; SGPRBlocks: 0
; VGPRBlocks: 0
; NumSGPRsForWavesPerEU: 6
; NumVGPRsForWavesPerEU: 1
; AccumOffset: 4
; Occupancy: 8
; WaveLimiterHint : 0
; COMPUTE_PGM_RSRC2:SCRATCH_EN: 0
; COMPUTE_PGM_RSRC2:USER_SGPR: 2
; COMPUTE_PGM_RSRC2:TRAP_HANDLER: 0
; COMPUTE_PGM_RSRC2:TGID_X_EN: 1
; COMPUTE_PGM_RSRC2:TGID_Y_EN: 0
; COMPUTE_PGM_RSRC2:TGID_Z_EN: 0
; COMPUTE_PGM_RSRC2:TIDIG_COMP_CNT: 0
; COMPUTE_PGM_RSRC3_GFX90A:ACCUM_OFFSET: 0
; COMPUTE_PGM_RSRC3_GFX90A:TG_SPLIT: 0
	.section	.text._ZN7rocprim17ROCPRIM_400000_NS6detail17trampoline_kernelINS0_14default_configENS1_20scan_config_selectorIfEEZZNS1_9scan_implILNS1_25lookback_scan_determinismE0ELb0ELb0ES3_PKfPffZZZN2at6native31launch_logcumsumexp_cuda_kernelERKNSB_10TensorBaseESF_lENKUlvE_clEvENKUlvE0_clEvEUlffE_fEEDaPvRmT3_T4_T5_mT6_P12ihipStream_tbENKUlT_T0_E_clISt17integral_constantIbLb1EESV_IbLb0EEEEDaSR_SS_EUlSR_E_NS1_11comp_targetILNS1_3genE8ELNS1_11target_archE1030ELNS1_3gpuE2ELNS1_3repE0EEENS1_30default_config_static_selectorELNS0_4arch9wavefront6targetE1EEEvT1_,"axG",@progbits,_ZN7rocprim17ROCPRIM_400000_NS6detail17trampoline_kernelINS0_14default_configENS1_20scan_config_selectorIfEEZZNS1_9scan_implILNS1_25lookback_scan_determinismE0ELb0ELb0ES3_PKfPffZZZN2at6native31launch_logcumsumexp_cuda_kernelERKNSB_10TensorBaseESF_lENKUlvE_clEvENKUlvE0_clEvEUlffE_fEEDaPvRmT3_T4_T5_mT6_P12ihipStream_tbENKUlT_T0_E_clISt17integral_constantIbLb1EESV_IbLb0EEEEDaSR_SS_EUlSR_E_NS1_11comp_targetILNS1_3genE8ELNS1_11target_archE1030ELNS1_3gpuE2ELNS1_3repE0EEENS1_30default_config_static_selectorELNS0_4arch9wavefront6targetE1EEEvT1_,comdat
	.globl	_ZN7rocprim17ROCPRIM_400000_NS6detail17trampoline_kernelINS0_14default_configENS1_20scan_config_selectorIfEEZZNS1_9scan_implILNS1_25lookback_scan_determinismE0ELb0ELb0ES3_PKfPffZZZN2at6native31launch_logcumsumexp_cuda_kernelERKNSB_10TensorBaseESF_lENKUlvE_clEvENKUlvE0_clEvEUlffE_fEEDaPvRmT3_T4_T5_mT6_P12ihipStream_tbENKUlT_T0_E_clISt17integral_constantIbLb1EESV_IbLb0EEEEDaSR_SS_EUlSR_E_NS1_11comp_targetILNS1_3genE8ELNS1_11target_archE1030ELNS1_3gpuE2ELNS1_3repE0EEENS1_30default_config_static_selectorELNS0_4arch9wavefront6targetE1EEEvT1_ ; -- Begin function _ZN7rocprim17ROCPRIM_400000_NS6detail17trampoline_kernelINS0_14default_configENS1_20scan_config_selectorIfEEZZNS1_9scan_implILNS1_25lookback_scan_determinismE0ELb0ELb0ES3_PKfPffZZZN2at6native31launch_logcumsumexp_cuda_kernelERKNSB_10TensorBaseESF_lENKUlvE_clEvENKUlvE0_clEvEUlffE_fEEDaPvRmT3_T4_T5_mT6_P12ihipStream_tbENKUlT_T0_E_clISt17integral_constantIbLb1EESV_IbLb0EEEEDaSR_SS_EUlSR_E_NS1_11comp_targetILNS1_3genE8ELNS1_11target_archE1030ELNS1_3gpuE2ELNS1_3repE0EEENS1_30default_config_static_selectorELNS0_4arch9wavefront6targetE1EEEvT1_
	.p2align	8
	.type	_ZN7rocprim17ROCPRIM_400000_NS6detail17trampoline_kernelINS0_14default_configENS1_20scan_config_selectorIfEEZZNS1_9scan_implILNS1_25lookback_scan_determinismE0ELb0ELb0ES3_PKfPffZZZN2at6native31launch_logcumsumexp_cuda_kernelERKNSB_10TensorBaseESF_lENKUlvE_clEvENKUlvE0_clEvEUlffE_fEEDaPvRmT3_T4_T5_mT6_P12ihipStream_tbENKUlT_T0_E_clISt17integral_constantIbLb1EESV_IbLb0EEEEDaSR_SS_EUlSR_E_NS1_11comp_targetILNS1_3genE8ELNS1_11target_archE1030ELNS1_3gpuE2ELNS1_3repE0EEENS1_30default_config_static_selectorELNS0_4arch9wavefront6targetE1EEEvT1_,@function
_ZN7rocprim17ROCPRIM_400000_NS6detail17trampoline_kernelINS0_14default_configENS1_20scan_config_selectorIfEEZZNS1_9scan_implILNS1_25lookback_scan_determinismE0ELb0ELb0ES3_PKfPffZZZN2at6native31launch_logcumsumexp_cuda_kernelERKNSB_10TensorBaseESF_lENKUlvE_clEvENKUlvE0_clEvEUlffE_fEEDaPvRmT3_T4_T5_mT6_P12ihipStream_tbENKUlT_T0_E_clISt17integral_constantIbLb1EESV_IbLb0EEEEDaSR_SS_EUlSR_E_NS1_11comp_targetILNS1_3genE8ELNS1_11target_archE1030ELNS1_3gpuE2ELNS1_3repE0EEENS1_30default_config_static_selectorELNS0_4arch9wavefront6targetE1EEEvT1_: ; @_ZN7rocprim17ROCPRIM_400000_NS6detail17trampoline_kernelINS0_14default_configENS1_20scan_config_selectorIfEEZZNS1_9scan_implILNS1_25lookback_scan_determinismE0ELb0ELb0ES3_PKfPffZZZN2at6native31launch_logcumsumexp_cuda_kernelERKNSB_10TensorBaseESF_lENKUlvE_clEvENKUlvE0_clEvEUlffE_fEEDaPvRmT3_T4_T5_mT6_P12ihipStream_tbENKUlT_T0_E_clISt17integral_constantIbLb1EESV_IbLb0EEEEDaSR_SS_EUlSR_E_NS1_11comp_targetILNS1_3genE8ELNS1_11target_archE1030ELNS1_3gpuE2ELNS1_3repE0EEENS1_30default_config_static_selectorELNS0_4arch9wavefront6targetE1EEEvT1_
; %bb.0:
	.section	.rodata,"a",@progbits
	.p2align	6, 0x0
	.amdhsa_kernel _ZN7rocprim17ROCPRIM_400000_NS6detail17trampoline_kernelINS0_14default_configENS1_20scan_config_selectorIfEEZZNS1_9scan_implILNS1_25lookback_scan_determinismE0ELb0ELb0ES3_PKfPffZZZN2at6native31launch_logcumsumexp_cuda_kernelERKNSB_10TensorBaseESF_lENKUlvE_clEvENKUlvE0_clEvEUlffE_fEEDaPvRmT3_T4_T5_mT6_P12ihipStream_tbENKUlT_T0_E_clISt17integral_constantIbLb1EESV_IbLb0EEEEDaSR_SS_EUlSR_E_NS1_11comp_targetILNS1_3genE8ELNS1_11target_archE1030ELNS1_3gpuE2ELNS1_3repE0EEENS1_30default_config_static_selectorELNS0_4arch9wavefront6targetE1EEEvT1_
		.amdhsa_group_segment_fixed_size 0
		.amdhsa_private_segment_fixed_size 0
		.amdhsa_kernarg_size 96
		.amdhsa_user_sgpr_count 2
		.amdhsa_user_sgpr_dispatch_ptr 0
		.amdhsa_user_sgpr_queue_ptr 0
		.amdhsa_user_sgpr_kernarg_segment_ptr 1
		.amdhsa_user_sgpr_dispatch_id 0
		.amdhsa_user_sgpr_kernarg_preload_length 0
		.amdhsa_user_sgpr_kernarg_preload_offset 0
		.amdhsa_user_sgpr_private_segment_size 0
		.amdhsa_uses_dynamic_stack 0
		.amdhsa_enable_private_segment 0
		.amdhsa_system_sgpr_workgroup_id_x 1
		.amdhsa_system_sgpr_workgroup_id_y 0
		.amdhsa_system_sgpr_workgroup_id_z 0
		.amdhsa_system_sgpr_workgroup_info 0
		.amdhsa_system_vgpr_workitem_id 0
		.amdhsa_next_free_vgpr 1
		.amdhsa_next_free_sgpr 0
		.amdhsa_accum_offset 4
		.amdhsa_reserve_vcc 0
		.amdhsa_float_round_mode_32 0
		.amdhsa_float_round_mode_16_64 0
		.amdhsa_float_denorm_mode_32 3
		.amdhsa_float_denorm_mode_16_64 3
		.amdhsa_dx10_clamp 1
		.amdhsa_ieee_mode 1
		.amdhsa_fp16_overflow 0
		.amdhsa_tg_split 0
		.amdhsa_exception_fp_ieee_invalid_op 0
		.amdhsa_exception_fp_denorm_src 0
		.amdhsa_exception_fp_ieee_div_zero 0
		.amdhsa_exception_fp_ieee_overflow 0
		.amdhsa_exception_fp_ieee_underflow 0
		.amdhsa_exception_fp_ieee_inexact 0
		.amdhsa_exception_int_div_zero 0
	.end_amdhsa_kernel
	.section	.text._ZN7rocprim17ROCPRIM_400000_NS6detail17trampoline_kernelINS0_14default_configENS1_20scan_config_selectorIfEEZZNS1_9scan_implILNS1_25lookback_scan_determinismE0ELb0ELb0ES3_PKfPffZZZN2at6native31launch_logcumsumexp_cuda_kernelERKNSB_10TensorBaseESF_lENKUlvE_clEvENKUlvE0_clEvEUlffE_fEEDaPvRmT3_T4_T5_mT6_P12ihipStream_tbENKUlT_T0_E_clISt17integral_constantIbLb1EESV_IbLb0EEEEDaSR_SS_EUlSR_E_NS1_11comp_targetILNS1_3genE8ELNS1_11target_archE1030ELNS1_3gpuE2ELNS1_3repE0EEENS1_30default_config_static_selectorELNS0_4arch9wavefront6targetE1EEEvT1_,"axG",@progbits,_ZN7rocprim17ROCPRIM_400000_NS6detail17trampoline_kernelINS0_14default_configENS1_20scan_config_selectorIfEEZZNS1_9scan_implILNS1_25lookback_scan_determinismE0ELb0ELb0ES3_PKfPffZZZN2at6native31launch_logcumsumexp_cuda_kernelERKNSB_10TensorBaseESF_lENKUlvE_clEvENKUlvE0_clEvEUlffE_fEEDaPvRmT3_T4_T5_mT6_P12ihipStream_tbENKUlT_T0_E_clISt17integral_constantIbLb1EESV_IbLb0EEEEDaSR_SS_EUlSR_E_NS1_11comp_targetILNS1_3genE8ELNS1_11target_archE1030ELNS1_3gpuE2ELNS1_3repE0EEENS1_30default_config_static_selectorELNS0_4arch9wavefront6targetE1EEEvT1_,comdat
.Lfunc_end149:
	.size	_ZN7rocprim17ROCPRIM_400000_NS6detail17trampoline_kernelINS0_14default_configENS1_20scan_config_selectorIfEEZZNS1_9scan_implILNS1_25lookback_scan_determinismE0ELb0ELb0ES3_PKfPffZZZN2at6native31launch_logcumsumexp_cuda_kernelERKNSB_10TensorBaseESF_lENKUlvE_clEvENKUlvE0_clEvEUlffE_fEEDaPvRmT3_T4_T5_mT6_P12ihipStream_tbENKUlT_T0_E_clISt17integral_constantIbLb1EESV_IbLb0EEEEDaSR_SS_EUlSR_E_NS1_11comp_targetILNS1_3genE8ELNS1_11target_archE1030ELNS1_3gpuE2ELNS1_3repE0EEENS1_30default_config_static_selectorELNS0_4arch9wavefront6targetE1EEEvT1_, .Lfunc_end149-_ZN7rocprim17ROCPRIM_400000_NS6detail17trampoline_kernelINS0_14default_configENS1_20scan_config_selectorIfEEZZNS1_9scan_implILNS1_25lookback_scan_determinismE0ELb0ELb0ES3_PKfPffZZZN2at6native31launch_logcumsumexp_cuda_kernelERKNSB_10TensorBaseESF_lENKUlvE_clEvENKUlvE0_clEvEUlffE_fEEDaPvRmT3_T4_T5_mT6_P12ihipStream_tbENKUlT_T0_E_clISt17integral_constantIbLb1EESV_IbLb0EEEEDaSR_SS_EUlSR_E_NS1_11comp_targetILNS1_3genE8ELNS1_11target_archE1030ELNS1_3gpuE2ELNS1_3repE0EEENS1_30default_config_static_selectorELNS0_4arch9wavefront6targetE1EEEvT1_
                                        ; -- End function
	.section	.AMDGPU.csdata,"",@progbits
; Kernel info:
; codeLenInByte = 0
; NumSgprs: 6
; NumVgprs: 0
; NumAgprs: 0
; TotalNumVgprs: 0
; ScratchSize: 0
; MemoryBound: 0
; FloatMode: 240
; IeeeMode: 1
; LDSByteSize: 0 bytes/workgroup (compile time only)
; SGPRBlocks: 0
; VGPRBlocks: 0
; NumSGPRsForWavesPerEU: 6
; NumVGPRsForWavesPerEU: 1
; AccumOffset: 4
; Occupancy: 8
; WaveLimiterHint : 0
; COMPUTE_PGM_RSRC2:SCRATCH_EN: 0
; COMPUTE_PGM_RSRC2:USER_SGPR: 2
; COMPUTE_PGM_RSRC2:TRAP_HANDLER: 0
; COMPUTE_PGM_RSRC2:TGID_X_EN: 1
; COMPUTE_PGM_RSRC2:TGID_Y_EN: 0
; COMPUTE_PGM_RSRC2:TGID_Z_EN: 0
; COMPUTE_PGM_RSRC2:TIDIG_COMP_CNT: 0
; COMPUTE_PGM_RSRC3_GFX90A:ACCUM_OFFSET: 0
; COMPUTE_PGM_RSRC3_GFX90A:TG_SPLIT: 0
	.section	.text._ZN7rocprim17ROCPRIM_400000_NS6detail17trampoline_kernelINS0_14default_configENS1_20scan_config_selectorIfEEZZNS1_9scan_implILNS1_25lookback_scan_determinismE0ELb0ELb0ES3_PKfPffZZZN2at6native31launch_logcumsumexp_cuda_kernelERKNSB_10TensorBaseESF_lENKUlvE_clEvENKUlvE0_clEvEUlffE_fEEDaPvRmT3_T4_T5_mT6_P12ihipStream_tbENKUlT_T0_E_clISt17integral_constantIbLb1EESV_IbLb0EEEEDaSR_SS_EUlSR_E0_NS1_11comp_targetILNS1_3genE0ELNS1_11target_archE4294967295ELNS1_3gpuE0ELNS1_3repE0EEENS1_30default_config_static_selectorELNS0_4arch9wavefront6targetE1EEEvT1_,"axG",@progbits,_ZN7rocprim17ROCPRIM_400000_NS6detail17trampoline_kernelINS0_14default_configENS1_20scan_config_selectorIfEEZZNS1_9scan_implILNS1_25lookback_scan_determinismE0ELb0ELb0ES3_PKfPffZZZN2at6native31launch_logcumsumexp_cuda_kernelERKNSB_10TensorBaseESF_lENKUlvE_clEvENKUlvE0_clEvEUlffE_fEEDaPvRmT3_T4_T5_mT6_P12ihipStream_tbENKUlT_T0_E_clISt17integral_constantIbLb1EESV_IbLb0EEEEDaSR_SS_EUlSR_E0_NS1_11comp_targetILNS1_3genE0ELNS1_11target_archE4294967295ELNS1_3gpuE0ELNS1_3repE0EEENS1_30default_config_static_selectorELNS0_4arch9wavefront6targetE1EEEvT1_,comdat
	.globl	_ZN7rocprim17ROCPRIM_400000_NS6detail17trampoline_kernelINS0_14default_configENS1_20scan_config_selectorIfEEZZNS1_9scan_implILNS1_25lookback_scan_determinismE0ELb0ELb0ES3_PKfPffZZZN2at6native31launch_logcumsumexp_cuda_kernelERKNSB_10TensorBaseESF_lENKUlvE_clEvENKUlvE0_clEvEUlffE_fEEDaPvRmT3_T4_T5_mT6_P12ihipStream_tbENKUlT_T0_E_clISt17integral_constantIbLb1EESV_IbLb0EEEEDaSR_SS_EUlSR_E0_NS1_11comp_targetILNS1_3genE0ELNS1_11target_archE4294967295ELNS1_3gpuE0ELNS1_3repE0EEENS1_30default_config_static_selectorELNS0_4arch9wavefront6targetE1EEEvT1_ ; -- Begin function _ZN7rocprim17ROCPRIM_400000_NS6detail17trampoline_kernelINS0_14default_configENS1_20scan_config_selectorIfEEZZNS1_9scan_implILNS1_25lookback_scan_determinismE0ELb0ELb0ES3_PKfPffZZZN2at6native31launch_logcumsumexp_cuda_kernelERKNSB_10TensorBaseESF_lENKUlvE_clEvENKUlvE0_clEvEUlffE_fEEDaPvRmT3_T4_T5_mT6_P12ihipStream_tbENKUlT_T0_E_clISt17integral_constantIbLb1EESV_IbLb0EEEEDaSR_SS_EUlSR_E0_NS1_11comp_targetILNS1_3genE0ELNS1_11target_archE4294967295ELNS1_3gpuE0ELNS1_3repE0EEENS1_30default_config_static_selectorELNS0_4arch9wavefront6targetE1EEEvT1_
	.p2align	8
	.type	_ZN7rocprim17ROCPRIM_400000_NS6detail17trampoline_kernelINS0_14default_configENS1_20scan_config_selectorIfEEZZNS1_9scan_implILNS1_25lookback_scan_determinismE0ELb0ELb0ES3_PKfPffZZZN2at6native31launch_logcumsumexp_cuda_kernelERKNSB_10TensorBaseESF_lENKUlvE_clEvENKUlvE0_clEvEUlffE_fEEDaPvRmT3_T4_T5_mT6_P12ihipStream_tbENKUlT_T0_E_clISt17integral_constantIbLb1EESV_IbLb0EEEEDaSR_SS_EUlSR_E0_NS1_11comp_targetILNS1_3genE0ELNS1_11target_archE4294967295ELNS1_3gpuE0ELNS1_3repE0EEENS1_30default_config_static_selectorELNS0_4arch9wavefront6targetE1EEEvT1_,@function
_ZN7rocprim17ROCPRIM_400000_NS6detail17trampoline_kernelINS0_14default_configENS1_20scan_config_selectorIfEEZZNS1_9scan_implILNS1_25lookback_scan_determinismE0ELb0ELb0ES3_PKfPffZZZN2at6native31launch_logcumsumexp_cuda_kernelERKNSB_10TensorBaseESF_lENKUlvE_clEvENKUlvE0_clEvEUlffE_fEEDaPvRmT3_T4_T5_mT6_P12ihipStream_tbENKUlT_T0_E_clISt17integral_constantIbLb1EESV_IbLb0EEEEDaSR_SS_EUlSR_E0_NS1_11comp_targetILNS1_3genE0ELNS1_11target_archE4294967295ELNS1_3gpuE0ELNS1_3repE0EEENS1_30default_config_static_selectorELNS0_4arch9wavefront6targetE1EEEvT1_: ; @_ZN7rocprim17ROCPRIM_400000_NS6detail17trampoline_kernelINS0_14default_configENS1_20scan_config_selectorIfEEZZNS1_9scan_implILNS1_25lookback_scan_determinismE0ELb0ELb0ES3_PKfPffZZZN2at6native31launch_logcumsumexp_cuda_kernelERKNSB_10TensorBaseESF_lENKUlvE_clEvENKUlvE0_clEvEUlffE_fEEDaPvRmT3_T4_T5_mT6_P12ihipStream_tbENKUlT_T0_E_clISt17integral_constantIbLb1EESV_IbLb0EEEEDaSR_SS_EUlSR_E0_NS1_11comp_targetILNS1_3genE0ELNS1_11target_archE4294967295ELNS1_3gpuE0ELNS1_3repE0EEENS1_30default_config_static_selectorELNS0_4arch9wavefront6targetE1EEEvT1_
; %bb.0:
	.section	.rodata,"a",@progbits
	.p2align	6, 0x0
	.amdhsa_kernel _ZN7rocprim17ROCPRIM_400000_NS6detail17trampoline_kernelINS0_14default_configENS1_20scan_config_selectorIfEEZZNS1_9scan_implILNS1_25lookback_scan_determinismE0ELb0ELb0ES3_PKfPffZZZN2at6native31launch_logcumsumexp_cuda_kernelERKNSB_10TensorBaseESF_lENKUlvE_clEvENKUlvE0_clEvEUlffE_fEEDaPvRmT3_T4_T5_mT6_P12ihipStream_tbENKUlT_T0_E_clISt17integral_constantIbLb1EESV_IbLb0EEEEDaSR_SS_EUlSR_E0_NS1_11comp_targetILNS1_3genE0ELNS1_11target_archE4294967295ELNS1_3gpuE0ELNS1_3repE0EEENS1_30default_config_static_selectorELNS0_4arch9wavefront6targetE1EEEvT1_
		.amdhsa_group_segment_fixed_size 0
		.amdhsa_private_segment_fixed_size 0
		.amdhsa_kernarg_size 32
		.amdhsa_user_sgpr_count 2
		.amdhsa_user_sgpr_dispatch_ptr 0
		.amdhsa_user_sgpr_queue_ptr 0
		.amdhsa_user_sgpr_kernarg_segment_ptr 1
		.amdhsa_user_sgpr_dispatch_id 0
		.amdhsa_user_sgpr_kernarg_preload_length 0
		.amdhsa_user_sgpr_kernarg_preload_offset 0
		.amdhsa_user_sgpr_private_segment_size 0
		.amdhsa_uses_dynamic_stack 0
		.amdhsa_enable_private_segment 0
		.amdhsa_system_sgpr_workgroup_id_x 1
		.amdhsa_system_sgpr_workgroup_id_y 0
		.amdhsa_system_sgpr_workgroup_id_z 0
		.amdhsa_system_sgpr_workgroup_info 0
		.amdhsa_system_vgpr_workitem_id 0
		.amdhsa_next_free_vgpr 1
		.amdhsa_next_free_sgpr 0
		.amdhsa_accum_offset 4
		.amdhsa_reserve_vcc 0
		.amdhsa_float_round_mode_32 0
		.amdhsa_float_round_mode_16_64 0
		.amdhsa_float_denorm_mode_32 3
		.amdhsa_float_denorm_mode_16_64 3
		.amdhsa_dx10_clamp 1
		.amdhsa_ieee_mode 1
		.amdhsa_fp16_overflow 0
		.amdhsa_tg_split 0
		.amdhsa_exception_fp_ieee_invalid_op 0
		.amdhsa_exception_fp_denorm_src 0
		.amdhsa_exception_fp_ieee_div_zero 0
		.amdhsa_exception_fp_ieee_overflow 0
		.amdhsa_exception_fp_ieee_underflow 0
		.amdhsa_exception_fp_ieee_inexact 0
		.amdhsa_exception_int_div_zero 0
	.end_amdhsa_kernel
	.section	.text._ZN7rocprim17ROCPRIM_400000_NS6detail17trampoline_kernelINS0_14default_configENS1_20scan_config_selectorIfEEZZNS1_9scan_implILNS1_25lookback_scan_determinismE0ELb0ELb0ES3_PKfPffZZZN2at6native31launch_logcumsumexp_cuda_kernelERKNSB_10TensorBaseESF_lENKUlvE_clEvENKUlvE0_clEvEUlffE_fEEDaPvRmT3_T4_T5_mT6_P12ihipStream_tbENKUlT_T0_E_clISt17integral_constantIbLb1EESV_IbLb0EEEEDaSR_SS_EUlSR_E0_NS1_11comp_targetILNS1_3genE0ELNS1_11target_archE4294967295ELNS1_3gpuE0ELNS1_3repE0EEENS1_30default_config_static_selectorELNS0_4arch9wavefront6targetE1EEEvT1_,"axG",@progbits,_ZN7rocprim17ROCPRIM_400000_NS6detail17trampoline_kernelINS0_14default_configENS1_20scan_config_selectorIfEEZZNS1_9scan_implILNS1_25lookback_scan_determinismE0ELb0ELb0ES3_PKfPffZZZN2at6native31launch_logcumsumexp_cuda_kernelERKNSB_10TensorBaseESF_lENKUlvE_clEvENKUlvE0_clEvEUlffE_fEEDaPvRmT3_T4_T5_mT6_P12ihipStream_tbENKUlT_T0_E_clISt17integral_constantIbLb1EESV_IbLb0EEEEDaSR_SS_EUlSR_E0_NS1_11comp_targetILNS1_3genE0ELNS1_11target_archE4294967295ELNS1_3gpuE0ELNS1_3repE0EEENS1_30default_config_static_selectorELNS0_4arch9wavefront6targetE1EEEvT1_,comdat
.Lfunc_end150:
	.size	_ZN7rocprim17ROCPRIM_400000_NS6detail17trampoline_kernelINS0_14default_configENS1_20scan_config_selectorIfEEZZNS1_9scan_implILNS1_25lookback_scan_determinismE0ELb0ELb0ES3_PKfPffZZZN2at6native31launch_logcumsumexp_cuda_kernelERKNSB_10TensorBaseESF_lENKUlvE_clEvENKUlvE0_clEvEUlffE_fEEDaPvRmT3_T4_T5_mT6_P12ihipStream_tbENKUlT_T0_E_clISt17integral_constantIbLb1EESV_IbLb0EEEEDaSR_SS_EUlSR_E0_NS1_11comp_targetILNS1_3genE0ELNS1_11target_archE4294967295ELNS1_3gpuE0ELNS1_3repE0EEENS1_30default_config_static_selectorELNS0_4arch9wavefront6targetE1EEEvT1_, .Lfunc_end150-_ZN7rocprim17ROCPRIM_400000_NS6detail17trampoline_kernelINS0_14default_configENS1_20scan_config_selectorIfEEZZNS1_9scan_implILNS1_25lookback_scan_determinismE0ELb0ELb0ES3_PKfPffZZZN2at6native31launch_logcumsumexp_cuda_kernelERKNSB_10TensorBaseESF_lENKUlvE_clEvENKUlvE0_clEvEUlffE_fEEDaPvRmT3_T4_T5_mT6_P12ihipStream_tbENKUlT_T0_E_clISt17integral_constantIbLb1EESV_IbLb0EEEEDaSR_SS_EUlSR_E0_NS1_11comp_targetILNS1_3genE0ELNS1_11target_archE4294967295ELNS1_3gpuE0ELNS1_3repE0EEENS1_30default_config_static_selectorELNS0_4arch9wavefront6targetE1EEEvT1_
                                        ; -- End function
	.section	.AMDGPU.csdata,"",@progbits
; Kernel info:
; codeLenInByte = 0
; NumSgprs: 6
; NumVgprs: 0
; NumAgprs: 0
; TotalNumVgprs: 0
; ScratchSize: 0
; MemoryBound: 0
; FloatMode: 240
; IeeeMode: 1
; LDSByteSize: 0 bytes/workgroup (compile time only)
; SGPRBlocks: 0
; VGPRBlocks: 0
; NumSGPRsForWavesPerEU: 6
; NumVGPRsForWavesPerEU: 1
; AccumOffset: 4
; Occupancy: 8
; WaveLimiterHint : 0
; COMPUTE_PGM_RSRC2:SCRATCH_EN: 0
; COMPUTE_PGM_RSRC2:USER_SGPR: 2
; COMPUTE_PGM_RSRC2:TRAP_HANDLER: 0
; COMPUTE_PGM_RSRC2:TGID_X_EN: 1
; COMPUTE_PGM_RSRC2:TGID_Y_EN: 0
; COMPUTE_PGM_RSRC2:TGID_Z_EN: 0
; COMPUTE_PGM_RSRC2:TIDIG_COMP_CNT: 0
; COMPUTE_PGM_RSRC3_GFX90A:ACCUM_OFFSET: 0
; COMPUTE_PGM_RSRC3_GFX90A:TG_SPLIT: 0
	.section	.text._ZN7rocprim17ROCPRIM_400000_NS6detail17trampoline_kernelINS0_14default_configENS1_20scan_config_selectorIfEEZZNS1_9scan_implILNS1_25lookback_scan_determinismE0ELb0ELb0ES3_PKfPffZZZN2at6native31launch_logcumsumexp_cuda_kernelERKNSB_10TensorBaseESF_lENKUlvE_clEvENKUlvE0_clEvEUlffE_fEEDaPvRmT3_T4_T5_mT6_P12ihipStream_tbENKUlT_T0_E_clISt17integral_constantIbLb1EESV_IbLb0EEEEDaSR_SS_EUlSR_E0_NS1_11comp_targetILNS1_3genE5ELNS1_11target_archE942ELNS1_3gpuE9ELNS1_3repE0EEENS1_30default_config_static_selectorELNS0_4arch9wavefront6targetE1EEEvT1_,"axG",@progbits,_ZN7rocprim17ROCPRIM_400000_NS6detail17trampoline_kernelINS0_14default_configENS1_20scan_config_selectorIfEEZZNS1_9scan_implILNS1_25lookback_scan_determinismE0ELb0ELb0ES3_PKfPffZZZN2at6native31launch_logcumsumexp_cuda_kernelERKNSB_10TensorBaseESF_lENKUlvE_clEvENKUlvE0_clEvEUlffE_fEEDaPvRmT3_T4_T5_mT6_P12ihipStream_tbENKUlT_T0_E_clISt17integral_constantIbLb1EESV_IbLb0EEEEDaSR_SS_EUlSR_E0_NS1_11comp_targetILNS1_3genE5ELNS1_11target_archE942ELNS1_3gpuE9ELNS1_3repE0EEENS1_30default_config_static_selectorELNS0_4arch9wavefront6targetE1EEEvT1_,comdat
	.globl	_ZN7rocprim17ROCPRIM_400000_NS6detail17trampoline_kernelINS0_14default_configENS1_20scan_config_selectorIfEEZZNS1_9scan_implILNS1_25lookback_scan_determinismE0ELb0ELb0ES3_PKfPffZZZN2at6native31launch_logcumsumexp_cuda_kernelERKNSB_10TensorBaseESF_lENKUlvE_clEvENKUlvE0_clEvEUlffE_fEEDaPvRmT3_T4_T5_mT6_P12ihipStream_tbENKUlT_T0_E_clISt17integral_constantIbLb1EESV_IbLb0EEEEDaSR_SS_EUlSR_E0_NS1_11comp_targetILNS1_3genE5ELNS1_11target_archE942ELNS1_3gpuE9ELNS1_3repE0EEENS1_30default_config_static_selectorELNS0_4arch9wavefront6targetE1EEEvT1_ ; -- Begin function _ZN7rocprim17ROCPRIM_400000_NS6detail17trampoline_kernelINS0_14default_configENS1_20scan_config_selectorIfEEZZNS1_9scan_implILNS1_25lookback_scan_determinismE0ELb0ELb0ES3_PKfPffZZZN2at6native31launch_logcumsumexp_cuda_kernelERKNSB_10TensorBaseESF_lENKUlvE_clEvENKUlvE0_clEvEUlffE_fEEDaPvRmT3_T4_T5_mT6_P12ihipStream_tbENKUlT_T0_E_clISt17integral_constantIbLb1EESV_IbLb0EEEEDaSR_SS_EUlSR_E0_NS1_11comp_targetILNS1_3genE5ELNS1_11target_archE942ELNS1_3gpuE9ELNS1_3repE0EEENS1_30default_config_static_selectorELNS0_4arch9wavefront6targetE1EEEvT1_
	.p2align	8
	.type	_ZN7rocprim17ROCPRIM_400000_NS6detail17trampoline_kernelINS0_14default_configENS1_20scan_config_selectorIfEEZZNS1_9scan_implILNS1_25lookback_scan_determinismE0ELb0ELb0ES3_PKfPffZZZN2at6native31launch_logcumsumexp_cuda_kernelERKNSB_10TensorBaseESF_lENKUlvE_clEvENKUlvE0_clEvEUlffE_fEEDaPvRmT3_T4_T5_mT6_P12ihipStream_tbENKUlT_T0_E_clISt17integral_constantIbLb1EESV_IbLb0EEEEDaSR_SS_EUlSR_E0_NS1_11comp_targetILNS1_3genE5ELNS1_11target_archE942ELNS1_3gpuE9ELNS1_3repE0EEENS1_30default_config_static_selectorELNS0_4arch9wavefront6targetE1EEEvT1_,@function
_ZN7rocprim17ROCPRIM_400000_NS6detail17trampoline_kernelINS0_14default_configENS1_20scan_config_selectorIfEEZZNS1_9scan_implILNS1_25lookback_scan_determinismE0ELb0ELb0ES3_PKfPffZZZN2at6native31launch_logcumsumexp_cuda_kernelERKNSB_10TensorBaseESF_lENKUlvE_clEvENKUlvE0_clEvEUlffE_fEEDaPvRmT3_T4_T5_mT6_P12ihipStream_tbENKUlT_T0_E_clISt17integral_constantIbLb1EESV_IbLb0EEEEDaSR_SS_EUlSR_E0_NS1_11comp_targetILNS1_3genE5ELNS1_11target_archE942ELNS1_3gpuE9ELNS1_3repE0EEENS1_30default_config_static_selectorELNS0_4arch9wavefront6targetE1EEEvT1_: ; @_ZN7rocprim17ROCPRIM_400000_NS6detail17trampoline_kernelINS0_14default_configENS1_20scan_config_selectorIfEEZZNS1_9scan_implILNS1_25lookback_scan_determinismE0ELb0ELb0ES3_PKfPffZZZN2at6native31launch_logcumsumexp_cuda_kernelERKNSB_10TensorBaseESF_lENKUlvE_clEvENKUlvE0_clEvEUlffE_fEEDaPvRmT3_T4_T5_mT6_P12ihipStream_tbENKUlT_T0_E_clISt17integral_constantIbLb1EESV_IbLb0EEEEDaSR_SS_EUlSR_E0_NS1_11comp_targetILNS1_3genE5ELNS1_11target_archE942ELNS1_3gpuE9ELNS1_3repE0EEENS1_30default_config_static_selectorELNS0_4arch9wavefront6targetE1EEEvT1_
; %bb.0:
	s_load_dwordx4 s[48:51], s[0:1], 0x0
	v_lshlrev_b32_e32 v26, 2, v0
	s_waitcnt lgkmcnt(0)
	s_load_dword s4, s[48:49], 0x0
	v_cmp_gt_u32_e64 s[6:7], s50, v0
	s_waitcnt lgkmcnt(0)
	v_mov_b32_e32 v1, s4
	s_mov_b64 s[2:3], exec
                                        ; implicit-def: $vgpr77 : SGPR spill to VGPR lane
	v_writelane_b32 v77, s6, 0
	s_nop 1
	v_writelane_b32 v77, s7, 1
	s_and_b64 s[6:7], s[2:3], s[6:7]
	s_mov_b64 exec, s[6:7]
	s_cbranch_execz .LBB151_2
; %bb.1:
	global_load_dword v1, v26, s[48:49]
.LBB151_2:
	s_or_b64 exec, exec, s[2:3]
	v_or_b32_e32 v2, 0x100, v0
	v_cmp_gt_u32_e64 s[6:7], s50, v2
	v_mov_b32_e32 v2, s4
	s_mov_b64 s[2:3], exec
	v_writelane_b32 v77, s6, 2
	s_nop 1
	v_writelane_b32 v77, s7, 3
	s_and_b64 s[6:7], s[2:3], s[6:7]
	s_mov_b64 exec, s[6:7]
	s_cbranch_execz .LBB151_4
; %bb.3:
	global_load_dword v2, v26, s[48:49] offset:1024
.LBB151_4:
	s_or_b64 exec, exec, s[2:3]
	v_or_b32_e32 v3, 0x200, v0
	v_cmp_gt_u32_e64 s[6:7], s50, v3
	v_mov_b32_e32 v3, s4
	s_mov_b64 s[2:3], exec
	v_writelane_b32 v77, s6, 4
	s_nop 1
	v_writelane_b32 v77, s7, 5
	s_and_b64 s[6:7], s[2:3], s[6:7]
	s_mov_b64 exec, s[6:7]
	s_cbranch_execz .LBB151_6
; %bb.5:
	global_load_dword v3, v26, s[48:49] offset:2048
.LBB151_6:
	;; [unrolled: 14-line block ×3, first 2 shown]
	s_or_b64 exec, exec, s[2:3]
	v_or_b32_e32 v6, 0x400, v0
	v_cmp_gt_u32_e64 s[6:7], s50, v6
	v_mov_b32_e32 v5, s4
	s_nop 0
	v_writelane_b32 v77, s6, 8
	s_nop 1
	v_writelane_b32 v77, s7, 9
	s_and_saveexec_b64 s[2:3], s[6:7]
	s_cbranch_execz .LBB151_10
; %bb.9:
	v_lshlrev_b32_e32 v5, 2, v6
	global_load_dword v5, v5, s[48:49]
.LBB151_10:
	s_or_b64 exec, exec, s[2:3]
	v_or_b32_e32 v7, 0x500, v0
	v_cmp_gt_u32_e64 s[8:9], s50, v7
	v_mov_b32_e32 v6, s4
	s_and_saveexec_b64 s[2:3], s[8:9]
	s_cbranch_execz .LBB151_12
; %bb.11:
	v_lshlrev_b32_e32 v6, 2, v7
	global_load_dword v6, v6, s[48:49]
.LBB151_12:
	s_or_b64 exec, exec, s[2:3]
	v_or_b32_e32 v8, 0x600, v0
	v_cmp_gt_u32_e64 s[10:11], s50, v8
	v_mov_b32_e32 v7, s4
	;; [unrolled: 10-line block ×19, first 2 shown]
	s_and_saveexec_b64 s[2:3], s[46:47]
	s_cbranch_execz .LBB151_48
; %bb.47:
	v_lshlrev_b32_e32 v24, 2, v25
	global_load_dword v24, v24, s[48:49]
.LBB151_48:
	s_or_b64 exec, exec, s[2:3]
	s_movk_i32 s2, 0x5c
	s_waitcnt vmcnt(0)
	ds_write2st64_b32 v26, v1, v2 offset1:4
	ds_write2st64_b32 v26, v3, v4 offset0:8 offset1:12
	ds_write2st64_b32 v26, v5, v6 offset0:16 offset1:20
	;; [unrolled: 1-line block ×11, first 2 shown]
	v_mad_u32_u24 v1, v0, s2, v26
	s_waitcnt lgkmcnt(0)
	s_barrier
	ds_read_b128 v[2:5], v1
	ds_read_b128 v[22:25], v1 offset:16
	ds_read_b128 v[18:21], v1 offset:32
	;; [unrolled: 1-line block ×5, first 2 shown]
	s_waitcnt lgkmcnt(5)
	v_max_f32_e32 v34, v3, v3
	v_max_f32_e32 v53, v2, v2
	v_min_f32_e32 v51, v53, v34
	v_cmp_u_f32_e64 s[96:97], v2, v2
	v_cmp_u_f32_e64 s[50:51], v3, v3
	v_max_f32_e32 v52, v53, v34
	v_cndmask_b32_e64 v1, v51, v2, s[96:97]
	v_cndmask_b32_e64 v27, v1, v3, s[50:51]
	;; [unrolled: 1-line block ×4, first 2 shown]
	s_movk_i32 s4, 0x1f8
	v_cmp_neq_f32_e64 s[52:53], v27, v1
	v_cmp_class_f32_e64 s[2:3], v27, s4
	s_or_b64 s[48:49], s[52:53], s[2:3]
	v_mov_b32_e32 v54, v2
	s_waitcnt lgkmcnt(0)
	s_barrier
	s_and_saveexec_b64 s[2:3], s[48:49]
	s_cbranch_execz .LBB151_50
; %bb.49:
	v_sub_f32_e32 v27, v27, v1
	s_mov_b32 s5, 0x3fb8aa3b
	v_mul_f32_e32 v28, 0x3fb8aa3b, v27
	v_fma_f32 v29, v27, s5, -v28
	v_rndne_f32_e32 v30, v28
	v_fmamk_f32 v29, v27, 0x32a5705f, v29
	v_sub_f32_e32 v28, v28, v30
	v_add_f32_e32 v28, v28, v29
	v_exp_f32_e32 v28, v28
	v_cvt_i32_f32_e32 v29, v30
	s_mov_b32 s5, 0xc2ce8ed0
	v_cmp_ngt_f32_e64 s[52:53], s5, v27
	s_mov_b32 s5, 0x42b17218
	v_ldexp_f32 v28, v28, v29
	v_cndmask_b32_e64 v28, 0, v28, s[52:53]
	v_mov_b32_e32 v29, 0x7f800000
	v_cmp_nlt_f32_e64 s[52:53], s5, v27
	s_mov_b32 s5, 0x3f2aaaab
	s_mov_b32 s6, 0x7f800000
	v_cndmask_b32_e64 v35, v29, v28, s[52:53]
	v_add_f32_e32 v27, 1.0, v35
	v_add_f32_e32 v28, -1.0, v27
	v_sub_f32_e32 v29, v28, v27
	v_add_f32_e32 v29, 1.0, v29
	v_sub_f32_e32 v28, v35, v28
	v_add_f32_e32 v30, v28, v29
	v_frexp_mant_f32_e32 v31, v27
	v_cvt_f64_f32_e32 v[28:29], v27
	v_frexp_exp_i32_f64_e32 v28, v[28:29]
	v_cmp_gt_f32_e64 s[52:53], s5, v31
	s_mov_b32 s5, 0x3f317218
	s_nop 0
	v_subbrev_co_u32_e64 v38, s[52:53], 0, v28, s[52:53]
	v_sub_u32_e32 v28, 0, v38
	v_ldexp_f32 v27, v27, v28
	v_ldexp_f32 v28, v30, v28
	v_add_f32_e32 v30, -1.0, v27
	v_add_f32_e32 v29, 1.0, v30
	v_sub_f32_e32 v29, v27, v29
	v_add_f32_e32 v31, v28, v29
	v_add_f32_e32 v29, 1.0, v27
	v_add_f32_e32 v32, -1.0, v29
	v_sub_f32_e32 v27, v27, v32
	v_add_f32_e32 v27, v28, v27
	v_add_f32_e32 v39, v29, v27
	v_rcp_f32_e32 v40, v39
	v_sub_f32_e32 v28, v29, v39
	v_add_f32_e32 v29, v30, v31
	v_add_f32_e32 v27, v27, v28
	v_mul_f32_e32 v42, v29, v40
	v_sub_f32_e32 v28, v30, v29
	v_mul_f32_e32 v30, v39, v42
	v_fma_f32 v32, v42, v39, -v30
	v_fmac_f32_e32 v32, v42, v27
	v_add_f32_e32 v41, v31, v28
	v_add_f32_e32 v28, v30, v32
	v_sub_f32_e32 v31, v29, v28
	v_pk_add_f32 v[36:37], v[28:29], v[30:31] neg_lo:[0,1] neg_hi:[0,1]
	v_mov_b32_e32 v33, v28
	v_pk_add_f32 v[28:29], v[36:37], v[32:33] neg_lo:[0,1] neg_hi:[0,1]
	v_cmp_eq_f32_e64 s[52:53], s6, v35
	v_add_f32_e32 v29, v41, v29
	v_add_f32_e32 v28, v28, v29
	;; [unrolled: 1-line block ×3, first 2 shown]
	v_mul_f32_e32 v41, v40, v29
	v_mul_f32_e32 v30, v39, v41
	v_fma_f32 v32, v41, v39, -v30
	v_fmac_f32_e32 v32, v41, v27
	v_sub_f32_e32 v27, v31, v29
	v_add_f32_e32 v27, v28, v27
	v_add_f32_e32 v28, v30, v32
	v_sub_f32_e32 v31, v29, v28
	v_pk_add_f32 v[36:37], v[28:29], v[30:31] neg_lo:[0,1] neg_hi:[0,1]
	v_mov_b32_e32 v33, v28
	v_pk_add_f32 v[28:29], v[36:37], v[32:33] neg_lo:[0,1] neg_hi:[0,1]
	v_cvt_f32_i32_e32 v30, v38
	v_add_f32_e32 v27, v27, v29
	v_add_f32_e32 v27, v28, v27
	v_add_f32_e32 v28, v42, v41
	v_add_f32_e32 v27, v31, v27
	v_sub_f32_e32 v29, v28, v42
	v_mul_f32_e32 v27, v40, v27
	v_sub_f32_e32 v29, v41, v29
	v_add_f32_e32 v27, v29, v27
	v_add_f32_e32 v31, v28, v27
	v_mul_f32_e32 v32, v31, v31
	v_mov_b32_e32 v29, 0x3ecc95a3
	v_fmac_f32_e32 v29, 0x3e9b6dac, v32
	v_sub_f32_e32 v28, v31, v28
	v_fmaak_f32 v29, v32, v29, 0x3f2aaada
	v_sub_f32_e32 v27, v27, v28
	v_ldexp_f32 v33, v31, 1
	v_mul_f32_e32 v31, v31, v32
	v_mov_b32_e32 v28, 0x3f317218
	v_pk_mul_f32 v[28:29], v[30:31], v[28:29]
	v_ldexp_f32 v27, v27, 1
	v_fma_f32 v31, v30, s5, -v28
	v_fmamk_f32 v32, v30, 0xb102e308, v31
	v_pk_add_f32 v[30:31], v[28:29], v[32:33]
	v_mov_b32_e32 v36, v28
	v_sub_f32_e32 v33, v31, v33
	v_sub_f32_e32 v33, v29, v33
	v_add_f32_e32 v37, v27, v33
	v_pk_add_f32 v[28:29], v[30:31], v[28:29] neg_lo:[0,1] neg_hi:[0,1]
	v_pk_add_f32 v[38:39], v[30:31], v[36:37]
	v_mov_b32_e32 v33, v30
	v_mov_b32_e32 v29, v39
	v_pk_add_f32 v[40:41], v[32:33], v[28:29] neg_lo:[0,1] neg_hi:[0,1]
	v_pk_add_f32 v[28:29], v[32:33], v[28:29]
	v_mov_b32_e32 v36, v37
	v_mov_b32_e32 v32, v29
	v_pk_add_f32 v[42:43], v[32:33], v[30:31] neg_lo:[0,1] neg_hi:[0,1]
	v_mov_b32_e32 v28, v39
	v_mov_b32_e32 v27, v42
	v_pk_add_f32 v[44:45], v[38:39], v[26:27] neg_lo:[0,1] neg_hi:[0,1]
	v_mov_b32_e32 v38, v31
	v_mov_b32_e32 v39, v42
	;; [unrolled: 1-line block ×3, first 2 shown]
	v_pk_add_f32 v[28:29], v[28:29], v[38:39] neg_lo:[0,1] neg_hi:[0,1]
	v_mov_b32_e32 v37, v30
	v_pk_add_f32 v[28:29], v[36:37], v[28:29] neg_lo:[0,1] neg_hi:[0,1]
	v_mov_b32_e32 v44, v40
	v_pk_add_f32 v[30:31], v[44:45], v[28:29]
	s_mov_b32 s5, 0x33800000
	v_mov_b32_e32 v36, v31
	v_pk_add_f32 v[36:37], v[30:31], v[36:37]
	v_cmp_lt_f32_e64 s[48:49], |v35|, s5
	v_pk_add_f32 v[32:33], v[32:33], v[36:37]
	v_mov_b32_e32 v29, v36
	v_mov_b32_e32 v31, v32
	v_pk_add_f32 v[38:39], v[30:31], v[40:41] neg_lo:[0,1] neg_hi:[0,1]
	s_or_b64 s[52:53], s[52:53], s[48:49]
	v_sub_f32_e32 v27, v30, v38
	v_pk_add_f32 v[28:29], v[28:29], v[38:39] neg_lo:[0,1] neg_hi:[0,1]
	v_sub_f32_e32 v27, v40, v27
	v_add_f32_e32 v27, v28, v27
	v_add_f32_e32 v27, v27, v29
	;; [unrolled: 1-line block ×3, first 2 shown]
	v_cndmask_b32_e64 v27, v27, v35, s[52:53]
	v_add_f32_e32 v54, v1, v27
.LBB151_50:
	s_or_b64 exec, exec, s[2:3]
	v_max_f32_e32 v27, v54, v54
	v_max_f32_e32 v1, v4, v4
	v_min_f32_e32 v28, v27, v1
	v_cmp_u_f32_e64 s[54:55], v54, v54
	v_max_f32_e32 v27, v27, v1
	v_cmp_u_f32_e64 s[52:53], v4, v4
	v_cndmask_b32_e64 v28, v28, v54, s[54:55]
	v_cndmask_b32_e64 v27, v27, v54, s[54:55]
	;; [unrolled: 1-line block ×4, first 2 shown]
	v_cmp_neq_f32_e64 s[54:55], v28, v27
	v_cmp_class_f32_e64 s[2:3], v28, s4
	s_or_b64 s[4:5], s[54:55], s[2:3]
	s_and_saveexec_b64 s[2:3], s[4:5]
	s_cbranch_execz .LBB151_52
; %bb.51:
	v_sub_f32_e32 v28, v28, v27
	s_mov_b32 s4, 0x3fb8aa3b
	v_mul_f32_e32 v29, 0x3fb8aa3b, v28
	v_fma_f32 v30, v28, s4, -v29
	v_rndne_f32_e32 v31, v29
	v_fmamk_f32 v30, v28, 0x32a5705f, v30
	v_sub_f32_e32 v29, v29, v31
	v_add_f32_e32 v29, v29, v30
	v_exp_f32_e32 v29, v29
	v_cvt_i32_f32_e32 v30, v31
	s_mov_b32 s4, 0xc2ce8ed0
	v_cmp_ngt_f32_e64 s[54:55], s4, v28
	s_mov_b32 s4, 0x42b17218
	v_ldexp_f32 v29, v29, v30
	v_cndmask_b32_e64 v29, 0, v29, s[54:55]
	v_mov_b32_e32 v30, 0x7f800000
	v_cmp_nlt_f32_e64 s[54:55], s4, v28
	s_mov_b32 s4, 0x3f2aaaab
	s_mov_b32 s5, 0x7f800000
	v_cndmask_b32_e64 v35, v30, v29, s[54:55]
	v_add_f32_e32 v30, 1.0, v35
	v_add_f32_e32 v28, -1.0, v30
	v_sub_f32_e32 v29, v28, v30
	v_add_f32_e32 v29, 1.0, v29
	v_sub_f32_e32 v28, v35, v28
	v_add_f32_e32 v31, v28, v29
	v_frexp_mant_f32_e32 v32, v30
	v_cvt_f64_f32_e32 v[28:29], v30
	v_frexp_exp_i32_f64_e32 v28, v[28:29]
	v_cmp_gt_f32_e64 s[54:55], s4, v32
	s_mov_b32 s4, 0x3f317218
	s_nop 0
	v_subbrev_co_u32_e64 v38, s[54:55], 0, v28, s[54:55]
	v_sub_u32_e32 v28, 0, v38
	v_ldexp_f32 v29, v30, v28
	v_add_f32_e32 v30, -1.0, v29
	v_add_f32_e32 v32, 1.0, v29
	v_ldexp_f32 v28, v31, v28
	v_add_f32_e32 v31, 1.0, v30
	v_add_f32_e32 v33, -1.0, v32
	v_sub_f32_e32 v31, v29, v31
	v_sub_f32_e32 v29, v29, v33
	v_add_f32_e32 v31, v28, v31
	v_add_f32_e32 v28, v28, v29
	;; [unrolled: 1-line block ×3, first 2 shown]
	v_rcp_f32_e32 v41, v39
	v_sub_f32_e32 v29, v32, v39
	v_add_f32_e32 v40, v28, v29
	v_add_f32_e32 v29, v30, v31
	v_mul_f32_e32 v43, v29, v41
	v_sub_f32_e32 v28, v30, v29
	v_mul_f32_e32 v30, v39, v43
	v_fma_f32 v32, v43, v39, -v30
	v_fmac_f32_e32 v32, v43, v40
	v_add_f32_e32 v42, v31, v28
	v_add_f32_e32 v28, v30, v32
	v_sub_f32_e32 v31, v29, v28
	v_pk_add_f32 v[36:37], v[28:29], v[30:31] neg_lo:[0,1] neg_hi:[0,1]
	v_mov_b32_e32 v33, v28
	v_pk_add_f32 v[28:29], v[36:37], v[32:33] neg_lo:[0,1] neg_hi:[0,1]
	v_cmp_eq_f32_e64 s[54:55], s5, v35
	v_add_f32_e32 v29, v42, v29
	v_add_f32_e32 v28, v28, v29
	;; [unrolled: 1-line block ×3, first 2 shown]
	v_mul_f32_e32 v42, v41, v29
	v_mul_f32_e32 v30, v39, v42
	v_fma_f32 v32, v42, v39, -v30
	v_fmac_f32_e32 v32, v42, v40
	v_sub_f32_e32 v31, v31, v29
	v_add_f32_e32 v39, v28, v31
	v_add_f32_e32 v28, v30, v32
	v_sub_f32_e32 v31, v29, v28
	v_pk_add_f32 v[36:37], v[28:29], v[30:31] neg_lo:[0,1] neg_hi:[0,1]
	v_mov_b32_e32 v33, v28
	v_pk_add_f32 v[28:29], v[36:37], v[32:33] neg_lo:[0,1] neg_hi:[0,1]
	v_cvt_f32_i32_e32 v30, v38
	v_add_f32_e32 v29, v39, v29
	v_add_f32_e32 v28, v28, v29
	;; [unrolled: 1-line block ×4, first 2 shown]
	v_sub_f32_e32 v29, v31, v43
	v_mul_f32_e32 v28, v41, v28
	v_sub_f32_e32 v29, v42, v29
	v_add_f32_e32 v28, v29, v28
	v_add_f32_e32 v32, v31, v28
	v_mul_f32_e32 v36, v32, v32
	v_mov_b32_e32 v29, 0x3ecc95a3
	v_sub_f32_e32 v31, v32, v31
	v_fmac_f32_e32 v29, 0x3e9b6dac, v36
	v_sub_f32_e32 v28, v28, v31
	v_fmaak_f32 v29, v36, v29, 0x3f2aaada
	v_ldexp_f32 v37, v28, 1
	v_mul_f32_e32 v31, v32, v36
	v_mov_b32_e32 v28, 0x3f317218
	v_pk_mul_f32 v[28:29], v[30:31], v[28:29]
	v_ldexp_f32 v33, v32, 1
	v_fma_f32 v31, v30, s4, -v28
	v_fmamk_f32 v32, v30, 0xb102e308, v31
	v_pk_add_f32 v[30:31], v[28:29], v[32:33]
	v_mov_b32_e32 v36, v28
	v_sub_f32_e32 v33, v31, v33
	v_sub_f32_e32 v33, v29, v33
	v_add_f32_e32 v37, v37, v33
	v_pk_add_f32 v[28:29], v[30:31], v[28:29] neg_lo:[0,1] neg_hi:[0,1]
	v_pk_add_f32 v[38:39], v[30:31], v[36:37]
	v_mov_b32_e32 v33, v30
	v_mov_b32_e32 v29, v39
	v_pk_add_f32 v[40:41], v[32:33], v[28:29] neg_lo:[0,1] neg_hi:[0,1]
	v_pk_add_f32 v[28:29], v[32:33], v[28:29]
	v_mov_b32_e32 v36, v37
	v_mov_b32_e32 v32, v29
	v_pk_add_f32 v[42:43], v[32:33], v[30:31] neg_lo:[0,1] neg_hi:[0,1]
	v_mov_b32_e32 v28, v39
	v_mov_b32_e32 v33, v42
	v_pk_add_f32 v[44:45], v[38:39], v[32:33] neg_lo:[0,1] neg_hi:[0,1]
	v_mov_b32_e32 v38, v31
	v_mov_b32_e32 v39, v42
	;; [unrolled: 1-line block ×3, first 2 shown]
	v_pk_add_f32 v[28:29], v[28:29], v[38:39] neg_lo:[0,1] neg_hi:[0,1]
	v_mov_b32_e32 v37, v30
	v_pk_add_f32 v[28:29], v[36:37], v[28:29] neg_lo:[0,1] neg_hi:[0,1]
	v_mov_b32_e32 v44, v40
	v_pk_add_f32 v[30:31], v[44:45], v[28:29]
	s_mov_b32 s4, 0x33800000
	v_mov_b32_e32 v36, v31
	v_pk_add_f32 v[36:37], v[30:31], v[36:37]
	v_cmp_lt_f32_e64 s[4:5], |v35|, s4
	v_pk_add_f32 v[32:33], v[32:33], v[36:37]
	v_mov_b32_e32 v29, v36
	v_mov_b32_e32 v31, v32
	v_pk_add_f32 v[38:39], v[30:31], v[40:41] neg_lo:[0,1] neg_hi:[0,1]
	s_or_b64 s[54:55], s[54:55], s[4:5]
	v_sub_f32_e32 v30, v30, v38
	v_pk_add_f32 v[28:29], v[28:29], v[38:39] neg_lo:[0,1] neg_hi:[0,1]
	v_sub_f32_e32 v30, v40, v30
	v_add_f32_e32 v28, v28, v30
	v_add_f32_e32 v28, v28, v29
	;; [unrolled: 1-line block ×3, first 2 shown]
	v_cndmask_b32_e64 v28, v28, v35, s[54:55]
	v_add_f32_e32 v54, v27, v28
.LBB151_52:
	s_or_b64 exec, exec, s[2:3]
	v_max_f32_e32 v28, v54, v54
	v_max_f32_e32 v27, v5, v5
	v_min_f32_e32 v29, v28, v27
	v_cmp_u_f32_e64 s[56:57], v54, v54
	v_max_f32_e32 v28, v28, v27
	v_cmp_u_f32_e64 s[54:55], v5, v5
	v_cndmask_b32_e64 v29, v29, v54, s[56:57]
	v_cndmask_b32_e64 v28, v28, v54, s[56:57]
	;; [unrolled: 1-line block ×4, first 2 shown]
	s_movk_i32 s4, 0x1f8
	v_cmp_neq_f32_e64 s[56:57], v29, v28
	v_cmp_class_f32_e64 s[2:3], v29, s4
	s_or_b64 s[48:49], s[56:57], s[2:3]
	s_and_saveexec_b64 s[2:3], s[48:49]
	s_cbranch_execz .LBB151_54
; %bb.53:
	v_sub_f32_e32 v29, v29, v28
	s_mov_b32 s5, 0x3fb8aa3b
	v_mul_f32_e32 v30, 0x3fb8aa3b, v29
	v_fma_f32 v31, v29, s5, -v30
	v_rndne_f32_e32 v32, v30
	v_fmamk_f32 v31, v29, 0x32a5705f, v31
	v_sub_f32_e32 v30, v30, v32
	v_add_f32_e32 v30, v30, v31
	v_exp_f32_e32 v30, v30
	v_cvt_i32_f32_e32 v31, v32
	s_mov_b32 s5, 0xc2ce8ed0
	v_cmp_ngt_f32_e64 s[56:57], s5, v29
	s_mov_b32 s5, 0x42b17218
	v_ldexp_f32 v30, v30, v31
	v_cndmask_b32_e64 v30, 0, v30, s[56:57]
	v_mov_b32_e32 v31, 0x7f800000
	v_cmp_nlt_f32_e64 s[56:57], s5, v29
	s_mov_b32 s5, 0x3f2aaaab
	s_mov_b32 s6, 0x7f800000
	v_cndmask_b32_e64 v35, v31, v30, s[56:57]
	v_add_f32_e32 v29, 1.0, v35
	v_add_f32_e32 v30, -1.0, v29
	v_sub_f32_e32 v31, v30, v29
	v_add_f32_e32 v31, 1.0, v31
	v_sub_f32_e32 v30, v35, v30
	v_add_f32_e32 v32, v30, v31
	v_frexp_mant_f32_e32 v33, v29
	v_cvt_f64_f32_e32 v[30:31], v29
	v_frexp_exp_i32_f64_e32 v30, v[30:31]
	v_cmp_gt_f32_e64 s[56:57], s5, v33
	s_mov_b32 s5, 0x3f317218
	s_nop 0
	v_subbrev_co_u32_e64 v40, s[56:57], 0, v30, s[56:57]
	v_sub_u32_e32 v30, 0, v40
	v_ldexp_f32 v29, v29, v30
	v_ldexp_f32 v30, v32, v30
	v_add_f32_e32 v32, -1.0, v29
	v_add_f32_e32 v31, 1.0, v32
	v_sub_f32_e32 v31, v29, v31
	v_add_f32_e32 v33, v30, v31
	v_add_f32_e32 v31, 1.0, v29
	v_add_f32_e32 v36, -1.0, v31
	v_sub_f32_e32 v29, v29, v36
	v_add_f32_e32 v29, v30, v29
	v_add_f32_e32 v41, v31, v29
	v_rcp_f32_e32 v42, v41
	v_sub_f32_e32 v30, v31, v41
	v_add_f32_e32 v31, v32, v33
	v_add_f32_e32 v29, v29, v30
	v_mul_f32_e32 v44, v31, v42
	v_sub_f32_e32 v30, v32, v31
	v_mul_f32_e32 v32, v41, v44
	v_fma_f32 v36, v44, v41, -v32
	v_fmac_f32_e32 v36, v44, v29
	v_add_f32_e32 v43, v33, v30
	v_add_f32_e32 v30, v32, v36
	v_sub_f32_e32 v33, v31, v30
	v_pk_add_f32 v[38:39], v[30:31], v[32:33] neg_lo:[0,1] neg_hi:[0,1]
	v_mov_b32_e32 v37, v30
	v_pk_add_f32 v[30:31], v[38:39], v[36:37] neg_lo:[0,1] neg_hi:[0,1]
	v_cmp_eq_f32_e64 s[56:57], s6, v35
	v_add_f32_e32 v31, v43, v31
	v_add_f32_e32 v30, v30, v31
	;; [unrolled: 1-line block ×3, first 2 shown]
	v_mul_f32_e32 v43, v42, v31
	v_mul_f32_e32 v32, v41, v43
	v_fma_f32 v36, v43, v41, -v32
	v_fmac_f32_e32 v36, v43, v29
	v_sub_f32_e32 v29, v33, v31
	v_add_f32_e32 v29, v30, v29
	v_add_f32_e32 v30, v32, v36
	v_sub_f32_e32 v33, v31, v30
	v_pk_add_f32 v[38:39], v[30:31], v[32:33] neg_lo:[0,1] neg_hi:[0,1]
	v_mov_b32_e32 v37, v30
	v_pk_add_f32 v[30:31], v[38:39], v[36:37] neg_lo:[0,1] neg_hi:[0,1]
	v_cvt_f32_i32_e32 v32, v40
	v_add_f32_e32 v29, v29, v31
	v_add_f32_e32 v29, v30, v29
	v_add_f32_e32 v30, v44, v43
	v_add_f32_e32 v29, v33, v29
	v_sub_f32_e32 v31, v30, v44
	v_mul_f32_e32 v29, v42, v29
	v_sub_f32_e32 v31, v43, v31
	v_add_f32_e32 v29, v31, v29
	v_add_f32_e32 v33, v30, v29
	v_mul_f32_e32 v36, v33, v33
	v_mov_b32_e32 v31, 0x3ecc95a3
	v_fmac_f32_e32 v31, 0x3e9b6dac, v36
	v_sub_f32_e32 v30, v33, v30
	v_fmaak_f32 v31, v36, v31, 0x3f2aaada
	v_sub_f32_e32 v29, v29, v30
	v_ldexp_f32 v37, v33, 1
	v_mul_f32_e32 v33, v33, v36
	v_mov_b32_e32 v30, 0x3f317218
	v_pk_mul_f32 v[30:31], v[32:33], v[30:31]
	v_ldexp_f32 v29, v29, 1
	v_fma_f32 v33, v32, s5, -v30
	v_fmamk_f32 v36, v32, 0xb102e308, v33
	v_pk_add_f32 v[32:33], v[30:31], v[36:37]
	v_mov_b32_e32 v38, v30
	v_sub_f32_e32 v37, v33, v37
	v_sub_f32_e32 v37, v31, v37
	v_add_f32_e32 v39, v29, v37
	v_pk_add_f32 v[30:31], v[32:33], v[30:31] neg_lo:[0,1] neg_hi:[0,1]
	v_pk_add_f32 v[40:41], v[32:33], v[38:39]
	v_mov_b32_e32 v37, v32
	v_mov_b32_e32 v31, v41
	v_pk_add_f32 v[42:43], v[36:37], v[30:31] neg_lo:[0,1] neg_hi:[0,1]
	v_pk_add_f32 v[30:31], v[36:37], v[30:31]
	v_mov_b32_e32 v38, v39
	v_mov_b32_e32 v36, v31
	v_pk_add_f32 v[44:45], v[36:37], v[32:33] neg_lo:[0,1] neg_hi:[0,1]
	v_mov_b32_e32 v30, v41
	v_mov_b32_e32 v29, v44
	v_pk_add_f32 v[46:47], v[40:41], v[28:29] neg_lo:[0,1] neg_hi:[0,1]
	v_mov_b32_e32 v40, v33
	v_mov_b32_e32 v41, v44
	;; [unrolled: 1-line block ×3, first 2 shown]
	v_pk_add_f32 v[30:31], v[30:31], v[40:41] neg_lo:[0,1] neg_hi:[0,1]
	v_mov_b32_e32 v39, v32
	v_pk_add_f32 v[30:31], v[38:39], v[30:31] neg_lo:[0,1] neg_hi:[0,1]
	v_mov_b32_e32 v46, v42
	v_pk_add_f32 v[32:33], v[46:47], v[30:31]
	s_mov_b32 s5, 0x33800000
	v_mov_b32_e32 v38, v33
	v_pk_add_f32 v[38:39], v[32:33], v[38:39]
	v_cmp_lt_f32_e64 s[48:49], |v35|, s5
	v_pk_add_f32 v[36:37], v[36:37], v[38:39]
	v_mov_b32_e32 v31, v38
	v_mov_b32_e32 v33, v36
	v_pk_add_f32 v[40:41], v[32:33], v[42:43] neg_lo:[0,1] neg_hi:[0,1]
	s_or_b64 s[56:57], s[56:57], s[48:49]
	v_sub_f32_e32 v29, v32, v40
	v_pk_add_f32 v[30:31], v[30:31], v[40:41] neg_lo:[0,1] neg_hi:[0,1]
	v_sub_f32_e32 v29, v42, v29
	v_add_f32_e32 v29, v30, v29
	v_add_f32_e32 v29, v29, v31
	;; [unrolled: 1-line block ×3, first 2 shown]
	v_cndmask_b32_e64 v29, v29, v35, s[56:57]
	v_add_f32_e32 v54, v28, v29
.LBB151_54:
	s_or_b64 exec, exec, s[2:3]
	v_max_f32_e32 v28, v54, v54
	v_max_f32_e32 v30, v22, v22
	v_min_f32_e32 v29, v28, v30
	v_cmp_u_f32_e64 s[58:59], v54, v54
	v_max_f32_e32 v28, v28, v30
	v_cmp_u_f32_e64 s[56:57], v22, v22
	v_cndmask_b32_e64 v29, v29, v54, s[58:59]
	v_cndmask_b32_e64 v28, v28, v54, s[58:59]
	;; [unrolled: 1-line block ×4, first 2 shown]
	v_cmp_neq_f32_e64 s[58:59], v29, v28
	v_cmp_class_f32_e64 s[2:3], v29, s4
	s_or_b64 s[4:5], s[58:59], s[2:3]
	s_and_saveexec_b64 s[2:3], s[4:5]
	s_cbranch_execz .LBB151_56
; %bb.55:
	v_sub_f32_e32 v29, v29, v28
	s_mov_b32 s4, 0x3fb8aa3b
	v_mul_f32_e32 v31, 0x3fb8aa3b, v29
	v_fma_f32 v32, v29, s4, -v31
	v_rndne_f32_e32 v33, v31
	v_fmamk_f32 v32, v29, 0x32a5705f, v32
	v_sub_f32_e32 v31, v31, v33
	v_add_f32_e32 v31, v31, v32
	v_exp_f32_e32 v31, v31
	v_cvt_i32_f32_e32 v32, v33
	s_mov_b32 s4, 0xc2ce8ed0
	v_cmp_ngt_f32_e64 s[58:59], s4, v29
	s_mov_b32 s4, 0x42b17218
	v_ldexp_f32 v31, v31, v32
	v_cndmask_b32_e64 v31, 0, v31, s[58:59]
	v_mov_b32_e32 v32, 0x7f800000
	v_cmp_nlt_f32_e64 s[58:59], s4, v29
	s_mov_b32 s4, 0x3f2aaaab
	s_mov_b32 s5, 0x7f800000
	v_cndmask_b32_e64 v31, v32, v31, s[58:59]
	v_add_f32_e32 v29, 1.0, v31
	v_add_f32_e32 v32, -1.0, v29
	v_sub_f32_e32 v33, v32, v29
	v_add_f32_e32 v33, 1.0, v33
	v_sub_f32_e32 v32, v31, v32
	v_add_f32_e32 v35, v32, v33
	v_frexp_mant_f32_e32 v36, v29
	v_cvt_f64_f32_e32 v[32:33], v29
	v_frexp_exp_i32_f64_e32 v32, v[32:33]
	v_cmp_gt_f32_e64 s[58:59], s4, v36
	s_mov_b32 s4, 0x3f317218
	s_nop 0
	v_subbrev_co_u32_e64 v42, s[58:59], 0, v32, s[58:59]
	v_sub_u32_e32 v32, 0, v42
	v_ldexp_f32 v29, v29, v32
	v_ldexp_f32 v32, v35, v32
	v_add_f32_e32 v35, -1.0, v29
	v_add_f32_e32 v33, 1.0, v35
	v_sub_f32_e32 v33, v29, v33
	v_add_f32_e32 v36, v32, v33
	v_add_f32_e32 v33, 1.0, v29
	v_add_f32_e32 v37, -1.0, v33
	v_sub_f32_e32 v29, v29, v37
	v_add_f32_e32 v29, v32, v29
	v_add_f32_e32 v43, v33, v29
	v_rcp_f32_e32 v44, v43
	v_sub_f32_e32 v32, v33, v43
	v_add_f32_e32 v33, v35, v36
	v_add_f32_e32 v29, v29, v32
	v_sub_f32_e32 v32, v35, v33
	v_mul_f32_e32 v45, v33, v44
	v_add_f32_e32 v35, v36, v32
	v_mul_f32_e32 v36, v43, v45
	v_fma_f32 v38, v45, v43, -v36
	v_fmac_f32_e32 v38, v45, v29
	v_add_f32_e32 v32, v36, v38
	v_sub_f32_e32 v37, v33, v32
	v_pk_add_f32 v[40:41], v[32:33], v[36:37] neg_lo:[0,1] neg_hi:[0,1]
	v_mov_b32_e32 v39, v32
	v_pk_add_f32 v[32:33], v[40:41], v[38:39] neg_lo:[0,1] neg_hi:[0,1]
	v_cmp_eq_f32_e64 s[58:59], s5, v31
	v_add_f32_e32 v33, v35, v33
	v_add_f32_e32 v32, v32, v33
	;; [unrolled: 1-line block ×3, first 2 shown]
	v_mul_f32_e32 v35, v44, v33
	v_mul_f32_e32 v36, v43, v35
	v_fma_f32 v38, v35, v43, -v36
	v_fmac_f32_e32 v38, v35, v29
	v_sub_f32_e32 v29, v37, v33
	v_add_f32_e32 v29, v32, v29
	v_add_f32_e32 v32, v36, v38
	v_sub_f32_e32 v37, v33, v32
	v_pk_add_f32 v[40:41], v[32:33], v[36:37] neg_lo:[0,1] neg_hi:[0,1]
	v_mov_b32_e32 v39, v32
	v_pk_add_f32 v[32:33], v[40:41], v[38:39] neg_lo:[0,1] neg_hi:[0,1]
	v_cvt_f32_i32_e32 v36, v42
	v_add_f32_e32 v29, v29, v33
	v_add_f32_e32 v29, v32, v29
	;; [unrolled: 1-line block ×4, first 2 shown]
	v_sub_f32_e32 v33, v32, v45
	v_mul_f32_e32 v29, v44, v29
	v_sub_f32_e32 v33, v35, v33
	v_add_f32_e32 v29, v33, v29
	v_add_f32_e32 v35, v32, v29
	v_mul_f32_e32 v37, v35, v35
	v_mov_b32_e32 v33, 0x3ecc95a3
	v_fmac_f32_e32 v33, 0x3e9b6dac, v37
	v_sub_f32_e32 v32, v35, v32
	v_fmaak_f32 v33, v37, v33, 0x3f2aaada
	v_sub_f32_e32 v29, v29, v32
	v_mul_f32_e32 v37, v35, v37
	v_mov_b32_e32 v32, 0x3f317218
	v_pk_mul_f32 v[32:33], v[36:37], v[32:33]
	v_ldexp_f32 v39, v35, 1
	v_fma_f32 v35, v36, s4, -v32
	v_fmamk_f32 v38, v36, 0xb102e308, v35
	v_pk_add_f32 v[36:37], v[32:33], v[38:39]
	v_ldexp_f32 v29, v29, 1
	v_sub_f32_e32 v35, v37, v39
	v_sub_f32_e32 v35, v33, v35
	v_add_f32_e32 v41, v29, v35
	v_mov_b32_e32 v40, v32
	v_pk_add_f32 v[32:33], v[36:37], v[32:33] neg_lo:[0,1] neg_hi:[0,1]
	v_pk_add_f32 v[42:43], v[36:37], v[40:41]
	v_mov_b32_e32 v39, v36
	v_mov_b32_e32 v33, v43
	v_pk_add_f32 v[44:45], v[38:39], v[32:33] neg_lo:[0,1] neg_hi:[0,1]
	v_pk_add_f32 v[32:33], v[38:39], v[32:33]
	v_mov_b32_e32 v40, v41
	v_mov_b32_e32 v38, v33
	v_pk_add_f32 v[46:47], v[38:39], v[36:37] neg_lo:[0,1] neg_hi:[0,1]
	v_mov_b32_e32 v32, v43
	v_mov_b32_e32 v29, v46
	v_pk_add_f32 v[48:49], v[42:43], v[28:29] neg_lo:[0,1] neg_hi:[0,1]
	v_mov_b32_e32 v42, v37
	v_mov_b32_e32 v43, v46
	;; [unrolled: 1-line block ×3, first 2 shown]
	v_pk_add_f32 v[32:33], v[32:33], v[42:43] neg_lo:[0,1] neg_hi:[0,1]
	v_mov_b32_e32 v41, v36
	v_pk_add_f32 v[32:33], v[40:41], v[32:33] neg_lo:[0,1] neg_hi:[0,1]
	v_mov_b32_e32 v48, v44
	v_pk_add_f32 v[36:37], v[48:49], v[32:33]
	s_mov_b32 s4, 0x33800000
	v_mov_b32_e32 v40, v37
	v_pk_add_f32 v[40:41], v[36:37], v[40:41]
	v_cmp_lt_f32_e64 s[4:5], |v31|, s4
	v_pk_add_f32 v[38:39], v[38:39], v[40:41]
	v_mov_b32_e32 v33, v40
	v_mov_b32_e32 v37, v38
	v_pk_add_f32 v[42:43], v[36:37], v[44:45] neg_lo:[0,1] neg_hi:[0,1]
	s_or_b64 s[58:59], s[58:59], s[4:5]
	v_sub_f32_e32 v29, v36, v42
	v_pk_add_f32 v[32:33], v[32:33], v[42:43] neg_lo:[0,1] neg_hi:[0,1]
	v_sub_f32_e32 v29, v44, v29
	v_add_f32_e32 v29, v32, v29
	v_add_f32_e32 v29, v29, v33
	;; [unrolled: 1-line block ×3, first 2 shown]
	v_cndmask_b32_e64 v29, v29, v31, s[58:59]
	v_add_f32_e32 v54, v28, v29
.LBB151_56:
	s_or_b64 exec, exec, s[2:3]
	v_max_f32_e32 v28, v54, v54
	v_max_f32_e32 v31, v23, v23
	v_min_f32_e32 v29, v28, v31
	v_cmp_u_f32_e64 s[60:61], v54, v54
	v_max_f32_e32 v28, v28, v31
	v_cmp_u_f32_e64 s[58:59], v23, v23
	v_cndmask_b32_e64 v29, v29, v54, s[60:61]
	v_cndmask_b32_e64 v28, v28, v54, s[60:61]
	;; [unrolled: 1-line block ×4, first 2 shown]
	s_movk_i32 s4, 0x1f8
	v_cmp_neq_f32_e64 s[60:61], v29, v28
	v_cmp_class_f32_e64 s[2:3], v29, s4
	s_or_b64 s[48:49], s[60:61], s[2:3]
	s_and_saveexec_b64 s[2:3], s[48:49]
	s_cbranch_execz .LBB151_58
; %bb.57:
	v_sub_f32_e32 v29, v29, v28
	s_mov_b32 s5, 0x3fb8aa3b
	v_mul_f32_e32 v32, 0x3fb8aa3b, v29
	v_fma_f32 v33, v29, s5, -v32
	v_rndne_f32_e32 v35, v32
	v_fmamk_f32 v33, v29, 0x32a5705f, v33
	v_sub_f32_e32 v32, v32, v35
	v_add_f32_e32 v32, v32, v33
	v_exp_f32_e32 v32, v32
	v_cvt_i32_f32_e32 v33, v35
	s_mov_b32 s5, 0xc2ce8ed0
	v_cmp_ngt_f32_e64 s[60:61], s5, v29
	s_mov_b32 s5, 0x42b17218
	v_ldexp_f32 v32, v32, v33
	v_cndmask_b32_e64 v32, 0, v32, s[60:61]
	v_mov_b32_e32 v33, 0x7f800000
	v_cmp_nlt_f32_e64 s[60:61], s5, v29
	s_mov_b32 s5, 0x3f2aaaab
	s_mov_b32 s6, 0x7f800000
	v_cndmask_b32_e64 v35, v33, v32, s[60:61]
	v_add_f32_e32 v29, 1.0, v35
	v_add_f32_e32 v32, -1.0, v29
	v_sub_f32_e32 v33, v32, v29
	v_add_f32_e32 v33, 1.0, v33
	v_sub_f32_e32 v32, v35, v32
	v_add_f32_e32 v36, v32, v33
	v_frexp_mant_f32_e32 v37, v29
	v_cvt_f64_f32_e32 v[32:33], v29
	v_frexp_exp_i32_f64_e32 v32, v[32:33]
	v_cmp_gt_f32_e64 s[60:61], s5, v37
	s_mov_b32 s5, 0x3f317218
	s_nop 0
	v_subbrev_co_u32_e64 v42, s[60:61], 0, v32, s[60:61]
	v_sub_u32_e32 v32, 0, v42
	v_ldexp_f32 v29, v29, v32
	v_ldexp_f32 v32, v36, v32
	v_add_f32_e32 v36, -1.0, v29
	v_add_f32_e32 v33, 1.0, v36
	v_sub_f32_e32 v33, v29, v33
	v_add_f32_e32 v37, v32, v33
	v_add_f32_e32 v33, 1.0, v29
	v_add_f32_e32 v38, -1.0, v33
	v_sub_f32_e32 v29, v29, v38
	v_add_f32_e32 v29, v32, v29
	v_add_f32_e32 v43, v33, v29
	v_rcp_f32_e32 v44, v43
	v_sub_f32_e32 v32, v33, v43
	v_add_f32_e32 v33, v36, v37
	v_add_f32_e32 v29, v29, v32
	v_mul_f32_e32 v46, v33, v44
	v_sub_f32_e32 v32, v36, v33
	v_mul_f32_e32 v36, v43, v46
	v_fma_f32 v38, v46, v43, -v36
	v_fmac_f32_e32 v38, v46, v29
	v_add_f32_e32 v45, v37, v32
	v_add_f32_e32 v32, v36, v38
	v_sub_f32_e32 v37, v33, v32
	v_pk_add_f32 v[40:41], v[32:33], v[36:37] neg_lo:[0,1] neg_hi:[0,1]
	v_mov_b32_e32 v39, v32
	v_pk_add_f32 v[32:33], v[40:41], v[38:39] neg_lo:[0,1] neg_hi:[0,1]
	v_cmp_eq_f32_e64 s[60:61], s6, v35
	v_add_f32_e32 v33, v45, v33
	v_add_f32_e32 v32, v32, v33
	;; [unrolled: 1-line block ×3, first 2 shown]
	v_mul_f32_e32 v45, v44, v33
	v_mul_f32_e32 v36, v43, v45
	v_fma_f32 v38, v45, v43, -v36
	v_fmac_f32_e32 v38, v45, v29
	v_sub_f32_e32 v29, v37, v33
	v_add_f32_e32 v29, v32, v29
	v_add_f32_e32 v32, v36, v38
	v_sub_f32_e32 v37, v33, v32
	v_pk_add_f32 v[40:41], v[32:33], v[36:37] neg_lo:[0,1] neg_hi:[0,1]
	v_mov_b32_e32 v39, v32
	v_pk_add_f32 v[32:33], v[40:41], v[38:39] neg_lo:[0,1] neg_hi:[0,1]
	v_cvt_f32_i32_e32 v36, v42
	v_add_f32_e32 v29, v29, v33
	v_add_f32_e32 v29, v32, v29
	;; [unrolled: 1-line block ×4, first 2 shown]
	v_sub_f32_e32 v33, v32, v46
	v_mul_f32_e32 v29, v44, v29
	v_sub_f32_e32 v33, v45, v33
	v_add_f32_e32 v29, v33, v29
	v_add_f32_e32 v37, v32, v29
	v_mul_f32_e32 v38, v37, v37
	v_mov_b32_e32 v33, 0x3ecc95a3
	v_fmac_f32_e32 v33, 0x3e9b6dac, v38
	v_sub_f32_e32 v32, v37, v32
	v_fmaak_f32 v33, v38, v33, 0x3f2aaada
	v_sub_f32_e32 v29, v29, v32
	v_ldexp_f32 v39, v37, 1
	v_mul_f32_e32 v37, v37, v38
	v_mov_b32_e32 v32, 0x3f317218
	v_pk_mul_f32 v[32:33], v[36:37], v[32:33]
	v_ldexp_f32 v29, v29, 1
	v_fma_f32 v37, v36, s5, -v32
	v_fmamk_f32 v38, v36, 0xb102e308, v37
	v_pk_add_f32 v[36:37], v[32:33], v[38:39]
	v_mov_b32_e32 v40, v32
	v_sub_f32_e32 v39, v37, v39
	v_sub_f32_e32 v39, v33, v39
	v_add_f32_e32 v41, v29, v39
	v_pk_add_f32 v[32:33], v[36:37], v[32:33] neg_lo:[0,1] neg_hi:[0,1]
	v_pk_add_f32 v[42:43], v[36:37], v[40:41]
	v_mov_b32_e32 v39, v36
	v_mov_b32_e32 v33, v43
	v_pk_add_f32 v[44:45], v[38:39], v[32:33] neg_lo:[0,1] neg_hi:[0,1]
	v_pk_add_f32 v[32:33], v[38:39], v[32:33]
	v_mov_b32_e32 v40, v41
	v_mov_b32_e32 v38, v33
	v_pk_add_f32 v[46:47], v[38:39], v[36:37] neg_lo:[0,1] neg_hi:[0,1]
	v_mov_b32_e32 v32, v43
	v_mov_b32_e32 v29, v46
	v_pk_add_f32 v[48:49], v[42:43], v[28:29] neg_lo:[0,1] neg_hi:[0,1]
	v_mov_b32_e32 v42, v37
	v_mov_b32_e32 v43, v46
	;; [unrolled: 1-line block ×3, first 2 shown]
	v_pk_add_f32 v[32:33], v[32:33], v[42:43] neg_lo:[0,1] neg_hi:[0,1]
	v_mov_b32_e32 v41, v36
	v_pk_add_f32 v[32:33], v[40:41], v[32:33] neg_lo:[0,1] neg_hi:[0,1]
	v_mov_b32_e32 v48, v44
	v_pk_add_f32 v[36:37], v[48:49], v[32:33]
	s_mov_b32 s5, 0x33800000
	v_mov_b32_e32 v40, v37
	v_pk_add_f32 v[40:41], v[36:37], v[40:41]
	v_cmp_lt_f32_e64 s[48:49], |v35|, s5
	v_pk_add_f32 v[38:39], v[38:39], v[40:41]
	v_mov_b32_e32 v33, v40
	v_mov_b32_e32 v37, v38
	v_pk_add_f32 v[42:43], v[36:37], v[44:45] neg_lo:[0,1] neg_hi:[0,1]
	s_or_b64 s[60:61], s[60:61], s[48:49]
	v_sub_f32_e32 v29, v36, v42
	v_pk_add_f32 v[32:33], v[32:33], v[42:43] neg_lo:[0,1] neg_hi:[0,1]
	v_sub_f32_e32 v29, v44, v29
	v_add_f32_e32 v29, v32, v29
	v_add_f32_e32 v29, v29, v33
	;; [unrolled: 1-line block ×3, first 2 shown]
	v_cndmask_b32_e64 v29, v29, v35, s[60:61]
	v_add_f32_e32 v54, v28, v29
.LBB151_58:
	s_or_b64 exec, exec, s[2:3]
	v_max_f32_e32 v28, v54, v54
	v_max_f32_e32 v32, v24, v24
	v_min_f32_e32 v29, v28, v32
	v_cmp_u_f32_e64 s[62:63], v54, v54
	v_max_f32_e32 v28, v28, v32
	v_cmp_u_f32_e64 s[60:61], v24, v24
	v_cndmask_b32_e64 v29, v29, v54, s[62:63]
	v_cndmask_b32_e64 v28, v28, v54, s[62:63]
	;; [unrolled: 1-line block ×4, first 2 shown]
	v_cmp_neq_f32_e64 s[62:63], v29, v28
	v_cmp_class_f32_e64 s[2:3], v29, s4
	s_or_b64 s[4:5], s[62:63], s[2:3]
	s_and_saveexec_b64 s[2:3], s[4:5]
	s_cbranch_execz .LBB151_60
; %bb.59:
	v_sub_f32_e32 v29, v29, v28
	s_mov_b32 s4, 0x3fb8aa3b
	v_mul_f32_e32 v33, 0x3fb8aa3b, v29
	v_fma_f32 v35, v29, s4, -v33
	v_rndne_f32_e32 v36, v33
	v_fmamk_f32 v35, v29, 0x32a5705f, v35
	v_sub_f32_e32 v33, v33, v36
	v_add_f32_e32 v33, v33, v35
	v_exp_f32_e32 v33, v33
	v_cvt_i32_f32_e32 v35, v36
	s_mov_b32 s4, 0xc2ce8ed0
	v_cmp_ngt_f32_e64 s[62:63], s4, v29
	s_mov_b32 s4, 0x42b17218
	v_ldexp_f32 v33, v33, v35
	v_cndmask_b32_e64 v33, 0, v33, s[62:63]
	v_mov_b32_e32 v35, 0x7f800000
	v_cmp_nlt_f32_e64 s[62:63], s4, v29
	s_mov_b32 s4, 0x3f2aaaab
	s_mov_b32 s5, 0x7f800000
	v_cndmask_b32_e64 v33, v35, v33, s[62:63]
	v_add_f32_e32 v29, 1.0, v33
	v_add_f32_e32 v35, -1.0, v29
	v_sub_f32_e32 v36, v35, v29
	v_add_f32_e32 v36, 1.0, v36
	v_sub_f32_e32 v35, v33, v35
	v_add_f32_e32 v35, v35, v36
	v_frexp_mant_f32_e32 v38, v29
	v_cvt_f64_f32_e32 v[36:37], v29
	v_frexp_exp_i32_f64_e32 v36, v[36:37]
	v_cmp_gt_f32_e64 s[62:63], s4, v38
	s_mov_b32 s4, 0x3f317218
	s_nop 0
	v_subbrev_co_u32_e64 v44, s[62:63], 0, v36, s[62:63]
	v_sub_u32_e32 v36, 0, v44
	v_ldexp_f32 v29, v29, v36
	v_ldexp_f32 v35, v35, v36
	v_add_f32_e32 v36, -1.0, v29
	v_add_f32_e32 v37, 1.0, v36
	v_sub_f32_e32 v37, v29, v37
	v_add_f32_e32 v38, v35, v37
	v_add_f32_e32 v37, 1.0, v29
	v_add_f32_e32 v39, -1.0, v37
	v_sub_f32_e32 v29, v29, v39
	v_add_f32_e32 v29, v35, v29
	v_add_f32_e32 v35, v37, v29
	v_rcp_f32_e32 v45, v35
	v_sub_f32_e32 v37, v37, v35
	v_add_f32_e32 v29, v29, v37
	v_add_f32_e32 v37, v36, v38
	v_sub_f32_e32 v36, v36, v37
	v_mul_f32_e32 v47, v37, v45
	v_add_f32_e32 v46, v38, v36
	v_mul_f32_e32 v38, v35, v47
	v_fma_f32 v40, v47, v35, -v38
	v_fmac_f32_e32 v40, v47, v29
	v_add_f32_e32 v36, v38, v40
	v_sub_f32_e32 v39, v37, v36
	v_pk_add_f32 v[42:43], v[36:37], v[38:39] neg_lo:[0,1] neg_hi:[0,1]
	v_mov_b32_e32 v41, v36
	v_pk_add_f32 v[36:37], v[42:43], v[40:41] neg_lo:[0,1] neg_hi:[0,1]
	v_cmp_eq_f32_e64 s[62:63], s5, v33
	v_add_f32_e32 v37, v46, v37
	v_add_f32_e32 v36, v36, v37
	;; [unrolled: 1-line block ×3, first 2 shown]
	v_mul_f32_e32 v46, v45, v37
	v_mul_f32_e32 v38, v35, v46
	v_fma_f32 v40, v46, v35, -v38
	v_fmac_f32_e32 v40, v46, v29
	v_sub_f32_e32 v29, v39, v37
	v_add_f32_e32 v29, v36, v29
	v_add_f32_e32 v36, v38, v40
	v_sub_f32_e32 v39, v37, v36
	v_pk_add_f32 v[42:43], v[36:37], v[38:39] neg_lo:[0,1] neg_hi:[0,1]
	v_mov_b32_e32 v41, v36
	v_pk_add_f32 v[36:37], v[42:43], v[40:41] neg_lo:[0,1] neg_hi:[0,1]
	v_add_f32_e32 v35, v47, v46
	v_add_f32_e32 v29, v29, v37
	;; [unrolled: 1-line block ×4, first 2 shown]
	v_sub_f32_e32 v36, v35, v47
	v_mul_f32_e32 v29, v45, v29
	v_sub_f32_e32 v36, v46, v36
	v_add_f32_e32 v29, v36, v29
	v_add_f32_e32 v36, v35, v29
	v_cvt_f32_i32_e32 v38, v44
	v_mul_f32_e32 v39, v36, v36
	v_mov_b32_e32 v37, 0x3ecc95a3
	v_fmac_f32_e32 v37, 0x3e9b6dac, v39
	v_fmaak_f32 v37, v39, v37, 0x3f2aaada
	v_sub_f32_e32 v35, v36, v35
	v_ldexp_f32 v41, v36, 1
	v_mul_f32_e32 v39, v36, v39
	v_mov_b32_e32 v36, 0x3f317218
	v_pk_mul_f32 v[36:37], v[38:39], v[36:37]
	v_sub_f32_e32 v29, v29, v35
	v_fma_f32 v35, v38, s4, -v36
	v_fmamk_f32 v40, v38, 0xb102e308, v35
	v_pk_add_f32 v[38:39], v[36:37], v[40:41]
	v_ldexp_f32 v29, v29, 1
	v_sub_f32_e32 v35, v39, v41
	v_sub_f32_e32 v35, v37, v35
	v_add_f32_e32 v43, v29, v35
	v_mov_b32_e32 v42, v36
	v_pk_add_f32 v[36:37], v[38:39], v[36:37] neg_lo:[0,1] neg_hi:[0,1]
	v_pk_add_f32 v[44:45], v[38:39], v[42:43]
	v_mov_b32_e32 v41, v38
	v_mov_b32_e32 v37, v45
	v_pk_add_f32 v[46:47], v[40:41], v[36:37] neg_lo:[0,1] neg_hi:[0,1]
	v_pk_add_f32 v[36:37], v[40:41], v[36:37]
	v_mov_b32_e32 v42, v43
	v_mov_b32_e32 v40, v37
	v_pk_add_f32 v[48:49], v[40:41], v[38:39] neg_lo:[0,1] neg_hi:[0,1]
	v_mov_b32_e32 v36, v45
	v_mov_b32_e32 v29, v48
	v_pk_add_f32 v[54:55], v[44:45], v[28:29] neg_lo:[0,1] neg_hi:[0,1]
	v_mov_b32_e32 v44, v39
	v_mov_b32_e32 v45, v48
	v_mov_b32_e32 v47, v37
	v_pk_add_f32 v[36:37], v[36:37], v[44:45] neg_lo:[0,1] neg_hi:[0,1]
	v_mov_b32_e32 v43, v38
	v_pk_add_f32 v[36:37], v[42:43], v[36:37] neg_lo:[0,1] neg_hi:[0,1]
	v_mov_b32_e32 v54, v46
	v_pk_add_f32 v[38:39], v[54:55], v[36:37]
	s_mov_b32 s4, 0x33800000
	v_mov_b32_e32 v42, v39
	v_pk_add_f32 v[42:43], v[38:39], v[42:43]
	v_cmp_lt_f32_e64 s[4:5], |v33|, s4
	v_pk_add_f32 v[40:41], v[40:41], v[42:43]
	v_mov_b32_e32 v37, v42
	v_mov_b32_e32 v39, v40
	v_pk_add_f32 v[44:45], v[38:39], v[46:47] neg_lo:[0,1] neg_hi:[0,1]
	s_or_b64 s[62:63], s[62:63], s[4:5]
	v_sub_f32_e32 v29, v38, v44
	v_pk_add_f32 v[36:37], v[36:37], v[44:45] neg_lo:[0,1] neg_hi:[0,1]
	v_sub_f32_e32 v29, v46, v29
	v_add_f32_e32 v29, v36, v29
	v_add_f32_e32 v29, v29, v37
	v_add_f32_e32 v29, v40, v29
	v_cndmask_b32_e64 v29, v29, v33, s[62:63]
	v_add_f32_e32 v54, v28, v29
.LBB151_60:
	s_or_b64 exec, exec, s[2:3]
	v_max_f32_e32 v28, v54, v54
	v_max_f32_e32 v33, v25, v25
	v_min_f32_e32 v29, v28, v33
	v_cmp_u_f32_e64 s[64:65], v54, v54
	v_max_f32_e32 v28, v28, v33
	v_cmp_u_f32_e64 s[62:63], v25, v25
	v_cndmask_b32_e64 v29, v29, v54, s[64:65]
	v_cndmask_b32_e64 v28, v28, v54, s[64:65]
	;; [unrolled: 1-line block ×4, first 2 shown]
	s_movk_i32 s4, 0x1f8
	v_cmp_neq_f32_e64 s[64:65], v29, v28
	v_cmp_class_f32_e64 s[2:3], v29, s4
	s_or_b64 s[48:49], s[64:65], s[2:3]
	s_and_saveexec_b64 s[2:3], s[48:49]
	s_cbranch_execz .LBB151_62
; %bb.61:
	v_sub_f32_e32 v29, v29, v28
	s_mov_b32 s5, 0x3fb8aa3b
	v_mul_f32_e32 v35, 0x3fb8aa3b, v29
	v_fma_f32 v36, v29, s5, -v35
	v_rndne_f32_e32 v37, v35
	v_fmamk_f32 v36, v29, 0x32a5705f, v36
	v_sub_f32_e32 v35, v35, v37
	v_add_f32_e32 v35, v35, v36
	v_exp_f32_e32 v35, v35
	v_cvt_i32_f32_e32 v36, v37
	s_mov_b32 s5, 0xc2ce8ed0
	v_cmp_ngt_f32_e64 s[64:65], s5, v29
	s_mov_b32 s5, 0x42b17218
	v_ldexp_f32 v35, v35, v36
	v_cndmask_b32_e64 v35, 0, v35, s[64:65]
	v_mov_b32_e32 v36, 0x7f800000
	v_cmp_nlt_f32_e64 s[64:65], s5, v29
	s_mov_b32 s5, 0x3f2aaaab
	s_mov_b32 s6, 0x7f800000
	v_cndmask_b32_e64 v35, v36, v35, s[64:65]
	v_add_f32_e32 v29, 1.0, v35
	v_add_f32_e32 v36, -1.0, v29
	v_sub_f32_e32 v37, v36, v29
	v_add_f32_e32 v37, 1.0, v37
	v_sub_f32_e32 v36, v35, v36
	v_add_f32_e32 v38, v36, v37
	v_frexp_mant_f32_e32 v39, v29
	v_cvt_f64_f32_e32 v[36:37], v29
	v_frexp_exp_i32_f64_e32 v36, v[36:37]
	v_cmp_gt_f32_e64 s[64:65], s5, v39
	s_mov_b32 s5, 0x3f317218
	s_nop 0
	v_subbrev_co_u32_e64 v44, s[64:65], 0, v36, s[64:65]
	v_sub_u32_e32 v36, 0, v44
	v_ldexp_f32 v29, v29, v36
	v_ldexp_f32 v36, v38, v36
	v_add_f32_e32 v38, -1.0, v29
	v_add_f32_e32 v37, 1.0, v38
	v_sub_f32_e32 v37, v29, v37
	v_add_f32_e32 v39, v36, v37
	v_add_f32_e32 v37, 1.0, v29
	v_add_f32_e32 v40, -1.0, v37
	v_sub_f32_e32 v29, v29, v40
	v_add_f32_e32 v29, v36, v29
	v_add_f32_e32 v45, v37, v29
	v_rcp_f32_e32 v46, v45
	v_sub_f32_e32 v36, v37, v45
	v_add_f32_e32 v37, v38, v39
	v_add_f32_e32 v29, v29, v36
	v_mul_f32_e32 v48, v37, v46
	v_sub_f32_e32 v36, v38, v37
	v_mul_f32_e32 v38, v45, v48
	v_fma_f32 v40, v48, v45, -v38
	v_fmac_f32_e32 v40, v48, v29
	v_add_f32_e32 v47, v39, v36
	v_add_f32_e32 v36, v38, v40
	v_sub_f32_e32 v39, v37, v36
	v_pk_add_f32 v[42:43], v[36:37], v[38:39] neg_lo:[0,1] neg_hi:[0,1]
	v_mov_b32_e32 v41, v36
	v_pk_add_f32 v[36:37], v[42:43], v[40:41] neg_lo:[0,1] neg_hi:[0,1]
	v_cmp_eq_f32_e64 s[64:65], s6, v35
	v_add_f32_e32 v37, v47, v37
	v_add_f32_e32 v36, v36, v37
	;; [unrolled: 1-line block ×3, first 2 shown]
	v_mul_f32_e32 v47, v46, v37
	v_mul_f32_e32 v38, v45, v47
	v_fma_f32 v40, v47, v45, -v38
	v_fmac_f32_e32 v40, v47, v29
	v_sub_f32_e32 v29, v39, v37
	v_add_f32_e32 v29, v36, v29
	v_add_f32_e32 v36, v38, v40
	v_sub_f32_e32 v39, v37, v36
	v_pk_add_f32 v[42:43], v[36:37], v[38:39] neg_lo:[0,1] neg_hi:[0,1]
	v_mov_b32_e32 v41, v36
	v_pk_add_f32 v[36:37], v[42:43], v[40:41] neg_lo:[0,1] neg_hi:[0,1]
	v_cvt_f32_i32_e32 v38, v44
	v_add_f32_e32 v29, v29, v37
	v_add_f32_e32 v29, v36, v29
	;; [unrolled: 1-line block ×4, first 2 shown]
	v_sub_f32_e32 v37, v36, v48
	v_mul_f32_e32 v29, v46, v29
	v_sub_f32_e32 v37, v47, v37
	v_add_f32_e32 v29, v37, v29
	v_add_f32_e32 v39, v36, v29
	v_mul_f32_e32 v40, v39, v39
	v_mov_b32_e32 v37, 0x3ecc95a3
	v_fmac_f32_e32 v37, 0x3e9b6dac, v40
	v_sub_f32_e32 v36, v39, v36
	v_fmaak_f32 v37, v40, v37, 0x3f2aaada
	v_sub_f32_e32 v29, v29, v36
	v_ldexp_f32 v41, v39, 1
	v_mul_f32_e32 v39, v39, v40
	v_mov_b32_e32 v36, 0x3f317218
	v_pk_mul_f32 v[36:37], v[38:39], v[36:37]
	v_ldexp_f32 v29, v29, 1
	v_fma_f32 v39, v38, s5, -v36
	v_fmamk_f32 v40, v38, 0xb102e308, v39
	v_pk_add_f32 v[38:39], v[36:37], v[40:41]
	v_mov_b32_e32 v42, v36
	v_sub_f32_e32 v41, v39, v41
	v_sub_f32_e32 v41, v37, v41
	v_add_f32_e32 v43, v29, v41
	v_pk_add_f32 v[36:37], v[38:39], v[36:37] neg_lo:[0,1] neg_hi:[0,1]
	v_pk_add_f32 v[44:45], v[38:39], v[42:43]
	v_mov_b32_e32 v41, v38
	v_mov_b32_e32 v37, v45
	v_pk_add_f32 v[46:47], v[40:41], v[36:37] neg_lo:[0,1] neg_hi:[0,1]
	v_pk_add_f32 v[36:37], v[40:41], v[36:37]
	v_mov_b32_e32 v42, v43
	v_mov_b32_e32 v40, v37
	v_pk_add_f32 v[48:49], v[40:41], v[38:39] neg_lo:[0,1] neg_hi:[0,1]
	v_mov_b32_e32 v36, v45
	v_mov_b32_e32 v29, v48
	v_pk_add_f32 v[54:55], v[44:45], v[28:29] neg_lo:[0,1] neg_hi:[0,1]
	v_mov_b32_e32 v44, v39
	v_mov_b32_e32 v45, v48
	;; [unrolled: 1-line block ×3, first 2 shown]
	v_pk_add_f32 v[36:37], v[36:37], v[44:45] neg_lo:[0,1] neg_hi:[0,1]
	v_mov_b32_e32 v43, v38
	v_pk_add_f32 v[36:37], v[42:43], v[36:37] neg_lo:[0,1] neg_hi:[0,1]
	v_mov_b32_e32 v54, v46
	v_pk_add_f32 v[38:39], v[54:55], v[36:37]
	s_mov_b32 s5, 0x33800000
	v_mov_b32_e32 v42, v39
	v_pk_add_f32 v[42:43], v[38:39], v[42:43]
	v_cmp_lt_f32_e64 s[48:49], |v35|, s5
	v_pk_add_f32 v[40:41], v[40:41], v[42:43]
	v_mov_b32_e32 v37, v42
	v_mov_b32_e32 v39, v40
	v_pk_add_f32 v[44:45], v[38:39], v[46:47] neg_lo:[0,1] neg_hi:[0,1]
	s_or_b64 s[64:65], s[64:65], s[48:49]
	v_sub_f32_e32 v29, v38, v44
	v_pk_add_f32 v[36:37], v[36:37], v[44:45] neg_lo:[0,1] neg_hi:[0,1]
	v_sub_f32_e32 v29, v46, v29
	v_add_f32_e32 v29, v36, v29
	v_add_f32_e32 v29, v29, v37
	;; [unrolled: 1-line block ×3, first 2 shown]
	v_cndmask_b32_e64 v29, v29, v35, s[64:65]
	v_add_f32_e32 v54, v28, v29
.LBB151_62:
	s_or_b64 exec, exec, s[2:3]
	v_max_f32_e32 v28, v54, v54
	v_max_f32_e32 v35, v18, v18
	v_min_f32_e32 v29, v28, v35
	v_cmp_u_f32_e64 s[66:67], v54, v54
	v_max_f32_e32 v28, v28, v35
	v_cmp_u_f32_e64 s[64:65], v18, v18
	v_cndmask_b32_e64 v29, v29, v54, s[66:67]
	v_cndmask_b32_e64 v28, v28, v54, s[66:67]
	;; [unrolled: 1-line block ×4, first 2 shown]
	v_cmp_neq_f32_e64 s[66:67], v29, v28
	v_cmp_class_f32_e64 s[2:3], v29, s4
	s_or_b64 s[4:5], s[66:67], s[2:3]
	s_and_saveexec_b64 s[2:3], s[4:5]
	s_cbranch_execz .LBB151_64
; %bb.63:
	v_sub_f32_e32 v29, v29, v28
	s_mov_b32 s4, 0x3fb8aa3b
	v_mul_f32_e32 v36, 0x3fb8aa3b, v29
	v_fma_f32 v37, v29, s4, -v36
	v_rndne_f32_e32 v38, v36
	v_fmamk_f32 v37, v29, 0x32a5705f, v37
	v_sub_f32_e32 v36, v36, v38
	v_add_f32_e32 v36, v36, v37
	v_exp_f32_e32 v36, v36
	v_cvt_i32_f32_e32 v37, v38
	s_mov_b32 s4, 0xc2ce8ed0
	v_cmp_ngt_f32_e64 s[66:67], s4, v29
	s_mov_b32 s4, 0x42b17218
	v_ldexp_f32 v36, v36, v37
	v_cndmask_b32_e64 v36, 0, v36, s[66:67]
	v_mov_b32_e32 v37, 0x7f800000
	v_cmp_nlt_f32_e64 s[66:67], s4, v29
	s_mov_b32 s4, 0x3f2aaaab
	s_mov_b32 s5, 0x7f800000
	v_cndmask_b32_e64 v50, v37, v36, s[66:67]
	v_add_f32_e32 v29, 1.0, v50
	v_add_f32_e32 v36, -1.0, v29
	v_sub_f32_e32 v37, v36, v29
	v_add_f32_e32 v37, 1.0, v37
	v_sub_f32_e32 v36, v50, v36
	v_add_f32_e32 v38, v36, v37
	v_frexp_mant_f32_e32 v39, v29
	v_cvt_f64_f32_e32 v[36:37], v29
	v_frexp_exp_i32_f64_e32 v36, v[36:37]
	v_cmp_gt_f32_e64 s[66:67], s4, v39
	s_mov_b32 s4, 0x3f317218
	s_nop 0
	v_subbrev_co_u32_e64 v44, s[66:67], 0, v36, s[66:67]
	v_sub_u32_e32 v36, 0, v44
	v_ldexp_f32 v29, v29, v36
	v_ldexp_f32 v36, v38, v36
	v_add_f32_e32 v38, -1.0, v29
	v_add_f32_e32 v37, 1.0, v38
	v_sub_f32_e32 v37, v29, v37
	v_add_f32_e32 v39, v36, v37
	v_add_f32_e32 v37, 1.0, v29
	v_add_f32_e32 v40, -1.0, v37
	v_sub_f32_e32 v29, v29, v40
	v_add_f32_e32 v29, v36, v29
	v_add_f32_e32 v45, v37, v29
	v_rcp_f32_e32 v46, v45
	v_sub_f32_e32 v36, v37, v45
	v_add_f32_e32 v37, v38, v39
	v_add_f32_e32 v29, v29, v36
	v_mul_f32_e32 v48, v37, v46
	v_sub_f32_e32 v36, v38, v37
	v_mul_f32_e32 v38, v45, v48
	v_fma_f32 v40, v48, v45, -v38
	v_fmac_f32_e32 v40, v48, v29
	v_add_f32_e32 v47, v39, v36
	v_add_f32_e32 v36, v38, v40
	v_sub_f32_e32 v39, v37, v36
	v_pk_add_f32 v[42:43], v[36:37], v[38:39] neg_lo:[0,1] neg_hi:[0,1]
	v_mov_b32_e32 v41, v36
	v_pk_add_f32 v[36:37], v[42:43], v[40:41] neg_lo:[0,1] neg_hi:[0,1]
	v_cmp_eq_f32_e64 s[66:67], s5, v50
	v_add_f32_e32 v37, v47, v37
	v_add_f32_e32 v36, v36, v37
	;; [unrolled: 1-line block ×3, first 2 shown]
	v_mul_f32_e32 v47, v46, v37
	v_mul_f32_e32 v38, v45, v47
	v_fma_f32 v40, v47, v45, -v38
	v_fmac_f32_e32 v40, v47, v29
	v_sub_f32_e32 v29, v39, v37
	v_add_f32_e32 v29, v36, v29
	v_add_f32_e32 v36, v38, v40
	v_sub_f32_e32 v39, v37, v36
	v_pk_add_f32 v[42:43], v[36:37], v[38:39] neg_lo:[0,1] neg_hi:[0,1]
	v_mov_b32_e32 v41, v36
	v_pk_add_f32 v[36:37], v[42:43], v[40:41] neg_lo:[0,1] neg_hi:[0,1]
	v_cvt_f32_i32_e32 v38, v44
	v_add_f32_e32 v29, v29, v37
	v_add_f32_e32 v29, v36, v29
	v_add_f32_e32 v36, v48, v47
	v_add_f32_e32 v29, v39, v29
	v_sub_f32_e32 v37, v36, v48
	v_mul_f32_e32 v29, v46, v29
	v_sub_f32_e32 v37, v47, v37
	v_add_f32_e32 v29, v37, v29
	v_add_f32_e32 v39, v36, v29
	v_mul_f32_e32 v40, v39, v39
	v_mov_b32_e32 v37, 0x3ecc95a3
	v_fmac_f32_e32 v37, 0x3e9b6dac, v40
	v_sub_f32_e32 v36, v39, v36
	v_fmaak_f32 v37, v40, v37, 0x3f2aaada
	v_sub_f32_e32 v29, v29, v36
	v_ldexp_f32 v41, v39, 1
	v_mul_f32_e32 v39, v39, v40
	v_mov_b32_e32 v36, 0x3f317218
	v_pk_mul_f32 v[36:37], v[38:39], v[36:37]
	v_ldexp_f32 v29, v29, 1
	v_fma_f32 v39, v38, s4, -v36
	v_fmamk_f32 v40, v38, 0xb102e308, v39
	v_pk_add_f32 v[38:39], v[36:37], v[40:41]
	v_mov_b32_e32 v42, v36
	v_sub_f32_e32 v41, v39, v41
	v_sub_f32_e32 v41, v37, v41
	v_add_f32_e32 v43, v29, v41
	v_pk_add_f32 v[36:37], v[38:39], v[36:37] neg_lo:[0,1] neg_hi:[0,1]
	v_pk_add_f32 v[44:45], v[38:39], v[42:43]
	v_mov_b32_e32 v41, v38
	v_mov_b32_e32 v37, v45
	v_pk_add_f32 v[46:47], v[40:41], v[36:37] neg_lo:[0,1] neg_hi:[0,1]
	v_pk_add_f32 v[36:37], v[40:41], v[36:37]
	v_mov_b32_e32 v42, v43
	v_mov_b32_e32 v40, v37
	v_pk_add_f32 v[48:49], v[40:41], v[38:39] neg_lo:[0,1] neg_hi:[0,1]
	v_mov_b32_e32 v36, v45
	v_mov_b32_e32 v29, v48
	v_pk_add_f32 v[54:55], v[44:45], v[28:29] neg_lo:[0,1] neg_hi:[0,1]
	v_mov_b32_e32 v44, v39
	v_mov_b32_e32 v45, v48
	;; [unrolled: 1-line block ×3, first 2 shown]
	v_pk_add_f32 v[36:37], v[36:37], v[44:45] neg_lo:[0,1] neg_hi:[0,1]
	v_mov_b32_e32 v43, v38
	v_pk_add_f32 v[36:37], v[42:43], v[36:37] neg_lo:[0,1] neg_hi:[0,1]
	v_mov_b32_e32 v54, v46
	v_pk_add_f32 v[38:39], v[54:55], v[36:37]
	s_mov_b32 s4, 0x33800000
	v_mov_b32_e32 v42, v39
	v_pk_add_f32 v[42:43], v[38:39], v[42:43]
	v_cmp_lt_f32_e64 s[4:5], |v50|, s4
	v_pk_add_f32 v[40:41], v[40:41], v[42:43]
	v_mov_b32_e32 v37, v42
	v_mov_b32_e32 v39, v40
	v_pk_add_f32 v[44:45], v[38:39], v[46:47] neg_lo:[0,1] neg_hi:[0,1]
	s_or_b64 s[66:67], s[66:67], s[4:5]
	v_sub_f32_e32 v29, v38, v44
	v_pk_add_f32 v[36:37], v[36:37], v[44:45] neg_lo:[0,1] neg_hi:[0,1]
	v_sub_f32_e32 v29, v46, v29
	v_add_f32_e32 v29, v36, v29
	v_add_f32_e32 v29, v29, v37
	;; [unrolled: 1-line block ×3, first 2 shown]
	v_cndmask_b32_e64 v29, v29, v50, s[66:67]
	v_add_f32_e32 v54, v28, v29
.LBB151_64:
	s_or_b64 exec, exec, s[2:3]
	v_max_f32_e32 v28, v54, v54
	v_max_f32_e32 v36, v19, v19
	v_min_f32_e32 v29, v28, v36
	v_cmp_u_f32_e64 s[68:69], v54, v54
	v_max_f32_e32 v28, v28, v36
	v_cmp_u_f32_e64 s[66:67], v19, v19
	v_cndmask_b32_e64 v29, v29, v54, s[68:69]
	v_cndmask_b32_e64 v28, v28, v54, s[68:69]
	;; [unrolled: 1-line block ×4, first 2 shown]
	s_movk_i32 s4, 0x1f8
	v_cmp_neq_f32_e64 s[68:69], v29, v28
	v_cmp_class_f32_e64 s[2:3], v29, s4
	s_or_b64 s[48:49], s[68:69], s[2:3]
	s_and_saveexec_b64 s[2:3], s[48:49]
	s_cbranch_execz .LBB151_66
; %bb.65:
	v_sub_f32_e32 v29, v29, v28
	s_mov_b32 s5, 0x3fb8aa3b
	v_mul_f32_e32 v37, 0x3fb8aa3b, v29
	v_fma_f32 v38, v29, s5, -v37
	v_rndne_f32_e32 v39, v37
	v_fmamk_f32 v38, v29, 0x32a5705f, v38
	v_sub_f32_e32 v37, v37, v39
	v_add_f32_e32 v37, v37, v38
	v_exp_f32_e32 v37, v37
	v_cvt_i32_f32_e32 v38, v39
	s_mov_b32 s5, 0xc2ce8ed0
	v_cmp_ngt_f32_e64 s[68:69], s5, v29
	s_mov_b32 s5, 0x42b17218
	v_ldexp_f32 v37, v37, v38
	v_cndmask_b32_e64 v37, 0, v37, s[68:69]
	v_mov_b32_e32 v38, 0x7f800000
	v_cmp_nlt_f32_e64 s[68:69], s5, v29
	s_mov_b32 s5, 0x3f2aaaab
	s_mov_b32 s6, 0x7f800000
	v_cndmask_b32_e64 v37, v38, v37, s[68:69]
	v_add_f32_e32 v29, 1.0, v37
	v_add_f32_e32 v38, -1.0, v29
	v_sub_f32_e32 v39, v38, v29
	v_add_f32_e32 v39, 1.0, v39
	v_sub_f32_e32 v38, v37, v38
	v_add_f32_e32 v40, v38, v39
	v_frexp_mant_f32_e32 v41, v29
	v_cvt_f64_f32_e32 v[38:39], v29
	v_frexp_exp_i32_f64_e32 v38, v[38:39]
	v_cmp_gt_f32_e64 s[68:69], s5, v41
	s_mov_b32 s5, 0x3f317218
	s_nop 0
	v_subbrev_co_u32_e64 v46, s[68:69], 0, v38, s[68:69]
	v_sub_u32_e32 v38, 0, v46
	v_ldexp_f32 v29, v29, v38
	v_ldexp_f32 v38, v40, v38
	v_add_f32_e32 v40, -1.0, v29
	v_add_f32_e32 v39, 1.0, v40
	v_sub_f32_e32 v39, v29, v39
	v_add_f32_e32 v41, v38, v39
	v_add_f32_e32 v39, 1.0, v29
	v_add_f32_e32 v42, -1.0, v39
	v_sub_f32_e32 v29, v29, v42
	v_add_f32_e32 v29, v38, v29
	v_add_f32_e32 v47, v39, v29
	v_rcp_f32_e32 v48, v47
	v_sub_f32_e32 v38, v39, v47
	v_add_f32_e32 v39, v40, v41
	v_add_f32_e32 v29, v29, v38
	v_mul_f32_e32 v50, v39, v48
	v_sub_f32_e32 v38, v40, v39
	v_mul_f32_e32 v40, v47, v50
	v_fma_f32 v42, v50, v47, -v40
	v_fmac_f32_e32 v42, v50, v29
	v_add_f32_e32 v49, v41, v38
	v_add_f32_e32 v38, v40, v42
	v_sub_f32_e32 v41, v39, v38
	v_pk_add_f32 v[44:45], v[38:39], v[40:41] neg_lo:[0,1] neg_hi:[0,1]
	v_mov_b32_e32 v43, v38
	v_pk_add_f32 v[38:39], v[44:45], v[42:43] neg_lo:[0,1] neg_hi:[0,1]
	v_cmp_eq_f32_e64 s[68:69], s6, v37
	v_add_f32_e32 v39, v49, v39
	v_add_f32_e32 v38, v38, v39
	;; [unrolled: 1-line block ×3, first 2 shown]
	v_mul_f32_e32 v49, v48, v39
	v_mul_f32_e32 v40, v47, v49
	v_fma_f32 v42, v49, v47, -v40
	v_fmac_f32_e32 v42, v49, v29
	v_sub_f32_e32 v29, v41, v39
	v_add_f32_e32 v29, v38, v29
	v_add_f32_e32 v38, v40, v42
	v_sub_f32_e32 v41, v39, v38
	v_pk_add_f32 v[44:45], v[38:39], v[40:41] neg_lo:[0,1] neg_hi:[0,1]
	v_mov_b32_e32 v43, v38
	v_pk_add_f32 v[38:39], v[44:45], v[42:43] neg_lo:[0,1] neg_hi:[0,1]
	v_cvt_f32_i32_e32 v40, v46
	v_add_f32_e32 v29, v29, v39
	v_add_f32_e32 v29, v38, v29
	;; [unrolled: 1-line block ×4, first 2 shown]
	v_sub_f32_e32 v39, v38, v50
	v_mul_f32_e32 v29, v48, v29
	v_sub_f32_e32 v39, v49, v39
	v_add_f32_e32 v29, v39, v29
	v_add_f32_e32 v41, v38, v29
	v_mul_f32_e32 v42, v41, v41
	v_mov_b32_e32 v39, 0x3ecc95a3
	v_fmac_f32_e32 v39, 0x3e9b6dac, v42
	v_sub_f32_e32 v38, v41, v38
	v_fmaak_f32 v39, v42, v39, 0x3f2aaada
	v_sub_f32_e32 v29, v29, v38
	v_ldexp_f32 v43, v41, 1
	v_mul_f32_e32 v41, v41, v42
	v_mov_b32_e32 v38, 0x3f317218
	v_pk_mul_f32 v[38:39], v[40:41], v[38:39]
	v_ldexp_f32 v29, v29, 1
	v_fma_f32 v41, v40, s5, -v38
	v_fmamk_f32 v42, v40, 0xb102e308, v41
	v_pk_add_f32 v[40:41], v[38:39], v[42:43]
	v_mov_b32_e32 v44, v38
	v_sub_f32_e32 v43, v41, v43
	v_sub_f32_e32 v43, v39, v43
	v_add_f32_e32 v45, v29, v43
	v_pk_add_f32 v[38:39], v[40:41], v[38:39] neg_lo:[0,1] neg_hi:[0,1]
	v_pk_add_f32 v[46:47], v[40:41], v[44:45]
	v_mov_b32_e32 v43, v40
	v_mov_b32_e32 v39, v47
	v_pk_add_f32 v[48:49], v[42:43], v[38:39] neg_lo:[0,1] neg_hi:[0,1]
	v_pk_add_f32 v[38:39], v[42:43], v[38:39]
	v_mov_b32_e32 v44, v45
	v_mov_b32_e32 v42, v39
	v_pk_add_f32 v[54:55], v[42:43], v[40:41] neg_lo:[0,1] neg_hi:[0,1]
	v_mov_b32_e32 v38, v47
	v_mov_b32_e32 v29, v54
	v_pk_add_f32 v[56:57], v[46:47], v[28:29] neg_lo:[0,1] neg_hi:[0,1]
	v_mov_b32_e32 v46, v41
	v_mov_b32_e32 v47, v54
	;; [unrolled: 1-line block ×3, first 2 shown]
	v_pk_add_f32 v[38:39], v[38:39], v[46:47] neg_lo:[0,1] neg_hi:[0,1]
	v_mov_b32_e32 v45, v40
	v_pk_add_f32 v[38:39], v[44:45], v[38:39] neg_lo:[0,1] neg_hi:[0,1]
	v_mov_b32_e32 v56, v48
	v_pk_add_f32 v[40:41], v[56:57], v[38:39]
	s_mov_b32 s5, 0x33800000
	v_mov_b32_e32 v44, v41
	v_pk_add_f32 v[44:45], v[40:41], v[44:45]
	v_cmp_lt_f32_e64 s[48:49], |v37|, s5
	v_pk_add_f32 v[42:43], v[42:43], v[44:45]
	v_mov_b32_e32 v39, v44
	v_mov_b32_e32 v41, v42
	v_pk_add_f32 v[46:47], v[40:41], v[48:49] neg_lo:[0,1] neg_hi:[0,1]
	s_or_b64 s[68:69], s[68:69], s[48:49]
	v_sub_f32_e32 v29, v40, v46
	v_pk_add_f32 v[38:39], v[38:39], v[46:47] neg_lo:[0,1] neg_hi:[0,1]
	v_sub_f32_e32 v29, v48, v29
	v_add_f32_e32 v29, v38, v29
	v_add_f32_e32 v29, v29, v39
	;; [unrolled: 1-line block ×3, first 2 shown]
	v_cndmask_b32_e64 v29, v29, v37, s[68:69]
	v_add_f32_e32 v54, v28, v29
.LBB151_66:
	s_or_b64 exec, exec, s[2:3]
	v_max_f32_e32 v28, v54, v54
	v_max_f32_e32 v37, v20, v20
	v_min_f32_e32 v29, v28, v37
	v_cmp_u_f32_e64 s[70:71], v54, v54
	v_max_f32_e32 v28, v28, v37
	v_cmp_u_f32_e64 s[68:69], v20, v20
	v_cndmask_b32_e64 v29, v29, v54, s[70:71]
	v_cndmask_b32_e64 v28, v28, v54, s[70:71]
	;; [unrolled: 1-line block ×4, first 2 shown]
	v_cmp_neq_f32_e64 s[70:71], v29, v28
	v_cmp_class_f32_e64 s[2:3], v29, s4
	s_or_b64 s[4:5], s[70:71], s[2:3]
	s_and_saveexec_b64 s[2:3], s[4:5]
	s_cbranch_execz .LBB151_68
; %bb.67:
	v_sub_f32_e32 v29, v29, v28
	s_mov_b32 s4, 0x3fb8aa3b
	v_mul_f32_e32 v38, 0x3fb8aa3b, v29
	v_fma_f32 v39, v29, s4, -v38
	v_rndne_f32_e32 v40, v38
	v_fmamk_f32 v39, v29, 0x32a5705f, v39
	v_sub_f32_e32 v38, v38, v40
	v_add_f32_e32 v38, v38, v39
	v_exp_f32_e32 v38, v38
	v_cvt_i32_f32_e32 v39, v40
	s_mov_b32 s4, 0xc2ce8ed0
	v_cmp_ngt_f32_e64 s[70:71], s4, v29
	s_mov_b32 s4, 0x42b17218
	v_ldexp_f32 v38, v38, v39
	v_cndmask_b32_e64 v38, 0, v38, s[70:71]
	v_mov_b32_e32 v39, 0x7f800000
	v_cmp_nlt_f32_e64 s[70:71], s4, v29
	s_mov_b32 s4, 0x3f2aaaab
	s_mov_b32 s5, 0x7f800000
	v_cndmask_b32_e64 v50, v39, v38, s[70:71]
	v_add_f32_e32 v29, 1.0, v50
	v_add_f32_e32 v38, -1.0, v29
	v_sub_f32_e32 v39, v38, v29
	v_add_f32_e32 v39, 1.0, v39
	v_sub_f32_e32 v38, v50, v38
	v_add_f32_e32 v40, v38, v39
	v_frexp_mant_f32_e32 v41, v29
	v_cvt_f64_f32_e32 v[38:39], v29
	v_frexp_exp_i32_f64_e32 v38, v[38:39]
	v_cmp_gt_f32_e64 s[70:71], s4, v41
	s_mov_b32 s4, 0x3f317218
	s_nop 0
	v_subbrev_co_u32_e64 v46, s[70:71], 0, v38, s[70:71]
	v_sub_u32_e32 v38, 0, v46
	v_ldexp_f32 v29, v29, v38
	v_ldexp_f32 v38, v40, v38
	v_add_f32_e32 v40, -1.0, v29
	v_add_f32_e32 v39, 1.0, v40
	v_sub_f32_e32 v39, v29, v39
	v_add_f32_e32 v41, v38, v39
	v_add_f32_e32 v39, 1.0, v29
	v_add_f32_e32 v42, -1.0, v39
	v_sub_f32_e32 v29, v29, v42
	v_add_f32_e32 v29, v38, v29
	v_add_f32_e32 v47, v39, v29
	v_rcp_f32_e32 v48, v47
	v_sub_f32_e32 v38, v39, v47
	v_add_f32_e32 v39, v40, v41
	v_add_f32_e32 v29, v29, v38
	v_mul_f32_e32 v54, v39, v48
	v_sub_f32_e32 v38, v40, v39
	v_mul_f32_e32 v40, v47, v54
	v_fma_f32 v42, v54, v47, -v40
	v_fmac_f32_e32 v42, v54, v29
	v_add_f32_e32 v49, v41, v38
	v_add_f32_e32 v38, v40, v42
	v_sub_f32_e32 v41, v39, v38
	v_pk_add_f32 v[44:45], v[38:39], v[40:41] neg_lo:[0,1] neg_hi:[0,1]
	v_mov_b32_e32 v43, v38
	v_pk_add_f32 v[38:39], v[44:45], v[42:43] neg_lo:[0,1] neg_hi:[0,1]
	v_cmp_eq_f32_e64 s[70:71], s5, v50
	v_add_f32_e32 v39, v49, v39
	v_add_f32_e32 v38, v38, v39
	;; [unrolled: 1-line block ×3, first 2 shown]
	v_mul_f32_e32 v49, v48, v39
	v_mul_f32_e32 v40, v47, v49
	v_fma_f32 v42, v49, v47, -v40
	v_fmac_f32_e32 v42, v49, v29
	v_sub_f32_e32 v29, v41, v39
	v_add_f32_e32 v29, v38, v29
	v_add_f32_e32 v38, v40, v42
	v_sub_f32_e32 v41, v39, v38
	v_pk_add_f32 v[44:45], v[38:39], v[40:41] neg_lo:[0,1] neg_hi:[0,1]
	v_mov_b32_e32 v43, v38
	v_pk_add_f32 v[38:39], v[44:45], v[42:43] neg_lo:[0,1] neg_hi:[0,1]
	v_cvt_f32_i32_e32 v40, v46
	v_add_f32_e32 v29, v29, v39
	v_add_f32_e32 v29, v38, v29
	;; [unrolled: 1-line block ×4, first 2 shown]
	v_sub_f32_e32 v39, v38, v54
	v_mul_f32_e32 v29, v48, v29
	v_sub_f32_e32 v39, v49, v39
	v_add_f32_e32 v29, v39, v29
	v_add_f32_e32 v41, v38, v29
	v_mul_f32_e32 v42, v41, v41
	v_mov_b32_e32 v39, 0x3ecc95a3
	v_fmac_f32_e32 v39, 0x3e9b6dac, v42
	v_sub_f32_e32 v38, v41, v38
	v_fmaak_f32 v39, v42, v39, 0x3f2aaada
	v_sub_f32_e32 v29, v29, v38
	v_ldexp_f32 v43, v41, 1
	v_mul_f32_e32 v41, v41, v42
	v_mov_b32_e32 v38, 0x3f317218
	v_pk_mul_f32 v[38:39], v[40:41], v[38:39]
	v_ldexp_f32 v29, v29, 1
	v_fma_f32 v41, v40, s4, -v38
	v_fmamk_f32 v42, v40, 0xb102e308, v41
	v_pk_add_f32 v[40:41], v[38:39], v[42:43]
	v_mov_b32_e32 v44, v38
	v_sub_f32_e32 v43, v41, v43
	v_sub_f32_e32 v43, v39, v43
	v_add_f32_e32 v45, v29, v43
	v_pk_add_f32 v[38:39], v[40:41], v[38:39] neg_lo:[0,1] neg_hi:[0,1]
	v_pk_add_f32 v[46:47], v[40:41], v[44:45]
	v_mov_b32_e32 v43, v40
	v_mov_b32_e32 v39, v47
	v_pk_add_f32 v[48:49], v[42:43], v[38:39] neg_lo:[0,1] neg_hi:[0,1]
	v_pk_add_f32 v[38:39], v[42:43], v[38:39]
	v_mov_b32_e32 v44, v45
	v_mov_b32_e32 v42, v39
	v_pk_add_f32 v[54:55], v[42:43], v[40:41] neg_lo:[0,1] neg_hi:[0,1]
	v_mov_b32_e32 v38, v47
	v_mov_b32_e32 v29, v54
	v_pk_add_f32 v[56:57], v[46:47], v[28:29] neg_lo:[0,1] neg_hi:[0,1]
	v_mov_b32_e32 v46, v41
	v_mov_b32_e32 v47, v54
	;; [unrolled: 1-line block ×3, first 2 shown]
	v_pk_add_f32 v[38:39], v[38:39], v[46:47] neg_lo:[0,1] neg_hi:[0,1]
	v_mov_b32_e32 v45, v40
	v_pk_add_f32 v[38:39], v[44:45], v[38:39] neg_lo:[0,1] neg_hi:[0,1]
	v_mov_b32_e32 v56, v48
	v_pk_add_f32 v[40:41], v[56:57], v[38:39]
	s_mov_b32 s4, 0x33800000
	v_mov_b32_e32 v44, v41
	v_pk_add_f32 v[44:45], v[40:41], v[44:45]
	v_cmp_lt_f32_e64 s[4:5], |v50|, s4
	v_pk_add_f32 v[42:43], v[42:43], v[44:45]
	v_mov_b32_e32 v39, v44
	v_mov_b32_e32 v41, v42
	v_pk_add_f32 v[46:47], v[40:41], v[48:49] neg_lo:[0,1] neg_hi:[0,1]
	s_or_b64 s[70:71], s[70:71], s[4:5]
	v_sub_f32_e32 v29, v40, v46
	v_pk_add_f32 v[38:39], v[38:39], v[46:47] neg_lo:[0,1] neg_hi:[0,1]
	v_sub_f32_e32 v29, v48, v29
	v_add_f32_e32 v29, v38, v29
	v_add_f32_e32 v29, v29, v39
	;; [unrolled: 1-line block ×3, first 2 shown]
	v_cndmask_b32_e64 v29, v29, v50, s[70:71]
	v_add_f32_e32 v54, v28, v29
.LBB151_68:
	s_or_b64 exec, exec, s[2:3]
	v_max_f32_e32 v28, v54, v54
	v_max_f32_e32 v38, v21, v21
	v_min_f32_e32 v29, v28, v38
	v_cmp_u_f32_e64 s[72:73], v54, v54
	v_max_f32_e32 v28, v28, v38
	v_cmp_u_f32_e64 s[70:71], v21, v21
	v_cndmask_b32_e64 v29, v29, v54, s[72:73]
	v_cndmask_b32_e64 v28, v28, v54, s[72:73]
	;; [unrolled: 1-line block ×4, first 2 shown]
	s_movk_i32 s4, 0x1f8
	v_cmp_neq_f32_e64 s[72:73], v29, v28
	v_cmp_class_f32_e64 s[2:3], v29, s4
	s_or_b64 s[48:49], s[72:73], s[2:3]
	s_and_saveexec_b64 s[2:3], s[48:49]
	s_cbranch_execz .LBB151_70
; %bb.69:
	v_sub_f32_e32 v29, v29, v28
	s_mov_b32 s5, 0x3fb8aa3b
	v_mul_f32_e32 v39, 0x3fb8aa3b, v29
	v_fma_f32 v40, v29, s5, -v39
	v_rndne_f32_e32 v41, v39
	v_fmamk_f32 v40, v29, 0x32a5705f, v40
	v_sub_f32_e32 v39, v39, v41
	v_add_f32_e32 v39, v39, v40
	v_exp_f32_e32 v39, v39
	v_cvt_i32_f32_e32 v40, v41
	s_mov_b32 s5, 0xc2ce8ed0
	v_cmp_ngt_f32_e64 s[72:73], s5, v29
	s_mov_b32 s5, 0x42b17218
	v_ldexp_f32 v39, v39, v40
	v_cndmask_b32_e64 v39, 0, v39, s[72:73]
	v_mov_b32_e32 v40, 0x7f800000
	v_cmp_nlt_f32_e64 s[72:73], s5, v29
	s_mov_b32 s5, 0x3f2aaaab
	s_mov_b32 s6, 0x7f800000
	v_cndmask_b32_e64 v39, v40, v39, s[72:73]
	v_add_f32_e32 v29, 1.0, v39
	v_add_f32_e32 v40, -1.0, v29
	v_sub_f32_e32 v41, v40, v29
	v_add_f32_e32 v41, 1.0, v41
	v_sub_f32_e32 v40, v39, v40
	v_add_f32_e32 v42, v40, v41
	v_frexp_mant_f32_e32 v43, v29
	v_cvt_f64_f32_e32 v[40:41], v29
	v_frexp_exp_i32_f64_e32 v40, v[40:41]
	v_cmp_gt_f32_e64 s[72:73], s5, v43
	s_mov_b32 s5, 0x3f317218
	s_nop 0
	v_subbrev_co_u32_e64 v48, s[72:73], 0, v40, s[72:73]
	v_sub_u32_e32 v40, 0, v48
	v_ldexp_f32 v29, v29, v40
	v_ldexp_f32 v40, v42, v40
	v_add_f32_e32 v42, -1.0, v29
	v_add_f32_e32 v41, 1.0, v42
	v_sub_f32_e32 v41, v29, v41
	v_add_f32_e32 v43, v40, v41
	v_add_f32_e32 v41, 1.0, v29
	v_add_f32_e32 v44, -1.0, v41
	v_sub_f32_e32 v29, v29, v44
	v_add_f32_e32 v29, v40, v29
	v_add_f32_e32 v49, v41, v29
	v_rcp_f32_e32 v50, v49
	v_sub_f32_e32 v40, v41, v49
	v_add_f32_e32 v41, v42, v43
	v_add_f32_e32 v29, v29, v40
	v_mul_f32_e32 v55, v41, v50
	v_sub_f32_e32 v40, v42, v41
	v_mul_f32_e32 v42, v49, v55
	v_fma_f32 v44, v55, v49, -v42
	v_fmac_f32_e32 v44, v55, v29
	v_add_f32_e32 v54, v43, v40
	v_add_f32_e32 v40, v42, v44
	v_sub_f32_e32 v43, v41, v40
	v_pk_add_f32 v[46:47], v[40:41], v[42:43] neg_lo:[0,1] neg_hi:[0,1]
	v_mov_b32_e32 v45, v40
	v_pk_add_f32 v[40:41], v[46:47], v[44:45] neg_lo:[0,1] neg_hi:[0,1]
	v_cmp_eq_f32_e64 s[72:73], s6, v39
	v_add_f32_e32 v41, v54, v41
	v_add_f32_e32 v40, v40, v41
	;; [unrolled: 1-line block ×3, first 2 shown]
	v_mul_f32_e32 v54, v50, v41
	v_mul_f32_e32 v42, v49, v54
	v_fma_f32 v44, v54, v49, -v42
	v_fmac_f32_e32 v44, v54, v29
	v_sub_f32_e32 v29, v43, v41
	v_add_f32_e32 v29, v40, v29
	v_add_f32_e32 v40, v42, v44
	v_sub_f32_e32 v43, v41, v40
	v_pk_add_f32 v[46:47], v[40:41], v[42:43] neg_lo:[0,1] neg_hi:[0,1]
	v_mov_b32_e32 v45, v40
	v_pk_add_f32 v[40:41], v[46:47], v[44:45] neg_lo:[0,1] neg_hi:[0,1]
	v_cvt_f32_i32_e32 v42, v48
	v_add_f32_e32 v29, v29, v41
	v_add_f32_e32 v29, v40, v29
	;; [unrolled: 1-line block ×4, first 2 shown]
	v_sub_f32_e32 v41, v40, v55
	v_mul_f32_e32 v29, v50, v29
	v_sub_f32_e32 v41, v54, v41
	v_add_f32_e32 v29, v41, v29
	v_add_f32_e32 v43, v40, v29
	v_mul_f32_e32 v44, v43, v43
	v_mov_b32_e32 v41, 0x3ecc95a3
	v_fmac_f32_e32 v41, 0x3e9b6dac, v44
	v_sub_f32_e32 v40, v43, v40
	v_fmaak_f32 v41, v44, v41, 0x3f2aaada
	v_sub_f32_e32 v29, v29, v40
	v_ldexp_f32 v45, v43, 1
	v_mul_f32_e32 v43, v43, v44
	v_mov_b32_e32 v40, 0x3f317218
	v_pk_mul_f32 v[40:41], v[42:43], v[40:41]
	v_ldexp_f32 v29, v29, 1
	v_fma_f32 v43, v42, s5, -v40
	v_fmamk_f32 v44, v42, 0xb102e308, v43
	v_pk_add_f32 v[42:43], v[40:41], v[44:45]
	v_mov_b32_e32 v46, v40
	v_sub_f32_e32 v45, v43, v45
	v_sub_f32_e32 v45, v41, v45
	v_add_f32_e32 v47, v29, v45
	v_pk_add_f32 v[40:41], v[42:43], v[40:41] neg_lo:[0,1] neg_hi:[0,1]
	v_pk_add_f32 v[48:49], v[42:43], v[46:47]
	v_mov_b32_e32 v45, v42
	v_mov_b32_e32 v41, v49
	v_pk_add_f32 v[54:55], v[44:45], v[40:41] neg_lo:[0,1] neg_hi:[0,1]
	v_pk_add_f32 v[40:41], v[44:45], v[40:41]
	v_mov_b32_e32 v46, v47
	v_mov_b32_e32 v44, v41
	v_pk_add_f32 v[56:57], v[44:45], v[42:43] neg_lo:[0,1] neg_hi:[0,1]
	v_mov_b32_e32 v40, v49
	v_mov_b32_e32 v29, v56
	v_pk_add_f32 v[58:59], v[48:49], v[28:29] neg_lo:[0,1] neg_hi:[0,1]
	v_mov_b32_e32 v48, v43
	v_mov_b32_e32 v49, v56
	;; [unrolled: 1-line block ×3, first 2 shown]
	v_pk_add_f32 v[40:41], v[40:41], v[48:49] neg_lo:[0,1] neg_hi:[0,1]
	v_mov_b32_e32 v47, v42
	v_pk_add_f32 v[40:41], v[46:47], v[40:41] neg_lo:[0,1] neg_hi:[0,1]
	v_mov_b32_e32 v58, v54
	v_pk_add_f32 v[42:43], v[58:59], v[40:41]
	s_mov_b32 s5, 0x33800000
	v_mov_b32_e32 v46, v43
	v_pk_add_f32 v[46:47], v[42:43], v[46:47]
	v_cmp_lt_f32_e64 s[48:49], |v39|, s5
	v_pk_add_f32 v[44:45], v[44:45], v[46:47]
	v_mov_b32_e32 v41, v46
	v_mov_b32_e32 v43, v44
	v_pk_add_f32 v[48:49], v[42:43], v[54:55] neg_lo:[0,1] neg_hi:[0,1]
	s_or_b64 s[72:73], s[72:73], s[48:49]
	v_sub_f32_e32 v29, v42, v48
	v_pk_add_f32 v[40:41], v[40:41], v[48:49] neg_lo:[0,1] neg_hi:[0,1]
	v_sub_f32_e32 v29, v54, v29
	v_add_f32_e32 v29, v40, v29
	v_add_f32_e32 v29, v29, v41
	;; [unrolled: 1-line block ×3, first 2 shown]
	v_cndmask_b32_e64 v29, v29, v39, s[72:73]
	v_add_f32_e32 v54, v28, v29
.LBB151_70:
	s_or_b64 exec, exec, s[2:3]
	v_max_f32_e32 v28, v54, v54
	v_max_f32_e32 v39, v14, v14
	v_min_f32_e32 v29, v28, v39
	v_cmp_u_f32_e64 s[74:75], v54, v54
	v_max_f32_e32 v28, v28, v39
	v_cmp_u_f32_e64 s[72:73], v14, v14
	v_cndmask_b32_e64 v29, v29, v54, s[74:75]
	v_cndmask_b32_e64 v28, v28, v54, s[74:75]
	;; [unrolled: 1-line block ×4, first 2 shown]
	v_cmp_neq_f32_e64 s[74:75], v29, v28
	v_cmp_class_f32_e64 s[2:3], v29, s4
	s_or_b64 s[4:5], s[74:75], s[2:3]
	s_and_saveexec_b64 s[2:3], s[4:5]
	s_cbranch_execz .LBB151_72
; %bb.71:
	v_sub_f32_e32 v29, v29, v28
	s_mov_b32 s4, 0x3fb8aa3b
	v_mul_f32_e32 v40, 0x3fb8aa3b, v29
	v_fma_f32 v41, v29, s4, -v40
	v_rndne_f32_e32 v42, v40
	v_fmamk_f32 v41, v29, 0x32a5705f, v41
	v_sub_f32_e32 v40, v40, v42
	v_add_f32_e32 v40, v40, v41
	v_exp_f32_e32 v40, v40
	v_cvt_i32_f32_e32 v41, v42
	s_mov_b32 s4, 0xc2ce8ed0
	v_cmp_ngt_f32_e64 s[74:75], s4, v29
	s_mov_b32 s4, 0x42b17218
	v_ldexp_f32 v40, v40, v41
	v_cndmask_b32_e64 v40, 0, v40, s[74:75]
	v_mov_b32_e32 v41, 0x7f800000
	v_cmp_nlt_f32_e64 s[74:75], s4, v29
	s_mov_b32 s4, 0x3f2aaaab
	s_mov_b32 s5, 0x7f800000
	v_cndmask_b32_e64 v50, v41, v40, s[74:75]
	v_add_f32_e32 v29, 1.0, v50
	v_add_f32_e32 v40, -1.0, v29
	v_sub_f32_e32 v41, v40, v29
	v_add_f32_e32 v41, 1.0, v41
	v_sub_f32_e32 v40, v50, v40
	v_add_f32_e32 v42, v40, v41
	v_frexp_mant_f32_e32 v43, v29
	v_cvt_f64_f32_e32 v[40:41], v29
	v_frexp_exp_i32_f64_e32 v40, v[40:41]
	v_cmp_gt_f32_e64 s[74:75], s4, v43
	s_mov_b32 s4, 0x3f317218
	s_nop 0
	v_subbrev_co_u32_e64 v48, s[74:75], 0, v40, s[74:75]
	v_sub_u32_e32 v40, 0, v48
	v_ldexp_f32 v29, v29, v40
	v_ldexp_f32 v40, v42, v40
	v_add_f32_e32 v42, -1.0, v29
	v_add_f32_e32 v41, 1.0, v42
	v_sub_f32_e32 v41, v29, v41
	v_add_f32_e32 v43, v40, v41
	v_add_f32_e32 v41, 1.0, v29
	v_add_f32_e32 v44, -1.0, v41
	v_sub_f32_e32 v29, v29, v44
	v_add_f32_e32 v29, v40, v29
	v_add_f32_e32 v49, v41, v29
	v_rcp_f32_e32 v54, v49
	v_sub_f32_e32 v40, v41, v49
	v_add_f32_e32 v41, v42, v43
	v_add_f32_e32 v29, v29, v40
	v_mul_f32_e32 v56, v41, v54
	v_sub_f32_e32 v40, v42, v41
	v_mul_f32_e32 v42, v49, v56
	v_fma_f32 v44, v56, v49, -v42
	v_fmac_f32_e32 v44, v56, v29
	v_add_f32_e32 v55, v43, v40
	v_add_f32_e32 v40, v42, v44
	v_sub_f32_e32 v43, v41, v40
	v_pk_add_f32 v[46:47], v[40:41], v[42:43] neg_lo:[0,1] neg_hi:[0,1]
	v_mov_b32_e32 v45, v40
	v_pk_add_f32 v[40:41], v[46:47], v[44:45] neg_lo:[0,1] neg_hi:[0,1]
	v_cmp_eq_f32_e64 s[74:75], s5, v50
	v_add_f32_e32 v41, v55, v41
	v_add_f32_e32 v40, v40, v41
	;; [unrolled: 1-line block ×3, first 2 shown]
	v_mul_f32_e32 v55, v54, v41
	v_mul_f32_e32 v42, v49, v55
	v_fma_f32 v44, v55, v49, -v42
	v_fmac_f32_e32 v44, v55, v29
	v_sub_f32_e32 v29, v43, v41
	v_add_f32_e32 v29, v40, v29
	v_add_f32_e32 v40, v42, v44
	v_sub_f32_e32 v43, v41, v40
	v_pk_add_f32 v[46:47], v[40:41], v[42:43] neg_lo:[0,1] neg_hi:[0,1]
	v_mov_b32_e32 v45, v40
	v_pk_add_f32 v[40:41], v[46:47], v[44:45] neg_lo:[0,1] neg_hi:[0,1]
	v_cvt_f32_i32_e32 v42, v48
	v_add_f32_e32 v29, v29, v41
	v_add_f32_e32 v29, v40, v29
	v_add_f32_e32 v40, v56, v55
	v_add_f32_e32 v29, v43, v29
	v_sub_f32_e32 v41, v40, v56
	v_mul_f32_e32 v29, v54, v29
	v_sub_f32_e32 v41, v55, v41
	v_add_f32_e32 v29, v41, v29
	v_add_f32_e32 v43, v40, v29
	v_mul_f32_e32 v44, v43, v43
	v_mov_b32_e32 v41, 0x3ecc95a3
	v_fmac_f32_e32 v41, 0x3e9b6dac, v44
	v_sub_f32_e32 v40, v43, v40
	v_fmaak_f32 v41, v44, v41, 0x3f2aaada
	v_sub_f32_e32 v29, v29, v40
	v_ldexp_f32 v45, v43, 1
	v_mul_f32_e32 v43, v43, v44
	v_mov_b32_e32 v40, 0x3f317218
	v_pk_mul_f32 v[40:41], v[42:43], v[40:41]
	v_ldexp_f32 v29, v29, 1
	v_fma_f32 v43, v42, s4, -v40
	v_fmamk_f32 v44, v42, 0xb102e308, v43
	v_pk_add_f32 v[42:43], v[40:41], v[44:45]
	v_mov_b32_e32 v46, v40
	v_sub_f32_e32 v45, v43, v45
	v_sub_f32_e32 v45, v41, v45
	v_add_f32_e32 v47, v29, v45
	v_pk_add_f32 v[40:41], v[42:43], v[40:41] neg_lo:[0,1] neg_hi:[0,1]
	v_pk_add_f32 v[48:49], v[42:43], v[46:47]
	v_mov_b32_e32 v45, v42
	v_mov_b32_e32 v41, v49
	v_pk_add_f32 v[54:55], v[44:45], v[40:41] neg_lo:[0,1] neg_hi:[0,1]
	v_pk_add_f32 v[40:41], v[44:45], v[40:41]
	v_mov_b32_e32 v46, v47
	v_mov_b32_e32 v44, v41
	v_pk_add_f32 v[56:57], v[44:45], v[42:43] neg_lo:[0,1] neg_hi:[0,1]
	v_mov_b32_e32 v40, v49
	v_mov_b32_e32 v29, v56
	v_pk_add_f32 v[58:59], v[48:49], v[28:29] neg_lo:[0,1] neg_hi:[0,1]
	v_mov_b32_e32 v48, v43
	v_mov_b32_e32 v49, v56
	;; [unrolled: 1-line block ×3, first 2 shown]
	v_pk_add_f32 v[40:41], v[40:41], v[48:49] neg_lo:[0,1] neg_hi:[0,1]
	v_mov_b32_e32 v47, v42
	v_pk_add_f32 v[40:41], v[46:47], v[40:41] neg_lo:[0,1] neg_hi:[0,1]
	v_mov_b32_e32 v58, v54
	v_pk_add_f32 v[42:43], v[58:59], v[40:41]
	s_mov_b32 s4, 0x33800000
	v_mov_b32_e32 v46, v43
	v_pk_add_f32 v[46:47], v[42:43], v[46:47]
	v_cmp_lt_f32_e64 s[4:5], |v50|, s4
	v_pk_add_f32 v[44:45], v[44:45], v[46:47]
	v_mov_b32_e32 v41, v46
	v_mov_b32_e32 v43, v44
	v_pk_add_f32 v[48:49], v[42:43], v[54:55] neg_lo:[0,1] neg_hi:[0,1]
	s_or_b64 s[74:75], s[74:75], s[4:5]
	v_sub_f32_e32 v29, v42, v48
	v_pk_add_f32 v[40:41], v[40:41], v[48:49] neg_lo:[0,1] neg_hi:[0,1]
	v_sub_f32_e32 v29, v54, v29
	v_add_f32_e32 v29, v40, v29
	v_add_f32_e32 v29, v29, v41
	;; [unrolled: 1-line block ×3, first 2 shown]
	v_cndmask_b32_e64 v29, v29, v50, s[74:75]
	v_add_f32_e32 v54, v28, v29
.LBB151_72:
	s_or_b64 exec, exec, s[2:3]
	v_max_f32_e32 v28, v54, v54
	v_max_f32_e32 v40, v15, v15
	v_min_f32_e32 v29, v28, v40
	v_cmp_u_f32_e64 s[76:77], v54, v54
	v_max_f32_e32 v28, v28, v40
	v_cmp_u_f32_e64 s[74:75], v15, v15
	v_cndmask_b32_e64 v29, v29, v54, s[76:77]
	v_cndmask_b32_e64 v28, v28, v54, s[76:77]
	;; [unrolled: 1-line block ×4, first 2 shown]
	s_movk_i32 s4, 0x1f8
	v_cmp_neq_f32_e64 s[76:77], v29, v28
	v_cmp_class_f32_e64 s[2:3], v29, s4
	s_or_b64 s[48:49], s[76:77], s[2:3]
	s_and_saveexec_b64 s[2:3], s[48:49]
	s_cbranch_execz .LBB151_74
; %bb.73:
	v_sub_f32_e32 v29, v29, v28
	s_mov_b32 s5, 0x3fb8aa3b
	v_mul_f32_e32 v41, 0x3fb8aa3b, v29
	v_fma_f32 v42, v29, s5, -v41
	v_rndne_f32_e32 v43, v41
	v_fmamk_f32 v42, v29, 0x32a5705f, v42
	v_sub_f32_e32 v41, v41, v43
	v_add_f32_e32 v41, v41, v42
	v_exp_f32_e32 v41, v41
	v_cvt_i32_f32_e32 v42, v43
	s_mov_b32 s5, 0xc2ce8ed0
	v_cmp_ngt_f32_e64 s[76:77], s5, v29
	s_mov_b32 s5, 0x42b17218
	v_ldexp_f32 v41, v41, v42
	v_cndmask_b32_e64 v41, 0, v41, s[76:77]
	v_mov_b32_e32 v42, 0x7f800000
	v_cmp_nlt_f32_e64 s[76:77], s5, v29
	s_mov_b32 s5, 0x3f2aaaab
	s_mov_b32 s6, 0x7f800000
	v_cndmask_b32_e64 v41, v42, v41, s[76:77]
	v_add_f32_e32 v29, 1.0, v41
	v_add_f32_e32 v42, -1.0, v29
	v_sub_f32_e32 v43, v42, v29
	v_add_f32_e32 v43, 1.0, v43
	v_sub_f32_e32 v42, v41, v42
	v_add_f32_e32 v44, v42, v43
	v_frexp_mant_f32_e32 v45, v29
	v_cvt_f64_f32_e32 v[42:43], v29
	v_frexp_exp_i32_f64_e32 v42, v[42:43]
	v_cmp_gt_f32_e64 s[76:77], s5, v45
	s_mov_b32 s5, 0x3f317218
	s_nop 0
	v_subbrev_co_u32_e64 v50, s[76:77], 0, v42, s[76:77]
	v_sub_u32_e32 v42, 0, v50
	v_ldexp_f32 v29, v29, v42
	v_ldexp_f32 v42, v44, v42
	v_add_f32_e32 v44, -1.0, v29
	v_add_f32_e32 v43, 1.0, v44
	v_sub_f32_e32 v43, v29, v43
	v_add_f32_e32 v45, v42, v43
	v_add_f32_e32 v43, 1.0, v29
	v_add_f32_e32 v46, -1.0, v43
	v_sub_f32_e32 v29, v29, v46
	v_add_f32_e32 v29, v42, v29
	v_add_f32_e32 v54, v43, v29
	v_rcp_f32_e32 v55, v54
	v_sub_f32_e32 v42, v43, v54
	v_add_f32_e32 v43, v44, v45
	v_add_f32_e32 v29, v29, v42
	v_mul_f32_e32 v57, v43, v55
	v_sub_f32_e32 v42, v44, v43
	v_mul_f32_e32 v44, v54, v57
	v_fma_f32 v46, v57, v54, -v44
	v_fmac_f32_e32 v46, v57, v29
	v_add_f32_e32 v56, v45, v42
	v_add_f32_e32 v42, v44, v46
	v_sub_f32_e32 v45, v43, v42
	v_pk_add_f32 v[48:49], v[42:43], v[44:45] neg_lo:[0,1] neg_hi:[0,1]
	v_mov_b32_e32 v47, v42
	v_pk_add_f32 v[42:43], v[48:49], v[46:47] neg_lo:[0,1] neg_hi:[0,1]
	v_cmp_eq_f32_e64 s[76:77], s6, v41
	v_add_f32_e32 v43, v56, v43
	v_add_f32_e32 v42, v42, v43
	;; [unrolled: 1-line block ×3, first 2 shown]
	v_mul_f32_e32 v56, v55, v43
	v_mul_f32_e32 v44, v54, v56
	v_fma_f32 v46, v56, v54, -v44
	v_fmac_f32_e32 v46, v56, v29
	v_sub_f32_e32 v29, v45, v43
	v_add_f32_e32 v29, v42, v29
	v_add_f32_e32 v42, v44, v46
	v_sub_f32_e32 v45, v43, v42
	v_pk_add_f32 v[48:49], v[42:43], v[44:45] neg_lo:[0,1] neg_hi:[0,1]
	v_mov_b32_e32 v47, v42
	v_pk_add_f32 v[42:43], v[48:49], v[46:47] neg_lo:[0,1] neg_hi:[0,1]
	v_cvt_f32_i32_e32 v44, v50
	v_add_f32_e32 v29, v29, v43
	v_add_f32_e32 v29, v42, v29
	;; [unrolled: 1-line block ×4, first 2 shown]
	v_sub_f32_e32 v43, v42, v57
	v_mul_f32_e32 v29, v55, v29
	v_sub_f32_e32 v43, v56, v43
	v_add_f32_e32 v29, v43, v29
	v_add_f32_e32 v45, v42, v29
	v_mul_f32_e32 v46, v45, v45
	v_mov_b32_e32 v43, 0x3ecc95a3
	v_fmac_f32_e32 v43, 0x3e9b6dac, v46
	v_sub_f32_e32 v42, v45, v42
	v_fmaak_f32 v43, v46, v43, 0x3f2aaada
	v_sub_f32_e32 v29, v29, v42
	v_ldexp_f32 v47, v45, 1
	v_mul_f32_e32 v45, v45, v46
	v_mov_b32_e32 v42, 0x3f317218
	v_pk_mul_f32 v[42:43], v[44:45], v[42:43]
	v_ldexp_f32 v29, v29, 1
	v_fma_f32 v45, v44, s5, -v42
	v_fmamk_f32 v46, v44, 0xb102e308, v45
	v_pk_add_f32 v[44:45], v[42:43], v[46:47]
	v_mov_b32_e32 v48, v42
	v_sub_f32_e32 v47, v45, v47
	v_sub_f32_e32 v47, v43, v47
	v_add_f32_e32 v49, v29, v47
	v_pk_add_f32 v[42:43], v[44:45], v[42:43] neg_lo:[0,1] neg_hi:[0,1]
	v_pk_add_f32 v[54:55], v[44:45], v[48:49]
	v_mov_b32_e32 v47, v44
	v_mov_b32_e32 v43, v55
	v_pk_add_f32 v[56:57], v[46:47], v[42:43] neg_lo:[0,1] neg_hi:[0,1]
	v_pk_add_f32 v[42:43], v[46:47], v[42:43]
	v_mov_b32_e32 v48, v49
	v_mov_b32_e32 v46, v43
	v_pk_add_f32 v[58:59], v[46:47], v[44:45] neg_lo:[0,1] neg_hi:[0,1]
	v_mov_b32_e32 v42, v55
	v_mov_b32_e32 v29, v58
	v_pk_add_f32 v[60:61], v[54:55], v[28:29] neg_lo:[0,1] neg_hi:[0,1]
	v_mov_b32_e32 v54, v45
	v_mov_b32_e32 v55, v58
	;; [unrolled: 1-line block ×3, first 2 shown]
	v_pk_add_f32 v[42:43], v[42:43], v[54:55] neg_lo:[0,1] neg_hi:[0,1]
	v_mov_b32_e32 v49, v44
	v_pk_add_f32 v[42:43], v[48:49], v[42:43] neg_lo:[0,1] neg_hi:[0,1]
	v_mov_b32_e32 v60, v56
	v_pk_add_f32 v[44:45], v[60:61], v[42:43]
	s_mov_b32 s5, 0x33800000
	v_mov_b32_e32 v48, v45
	v_pk_add_f32 v[48:49], v[44:45], v[48:49]
	v_cmp_lt_f32_e64 s[48:49], |v41|, s5
	v_pk_add_f32 v[46:47], v[46:47], v[48:49]
	v_mov_b32_e32 v43, v48
	v_mov_b32_e32 v45, v46
	v_pk_add_f32 v[54:55], v[44:45], v[56:57] neg_lo:[0,1] neg_hi:[0,1]
	s_or_b64 s[76:77], s[76:77], s[48:49]
	v_sub_f32_e32 v29, v44, v54
	v_pk_add_f32 v[42:43], v[42:43], v[54:55] neg_lo:[0,1] neg_hi:[0,1]
	v_sub_f32_e32 v29, v56, v29
	v_add_f32_e32 v29, v42, v29
	v_add_f32_e32 v29, v29, v43
	;; [unrolled: 1-line block ×3, first 2 shown]
	v_cndmask_b32_e64 v29, v29, v41, s[76:77]
	v_add_f32_e32 v54, v28, v29
.LBB151_74:
	s_or_b64 exec, exec, s[2:3]
	v_max_f32_e32 v28, v54, v54
	v_max_f32_e32 v41, v16, v16
	v_min_f32_e32 v29, v28, v41
	v_cmp_u_f32_e64 s[78:79], v54, v54
	v_max_f32_e32 v28, v28, v41
	v_cmp_u_f32_e64 s[76:77], v16, v16
	v_cndmask_b32_e64 v29, v29, v54, s[78:79]
	v_cndmask_b32_e64 v28, v28, v54, s[78:79]
	;; [unrolled: 1-line block ×4, first 2 shown]
	v_cmp_neq_f32_e64 s[78:79], v29, v28
	v_cmp_class_f32_e64 s[2:3], v29, s4
	s_or_b64 s[4:5], s[78:79], s[2:3]
	s_and_saveexec_b64 s[2:3], s[4:5]
	s_cbranch_execz .LBB151_76
; %bb.75:
	v_sub_f32_e32 v29, v29, v28
	s_mov_b32 s4, 0x3fb8aa3b
	v_mul_f32_e32 v42, 0x3fb8aa3b, v29
	v_fma_f32 v43, v29, s4, -v42
	v_rndne_f32_e32 v44, v42
	v_fmamk_f32 v43, v29, 0x32a5705f, v43
	v_sub_f32_e32 v42, v42, v44
	v_add_f32_e32 v42, v42, v43
	v_exp_f32_e32 v42, v42
	v_cvt_i32_f32_e32 v43, v44
	s_mov_b32 s4, 0xc2ce8ed0
	v_cmp_ngt_f32_e64 s[78:79], s4, v29
	s_mov_b32 s4, 0x42b17218
	v_ldexp_f32 v42, v42, v43
	v_cndmask_b32_e64 v42, 0, v42, s[78:79]
	v_mov_b32_e32 v43, 0x7f800000
	v_cmp_nlt_f32_e64 s[78:79], s4, v29
	s_mov_b32 s4, 0x3f2aaaab
	s_mov_b32 s5, 0x7f800000
	v_cndmask_b32_e64 v50, v43, v42, s[78:79]
	v_add_f32_e32 v29, 1.0, v50
	v_add_f32_e32 v42, -1.0, v29
	v_sub_f32_e32 v43, v42, v29
	v_add_f32_e32 v43, 1.0, v43
	v_sub_f32_e32 v42, v50, v42
	v_add_f32_e32 v44, v42, v43
	v_frexp_mant_f32_e32 v45, v29
	v_cvt_f64_f32_e32 v[42:43], v29
	v_frexp_exp_i32_f64_e32 v42, v[42:43]
	v_cmp_gt_f32_e64 s[78:79], s4, v45
	s_mov_b32 s4, 0x3f317218
	s_nop 0
	v_subbrev_co_u32_e64 v54, s[78:79], 0, v42, s[78:79]
	v_sub_u32_e32 v42, 0, v54
	v_ldexp_f32 v29, v29, v42
	v_ldexp_f32 v42, v44, v42
	v_add_f32_e32 v44, -1.0, v29
	v_add_f32_e32 v43, 1.0, v44
	v_sub_f32_e32 v43, v29, v43
	v_add_f32_e32 v45, v42, v43
	v_add_f32_e32 v43, 1.0, v29
	v_add_f32_e32 v46, -1.0, v43
	v_sub_f32_e32 v29, v29, v46
	v_add_f32_e32 v29, v42, v29
	v_add_f32_e32 v55, v43, v29
	v_rcp_f32_e32 v56, v55
	v_sub_f32_e32 v42, v43, v55
	v_add_f32_e32 v43, v44, v45
	v_add_f32_e32 v29, v29, v42
	v_mul_f32_e32 v58, v43, v56
	v_sub_f32_e32 v42, v44, v43
	v_mul_f32_e32 v44, v55, v58
	v_fma_f32 v46, v58, v55, -v44
	v_fmac_f32_e32 v46, v58, v29
	v_add_f32_e32 v57, v45, v42
	v_add_f32_e32 v42, v44, v46
	v_sub_f32_e32 v45, v43, v42
	v_pk_add_f32 v[48:49], v[42:43], v[44:45] neg_lo:[0,1] neg_hi:[0,1]
	v_mov_b32_e32 v47, v42
	v_pk_add_f32 v[42:43], v[48:49], v[46:47] neg_lo:[0,1] neg_hi:[0,1]
	v_cmp_eq_f32_e64 s[78:79], s5, v50
	v_add_f32_e32 v43, v57, v43
	v_add_f32_e32 v42, v42, v43
	;; [unrolled: 1-line block ×3, first 2 shown]
	v_mul_f32_e32 v57, v56, v43
	v_mul_f32_e32 v44, v55, v57
	v_fma_f32 v46, v57, v55, -v44
	v_fmac_f32_e32 v46, v57, v29
	v_sub_f32_e32 v29, v45, v43
	v_add_f32_e32 v29, v42, v29
	v_add_f32_e32 v42, v44, v46
	v_sub_f32_e32 v45, v43, v42
	v_pk_add_f32 v[48:49], v[42:43], v[44:45] neg_lo:[0,1] neg_hi:[0,1]
	v_mov_b32_e32 v47, v42
	v_pk_add_f32 v[42:43], v[48:49], v[46:47] neg_lo:[0,1] neg_hi:[0,1]
	v_cvt_f32_i32_e32 v44, v54
	v_add_f32_e32 v29, v29, v43
	v_add_f32_e32 v29, v42, v29
	v_add_f32_e32 v42, v58, v57
	v_add_f32_e32 v29, v45, v29
	v_sub_f32_e32 v43, v42, v58
	v_mul_f32_e32 v29, v56, v29
	v_sub_f32_e32 v43, v57, v43
	v_add_f32_e32 v29, v43, v29
	v_add_f32_e32 v45, v42, v29
	v_mul_f32_e32 v46, v45, v45
	v_mov_b32_e32 v43, 0x3ecc95a3
	v_fmac_f32_e32 v43, 0x3e9b6dac, v46
	v_sub_f32_e32 v42, v45, v42
	v_fmaak_f32 v43, v46, v43, 0x3f2aaada
	v_sub_f32_e32 v29, v29, v42
	v_ldexp_f32 v47, v45, 1
	v_mul_f32_e32 v45, v45, v46
	v_mov_b32_e32 v42, 0x3f317218
	v_pk_mul_f32 v[42:43], v[44:45], v[42:43]
	v_ldexp_f32 v29, v29, 1
	v_fma_f32 v45, v44, s4, -v42
	v_fmamk_f32 v46, v44, 0xb102e308, v45
	v_pk_add_f32 v[44:45], v[42:43], v[46:47]
	v_mov_b32_e32 v48, v42
	v_sub_f32_e32 v47, v45, v47
	v_sub_f32_e32 v47, v43, v47
	v_add_f32_e32 v49, v29, v47
	v_pk_add_f32 v[42:43], v[44:45], v[42:43] neg_lo:[0,1] neg_hi:[0,1]
	v_pk_add_f32 v[54:55], v[44:45], v[48:49]
	v_mov_b32_e32 v47, v44
	v_mov_b32_e32 v43, v55
	v_pk_add_f32 v[56:57], v[46:47], v[42:43] neg_lo:[0,1] neg_hi:[0,1]
	v_pk_add_f32 v[42:43], v[46:47], v[42:43]
	v_mov_b32_e32 v48, v49
	v_mov_b32_e32 v46, v43
	v_pk_add_f32 v[58:59], v[46:47], v[44:45] neg_lo:[0,1] neg_hi:[0,1]
	v_mov_b32_e32 v42, v55
	v_mov_b32_e32 v29, v58
	v_pk_add_f32 v[60:61], v[54:55], v[28:29] neg_lo:[0,1] neg_hi:[0,1]
	v_mov_b32_e32 v54, v45
	v_mov_b32_e32 v55, v58
	;; [unrolled: 1-line block ×3, first 2 shown]
	v_pk_add_f32 v[42:43], v[42:43], v[54:55] neg_lo:[0,1] neg_hi:[0,1]
	v_mov_b32_e32 v49, v44
	v_pk_add_f32 v[42:43], v[48:49], v[42:43] neg_lo:[0,1] neg_hi:[0,1]
	v_mov_b32_e32 v60, v56
	v_pk_add_f32 v[44:45], v[60:61], v[42:43]
	s_mov_b32 s4, 0x33800000
	v_mov_b32_e32 v48, v45
	v_pk_add_f32 v[48:49], v[44:45], v[48:49]
	v_cmp_lt_f32_e64 s[4:5], |v50|, s4
	v_pk_add_f32 v[46:47], v[46:47], v[48:49]
	v_mov_b32_e32 v43, v48
	v_mov_b32_e32 v45, v46
	v_pk_add_f32 v[54:55], v[44:45], v[56:57] neg_lo:[0,1] neg_hi:[0,1]
	s_or_b64 s[78:79], s[78:79], s[4:5]
	v_sub_f32_e32 v29, v44, v54
	v_pk_add_f32 v[42:43], v[42:43], v[54:55] neg_lo:[0,1] neg_hi:[0,1]
	v_sub_f32_e32 v29, v56, v29
	v_add_f32_e32 v29, v42, v29
	v_add_f32_e32 v29, v29, v43
	;; [unrolled: 1-line block ×3, first 2 shown]
	v_cndmask_b32_e64 v29, v29, v50, s[78:79]
	v_add_f32_e32 v54, v28, v29
.LBB151_76:
	s_or_b64 exec, exec, s[2:3]
	v_max_f32_e32 v28, v54, v54
	v_max_f32_e32 v42, v17, v17
	v_min_f32_e32 v29, v28, v42
	v_cmp_u_f32_e64 s[80:81], v54, v54
	v_max_f32_e32 v28, v28, v42
	v_cmp_u_f32_e64 s[78:79], v17, v17
	v_cndmask_b32_e64 v29, v29, v54, s[80:81]
	v_cndmask_b32_e64 v28, v28, v54, s[80:81]
	;; [unrolled: 1-line block ×4, first 2 shown]
	s_movk_i32 s4, 0x1f8
	v_cmp_neq_f32_e64 s[80:81], v29, v28
	v_cmp_class_f32_e64 s[2:3], v29, s4
	s_or_b64 s[48:49], s[80:81], s[2:3]
	s_and_saveexec_b64 s[2:3], s[48:49]
	s_cbranch_execz .LBB151_78
; %bb.77:
	v_sub_f32_e32 v29, v29, v28
	s_mov_b32 s5, 0x3fb8aa3b
	v_mul_f32_e32 v43, 0x3fb8aa3b, v29
	v_fma_f32 v44, v29, s5, -v43
	v_rndne_f32_e32 v45, v43
	v_fmamk_f32 v44, v29, 0x32a5705f, v44
	v_sub_f32_e32 v43, v43, v45
	v_add_f32_e32 v43, v43, v44
	v_exp_f32_e32 v43, v43
	v_cvt_i32_f32_e32 v44, v45
	s_mov_b32 s5, 0xc2ce8ed0
	v_cmp_ngt_f32_e64 s[80:81], s5, v29
	s_mov_b32 s5, 0x42b17218
	v_ldexp_f32 v43, v43, v44
	v_cndmask_b32_e64 v43, 0, v43, s[80:81]
	v_mov_b32_e32 v44, 0x7f800000
	v_cmp_nlt_f32_e64 s[80:81], s5, v29
	s_mov_b32 s5, 0x3f2aaaab
	s_mov_b32 s6, 0x7f800000
	v_cndmask_b32_e64 v43, v44, v43, s[80:81]
	v_add_f32_e32 v29, 1.0, v43
	v_add_f32_e32 v44, -1.0, v29
	v_sub_f32_e32 v45, v44, v29
	v_add_f32_e32 v45, 1.0, v45
	v_sub_f32_e32 v44, v43, v44
	v_add_f32_e32 v46, v44, v45
	v_frexp_mant_f32_e32 v47, v29
	v_cvt_f64_f32_e32 v[44:45], v29
	v_frexp_exp_i32_f64_e32 v44, v[44:45]
	v_cmp_gt_f32_e64 s[80:81], s5, v47
	s_mov_b32 s5, 0x3f317218
	s_nop 0
	v_subbrev_co_u32_e64 v50, s[80:81], 0, v44, s[80:81]
	v_sub_u32_e32 v44, 0, v50
	v_ldexp_f32 v29, v29, v44
	v_ldexp_f32 v44, v46, v44
	v_add_f32_e32 v46, -1.0, v29
	v_add_f32_e32 v45, 1.0, v46
	v_sub_f32_e32 v45, v29, v45
	v_add_f32_e32 v47, v44, v45
	v_add_f32_e32 v45, 1.0, v29
	v_add_f32_e32 v48, -1.0, v45
	v_sub_f32_e32 v29, v29, v48
	v_add_f32_e32 v29, v44, v29
	v_add_f32_e32 v56, v45, v29
	v_rcp_f32_e32 v57, v56
	v_sub_f32_e32 v44, v45, v56
	v_add_f32_e32 v45, v46, v47
	v_add_f32_e32 v29, v29, v44
	v_mul_f32_e32 v59, v45, v57
	v_sub_f32_e32 v44, v46, v45
	v_mul_f32_e32 v46, v56, v59
	v_fma_f32 v48, v59, v56, -v46
	v_fmac_f32_e32 v48, v59, v29
	v_add_f32_e32 v58, v47, v44
	v_add_f32_e32 v44, v46, v48
	v_sub_f32_e32 v47, v45, v44
	v_pk_add_f32 v[54:55], v[44:45], v[46:47] neg_lo:[0,1] neg_hi:[0,1]
	v_mov_b32_e32 v49, v44
	v_pk_add_f32 v[44:45], v[54:55], v[48:49] neg_lo:[0,1] neg_hi:[0,1]
	v_cmp_eq_f32_e64 s[80:81], s6, v43
	v_add_f32_e32 v45, v58, v45
	v_add_f32_e32 v44, v44, v45
	;; [unrolled: 1-line block ×3, first 2 shown]
	v_mul_f32_e32 v58, v57, v45
	v_mul_f32_e32 v46, v56, v58
	v_fma_f32 v48, v58, v56, -v46
	v_fmac_f32_e32 v48, v58, v29
	v_sub_f32_e32 v29, v47, v45
	v_add_f32_e32 v29, v44, v29
	v_add_f32_e32 v44, v46, v48
	v_sub_f32_e32 v47, v45, v44
	v_pk_add_f32 v[54:55], v[44:45], v[46:47] neg_lo:[0,1] neg_hi:[0,1]
	v_mov_b32_e32 v49, v44
	v_pk_add_f32 v[44:45], v[54:55], v[48:49] neg_lo:[0,1] neg_hi:[0,1]
	v_cvt_f32_i32_e32 v46, v50
	v_add_f32_e32 v29, v29, v45
	v_add_f32_e32 v29, v44, v29
	;; [unrolled: 1-line block ×4, first 2 shown]
	v_sub_f32_e32 v45, v44, v59
	v_mul_f32_e32 v29, v57, v29
	v_sub_f32_e32 v45, v58, v45
	v_add_f32_e32 v29, v45, v29
	v_add_f32_e32 v47, v44, v29
	v_mul_f32_e32 v48, v47, v47
	v_mov_b32_e32 v45, 0x3ecc95a3
	v_fmac_f32_e32 v45, 0x3e9b6dac, v48
	v_sub_f32_e32 v44, v47, v44
	v_fmaak_f32 v45, v48, v45, 0x3f2aaada
	v_sub_f32_e32 v29, v29, v44
	v_ldexp_f32 v49, v47, 1
	v_mul_f32_e32 v47, v47, v48
	v_mov_b32_e32 v44, 0x3f317218
	v_pk_mul_f32 v[44:45], v[46:47], v[44:45]
	v_ldexp_f32 v29, v29, 1
	v_fma_f32 v47, v46, s5, -v44
	v_fmamk_f32 v48, v46, 0xb102e308, v47
	v_pk_add_f32 v[46:47], v[44:45], v[48:49]
	v_mov_b32_e32 v54, v44
	v_sub_f32_e32 v49, v47, v49
	v_sub_f32_e32 v49, v45, v49
	v_add_f32_e32 v55, v29, v49
	v_pk_add_f32 v[44:45], v[46:47], v[44:45] neg_lo:[0,1] neg_hi:[0,1]
	v_pk_add_f32 v[56:57], v[46:47], v[54:55]
	v_mov_b32_e32 v49, v46
	v_mov_b32_e32 v45, v57
	v_pk_add_f32 v[58:59], v[48:49], v[44:45] neg_lo:[0,1] neg_hi:[0,1]
	v_pk_add_f32 v[44:45], v[48:49], v[44:45]
	v_mov_b32_e32 v54, v55
	v_mov_b32_e32 v48, v45
	v_pk_add_f32 v[60:61], v[48:49], v[46:47] neg_lo:[0,1] neg_hi:[0,1]
	v_mov_b32_e32 v44, v57
	v_mov_b32_e32 v29, v60
	v_pk_add_f32 v[62:63], v[56:57], v[28:29] neg_lo:[0,1] neg_hi:[0,1]
	v_mov_b32_e32 v56, v47
	v_mov_b32_e32 v57, v60
	;; [unrolled: 1-line block ×3, first 2 shown]
	v_pk_add_f32 v[44:45], v[44:45], v[56:57] neg_lo:[0,1] neg_hi:[0,1]
	v_mov_b32_e32 v55, v46
	v_pk_add_f32 v[44:45], v[54:55], v[44:45] neg_lo:[0,1] neg_hi:[0,1]
	v_mov_b32_e32 v62, v58
	v_pk_add_f32 v[46:47], v[62:63], v[44:45]
	s_mov_b32 s5, 0x33800000
	v_mov_b32_e32 v50, v47
	v_pk_add_f32 v[54:55], v[46:47], v[50:51]
	v_cmp_lt_f32_e64 s[48:49], |v43|, s5
	v_pk_add_f32 v[48:49], v[48:49], v[54:55]
	v_mov_b32_e32 v45, v54
	v_mov_b32_e32 v47, v48
	v_pk_add_f32 v[56:57], v[46:47], v[58:59] neg_lo:[0,1] neg_hi:[0,1]
	s_or_b64 s[80:81], s[80:81], s[48:49]
	v_sub_f32_e32 v29, v46, v56
	v_pk_add_f32 v[44:45], v[44:45], v[56:57] neg_lo:[0,1] neg_hi:[0,1]
	v_sub_f32_e32 v29, v58, v29
	v_add_f32_e32 v29, v44, v29
	v_add_f32_e32 v29, v29, v45
	;; [unrolled: 1-line block ×3, first 2 shown]
	v_cndmask_b32_e64 v29, v29, v43, s[80:81]
	v_add_f32_e32 v54, v28, v29
.LBB151_78:
	s_or_b64 exec, exec, s[2:3]
	v_max_f32_e32 v28, v54, v54
	v_max_f32_e32 v43, v10, v10
	v_min_f32_e32 v29, v28, v43
	v_cmp_u_f32_e64 s[82:83], v54, v54
	v_max_f32_e32 v28, v28, v43
	v_cmp_u_f32_e64 s[80:81], v10, v10
	v_cndmask_b32_e64 v29, v29, v54, s[82:83]
	v_cndmask_b32_e64 v28, v28, v54, s[82:83]
	;; [unrolled: 1-line block ×4, first 2 shown]
	v_cmp_neq_f32_e64 s[82:83], v29, v28
	v_cmp_class_f32_e64 s[2:3], v29, s4
	s_or_b64 s[4:5], s[82:83], s[2:3]
	s_and_saveexec_b64 s[2:3], s[4:5]
	s_cbranch_execz .LBB151_80
; %bb.79:
	v_sub_f32_e32 v29, v29, v28
	s_mov_b32 s4, 0x3fb8aa3b
	v_mul_f32_e32 v44, 0x3fb8aa3b, v29
	v_fma_f32 v45, v29, s4, -v44
	v_rndne_f32_e32 v46, v44
	v_fmamk_f32 v45, v29, 0x32a5705f, v45
	v_sub_f32_e32 v44, v44, v46
	v_add_f32_e32 v44, v44, v45
	v_exp_f32_e32 v44, v44
	v_cvt_i32_f32_e32 v45, v46
	s_mov_b32 s4, 0xc2ce8ed0
	v_cmp_ngt_f32_e64 s[82:83], s4, v29
	s_mov_b32 s4, 0x42b17218
	v_ldexp_f32 v44, v44, v45
	v_cndmask_b32_e64 v44, 0, v44, s[82:83]
	v_mov_b32_e32 v45, 0x7f800000
	v_cmp_nlt_f32_e64 s[82:83], s4, v29
	s_mov_b32 s4, 0x3f2aaaab
	s_mov_b32 s5, 0x7f800000
	v_cndmask_b32_e64 v64, v45, v44, s[82:83]
	v_add_f32_e32 v29, 1.0, v64
	v_add_f32_e32 v44, -1.0, v29
	v_sub_f32_e32 v45, v44, v29
	v_add_f32_e32 v45, 1.0, v45
	v_sub_f32_e32 v44, v64, v44
	v_add_f32_e32 v46, v44, v45
	v_frexp_mant_f32_e32 v47, v29
	v_cvt_f64_f32_e32 v[44:45], v29
	v_frexp_exp_i32_f64_e32 v44, v[44:45]
	v_cmp_gt_f32_e64 s[82:83], s4, v47
	s_mov_b32 s4, 0x3f317218
	s_nop 0
	v_subbrev_co_u32_e64 v50, s[82:83], 0, v44, s[82:83]
	v_sub_u32_e32 v44, 0, v50
	v_ldexp_f32 v29, v29, v44
	v_ldexp_f32 v44, v46, v44
	v_add_f32_e32 v46, -1.0, v29
	v_add_f32_e32 v45, 1.0, v46
	v_sub_f32_e32 v45, v29, v45
	v_add_f32_e32 v47, v44, v45
	v_add_f32_e32 v45, 1.0, v29
	v_add_f32_e32 v48, -1.0, v45
	v_sub_f32_e32 v29, v29, v48
	v_add_f32_e32 v29, v44, v29
	v_add_f32_e32 v56, v45, v29
	v_rcp_f32_e32 v57, v56
	v_sub_f32_e32 v44, v45, v56
	v_add_f32_e32 v45, v46, v47
	v_add_f32_e32 v29, v29, v44
	v_mul_f32_e32 v59, v45, v57
	v_sub_f32_e32 v44, v46, v45
	v_mul_f32_e32 v46, v56, v59
	v_fma_f32 v48, v59, v56, -v46
	v_fmac_f32_e32 v48, v59, v29
	v_add_f32_e32 v58, v47, v44
	v_add_f32_e32 v44, v46, v48
	v_sub_f32_e32 v47, v45, v44
	v_pk_add_f32 v[54:55], v[44:45], v[46:47] neg_lo:[0,1] neg_hi:[0,1]
	v_mov_b32_e32 v49, v44
	v_pk_add_f32 v[44:45], v[54:55], v[48:49] neg_lo:[0,1] neg_hi:[0,1]
	v_cmp_eq_f32_e64 s[82:83], s5, v64
	v_add_f32_e32 v45, v58, v45
	v_add_f32_e32 v44, v44, v45
	;; [unrolled: 1-line block ×3, first 2 shown]
	v_mul_f32_e32 v58, v57, v45
	v_mul_f32_e32 v46, v56, v58
	v_fma_f32 v48, v58, v56, -v46
	v_fmac_f32_e32 v48, v58, v29
	v_sub_f32_e32 v29, v47, v45
	v_add_f32_e32 v29, v44, v29
	v_add_f32_e32 v44, v46, v48
	v_sub_f32_e32 v47, v45, v44
	v_pk_add_f32 v[54:55], v[44:45], v[46:47] neg_lo:[0,1] neg_hi:[0,1]
	v_mov_b32_e32 v49, v44
	v_pk_add_f32 v[44:45], v[54:55], v[48:49] neg_lo:[0,1] neg_hi:[0,1]
	v_cvt_f32_i32_e32 v46, v50
	v_add_f32_e32 v29, v29, v45
	v_add_f32_e32 v29, v44, v29
	;; [unrolled: 1-line block ×4, first 2 shown]
	v_sub_f32_e32 v45, v44, v59
	v_mul_f32_e32 v29, v57, v29
	v_sub_f32_e32 v45, v58, v45
	v_add_f32_e32 v29, v45, v29
	v_add_f32_e32 v47, v44, v29
	v_mul_f32_e32 v48, v47, v47
	v_mov_b32_e32 v45, 0x3ecc95a3
	v_fmac_f32_e32 v45, 0x3e9b6dac, v48
	v_sub_f32_e32 v44, v47, v44
	v_fmaak_f32 v45, v48, v45, 0x3f2aaada
	v_sub_f32_e32 v29, v29, v44
	v_ldexp_f32 v49, v47, 1
	v_mul_f32_e32 v47, v47, v48
	v_mov_b32_e32 v44, 0x3f317218
	v_pk_mul_f32 v[44:45], v[46:47], v[44:45]
	v_ldexp_f32 v29, v29, 1
	v_fma_f32 v47, v46, s4, -v44
	v_fmamk_f32 v48, v46, 0xb102e308, v47
	v_pk_add_f32 v[46:47], v[44:45], v[48:49]
	v_mov_b32_e32 v54, v44
	v_sub_f32_e32 v49, v47, v49
	v_sub_f32_e32 v49, v45, v49
	v_add_f32_e32 v55, v29, v49
	v_pk_add_f32 v[44:45], v[46:47], v[44:45] neg_lo:[0,1] neg_hi:[0,1]
	v_pk_add_f32 v[56:57], v[46:47], v[54:55]
	v_mov_b32_e32 v49, v46
	v_mov_b32_e32 v45, v57
	v_pk_add_f32 v[58:59], v[48:49], v[44:45] neg_lo:[0,1] neg_hi:[0,1]
	v_pk_add_f32 v[44:45], v[48:49], v[44:45]
	v_mov_b32_e32 v54, v55
	v_mov_b32_e32 v48, v45
	v_pk_add_f32 v[60:61], v[48:49], v[46:47] neg_lo:[0,1] neg_hi:[0,1]
	v_mov_b32_e32 v44, v57
	v_mov_b32_e32 v29, v60
	v_pk_add_f32 v[62:63], v[56:57], v[28:29] neg_lo:[0,1] neg_hi:[0,1]
	v_mov_b32_e32 v56, v47
	v_mov_b32_e32 v57, v60
	;; [unrolled: 1-line block ×3, first 2 shown]
	v_pk_add_f32 v[44:45], v[44:45], v[56:57] neg_lo:[0,1] neg_hi:[0,1]
	v_mov_b32_e32 v55, v46
	v_pk_add_f32 v[44:45], v[54:55], v[44:45] neg_lo:[0,1] neg_hi:[0,1]
	v_mov_b32_e32 v62, v58
	v_pk_add_f32 v[46:47], v[62:63], v[44:45]
	s_mov_b32 s4, 0x33800000
	v_mov_b32_e32 v50, v47
	v_pk_add_f32 v[54:55], v[46:47], v[50:51]
	v_cmp_lt_f32_e64 s[4:5], |v64|, s4
	v_pk_add_f32 v[48:49], v[48:49], v[54:55]
	v_mov_b32_e32 v45, v54
	v_mov_b32_e32 v47, v48
	v_pk_add_f32 v[56:57], v[46:47], v[58:59] neg_lo:[0,1] neg_hi:[0,1]
	s_or_b64 s[82:83], s[82:83], s[4:5]
	v_sub_f32_e32 v29, v46, v56
	v_pk_add_f32 v[44:45], v[44:45], v[56:57] neg_lo:[0,1] neg_hi:[0,1]
	v_sub_f32_e32 v29, v58, v29
	v_add_f32_e32 v29, v44, v29
	v_add_f32_e32 v29, v29, v45
	;; [unrolled: 1-line block ×3, first 2 shown]
	v_cndmask_b32_e64 v29, v29, v64, s[82:83]
	v_add_f32_e32 v54, v28, v29
.LBB151_80:
	s_or_b64 exec, exec, s[2:3]
	v_max_f32_e32 v28, v54, v54
	v_max_f32_e32 v44, v11, v11
	v_min_f32_e32 v29, v28, v44
	v_cmp_u_f32_e64 s[84:85], v54, v54
	v_max_f32_e32 v28, v28, v44
	v_cmp_u_f32_e64 s[82:83], v11, v11
	v_cndmask_b32_e64 v29, v29, v54, s[84:85]
	v_cndmask_b32_e64 v28, v28, v54, s[84:85]
	;; [unrolled: 1-line block ×4, first 2 shown]
	s_movk_i32 s4, 0x1f8
	v_cmp_neq_f32_e64 s[84:85], v29, v28
	v_cmp_class_f32_e64 s[2:3], v29, s4
	s_or_b64 s[48:49], s[84:85], s[2:3]
	s_and_saveexec_b64 s[2:3], s[48:49]
	s_cbranch_execz .LBB151_82
; %bb.81:
	v_sub_f32_e32 v29, v29, v28
	s_mov_b32 s5, 0x3fb8aa3b
	v_mul_f32_e32 v45, 0x3fb8aa3b, v29
	v_fma_f32 v46, v29, s5, -v45
	v_rndne_f32_e32 v47, v45
	v_fmamk_f32 v46, v29, 0x32a5705f, v46
	v_sub_f32_e32 v45, v45, v47
	v_add_f32_e32 v45, v45, v46
	v_exp_f32_e32 v45, v45
	v_cvt_i32_f32_e32 v46, v47
	s_mov_b32 s5, 0xc2ce8ed0
	v_cmp_ngt_f32_e64 s[84:85], s5, v29
	s_mov_b32 s5, 0x42b17218
	v_ldexp_f32 v45, v45, v46
	v_cndmask_b32_e64 v45, 0, v45, s[84:85]
	v_mov_b32_e32 v46, 0x7f800000
	v_cmp_nlt_f32_e64 s[84:85], s5, v29
	s_mov_b32 s5, 0x3f2aaaab
	s_mov_b32 s6, 0x7f800000
	v_cndmask_b32_e64 v45, v46, v45, s[84:85]
	v_add_f32_e32 v29, 1.0, v45
	v_add_f32_e32 v46, -1.0, v29
	v_sub_f32_e32 v47, v46, v29
	v_add_f32_e32 v47, 1.0, v47
	v_sub_f32_e32 v46, v45, v46
	v_add_f32_e32 v48, v46, v47
	v_frexp_mant_f32_e32 v49, v29
	v_cvt_f64_f32_e32 v[46:47], v29
	v_frexp_exp_i32_f64_e32 v46, v[46:47]
	v_cmp_gt_f32_e64 s[84:85], s5, v49
	s_mov_b32 s5, 0x3f317218
	s_nop 0
	v_subbrev_co_u32_e64 v50, s[84:85], 0, v46, s[84:85]
	v_sub_u32_e32 v46, 0, v50
	v_ldexp_f32 v29, v29, v46
	v_ldexp_f32 v46, v48, v46
	v_add_f32_e32 v48, -1.0, v29
	v_add_f32_e32 v47, 1.0, v48
	v_sub_f32_e32 v47, v29, v47
	v_add_f32_e32 v49, v46, v47
	v_add_f32_e32 v47, 1.0, v29
	v_add_f32_e32 v54, -1.0, v47
	v_sub_f32_e32 v29, v29, v54
	v_add_f32_e32 v29, v46, v29
	v_add_f32_e32 v58, v47, v29
	v_rcp_f32_e32 v59, v58
	v_sub_f32_e32 v46, v47, v58
	v_add_f32_e32 v47, v48, v49
	v_add_f32_e32 v29, v29, v46
	v_mul_f32_e32 v61, v47, v59
	v_sub_f32_e32 v46, v48, v47
	v_mul_f32_e32 v48, v58, v61
	v_fma_f32 v54, v61, v58, -v48
	v_fmac_f32_e32 v54, v61, v29
	v_add_f32_e32 v60, v49, v46
	v_add_f32_e32 v46, v48, v54
	v_sub_f32_e32 v49, v47, v46
	v_pk_add_f32 v[56:57], v[46:47], v[48:49] neg_lo:[0,1] neg_hi:[0,1]
	v_mov_b32_e32 v55, v46
	v_pk_add_f32 v[46:47], v[56:57], v[54:55] neg_lo:[0,1] neg_hi:[0,1]
	v_cmp_eq_f32_e64 s[84:85], s6, v45
	v_add_f32_e32 v47, v60, v47
	v_add_f32_e32 v46, v46, v47
	;; [unrolled: 1-line block ×3, first 2 shown]
	v_mul_f32_e32 v60, v59, v47
	v_mul_f32_e32 v48, v58, v60
	v_fma_f32 v54, v60, v58, -v48
	v_fmac_f32_e32 v54, v60, v29
	v_sub_f32_e32 v29, v49, v47
	v_add_f32_e32 v29, v46, v29
	v_add_f32_e32 v46, v48, v54
	v_sub_f32_e32 v49, v47, v46
	v_pk_add_f32 v[56:57], v[46:47], v[48:49] neg_lo:[0,1] neg_hi:[0,1]
	v_mov_b32_e32 v55, v46
	v_pk_add_f32 v[46:47], v[56:57], v[54:55] neg_lo:[0,1] neg_hi:[0,1]
	v_cvt_f32_i32_e32 v48, v50
	v_add_f32_e32 v29, v29, v47
	v_add_f32_e32 v29, v46, v29
	;; [unrolled: 1-line block ×4, first 2 shown]
	v_sub_f32_e32 v47, v46, v61
	v_mul_f32_e32 v29, v59, v29
	v_sub_f32_e32 v47, v60, v47
	v_add_f32_e32 v29, v47, v29
	v_add_f32_e32 v49, v46, v29
	v_mul_f32_e32 v54, v49, v49
	v_mov_b32_e32 v47, 0x3ecc95a3
	v_fmac_f32_e32 v47, 0x3e9b6dac, v54
	v_sub_f32_e32 v46, v49, v46
	v_fmaak_f32 v47, v54, v47, 0x3f2aaada
	v_sub_f32_e32 v29, v29, v46
	v_ldexp_f32 v55, v49, 1
	v_mul_f32_e32 v49, v49, v54
	v_mov_b32_e32 v46, 0x3f317218
	v_pk_mul_f32 v[46:47], v[48:49], v[46:47]
	v_ldexp_f32 v29, v29, 1
	v_fma_f32 v49, v48, s5, -v46
	v_fmamk_f32 v54, v48, 0xb102e308, v49
	v_pk_add_f32 v[48:49], v[46:47], v[54:55]
	v_mov_b32_e32 v56, v46
	v_sub_f32_e32 v50, v49, v55
	v_sub_f32_e32 v50, v47, v50
	v_add_f32_e32 v57, v29, v50
	v_pk_add_f32 v[46:47], v[48:49], v[46:47] neg_lo:[0,1] neg_hi:[0,1]
	v_pk_add_f32 v[58:59], v[48:49], v[56:57]
	v_mov_b32_e32 v55, v48
	v_mov_b32_e32 v47, v59
	v_pk_add_f32 v[60:61], v[54:55], v[46:47] neg_lo:[0,1] neg_hi:[0,1]
	v_pk_add_f32 v[46:47], v[54:55], v[46:47]
	s_mov_b32 s5, 0x33800000
	v_mov_b32_e32 v50, v47
	v_pk_add_f32 v[54:55], v[50:51], v[48:49] neg_lo:[0,1] neg_hi:[0,1]
	v_mov_b32_e32 v46, v59
	v_mov_b32_e32 v29, v54
	v_pk_add_f32 v[62:63], v[58:59], v[28:29] neg_lo:[0,1] neg_hi:[0,1]
	v_mov_b32_e32 v58, v49
	v_mov_b32_e32 v59, v54
	;; [unrolled: 1-line block ×3, first 2 shown]
	v_pk_add_f32 v[46:47], v[46:47], v[58:59] neg_lo:[0,1] neg_hi:[0,1]
	v_mov_b32_e32 v54, v57
	v_mov_b32_e32 v55, v48
	v_pk_add_f32 v[46:47], v[54:55], v[46:47] neg_lo:[0,1] neg_hi:[0,1]
	v_mov_b32_e32 v62, v60
	v_pk_add_f32 v[48:49], v[62:63], v[46:47]
	v_cmp_lt_f32_e64 s[48:49], |v45|, s5
	v_mov_b32_e32 v54, v49
	v_pk_add_f32 v[54:55], v[48:49], v[54:55]
	s_or_b64 s[84:85], s[84:85], s[48:49]
	v_pk_add_f32 v[56:57], v[50:51], v[54:55]
	v_mov_b32_e32 v47, v54
	v_mov_b32_e32 v49, v56
	v_pk_add_f32 v[58:59], v[48:49], v[60:61] neg_lo:[0,1] neg_hi:[0,1]
	s_nop 0
	v_sub_f32_e32 v29, v48, v58
	v_pk_add_f32 v[46:47], v[46:47], v[58:59] neg_lo:[0,1] neg_hi:[0,1]
	v_sub_f32_e32 v29, v60, v29
	v_add_f32_e32 v29, v46, v29
	v_add_f32_e32 v29, v29, v47
	;; [unrolled: 1-line block ×3, first 2 shown]
	v_cndmask_b32_e64 v29, v29, v45, s[84:85]
	v_add_f32_e32 v54, v28, v29
.LBB151_82:
	s_or_b64 exec, exec, s[2:3]
	v_max_f32_e32 v28, v54, v54
	v_max_f32_e32 v45, v12, v12
	v_min_f32_e32 v29, v28, v45
	v_cmp_u_f32_e64 s[86:87], v54, v54
	v_max_f32_e32 v28, v28, v45
	v_cmp_u_f32_e64 s[84:85], v12, v12
	v_cndmask_b32_e64 v29, v29, v54, s[86:87]
	v_cndmask_b32_e64 v28, v28, v54, s[86:87]
	;; [unrolled: 1-line block ×4, first 2 shown]
	v_cmp_neq_f32_e64 s[86:87], v29, v28
	v_cmp_class_f32_e64 s[2:3], v29, s4
	s_or_b64 s[4:5], s[86:87], s[2:3]
	s_and_saveexec_b64 s[2:3], s[4:5]
	s_cbranch_execz .LBB151_84
; %bb.83:
	v_sub_f32_e32 v29, v29, v28
	s_mov_b32 s4, 0x3fb8aa3b
	v_mul_f32_e32 v46, 0x3fb8aa3b, v29
	v_fma_f32 v47, v29, s4, -v46
	v_rndne_f32_e32 v48, v46
	v_fmamk_f32 v47, v29, 0x32a5705f, v47
	v_sub_f32_e32 v46, v46, v48
	v_add_f32_e32 v46, v46, v47
	v_exp_f32_e32 v46, v46
	v_cvt_i32_f32_e32 v47, v48
	s_mov_b32 s4, 0xc2ce8ed0
	v_cmp_ngt_f32_e64 s[86:87], s4, v29
	s_mov_b32 s4, 0x42b17218
	v_ldexp_f32 v46, v46, v47
	v_cndmask_b32_e64 v46, 0, v46, s[86:87]
	v_mov_b32_e32 v47, 0x7f800000
	v_cmp_nlt_f32_e64 s[86:87], s4, v29
	s_mov_b32 s4, 0x3f2aaaab
	s_mov_b32 s5, 0x7f800000
	v_cndmask_b32_e64 v64, v47, v46, s[86:87]
	v_add_f32_e32 v29, 1.0, v64
	v_add_f32_e32 v46, -1.0, v29
	v_sub_f32_e32 v47, v46, v29
	v_add_f32_e32 v47, 1.0, v47
	v_sub_f32_e32 v46, v64, v46
	v_add_f32_e32 v48, v46, v47
	v_frexp_mant_f32_e32 v49, v29
	v_cvt_f64_f32_e32 v[46:47], v29
	v_frexp_exp_i32_f64_e32 v46, v[46:47]
	v_cmp_gt_f32_e64 s[86:87], s4, v49
	s_mov_b32 s4, 0x3f317218
	s_nop 0
	v_subbrev_co_u32_e64 v50, s[86:87], 0, v46, s[86:87]
	v_sub_u32_e32 v46, 0, v50
	v_ldexp_f32 v29, v29, v46
	v_ldexp_f32 v46, v48, v46
	v_add_f32_e32 v48, -1.0, v29
	v_add_f32_e32 v47, 1.0, v48
	v_sub_f32_e32 v47, v29, v47
	v_add_f32_e32 v49, v46, v47
	v_add_f32_e32 v47, 1.0, v29
	v_add_f32_e32 v54, -1.0, v47
	v_sub_f32_e32 v29, v29, v54
	v_add_f32_e32 v29, v46, v29
	v_add_f32_e32 v58, v47, v29
	v_rcp_f32_e32 v59, v58
	v_sub_f32_e32 v46, v47, v58
	v_add_f32_e32 v47, v48, v49
	v_add_f32_e32 v29, v29, v46
	v_mul_f32_e32 v61, v47, v59
	v_sub_f32_e32 v46, v48, v47
	v_mul_f32_e32 v48, v58, v61
	v_fma_f32 v54, v61, v58, -v48
	v_fmac_f32_e32 v54, v61, v29
	v_add_f32_e32 v60, v49, v46
	v_add_f32_e32 v46, v48, v54
	v_sub_f32_e32 v49, v47, v46
	v_pk_add_f32 v[56:57], v[46:47], v[48:49] neg_lo:[0,1] neg_hi:[0,1]
	v_mov_b32_e32 v55, v46
	v_pk_add_f32 v[46:47], v[56:57], v[54:55] neg_lo:[0,1] neg_hi:[0,1]
	v_cmp_eq_f32_e64 s[86:87], s5, v64
	v_add_f32_e32 v47, v60, v47
	v_add_f32_e32 v46, v46, v47
	;; [unrolled: 1-line block ×3, first 2 shown]
	v_mul_f32_e32 v60, v59, v47
	v_mul_f32_e32 v48, v58, v60
	v_fma_f32 v54, v60, v58, -v48
	v_fmac_f32_e32 v54, v60, v29
	v_sub_f32_e32 v29, v49, v47
	v_add_f32_e32 v29, v46, v29
	v_add_f32_e32 v46, v48, v54
	v_sub_f32_e32 v49, v47, v46
	v_pk_add_f32 v[56:57], v[46:47], v[48:49] neg_lo:[0,1] neg_hi:[0,1]
	v_mov_b32_e32 v55, v46
	v_pk_add_f32 v[46:47], v[56:57], v[54:55] neg_lo:[0,1] neg_hi:[0,1]
	v_cvt_f32_i32_e32 v48, v50
	v_add_f32_e32 v29, v29, v47
	v_add_f32_e32 v29, v46, v29
	v_add_f32_e32 v46, v61, v60
	v_add_f32_e32 v29, v49, v29
	v_sub_f32_e32 v47, v46, v61
	v_mul_f32_e32 v29, v59, v29
	v_sub_f32_e32 v47, v60, v47
	v_add_f32_e32 v29, v47, v29
	v_add_f32_e32 v49, v46, v29
	v_mul_f32_e32 v54, v49, v49
	v_mov_b32_e32 v47, 0x3ecc95a3
	v_fmac_f32_e32 v47, 0x3e9b6dac, v54
	v_sub_f32_e32 v46, v49, v46
	v_fmaak_f32 v47, v54, v47, 0x3f2aaada
	v_sub_f32_e32 v29, v29, v46
	v_ldexp_f32 v55, v49, 1
	v_mul_f32_e32 v49, v49, v54
	v_mov_b32_e32 v46, 0x3f317218
	v_pk_mul_f32 v[46:47], v[48:49], v[46:47]
	v_ldexp_f32 v29, v29, 1
	v_fma_f32 v49, v48, s4, -v46
	v_fmamk_f32 v54, v48, 0xb102e308, v49
	v_pk_add_f32 v[48:49], v[46:47], v[54:55]
	v_mov_b32_e32 v56, v46
	v_sub_f32_e32 v50, v49, v55
	v_sub_f32_e32 v50, v47, v50
	v_add_f32_e32 v57, v29, v50
	v_pk_add_f32 v[46:47], v[48:49], v[46:47] neg_lo:[0,1] neg_hi:[0,1]
	v_pk_add_f32 v[58:59], v[48:49], v[56:57]
	v_mov_b32_e32 v55, v48
	v_mov_b32_e32 v47, v59
	v_pk_add_f32 v[60:61], v[54:55], v[46:47] neg_lo:[0,1] neg_hi:[0,1]
	v_pk_add_f32 v[46:47], v[54:55], v[46:47]
	s_mov_b32 s4, 0x33800000
	v_mov_b32_e32 v50, v47
	v_pk_add_f32 v[54:55], v[50:51], v[48:49] neg_lo:[0,1] neg_hi:[0,1]
	v_mov_b32_e32 v46, v59
	v_mov_b32_e32 v29, v54
	v_pk_add_f32 v[62:63], v[58:59], v[28:29] neg_lo:[0,1] neg_hi:[0,1]
	v_mov_b32_e32 v58, v49
	v_mov_b32_e32 v59, v54
	;; [unrolled: 1-line block ×3, first 2 shown]
	v_pk_add_f32 v[46:47], v[46:47], v[58:59] neg_lo:[0,1] neg_hi:[0,1]
	v_mov_b32_e32 v54, v57
	v_mov_b32_e32 v55, v48
	v_pk_add_f32 v[46:47], v[54:55], v[46:47] neg_lo:[0,1] neg_hi:[0,1]
	v_mov_b32_e32 v62, v60
	v_pk_add_f32 v[48:49], v[62:63], v[46:47]
	v_cmp_lt_f32_e64 s[4:5], |v64|, s4
	v_mov_b32_e32 v54, v49
	v_pk_add_f32 v[54:55], v[48:49], v[54:55]
	s_or_b64 s[86:87], s[86:87], s[4:5]
	v_pk_add_f32 v[56:57], v[50:51], v[54:55]
	v_mov_b32_e32 v47, v54
	v_mov_b32_e32 v49, v56
	v_pk_add_f32 v[58:59], v[48:49], v[60:61] neg_lo:[0,1] neg_hi:[0,1]
	s_nop 0
	v_sub_f32_e32 v29, v48, v58
	v_pk_add_f32 v[46:47], v[46:47], v[58:59] neg_lo:[0,1] neg_hi:[0,1]
	v_sub_f32_e32 v29, v60, v29
	v_add_f32_e32 v29, v46, v29
	v_add_f32_e32 v29, v29, v47
	;; [unrolled: 1-line block ×3, first 2 shown]
	v_cndmask_b32_e64 v29, v29, v64, s[86:87]
	v_add_f32_e32 v54, v28, v29
.LBB151_84:
	s_or_b64 exec, exec, s[2:3]
	v_max_f32_e32 v28, v54, v54
	v_max_f32_e32 v46, v13, v13
	v_min_f32_e32 v29, v28, v46
	v_cmp_u_f32_e64 s[88:89], v54, v54
	v_max_f32_e32 v28, v28, v46
	v_cmp_u_f32_e64 s[86:87], v13, v13
	v_cndmask_b32_e64 v29, v29, v54, s[88:89]
	v_cndmask_b32_e64 v28, v28, v54, s[88:89]
	;; [unrolled: 1-line block ×4, first 2 shown]
	s_movk_i32 s4, 0x1f8
	v_cmp_neq_f32_e64 s[88:89], v29, v28
	v_cmp_class_f32_e64 s[2:3], v29, s4
	s_or_b64 s[48:49], s[88:89], s[2:3]
	s_and_saveexec_b64 s[2:3], s[48:49]
	s_cbranch_execz .LBB151_86
; %bb.85:
	v_sub_f32_e32 v29, v29, v28
	s_mov_b32 s5, 0x3fb8aa3b
	v_mul_f32_e32 v47, 0x3fb8aa3b, v29
	v_fma_f32 v48, v29, s5, -v47
	v_rndne_f32_e32 v49, v47
	v_fmamk_f32 v48, v29, 0x32a5705f, v48
	v_sub_f32_e32 v47, v47, v49
	v_add_f32_e32 v47, v47, v48
	v_exp_f32_e32 v47, v47
	v_cvt_i32_f32_e32 v48, v49
	s_mov_b32 s5, 0xc2ce8ed0
	v_cmp_ngt_f32_e64 s[88:89], s5, v29
	s_mov_b32 s5, 0x42b17218
	v_ldexp_f32 v47, v47, v48
	v_cndmask_b32_e64 v47, 0, v47, s[88:89]
	v_mov_b32_e32 v48, 0x7f800000
	v_cmp_nlt_f32_e64 s[88:89], s5, v29
	s_mov_b32 s5, 0x3f2aaaab
	s_mov_b32 s6, 0x7f800000
	v_cndmask_b32_e64 v47, v48, v47, s[88:89]
	v_add_f32_e32 v29, 1.0, v47
	v_add_f32_e32 v48, -1.0, v29
	v_sub_f32_e32 v49, v48, v29
	v_add_f32_e32 v49, 1.0, v49
	v_sub_f32_e32 v48, v47, v48
	v_add_f32_e32 v50, v48, v49
	v_frexp_mant_f32_e32 v54, v29
	v_cvt_f64_f32_e32 v[48:49], v29
	v_frexp_exp_i32_f64_e32 v48, v[48:49]
	v_cmp_gt_f32_e64 s[88:89], s5, v54
	s_mov_b32 s5, 0x3f317218
	s_nop 0
	v_subbrev_co_u32_e64 v60, s[88:89], 0, v48, s[88:89]
	v_sub_u32_e32 v48, 0, v60
	v_ldexp_f32 v29, v29, v48
	v_ldexp_f32 v48, v50, v48
	v_add_f32_e32 v50, -1.0, v29
	v_add_f32_e32 v49, 1.0, v50
	v_sub_f32_e32 v49, v29, v49
	v_add_f32_e32 v54, v48, v49
	v_add_f32_e32 v49, 1.0, v29
	v_add_f32_e32 v55, -1.0, v49
	v_sub_f32_e32 v29, v29, v55
	v_add_f32_e32 v29, v48, v29
	v_add_f32_e32 v61, v49, v29
	v_rcp_f32_e32 v62, v61
	v_sub_f32_e32 v48, v49, v61
	v_add_f32_e32 v49, v50, v54
	v_add_f32_e32 v29, v29, v48
	v_sub_f32_e32 v48, v50, v49
	v_mul_f32_e32 v63, v49, v62
	v_add_f32_e32 v50, v54, v48
	v_mul_f32_e32 v54, v61, v63
	v_fma_f32 v56, v63, v61, -v54
	v_fmac_f32_e32 v56, v63, v29
	v_add_f32_e32 v48, v54, v56
	v_sub_f32_e32 v55, v49, v48
	v_pk_add_f32 v[58:59], v[48:49], v[54:55] neg_lo:[0,1] neg_hi:[0,1]
	v_mov_b32_e32 v57, v48
	v_pk_add_f32 v[48:49], v[58:59], v[56:57] neg_lo:[0,1] neg_hi:[0,1]
	v_cmp_eq_f32_e64 s[88:89], s6, v47
	v_add_f32_e32 v49, v50, v49
	v_add_f32_e32 v48, v48, v49
	;; [unrolled: 1-line block ×3, first 2 shown]
	v_mul_f32_e32 v50, v62, v49
	v_mul_f32_e32 v54, v61, v50
	v_fma_f32 v56, v50, v61, -v54
	v_fmac_f32_e32 v56, v50, v29
	v_sub_f32_e32 v29, v55, v49
	v_add_f32_e32 v29, v48, v29
	v_add_f32_e32 v48, v54, v56
	v_sub_f32_e32 v55, v49, v48
	v_pk_add_f32 v[58:59], v[48:49], v[54:55] neg_lo:[0,1] neg_hi:[0,1]
	v_mov_b32_e32 v57, v48
	v_pk_add_f32 v[48:49], v[58:59], v[56:57] neg_lo:[0,1] neg_hi:[0,1]
	v_cvt_f32_i32_e32 v54, v60
	v_add_f32_e32 v29, v29, v49
	v_add_f32_e32 v29, v48, v29
	v_add_f32_e32 v48, v63, v50
	v_add_f32_e32 v29, v55, v29
	v_sub_f32_e32 v49, v48, v63
	v_mul_f32_e32 v29, v62, v29
	v_sub_f32_e32 v49, v50, v49
	v_add_f32_e32 v29, v49, v29
	v_add_f32_e32 v50, v48, v29
	v_mul_f32_e32 v55, v50, v50
	v_mov_b32_e32 v49, 0x3ecc95a3
	v_fmac_f32_e32 v49, 0x3e9b6dac, v55
	v_sub_f32_e32 v48, v50, v48
	v_fmaak_f32 v49, v55, v49, 0x3f2aaada
	v_sub_f32_e32 v29, v29, v48
	v_mul_f32_e32 v55, v50, v55
	v_mov_b32_e32 v48, 0x3f317218
	v_pk_mul_f32 v[48:49], v[54:55], v[48:49]
	v_ldexp_f32 v57, v50, 1
	v_fma_f32 v50, v54, s5, -v48
	v_fmamk_f32 v56, v54, 0xb102e308, v50
	v_pk_add_f32 v[54:55], v[48:49], v[56:57]
	v_ldexp_f32 v29, v29, 1
	v_sub_f32_e32 v50, v55, v57
	v_sub_f32_e32 v50, v49, v50
	v_add_f32_e32 v59, v29, v50
	v_mov_b32_e32 v58, v48
	v_pk_add_f32 v[48:49], v[54:55], v[48:49] neg_lo:[0,1] neg_hi:[0,1]
	v_pk_add_f32 v[60:61], v[54:55], v[58:59]
	v_mov_b32_e32 v57, v54
	v_mov_b32_e32 v49, v61
	v_pk_add_f32 v[62:63], v[56:57], v[48:49] neg_lo:[0,1] neg_hi:[0,1]
	v_pk_add_f32 v[48:49], v[56:57], v[48:49]
	s_mov_b32 s5, 0x33800000
	v_mov_b32_e32 v50, v49
	v_pk_add_f32 v[56:57], v[50:51], v[54:55] neg_lo:[0,1] neg_hi:[0,1]
	v_mov_b32_e32 v48, v61
	v_mov_b32_e32 v29, v56
	v_pk_add_f32 v[64:65], v[60:61], v[28:29] neg_lo:[0,1] neg_hi:[0,1]
	v_mov_b32_e32 v60, v55
	v_mov_b32_e32 v61, v56
	;; [unrolled: 1-line block ×3, first 2 shown]
	v_pk_add_f32 v[48:49], v[48:49], v[60:61] neg_lo:[0,1] neg_hi:[0,1]
	v_mov_b32_e32 v56, v59
	v_mov_b32_e32 v57, v54
	v_pk_add_f32 v[48:49], v[56:57], v[48:49] neg_lo:[0,1] neg_hi:[0,1]
	v_mov_b32_e32 v64, v62
	v_pk_add_f32 v[54:55], v[64:65], v[48:49]
	v_cmp_lt_f32_e64 s[48:49], |v47|, s5
	v_mov_b32_e32 v56, v55
	v_pk_add_f32 v[56:57], v[54:55], v[56:57]
	s_or_b64 s[88:89], s[88:89], s[48:49]
	v_pk_add_f32 v[58:59], v[50:51], v[56:57]
	v_mov_b32_e32 v49, v56
	v_mov_b32_e32 v55, v58
	v_pk_add_f32 v[60:61], v[54:55], v[62:63] neg_lo:[0,1] neg_hi:[0,1]
	s_nop 0
	v_sub_f32_e32 v29, v54, v60
	v_pk_add_f32 v[48:49], v[48:49], v[60:61] neg_lo:[0,1] neg_hi:[0,1]
	v_sub_f32_e32 v29, v62, v29
	v_add_f32_e32 v29, v48, v29
	v_add_f32_e32 v29, v29, v49
	;; [unrolled: 1-line block ×3, first 2 shown]
	v_cndmask_b32_e64 v29, v29, v47, s[88:89]
	v_add_f32_e32 v54, v28, v29
.LBB151_86:
	s_or_b64 exec, exec, s[2:3]
	v_max_f32_e32 v28, v54, v54
	v_max_f32_e32 v47, v6, v6
	v_min_f32_e32 v29, v28, v47
	v_cmp_u_f32_e64 s[90:91], v54, v54
	v_max_f32_e32 v28, v28, v47
	v_cmp_u_f32_e64 s[88:89], v6, v6
	v_cndmask_b32_e64 v29, v29, v54, s[90:91]
	v_cndmask_b32_e64 v28, v28, v54, s[90:91]
	;; [unrolled: 1-line block ×4, first 2 shown]
	v_cmp_neq_f32_e64 s[90:91], v29, v28
	v_cmp_class_f32_e64 s[2:3], v29, s4
	s_or_b64 s[4:5], s[90:91], s[2:3]
	s_and_saveexec_b64 s[2:3], s[4:5]
	s_cbranch_execz .LBB151_88
; %bb.87:
	v_sub_f32_e32 v29, v29, v28
	s_mov_b32 s4, 0x3fb8aa3b
	v_mul_f32_e32 v48, 0x3fb8aa3b, v29
	v_fma_f32 v49, v29, s4, -v48
	v_rndne_f32_e32 v50, v48
	v_fmamk_f32 v49, v29, 0x32a5705f, v49
	v_sub_f32_e32 v48, v48, v50
	v_add_f32_e32 v48, v48, v49
	v_exp_f32_e32 v48, v48
	v_cvt_i32_f32_e32 v49, v50
	s_mov_b32 s4, 0xc2ce8ed0
	v_cmp_ngt_f32_e64 s[90:91], s4, v29
	s_mov_b32 s4, 0x42b17218
	v_ldexp_f32 v48, v48, v49
	v_cndmask_b32_e64 v48, 0, v48, s[90:91]
	v_mov_b32_e32 v49, 0x7f800000
	v_cmp_nlt_f32_e64 s[90:91], s4, v29
	s_mov_b32 s4, 0x3f2aaaab
	s_mov_b32 s5, 0x7f800000
	v_cndmask_b32_e64 v66, v49, v48, s[90:91]
	v_add_f32_e32 v29, 1.0, v66
	v_add_f32_e32 v48, -1.0, v29
	v_sub_f32_e32 v49, v48, v29
	v_add_f32_e32 v49, 1.0, v49
	v_sub_f32_e32 v48, v66, v48
	v_add_f32_e32 v50, v48, v49
	v_frexp_mant_f32_e32 v54, v29
	v_cvt_f64_f32_e32 v[48:49], v29
	v_frexp_exp_i32_f64_e32 v48, v[48:49]
	v_cmp_gt_f32_e64 s[90:91], s4, v54
	s_mov_b32 s4, 0x3f317218
	s_nop 0
	v_subbrev_co_u32_e64 v60, s[90:91], 0, v48, s[90:91]
	v_sub_u32_e32 v48, 0, v60
	v_ldexp_f32 v29, v29, v48
	v_ldexp_f32 v48, v50, v48
	v_add_f32_e32 v50, -1.0, v29
	v_add_f32_e32 v49, 1.0, v50
	v_sub_f32_e32 v49, v29, v49
	v_add_f32_e32 v54, v48, v49
	v_add_f32_e32 v49, 1.0, v29
	v_add_f32_e32 v55, -1.0, v49
	v_sub_f32_e32 v29, v29, v55
	v_add_f32_e32 v29, v48, v29
	v_add_f32_e32 v61, v49, v29
	v_rcp_f32_e32 v62, v61
	v_sub_f32_e32 v48, v49, v61
	v_add_f32_e32 v49, v50, v54
	v_add_f32_e32 v29, v29, v48
	v_sub_f32_e32 v48, v50, v49
	v_mul_f32_e32 v63, v49, v62
	v_add_f32_e32 v50, v54, v48
	v_mul_f32_e32 v54, v61, v63
	v_fma_f32 v56, v63, v61, -v54
	v_fmac_f32_e32 v56, v63, v29
	v_add_f32_e32 v48, v54, v56
	v_sub_f32_e32 v55, v49, v48
	v_pk_add_f32 v[58:59], v[48:49], v[54:55] neg_lo:[0,1] neg_hi:[0,1]
	v_mov_b32_e32 v57, v48
	v_pk_add_f32 v[48:49], v[58:59], v[56:57] neg_lo:[0,1] neg_hi:[0,1]
	v_cmp_eq_f32_e64 s[90:91], s5, v66
	v_add_f32_e32 v49, v50, v49
	v_add_f32_e32 v48, v48, v49
	;; [unrolled: 1-line block ×3, first 2 shown]
	v_mul_f32_e32 v50, v62, v49
	v_mul_f32_e32 v54, v61, v50
	v_fma_f32 v56, v50, v61, -v54
	v_fmac_f32_e32 v56, v50, v29
	v_sub_f32_e32 v29, v55, v49
	v_add_f32_e32 v29, v48, v29
	v_add_f32_e32 v48, v54, v56
	v_sub_f32_e32 v55, v49, v48
	v_pk_add_f32 v[58:59], v[48:49], v[54:55] neg_lo:[0,1] neg_hi:[0,1]
	v_mov_b32_e32 v57, v48
	v_pk_add_f32 v[48:49], v[58:59], v[56:57] neg_lo:[0,1] neg_hi:[0,1]
	v_cvt_f32_i32_e32 v54, v60
	v_add_f32_e32 v29, v29, v49
	v_add_f32_e32 v29, v48, v29
	;; [unrolled: 1-line block ×4, first 2 shown]
	v_sub_f32_e32 v49, v48, v63
	v_mul_f32_e32 v29, v62, v29
	v_sub_f32_e32 v49, v50, v49
	v_add_f32_e32 v29, v49, v29
	v_add_f32_e32 v50, v48, v29
	v_mul_f32_e32 v55, v50, v50
	v_mov_b32_e32 v49, 0x3ecc95a3
	v_fmac_f32_e32 v49, 0x3e9b6dac, v55
	v_sub_f32_e32 v48, v50, v48
	v_fmaak_f32 v49, v55, v49, 0x3f2aaada
	v_sub_f32_e32 v29, v29, v48
	v_mul_f32_e32 v55, v50, v55
	v_mov_b32_e32 v48, 0x3f317218
	v_pk_mul_f32 v[48:49], v[54:55], v[48:49]
	v_ldexp_f32 v57, v50, 1
	v_fma_f32 v50, v54, s4, -v48
	v_fmamk_f32 v56, v54, 0xb102e308, v50
	v_pk_add_f32 v[54:55], v[48:49], v[56:57]
	v_ldexp_f32 v29, v29, 1
	v_sub_f32_e32 v50, v55, v57
	v_sub_f32_e32 v50, v49, v50
	v_add_f32_e32 v59, v29, v50
	v_mov_b32_e32 v58, v48
	v_pk_add_f32 v[48:49], v[54:55], v[48:49] neg_lo:[0,1] neg_hi:[0,1]
	v_pk_add_f32 v[60:61], v[54:55], v[58:59]
	v_mov_b32_e32 v57, v54
	v_mov_b32_e32 v49, v61
	v_pk_add_f32 v[62:63], v[56:57], v[48:49] neg_lo:[0,1] neg_hi:[0,1]
	v_pk_add_f32 v[48:49], v[56:57], v[48:49]
	s_mov_b32 s4, 0x33800000
	v_mov_b32_e32 v50, v49
	v_pk_add_f32 v[56:57], v[50:51], v[54:55] neg_lo:[0,1] neg_hi:[0,1]
	v_mov_b32_e32 v48, v61
	v_mov_b32_e32 v29, v56
	v_pk_add_f32 v[64:65], v[60:61], v[28:29] neg_lo:[0,1] neg_hi:[0,1]
	v_mov_b32_e32 v60, v55
	v_mov_b32_e32 v61, v56
	;; [unrolled: 1-line block ×3, first 2 shown]
	v_pk_add_f32 v[48:49], v[48:49], v[60:61] neg_lo:[0,1] neg_hi:[0,1]
	v_mov_b32_e32 v56, v59
	v_mov_b32_e32 v57, v54
	v_pk_add_f32 v[48:49], v[56:57], v[48:49] neg_lo:[0,1] neg_hi:[0,1]
	v_mov_b32_e32 v64, v62
	v_pk_add_f32 v[54:55], v[64:65], v[48:49]
	v_cmp_lt_f32_e64 s[4:5], |v66|, s4
	v_mov_b32_e32 v56, v55
	v_pk_add_f32 v[56:57], v[54:55], v[56:57]
	s_or_b64 s[90:91], s[90:91], s[4:5]
	v_pk_add_f32 v[58:59], v[50:51], v[56:57]
	v_mov_b32_e32 v49, v56
	v_mov_b32_e32 v55, v58
	v_pk_add_f32 v[60:61], v[54:55], v[62:63] neg_lo:[0,1] neg_hi:[0,1]
	s_nop 0
	v_sub_f32_e32 v29, v54, v60
	v_pk_add_f32 v[48:49], v[48:49], v[60:61] neg_lo:[0,1] neg_hi:[0,1]
	v_sub_f32_e32 v29, v62, v29
	v_add_f32_e32 v29, v48, v29
	v_add_f32_e32 v29, v29, v49
	;; [unrolled: 1-line block ×3, first 2 shown]
	v_cndmask_b32_e64 v29, v29, v66, s[90:91]
	v_add_f32_e32 v54, v28, v29
.LBB151_88:
	s_or_b64 exec, exec, s[2:3]
	v_max_f32_e32 v28, v54, v54
	v_max_f32_e32 v48, v7, v7
	v_min_f32_e32 v29, v28, v48
	v_cmp_u_f32_e64 s[92:93], v54, v54
	v_max_f32_e32 v28, v28, v48
	v_cmp_u_f32_e64 s[90:91], v7, v7
	v_cndmask_b32_e64 v29, v29, v54, s[92:93]
	v_cndmask_b32_e64 v28, v28, v54, s[92:93]
	;; [unrolled: 1-line block ×4, first 2 shown]
	s_movk_i32 s4, 0x1f8
	v_cmp_neq_f32_e64 s[92:93], v29, v28
	v_cmp_class_f32_e64 s[2:3], v29, s4
	s_or_b64 s[48:49], s[92:93], s[2:3]
	s_and_saveexec_b64 s[2:3], s[48:49]
	s_cbranch_execz .LBB151_90
; %bb.89:
	v_sub_f32_e32 v29, v29, v28
	s_mov_b32 s5, 0x3fb8aa3b
	v_mul_f32_e32 v49, 0x3fb8aa3b, v29
	v_fma_f32 v50, v29, s5, -v49
	v_rndne_f32_e32 v54, v49
	v_fmamk_f32 v50, v29, 0x32a5705f, v50
	v_sub_f32_e32 v49, v49, v54
	v_add_f32_e32 v49, v49, v50
	v_exp_f32_e32 v49, v49
	v_cvt_i32_f32_e32 v50, v54
	s_mov_b32 s5, 0xc2ce8ed0
	v_cmp_ngt_f32_e64 s[92:93], s5, v29
	s_mov_b32 s5, 0x42b17218
	v_ldexp_f32 v49, v49, v50
	v_cndmask_b32_e64 v49, 0, v49, s[92:93]
	v_mov_b32_e32 v50, 0x7f800000
	v_cmp_nlt_f32_e64 s[92:93], s5, v29
	s_mov_b32 s5, 0x3f2aaaab
	s_mov_b32 s6, 0x7f800000
	v_cndmask_b32_e64 v49, v50, v49, s[92:93]
	v_add_f32_e32 v29, 1.0, v49
	v_add_f32_e32 v50, -1.0, v29
	v_sub_f32_e32 v54, v50, v29
	v_add_f32_e32 v54, 1.0, v54
	v_sub_f32_e32 v50, v49, v50
	v_add_f32_e32 v50, v50, v54
	v_frexp_mant_f32_e32 v56, v29
	v_cvt_f64_f32_e32 v[54:55], v29
	v_frexp_exp_i32_f64_e32 v54, v[54:55]
	v_cmp_gt_f32_e64 s[92:93], s5, v56
	s_mov_b32 s5, 0x3f317218
	s_nop 0
	v_subbrev_co_u32_e64 v62, s[92:93], 0, v54, s[92:93]
	v_sub_u32_e32 v54, 0, v62
	v_ldexp_f32 v29, v29, v54
	v_ldexp_f32 v50, v50, v54
	v_add_f32_e32 v54, -1.0, v29
	v_add_f32_e32 v55, 1.0, v54
	v_sub_f32_e32 v55, v29, v55
	v_add_f32_e32 v56, v50, v55
	v_add_f32_e32 v55, 1.0, v29
	v_add_f32_e32 v57, -1.0, v55
	v_sub_f32_e32 v29, v29, v57
	v_add_f32_e32 v29, v50, v29
	v_add_f32_e32 v50, v55, v29
	v_rcp_f32_e32 v63, v50
	v_sub_f32_e32 v55, v55, v50
	v_add_f32_e32 v29, v29, v55
	v_add_f32_e32 v55, v54, v56
	v_sub_f32_e32 v54, v54, v55
	v_mul_f32_e32 v65, v55, v63
	v_add_f32_e32 v64, v56, v54
	v_mul_f32_e32 v56, v50, v65
	v_fma_f32 v58, v65, v50, -v56
	v_fmac_f32_e32 v58, v65, v29
	v_add_f32_e32 v54, v56, v58
	v_sub_f32_e32 v57, v55, v54
	v_pk_add_f32 v[60:61], v[54:55], v[56:57] neg_lo:[0,1] neg_hi:[0,1]
	v_mov_b32_e32 v59, v54
	v_pk_add_f32 v[54:55], v[60:61], v[58:59] neg_lo:[0,1] neg_hi:[0,1]
	v_cmp_eq_f32_e64 s[92:93], s6, v49
	v_add_f32_e32 v55, v64, v55
	v_add_f32_e32 v54, v54, v55
	;; [unrolled: 1-line block ×3, first 2 shown]
	v_mul_f32_e32 v64, v63, v55
	v_mul_f32_e32 v56, v50, v64
	v_fma_f32 v58, v64, v50, -v56
	v_fmac_f32_e32 v58, v64, v29
	v_sub_f32_e32 v29, v57, v55
	v_add_f32_e32 v29, v54, v29
	v_add_f32_e32 v54, v56, v58
	v_sub_f32_e32 v57, v55, v54
	v_pk_add_f32 v[60:61], v[54:55], v[56:57] neg_lo:[0,1] neg_hi:[0,1]
	v_mov_b32_e32 v59, v54
	v_pk_add_f32 v[54:55], v[60:61], v[58:59] neg_lo:[0,1] neg_hi:[0,1]
	v_add_f32_e32 v50, v65, v64
	v_add_f32_e32 v29, v29, v55
	;; [unrolled: 1-line block ×4, first 2 shown]
	v_sub_f32_e32 v54, v50, v65
	v_mul_f32_e32 v29, v63, v29
	v_sub_f32_e32 v54, v64, v54
	v_add_f32_e32 v29, v54, v29
	v_add_f32_e32 v54, v50, v29
	v_cvt_f32_i32_e32 v56, v62
	v_mul_f32_e32 v57, v54, v54
	v_mov_b32_e32 v55, 0x3ecc95a3
	v_fmac_f32_e32 v55, 0x3e9b6dac, v57
	v_fmaak_f32 v55, v57, v55, 0x3f2aaada
	v_sub_f32_e32 v50, v54, v50
	v_ldexp_f32 v59, v54, 1
	v_mul_f32_e32 v57, v54, v57
	v_mov_b32_e32 v54, 0x3f317218
	v_pk_mul_f32 v[54:55], v[56:57], v[54:55]
	v_sub_f32_e32 v29, v29, v50
	v_fma_f32 v50, v56, s5, -v54
	v_fmamk_f32 v58, v56, 0xb102e308, v50
	v_pk_add_f32 v[56:57], v[54:55], v[58:59]
	v_ldexp_f32 v29, v29, 1
	v_sub_f32_e32 v50, v57, v59
	v_sub_f32_e32 v50, v55, v50
	v_add_f32_e32 v61, v29, v50
	v_mov_b32_e32 v60, v54
	v_pk_add_f32 v[54:55], v[56:57], v[54:55] neg_lo:[0,1] neg_hi:[0,1]
	v_pk_add_f32 v[62:63], v[56:57], v[60:61]
	v_mov_b32_e32 v59, v56
	v_mov_b32_e32 v55, v63
	v_pk_add_f32 v[64:65], v[58:59], v[54:55] neg_lo:[0,1] neg_hi:[0,1]
	v_pk_add_f32 v[54:55], v[58:59], v[54:55]
	s_mov_b32 s5, 0x33800000
	v_mov_b32_e32 v50, v55
	v_pk_add_f32 v[58:59], v[50:51], v[56:57] neg_lo:[0,1] neg_hi:[0,1]
	v_mov_b32_e32 v54, v63
	v_mov_b32_e32 v29, v58
	v_pk_add_f32 v[66:67], v[62:63], v[28:29] neg_lo:[0,1] neg_hi:[0,1]
	v_mov_b32_e32 v62, v57
	v_mov_b32_e32 v63, v58
	;; [unrolled: 1-line block ×3, first 2 shown]
	v_pk_add_f32 v[54:55], v[54:55], v[62:63] neg_lo:[0,1] neg_hi:[0,1]
	v_mov_b32_e32 v58, v61
	v_mov_b32_e32 v59, v56
	v_pk_add_f32 v[54:55], v[58:59], v[54:55] neg_lo:[0,1] neg_hi:[0,1]
	v_mov_b32_e32 v66, v64
	v_pk_add_f32 v[56:57], v[66:67], v[54:55]
	v_cmp_lt_f32_e64 s[48:49], |v49|, s5
	v_mov_b32_e32 v58, v57
	v_pk_add_f32 v[58:59], v[56:57], v[58:59]
	s_or_b64 s[92:93], s[92:93], s[48:49]
	v_pk_add_f32 v[60:61], v[50:51], v[58:59]
	v_mov_b32_e32 v55, v58
	v_mov_b32_e32 v57, v60
	v_pk_add_f32 v[62:63], v[56:57], v[64:65] neg_lo:[0,1] neg_hi:[0,1]
	s_nop 0
	v_sub_f32_e32 v29, v56, v62
	v_pk_add_f32 v[54:55], v[54:55], v[62:63] neg_lo:[0,1] neg_hi:[0,1]
	v_sub_f32_e32 v29, v64, v29
	v_add_f32_e32 v29, v54, v29
	v_add_f32_e32 v29, v29, v55
	;; [unrolled: 1-line block ×3, first 2 shown]
	v_cndmask_b32_e64 v29, v29, v49, s[92:93]
	v_add_f32_e32 v54, v28, v29
.LBB151_90:
	s_or_b64 exec, exec, s[2:3]
	v_max_f32_e32 v28, v54, v54
	v_max_f32_e32 v49, v8, v8
	v_min_f32_e32 v29, v28, v49
	v_cmp_u_f32_e64 s[94:95], v54, v54
	v_max_f32_e32 v28, v28, v49
	v_cmp_u_f32_e64 s[92:93], v8, v8
	v_cndmask_b32_e64 v29, v29, v54, s[94:95]
	v_cndmask_b32_e64 v28, v28, v54, s[94:95]
	;; [unrolled: 1-line block ×4, first 2 shown]
	v_cmp_neq_f32_e64 s[94:95], v29, v28
	v_cmp_class_f32_e64 s[2:3], v29, s4
	s_or_b64 s[4:5], s[94:95], s[2:3]
	s_and_saveexec_b64 s[2:3], s[4:5]
	s_cbranch_execz .LBB151_92
; %bb.91:
	v_sub_f32_e32 v29, v29, v28
	s_mov_b32 s4, 0x3fb8aa3b
	v_mul_f32_e32 v50, 0x3fb8aa3b, v29
	v_fma_f32 v54, v29, s4, -v50
	v_rndne_f32_e32 v55, v50
	v_fmamk_f32 v54, v29, 0x32a5705f, v54
	v_sub_f32_e32 v50, v50, v55
	v_add_f32_e32 v50, v50, v54
	v_exp_f32_e32 v50, v50
	v_cvt_i32_f32_e32 v54, v55
	s_mov_b32 s4, 0xc2ce8ed0
	v_cmp_ngt_f32_e64 s[94:95], s4, v29
	s_mov_b32 s4, 0x42b17218
	v_ldexp_f32 v50, v50, v54
	v_cndmask_b32_e64 v50, 0, v50, s[94:95]
	v_mov_b32_e32 v54, 0x7f800000
	v_cmp_nlt_f32_e64 s[94:95], s4, v29
	s_mov_b32 s4, 0x3f2aaaab
	s_mov_b32 s5, 0x7f800000
	v_cndmask_b32_e64 v68, v54, v50, s[94:95]
	v_add_f32_e32 v29, 1.0, v68
	v_add_f32_e32 v50, -1.0, v29
	v_sub_f32_e32 v54, v50, v29
	v_add_f32_e32 v54, 1.0, v54
	v_sub_f32_e32 v50, v68, v50
	v_add_f32_e32 v50, v50, v54
	v_frexp_mant_f32_e32 v56, v29
	v_cvt_f64_f32_e32 v[54:55], v29
	v_frexp_exp_i32_f64_e32 v54, v[54:55]
	v_cmp_gt_f32_e64 s[94:95], s4, v56
	s_mov_b32 s4, 0x3f317218
	s_nop 0
	v_subbrev_co_u32_e64 v62, s[94:95], 0, v54, s[94:95]
	v_sub_u32_e32 v54, 0, v62
	v_ldexp_f32 v29, v29, v54
	v_ldexp_f32 v50, v50, v54
	v_add_f32_e32 v54, -1.0, v29
	v_add_f32_e32 v55, 1.0, v54
	v_sub_f32_e32 v55, v29, v55
	v_add_f32_e32 v56, v50, v55
	v_add_f32_e32 v55, 1.0, v29
	v_add_f32_e32 v57, -1.0, v55
	v_sub_f32_e32 v29, v29, v57
	v_add_f32_e32 v29, v50, v29
	v_add_f32_e32 v50, v55, v29
	v_rcp_f32_e32 v63, v50
	v_sub_f32_e32 v55, v55, v50
	v_add_f32_e32 v29, v29, v55
	v_add_f32_e32 v55, v54, v56
	v_sub_f32_e32 v54, v54, v55
	v_mul_f32_e32 v65, v55, v63
	v_add_f32_e32 v64, v56, v54
	v_mul_f32_e32 v56, v50, v65
	v_fma_f32 v58, v65, v50, -v56
	v_fmac_f32_e32 v58, v65, v29
	v_add_f32_e32 v54, v56, v58
	v_sub_f32_e32 v57, v55, v54
	v_pk_add_f32 v[60:61], v[54:55], v[56:57] neg_lo:[0,1] neg_hi:[0,1]
	v_mov_b32_e32 v59, v54
	v_pk_add_f32 v[54:55], v[60:61], v[58:59] neg_lo:[0,1] neg_hi:[0,1]
	v_cmp_eq_f32_e64 s[94:95], s5, v68
	v_add_f32_e32 v55, v64, v55
	v_add_f32_e32 v54, v54, v55
	;; [unrolled: 1-line block ×3, first 2 shown]
	v_mul_f32_e32 v64, v63, v55
	v_mul_f32_e32 v56, v50, v64
	v_fma_f32 v58, v64, v50, -v56
	v_fmac_f32_e32 v58, v64, v29
	v_sub_f32_e32 v29, v57, v55
	v_add_f32_e32 v29, v54, v29
	v_add_f32_e32 v54, v56, v58
	v_sub_f32_e32 v57, v55, v54
	v_pk_add_f32 v[60:61], v[54:55], v[56:57] neg_lo:[0,1] neg_hi:[0,1]
	v_mov_b32_e32 v59, v54
	v_pk_add_f32 v[54:55], v[60:61], v[58:59] neg_lo:[0,1] neg_hi:[0,1]
	v_add_f32_e32 v50, v65, v64
	v_add_f32_e32 v29, v29, v55
	v_add_f32_e32 v29, v54, v29
	v_add_f32_e32 v29, v57, v29
	v_sub_f32_e32 v54, v50, v65
	v_mul_f32_e32 v29, v63, v29
	v_sub_f32_e32 v54, v64, v54
	v_add_f32_e32 v29, v54, v29
	v_add_f32_e32 v54, v50, v29
	v_cvt_f32_i32_e32 v56, v62
	v_mul_f32_e32 v57, v54, v54
	v_mov_b32_e32 v55, 0x3ecc95a3
	v_fmac_f32_e32 v55, 0x3e9b6dac, v57
	v_fmaak_f32 v55, v57, v55, 0x3f2aaada
	v_sub_f32_e32 v50, v54, v50
	v_ldexp_f32 v59, v54, 1
	v_mul_f32_e32 v57, v54, v57
	v_mov_b32_e32 v54, 0x3f317218
	v_pk_mul_f32 v[54:55], v[56:57], v[54:55]
	v_sub_f32_e32 v29, v29, v50
	v_fma_f32 v50, v56, s4, -v54
	v_fmamk_f32 v58, v56, 0xb102e308, v50
	v_pk_add_f32 v[56:57], v[54:55], v[58:59]
	v_ldexp_f32 v29, v29, 1
	v_sub_f32_e32 v50, v57, v59
	v_sub_f32_e32 v50, v55, v50
	v_add_f32_e32 v61, v29, v50
	v_mov_b32_e32 v60, v54
	v_pk_add_f32 v[54:55], v[56:57], v[54:55] neg_lo:[0,1] neg_hi:[0,1]
	v_pk_add_f32 v[62:63], v[56:57], v[60:61]
	v_mov_b32_e32 v59, v56
	v_mov_b32_e32 v55, v63
	v_pk_add_f32 v[64:65], v[58:59], v[54:55] neg_lo:[0,1] neg_hi:[0,1]
	v_pk_add_f32 v[54:55], v[58:59], v[54:55]
	s_mov_b32 s4, 0x33800000
	v_mov_b32_e32 v50, v55
	v_pk_add_f32 v[58:59], v[50:51], v[56:57] neg_lo:[0,1] neg_hi:[0,1]
	v_mov_b32_e32 v54, v63
	v_mov_b32_e32 v29, v58
	v_pk_add_f32 v[66:67], v[62:63], v[28:29] neg_lo:[0,1] neg_hi:[0,1]
	v_mov_b32_e32 v62, v57
	v_mov_b32_e32 v63, v58
	;; [unrolled: 1-line block ×3, first 2 shown]
	v_pk_add_f32 v[54:55], v[54:55], v[62:63] neg_lo:[0,1] neg_hi:[0,1]
	v_mov_b32_e32 v58, v61
	v_mov_b32_e32 v59, v56
	v_pk_add_f32 v[54:55], v[58:59], v[54:55] neg_lo:[0,1] neg_hi:[0,1]
	v_mov_b32_e32 v66, v64
	v_pk_add_f32 v[56:57], v[66:67], v[54:55]
	v_cmp_lt_f32_e64 s[4:5], |v68|, s4
	v_mov_b32_e32 v58, v57
	v_pk_add_f32 v[58:59], v[56:57], v[58:59]
	s_or_b64 s[94:95], s[94:95], s[4:5]
	v_pk_add_f32 v[60:61], v[50:51], v[58:59]
	v_mov_b32_e32 v55, v58
	v_mov_b32_e32 v57, v60
	v_pk_add_f32 v[62:63], v[56:57], v[64:65] neg_lo:[0,1] neg_hi:[0,1]
	s_nop 0
	v_sub_f32_e32 v29, v56, v62
	v_pk_add_f32 v[54:55], v[54:55], v[62:63] neg_lo:[0,1] neg_hi:[0,1]
	v_sub_f32_e32 v29, v64, v29
	v_add_f32_e32 v29, v54, v29
	v_add_f32_e32 v29, v29, v55
	;; [unrolled: 1-line block ×3, first 2 shown]
	v_cndmask_b32_e64 v29, v29, v68, s[94:95]
	v_add_f32_e32 v54, v28, v29
.LBB151_92:
	s_or_b64 exec, exec, s[2:3]
	v_max_f32_e32 v28, v54, v54
	v_max_f32_e32 v50, v9, v9
	v_min_f32_e32 v29, v28, v50
	v_cmp_u_f32_e64 s[98:99], v54, v54
	v_max_f32_e32 v28, v28, v50
	v_cmp_u_f32_e64 s[94:95], v9, v9
	v_cndmask_b32_e64 v29, v29, v54, s[98:99]
	v_cndmask_b32_e64 v28, v28, v54, s[98:99]
	;; [unrolled: 1-line block ×4, first 2 shown]
	s_movk_i32 s2, 0x1f8
	v_cmp_neq_f32_e64 s[98:99], v29, v28
	v_cmp_class_f32_e64 s[2:3], v29, s2
	s_or_b64 s[4:5], s[98:99], s[2:3]
	s_and_saveexec_b64 s[2:3], s[4:5]
	s_cbranch_execz .LBB151_94
; %bb.93:
	v_sub_f32_e32 v29, v29, v28
	s_mov_b32 s4, 0x3fb8aa3b
	v_mul_f32_e32 v54, 0x3fb8aa3b, v29
	v_fma_f32 v55, v29, s4, -v54
	v_rndne_f32_e32 v56, v54
	v_fmamk_f32 v55, v29, 0x32a5705f, v55
	v_sub_f32_e32 v54, v54, v56
	v_add_f32_e32 v54, v54, v55
	v_exp_f32_e32 v54, v54
	v_cvt_i32_f32_e32 v55, v56
	s_mov_b32 s4, 0xc2ce8ed0
	v_cmp_ngt_f32_e64 s[98:99], s4, v29
	s_mov_b32 s4, 0x42b17218
	v_ldexp_f32 v54, v54, v55
	v_cndmask_b32_e64 v54, 0, v54, s[98:99]
	v_mov_b32_e32 v55, 0x7f800000
	v_cmp_nlt_f32_e64 s[98:99], s4, v29
	s_mov_b32 s4, 0x3f2aaaab
	s_mov_b32 s5, 0x7f800000
	v_cndmask_b32_e64 v70, v55, v54, s[98:99]
	v_add_f32_e32 v29, 1.0, v70
	v_add_f32_e32 v54, -1.0, v29
	v_sub_f32_e32 v55, v54, v29
	v_add_f32_e32 v55, 1.0, v55
	v_sub_f32_e32 v54, v70, v54
	v_add_f32_e32 v56, v54, v55
	v_frexp_mant_f32_e32 v57, v29
	v_cvt_f64_f32_e32 v[54:55], v29
	v_frexp_exp_i32_f64_e32 v54, v[54:55]
	v_cmp_gt_f32_e64 s[98:99], s4, v57
	s_mov_b32 s4, 0x3f317218
	s_nop 0
	v_subbrev_co_u32_e64 v62, s[98:99], 0, v54, s[98:99]
	v_sub_u32_e32 v54, 0, v62
	v_ldexp_f32 v29, v29, v54
	v_ldexp_f32 v54, v56, v54
	v_add_f32_e32 v56, -1.0, v29
	v_add_f32_e32 v55, 1.0, v56
	v_sub_f32_e32 v55, v29, v55
	v_add_f32_e32 v57, v54, v55
	v_add_f32_e32 v55, 1.0, v29
	v_add_f32_e32 v58, -1.0, v55
	v_sub_f32_e32 v29, v29, v58
	v_add_f32_e32 v29, v54, v29
	v_add_f32_e32 v63, v55, v29
	v_rcp_f32_e32 v64, v63
	v_sub_f32_e32 v54, v55, v63
	v_add_f32_e32 v55, v56, v57
	v_add_f32_e32 v29, v29, v54
	v_mul_f32_e32 v66, v55, v64
	v_sub_f32_e32 v54, v56, v55
	v_mul_f32_e32 v56, v63, v66
	v_fma_f32 v58, v66, v63, -v56
	v_fmac_f32_e32 v58, v66, v29
	v_add_f32_e32 v65, v57, v54
	v_add_f32_e32 v54, v56, v58
	v_sub_f32_e32 v57, v55, v54
	v_pk_add_f32 v[60:61], v[54:55], v[56:57] neg_lo:[0,1] neg_hi:[0,1]
	v_mov_b32_e32 v59, v54
	v_pk_add_f32 v[54:55], v[60:61], v[58:59] neg_lo:[0,1] neg_hi:[0,1]
	v_cmp_eq_f32_e64 s[98:99], s5, v70
	v_add_f32_e32 v55, v65, v55
	v_add_f32_e32 v54, v54, v55
	v_add_f32_e32 v55, v57, v54
	v_mul_f32_e32 v65, v64, v55
	v_mul_f32_e32 v56, v63, v65
	v_fma_f32 v58, v65, v63, -v56
	v_fmac_f32_e32 v58, v65, v29
	v_sub_f32_e32 v29, v57, v55
	v_add_f32_e32 v29, v54, v29
	v_add_f32_e32 v54, v56, v58
	v_sub_f32_e32 v57, v55, v54
	v_pk_add_f32 v[60:61], v[54:55], v[56:57] neg_lo:[0,1] neg_hi:[0,1]
	v_mov_b32_e32 v59, v54
	v_pk_add_f32 v[54:55], v[60:61], v[58:59] neg_lo:[0,1] neg_hi:[0,1]
	v_cvt_f32_i32_e32 v56, v62
	v_add_f32_e32 v29, v29, v55
	v_add_f32_e32 v29, v54, v29
	;; [unrolled: 1-line block ×4, first 2 shown]
	v_sub_f32_e32 v55, v54, v66
	v_mul_f32_e32 v29, v64, v29
	v_sub_f32_e32 v55, v65, v55
	v_add_f32_e32 v29, v55, v29
	v_add_f32_e32 v57, v54, v29
	v_mul_f32_e32 v58, v57, v57
	v_mov_b32_e32 v55, 0x3ecc95a3
	v_fmac_f32_e32 v55, 0x3e9b6dac, v58
	v_sub_f32_e32 v54, v57, v54
	v_fmaak_f32 v55, v58, v55, 0x3f2aaada
	v_sub_f32_e32 v29, v29, v54
	v_ldexp_f32 v59, v57, 1
	v_mul_f32_e32 v57, v57, v58
	v_mov_b32_e32 v54, 0x3f317218
	v_pk_mul_f32 v[54:55], v[56:57], v[54:55]
	v_ldexp_f32 v29, v29, 1
	v_fma_f32 v57, v56, s4, -v54
	v_fmamk_f32 v58, v56, 0xb102e308, v57
	v_pk_add_f32 v[56:57], v[54:55], v[58:59]
	v_mov_b32_e32 v60, v54
	v_sub_f32_e32 v59, v57, v59
	v_sub_f32_e32 v59, v55, v59
	v_add_f32_e32 v61, v29, v59
	v_pk_add_f32 v[54:55], v[56:57], v[54:55] neg_lo:[0,1] neg_hi:[0,1]
	v_pk_add_f32 v[62:63], v[56:57], v[60:61]
	v_mov_b32_e32 v59, v56
	v_mov_b32_e32 v55, v63
	v_pk_add_f32 v[64:65], v[58:59], v[54:55] neg_lo:[0,1] neg_hi:[0,1]
	v_pk_add_f32 v[54:55], v[58:59], v[54:55]
	v_mov_b32_e32 v60, v61
	v_mov_b32_e32 v58, v55
	v_pk_add_f32 v[66:67], v[58:59], v[56:57] neg_lo:[0,1] neg_hi:[0,1]
	v_mov_b32_e32 v54, v63
	v_mov_b32_e32 v29, v66
	v_pk_add_f32 v[68:69], v[62:63], v[28:29] neg_lo:[0,1] neg_hi:[0,1]
	v_mov_b32_e32 v62, v57
	v_mov_b32_e32 v63, v66
	;; [unrolled: 1-line block ×3, first 2 shown]
	v_pk_add_f32 v[54:55], v[54:55], v[62:63] neg_lo:[0,1] neg_hi:[0,1]
	v_mov_b32_e32 v61, v56
	v_pk_add_f32 v[54:55], v[60:61], v[54:55] neg_lo:[0,1] neg_hi:[0,1]
	v_mov_b32_e32 v68, v64
	v_pk_add_f32 v[56:57], v[68:69], v[54:55]
	s_mov_b32 s4, 0x33800000
	v_mov_b32_e32 v60, v57
	v_pk_add_f32 v[60:61], v[56:57], v[60:61]
	v_cmp_lt_f32_e64 s[4:5], |v70|, s4
	v_pk_add_f32 v[58:59], v[58:59], v[60:61]
	v_mov_b32_e32 v55, v60
	v_mov_b32_e32 v57, v58
	v_pk_add_f32 v[62:63], v[56:57], v[64:65] neg_lo:[0,1] neg_hi:[0,1]
	s_or_b64 s[98:99], s[98:99], s[4:5]
	v_sub_f32_e32 v29, v56, v62
	v_pk_add_f32 v[54:55], v[54:55], v[62:63] neg_lo:[0,1] neg_hi:[0,1]
	v_sub_f32_e32 v29, v64, v29
	v_add_f32_e32 v29, v54, v29
	v_add_f32_e32 v29, v29, v55
	;; [unrolled: 1-line block ×3, first 2 shown]
	v_cndmask_b32_e64 v29, v29, v70, s[98:99]
	v_add_f32_e32 v54, v28, v29
.LBB151_94:
	s_or_b64 exec, exec, s[2:3]
	v_lshrrev_b32_e32 v28, 3, v0
	v_and_b32_e32 v29, 28, v28
	v_add_u32_e32 v29, v26, v29
	v_cmp_gt_u32_e64 s[98:99], 64, v0
	ds_write_b32 v29, v54
	s_waitcnt lgkmcnt(0)
	s_barrier
	s_and_saveexec_b64 s[2:3], s[98:99]
	s_cbranch_execz .LBB151_134
; %bb.95:
	v_add_lshl_u32 v55, v28, v26, 2
	ds_read2_b32 v[28:29], v55 offset1:1
	s_movk_i32 s33, 0x1f8
	s_waitcnt lgkmcnt(0)
	v_max_f32_e32 v57, v29, v29
	v_max_f32_e32 v56, v28, v28
	v_cmp_u_f32_e64 s[98:99], v28, v28
	v_min_f32_e32 v58, v56, v57
	v_max_f32_e32 v59, v56, v57
	v_cmp_u_f32_e32 vcc, v29, v29
	v_cndmask_b32_e64 v57, v58, v28, s[98:99]
	v_cndmask_b32_e64 v58, v59, v28, s[98:99]
	v_cndmask_b32_e32 v57, v57, v29, vcc
	v_cndmask_b32_e32 v29, v58, v29, vcc
	v_cmp_neq_f32_e32 vcc, v57, v29
	v_cmp_class_f32_e64 s[4:5], v57, s33
	s_or_b64 s[48:49], vcc, s[4:5]
	v_mov_b32_e32 v58, v28
	s_and_saveexec_b64 s[4:5], s[48:49]
	s_cbranch_execz .LBB151_97
; %bb.96:
	v_sub_f32_e32 v57, v57, v29
	s_mov_b32 s6, 0x3fb8aa3b
	v_mul_f32_e32 v58, 0x3fb8aa3b, v57
	v_fma_f32 v59, v57, s6, -v58
	v_rndne_f32_e32 v60, v58
	v_fmamk_f32 v59, v57, 0x32a5705f, v59
	v_sub_f32_e32 v58, v58, v60
	v_add_f32_e32 v58, v58, v59
	v_exp_f32_e32 v58, v58
	v_cvt_i32_f32_e32 v59, v60
	s_mov_b32 s6, 0xc2ce8ed0
	v_cmp_ngt_f32_e32 vcc, s6, v57
	s_mov_b32 s6, 0x42b17218
	v_ldexp_f32 v58, v58, v59
	v_cndmask_b32_e32 v58, 0, v58, vcc
	v_mov_b32_e32 v59, 0x7f800000
	v_cmp_nlt_f32_e32 vcc, s6, v57
	s_mov_b32 s6, 0x3f2aaaab
	s_mov_b32 s7, 0x7f800000
	v_cndmask_b32_e32 v74, v59, v58, vcc
	v_add_f32_e32 v57, 1.0, v74
	v_add_f32_e32 v58, -1.0, v57
	v_sub_f32_e32 v59, v58, v57
	v_add_f32_e32 v59, 1.0, v59
	v_sub_f32_e32 v58, v74, v58
	v_add_f32_e32 v60, v58, v59
	v_frexp_mant_f32_e32 v61, v57
	v_cvt_f64_f32_e32 v[58:59], v57
	v_frexp_exp_i32_f64_e32 v58, v[58:59]
	v_cmp_gt_f32_e32 vcc, s6, v61
	s_mov_b32 s6, 0x3f317218
	s_nop 0
	v_subbrev_co_u32_e32 v66, vcc, 0, v58, vcc
	v_sub_u32_e32 v58, 0, v66
	v_ldexp_f32 v57, v57, v58
	v_ldexp_f32 v58, v60, v58
	v_add_f32_e32 v60, -1.0, v57
	v_add_f32_e32 v59, 1.0, v60
	v_sub_f32_e32 v59, v57, v59
	v_add_f32_e32 v61, v58, v59
	v_add_f32_e32 v59, 1.0, v57
	v_add_f32_e32 v62, -1.0, v59
	v_sub_f32_e32 v57, v57, v62
	v_add_f32_e32 v57, v58, v57
	v_add_f32_e32 v67, v59, v57
	v_rcp_f32_e32 v68, v67
	v_sub_f32_e32 v58, v59, v67
	v_add_f32_e32 v59, v60, v61
	v_add_f32_e32 v57, v57, v58
	v_mul_f32_e32 v70, v59, v68
	v_sub_f32_e32 v58, v60, v59
	v_mul_f32_e32 v60, v67, v70
	v_fma_f32 v62, v70, v67, -v60
	v_fmac_f32_e32 v62, v70, v57
	v_add_f32_e32 v69, v61, v58
	v_add_f32_e32 v58, v60, v62
	v_sub_f32_e32 v61, v59, v58
	v_pk_add_f32 v[64:65], v[58:59], v[60:61] neg_lo:[0,1] neg_hi:[0,1]
	v_mov_b32_e32 v63, v58
	v_pk_add_f32 v[58:59], v[64:65], v[62:63] neg_lo:[0,1] neg_hi:[0,1]
	v_cmp_eq_f32_e32 vcc, s7, v74
	v_add_f32_e32 v59, v69, v59
	v_add_f32_e32 v58, v58, v59
	;; [unrolled: 1-line block ×3, first 2 shown]
	v_mul_f32_e32 v69, v68, v59
	v_mul_f32_e32 v60, v67, v69
	v_fma_f32 v62, v69, v67, -v60
	v_fmac_f32_e32 v62, v69, v57
	v_sub_f32_e32 v57, v61, v59
	v_add_f32_e32 v57, v58, v57
	v_add_f32_e32 v58, v60, v62
	v_sub_f32_e32 v61, v59, v58
	v_pk_add_f32 v[64:65], v[58:59], v[60:61] neg_lo:[0,1] neg_hi:[0,1]
	v_mov_b32_e32 v63, v58
	v_pk_add_f32 v[58:59], v[64:65], v[62:63] neg_lo:[0,1] neg_hi:[0,1]
	v_cvt_f32_i32_e32 v60, v66
	v_add_f32_e32 v57, v57, v59
	v_add_f32_e32 v57, v58, v57
	;; [unrolled: 1-line block ×4, first 2 shown]
	v_sub_f32_e32 v59, v58, v70
	v_mul_f32_e32 v57, v68, v57
	v_sub_f32_e32 v59, v69, v59
	v_add_f32_e32 v57, v59, v57
	v_add_f32_e32 v61, v58, v57
	v_mul_f32_e32 v62, v61, v61
	v_mov_b32_e32 v59, 0x3ecc95a3
	v_fmac_f32_e32 v59, 0x3e9b6dac, v62
	v_sub_f32_e32 v58, v61, v58
	v_fmaak_f32 v59, v62, v59, 0x3f2aaada
	v_sub_f32_e32 v57, v57, v58
	v_ldexp_f32 v63, v61, 1
	v_mul_f32_e32 v61, v61, v62
	v_mov_b32_e32 v58, 0x3f317218
	v_pk_mul_f32 v[58:59], v[60:61], v[58:59]
	v_ldexp_f32 v57, v57, 1
	v_fma_f32 v61, v60, s6, -v58
	v_fmamk_f32 v62, v60, 0xb102e308, v61
	v_pk_add_f32 v[60:61], v[58:59], v[62:63]
	v_mov_b32_e32 v64, v58
	v_sub_f32_e32 v63, v61, v63
	v_sub_f32_e32 v63, v59, v63
	v_add_f32_e32 v65, v57, v63
	v_pk_add_f32 v[58:59], v[60:61], v[58:59] neg_lo:[0,1] neg_hi:[0,1]
	v_pk_add_f32 v[66:67], v[60:61], v[64:65]
	v_mov_b32_e32 v63, v60
	v_mov_b32_e32 v59, v67
	v_pk_add_f32 v[68:69], v[62:63], v[58:59] neg_lo:[0,1] neg_hi:[0,1]
	v_pk_add_f32 v[58:59], v[62:63], v[58:59]
	v_mov_b32_e32 v64, v65
	v_mov_b32_e32 v62, v59
	v_pk_add_f32 v[70:71], v[62:63], v[60:61] neg_lo:[0,1] neg_hi:[0,1]
	v_mov_b32_e32 v58, v67
	v_mov_b32_e32 v57, v70
	v_pk_add_f32 v[72:73], v[66:67], v[56:57] neg_lo:[0,1] neg_hi:[0,1]
	v_mov_b32_e32 v66, v61
	v_mov_b32_e32 v67, v70
	;; [unrolled: 1-line block ×3, first 2 shown]
	v_pk_add_f32 v[58:59], v[58:59], v[66:67] neg_lo:[0,1] neg_hi:[0,1]
	v_mov_b32_e32 v65, v60
	v_pk_add_f32 v[58:59], v[64:65], v[58:59] neg_lo:[0,1] neg_hi:[0,1]
	v_mov_b32_e32 v72, v68
	v_pk_add_f32 v[60:61], v[72:73], v[58:59]
	s_mov_b32 s6, 0x33800000
	v_mov_b32_e32 v64, v61
	v_pk_add_f32 v[64:65], v[60:61], v[64:65]
	v_cmp_lt_f32_e64 s[6:7], |v74|, s6
	v_pk_add_f32 v[62:63], v[62:63], v[64:65]
	v_mov_b32_e32 v59, v64
	v_mov_b32_e32 v61, v62
	v_pk_add_f32 v[66:67], v[60:61], v[68:69] neg_lo:[0,1] neg_hi:[0,1]
	s_or_b64 vcc, vcc, s[6:7]
	v_sub_f32_e32 v57, v60, v66
	v_pk_add_f32 v[58:59], v[58:59], v[66:67] neg_lo:[0,1] neg_hi:[0,1]
	v_sub_f32_e32 v57, v68, v57
	v_add_f32_e32 v57, v58, v57
	v_add_f32_e32 v57, v57, v59
	;; [unrolled: 1-line block ×3, first 2 shown]
	v_cndmask_b32_e32 v57, v57, v74, vcc
	v_add_f32_e32 v58, v29, v57
.LBB151_97:
	s_or_b64 exec, exec, s[4:5]
	ds_read_b32 v29, v55 offset:8
	v_max_f32_e32 v57, v58, v58
	v_cmp_u_f32_e32 vcc, v58, v58
	s_waitcnt lgkmcnt(0)
	v_max_f32_e32 v59, v29, v29
	v_min_f32_e32 v60, v57, v59
	v_max_f32_e32 v59, v57, v59
	v_cmp_u_f32_e64 s[48:49], v29, v29
	v_cndmask_b32_e32 v57, v60, v58, vcc
	v_cndmask_b32_e32 v59, v59, v58, vcc
	v_cndmask_b32_e64 v57, v57, v29, s[48:49]
	v_cndmask_b32_e64 v29, v59, v29, s[48:49]
	v_cmp_neq_f32_e32 vcc, v57, v29
	v_cmp_class_f32_e64 s[4:5], v57, s33
	s_or_b64 s[6:7], vcc, s[4:5]
	s_and_saveexec_b64 s[4:5], s[6:7]
	s_cbranch_execz .LBB151_99
; %bb.98:
	v_sub_f32_e32 v57, v57, v29
	s_mov_b32 s6, 0x3fb8aa3b
	v_mul_f32_e32 v58, 0x3fb8aa3b, v57
	v_fma_f32 v59, v57, s6, -v58
	v_rndne_f32_e32 v60, v58
	v_fmamk_f32 v59, v57, 0x32a5705f, v59
	v_sub_f32_e32 v58, v58, v60
	v_add_f32_e32 v58, v58, v59
	v_exp_f32_e32 v58, v58
	v_cvt_i32_f32_e32 v59, v60
	s_mov_b32 s6, 0xc2ce8ed0
	v_cmp_ngt_f32_e32 vcc, s6, v57
	s_mov_b32 s6, 0x42b17218
	v_ldexp_f32 v58, v58, v59
	v_cndmask_b32_e32 v58, 0, v58, vcc
	v_mov_b32_e32 v59, 0x7f800000
	v_cmp_nlt_f32_e32 vcc, s6, v57
	s_mov_b32 s6, 0x3f2aaaab
	s_mov_b32 s7, 0x7f800000
	v_cndmask_b32_e32 v74, v59, v58, vcc
	v_add_f32_e32 v57, 1.0, v74
	v_add_f32_e32 v58, -1.0, v57
	v_sub_f32_e32 v59, v58, v57
	v_add_f32_e32 v59, 1.0, v59
	v_sub_f32_e32 v58, v74, v58
	v_add_f32_e32 v60, v58, v59
	v_frexp_mant_f32_e32 v61, v57
	v_cvt_f64_f32_e32 v[58:59], v57
	v_frexp_exp_i32_f64_e32 v58, v[58:59]
	v_cmp_gt_f32_e32 vcc, s6, v61
	s_mov_b32 s6, 0x3f317218
	s_nop 0
	v_subbrev_co_u32_e32 v66, vcc, 0, v58, vcc
	v_sub_u32_e32 v58, 0, v66
	v_ldexp_f32 v57, v57, v58
	v_ldexp_f32 v58, v60, v58
	v_add_f32_e32 v60, -1.0, v57
	v_add_f32_e32 v59, 1.0, v60
	v_sub_f32_e32 v59, v57, v59
	v_add_f32_e32 v61, v58, v59
	v_add_f32_e32 v59, 1.0, v57
	v_add_f32_e32 v62, -1.0, v59
	v_sub_f32_e32 v57, v57, v62
	v_add_f32_e32 v57, v58, v57
	v_add_f32_e32 v67, v59, v57
	v_rcp_f32_e32 v68, v67
	v_sub_f32_e32 v58, v59, v67
	v_add_f32_e32 v59, v60, v61
	v_add_f32_e32 v57, v57, v58
	v_mul_f32_e32 v70, v59, v68
	v_sub_f32_e32 v58, v60, v59
	v_mul_f32_e32 v60, v67, v70
	v_fma_f32 v62, v70, v67, -v60
	v_fmac_f32_e32 v62, v70, v57
	v_add_f32_e32 v69, v61, v58
	v_add_f32_e32 v58, v60, v62
	v_sub_f32_e32 v61, v59, v58
	v_pk_add_f32 v[64:65], v[58:59], v[60:61] neg_lo:[0,1] neg_hi:[0,1]
	v_mov_b32_e32 v63, v58
	v_pk_add_f32 v[58:59], v[64:65], v[62:63] neg_lo:[0,1] neg_hi:[0,1]
	v_cmp_eq_f32_e32 vcc, s7, v74
	v_add_f32_e32 v59, v69, v59
	v_add_f32_e32 v58, v58, v59
	v_add_f32_e32 v59, v61, v58
	v_mul_f32_e32 v69, v68, v59
	v_mul_f32_e32 v60, v67, v69
	v_fma_f32 v62, v69, v67, -v60
	v_fmac_f32_e32 v62, v69, v57
	v_sub_f32_e32 v57, v61, v59
	v_add_f32_e32 v57, v58, v57
	v_add_f32_e32 v58, v60, v62
	v_sub_f32_e32 v61, v59, v58
	v_pk_add_f32 v[64:65], v[58:59], v[60:61] neg_lo:[0,1] neg_hi:[0,1]
	v_mov_b32_e32 v63, v58
	v_pk_add_f32 v[58:59], v[64:65], v[62:63] neg_lo:[0,1] neg_hi:[0,1]
	v_cvt_f32_i32_e32 v60, v66
	v_add_f32_e32 v57, v57, v59
	v_add_f32_e32 v57, v58, v57
	;; [unrolled: 1-line block ×4, first 2 shown]
	v_sub_f32_e32 v59, v58, v70
	v_mul_f32_e32 v57, v68, v57
	v_sub_f32_e32 v59, v69, v59
	v_add_f32_e32 v57, v59, v57
	v_add_f32_e32 v61, v58, v57
	v_mul_f32_e32 v62, v61, v61
	v_mov_b32_e32 v59, 0x3ecc95a3
	v_fmac_f32_e32 v59, 0x3e9b6dac, v62
	v_sub_f32_e32 v58, v61, v58
	v_fmaak_f32 v59, v62, v59, 0x3f2aaada
	v_sub_f32_e32 v57, v57, v58
	v_ldexp_f32 v63, v61, 1
	v_mul_f32_e32 v61, v61, v62
	v_mov_b32_e32 v58, 0x3f317218
	v_pk_mul_f32 v[58:59], v[60:61], v[58:59]
	v_ldexp_f32 v57, v57, 1
	v_fma_f32 v61, v60, s6, -v58
	v_fmamk_f32 v62, v60, 0xb102e308, v61
	v_pk_add_f32 v[60:61], v[58:59], v[62:63]
	v_mov_b32_e32 v64, v58
	v_sub_f32_e32 v63, v61, v63
	v_sub_f32_e32 v63, v59, v63
	v_add_f32_e32 v65, v57, v63
	v_pk_add_f32 v[58:59], v[60:61], v[58:59] neg_lo:[0,1] neg_hi:[0,1]
	v_pk_add_f32 v[66:67], v[60:61], v[64:65]
	v_mov_b32_e32 v63, v60
	v_mov_b32_e32 v59, v67
	v_pk_add_f32 v[68:69], v[62:63], v[58:59] neg_lo:[0,1] neg_hi:[0,1]
	v_pk_add_f32 v[58:59], v[62:63], v[58:59]
	v_mov_b32_e32 v64, v65
	v_mov_b32_e32 v62, v59
	v_pk_add_f32 v[70:71], v[62:63], v[60:61] neg_lo:[0,1] neg_hi:[0,1]
	v_mov_b32_e32 v58, v67
	v_mov_b32_e32 v57, v70
	v_pk_add_f32 v[72:73], v[66:67], v[56:57] neg_lo:[0,1] neg_hi:[0,1]
	v_mov_b32_e32 v66, v61
	v_mov_b32_e32 v67, v70
	;; [unrolled: 1-line block ×3, first 2 shown]
	v_pk_add_f32 v[58:59], v[58:59], v[66:67] neg_lo:[0,1] neg_hi:[0,1]
	v_mov_b32_e32 v65, v60
	v_pk_add_f32 v[58:59], v[64:65], v[58:59] neg_lo:[0,1] neg_hi:[0,1]
	v_mov_b32_e32 v72, v68
	v_pk_add_f32 v[60:61], v[72:73], v[58:59]
	s_mov_b32 s6, 0x33800000
	v_mov_b32_e32 v64, v61
	v_pk_add_f32 v[64:65], v[60:61], v[64:65]
	v_cmp_lt_f32_e64 s[6:7], |v74|, s6
	v_pk_add_f32 v[62:63], v[62:63], v[64:65]
	v_mov_b32_e32 v59, v64
	v_mov_b32_e32 v61, v62
	v_pk_add_f32 v[66:67], v[60:61], v[68:69] neg_lo:[0,1] neg_hi:[0,1]
	s_or_b64 vcc, vcc, s[6:7]
	v_sub_f32_e32 v57, v60, v66
	v_pk_add_f32 v[58:59], v[58:59], v[66:67] neg_lo:[0,1] neg_hi:[0,1]
	v_sub_f32_e32 v57, v68, v57
	v_add_f32_e32 v57, v58, v57
	v_add_f32_e32 v57, v57, v59
	;; [unrolled: 1-line block ×3, first 2 shown]
	v_cndmask_b32_e32 v57, v57, v74, vcc
	v_add_f32_e32 v58, v29, v57
.LBB151_99:
	s_or_b64 exec, exec, s[4:5]
	ds_read_b32 v29, v55 offset:12
	v_max_f32_e32 v57, v58, v58
	v_cmp_u_f32_e32 vcc, v58, v58
	s_movk_i32 s4, 0x1f8
	s_waitcnt lgkmcnt(0)
	v_max_f32_e32 v59, v29, v29
	v_min_f32_e32 v60, v57, v59
	v_max_f32_e32 v59, v57, v59
	v_cmp_u_f32_e64 s[48:49], v29, v29
	v_cndmask_b32_e32 v57, v60, v58, vcc
	v_cndmask_b32_e32 v59, v59, v58, vcc
	v_cndmask_b32_e64 v57, v57, v29, s[48:49]
	v_cndmask_b32_e64 v29, v59, v29, s[48:49]
	v_cmp_neq_f32_e32 vcc, v57, v29
	v_cmp_class_f32_e64 s[4:5], v57, s4
	s_or_b64 s[6:7], vcc, s[4:5]
	s_and_saveexec_b64 s[4:5], s[6:7]
	s_cbranch_execz .LBB151_101
; %bb.100:
	v_sub_f32_e32 v57, v57, v29
	s_mov_b32 s6, 0x3fb8aa3b
	v_mul_f32_e32 v58, 0x3fb8aa3b, v57
	v_fma_f32 v59, v57, s6, -v58
	v_rndne_f32_e32 v60, v58
	v_fmamk_f32 v59, v57, 0x32a5705f, v59
	v_sub_f32_e32 v58, v58, v60
	v_add_f32_e32 v58, v58, v59
	v_exp_f32_e32 v58, v58
	v_cvt_i32_f32_e32 v59, v60
	s_mov_b32 s6, 0xc2ce8ed0
	v_cmp_ngt_f32_e32 vcc, s6, v57
	s_mov_b32 s6, 0x42b17218
	v_ldexp_f32 v58, v58, v59
	v_cndmask_b32_e32 v58, 0, v58, vcc
	v_mov_b32_e32 v59, 0x7f800000
	v_cmp_nlt_f32_e32 vcc, s6, v57
	s_mov_b32 s6, 0x3f2aaaab
	s_mov_b32 s7, 0x7f800000
	v_cndmask_b32_e32 v74, v59, v58, vcc
	v_add_f32_e32 v57, 1.0, v74
	v_add_f32_e32 v58, -1.0, v57
	v_sub_f32_e32 v59, v58, v57
	v_add_f32_e32 v59, 1.0, v59
	v_sub_f32_e32 v58, v74, v58
	v_add_f32_e32 v60, v58, v59
	v_frexp_mant_f32_e32 v61, v57
	v_cvt_f64_f32_e32 v[58:59], v57
	v_frexp_exp_i32_f64_e32 v58, v[58:59]
	v_cmp_gt_f32_e32 vcc, s6, v61
	s_mov_b32 s6, 0x3f317218
	s_nop 0
	v_subbrev_co_u32_e32 v66, vcc, 0, v58, vcc
	v_sub_u32_e32 v58, 0, v66
	v_ldexp_f32 v57, v57, v58
	v_ldexp_f32 v58, v60, v58
	v_add_f32_e32 v60, -1.0, v57
	v_add_f32_e32 v59, 1.0, v60
	v_sub_f32_e32 v59, v57, v59
	v_add_f32_e32 v61, v58, v59
	v_add_f32_e32 v59, 1.0, v57
	v_add_f32_e32 v62, -1.0, v59
	v_sub_f32_e32 v57, v57, v62
	v_add_f32_e32 v57, v58, v57
	v_add_f32_e32 v67, v59, v57
	v_rcp_f32_e32 v68, v67
	v_sub_f32_e32 v58, v59, v67
	v_add_f32_e32 v59, v60, v61
	v_add_f32_e32 v57, v57, v58
	v_mul_f32_e32 v70, v59, v68
	v_sub_f32_e32 v58, v60, v59
	v_mul_f32_e32 v60, v67, v70
	v_fma_f32 v62, v70, v67, -v60
	v_fmac_f32_e32 v62, v70, v57
	v_add_f32_e32 v69, v61, v58
	v_add_f32_e32 v58, v60, v62
	v_sub_f32_e32 v61, v59, v58
	v_pk_add_f32 v[64:65], v[58:59], v[60:61] neg_lo:[0,1] neg_hi:[0,1]
	v_mov_b32_e32 v63, v58
	v_pk_add_f32 v[58:59], v[64:65], v[62:63] neg_lo:[0,1] neg_hi:[0,1]
	v_cmp_eq_f32_e32 vcc, s7, v74
	v_add_f32_e32 v59, v69, v59
	v_add_f32_e32 v58, v58, v59
	;; [unrolled: 1-line block ×3, first 2 shown]
	v_mul_f32_e32 v69, v68, v59
	v_mul_f32_e32 v60, v67, v69
	v_fma_f32 v62, v69, v67, -v60
	v_fmac_f32_e32 v62, v69, v57
	v_sub_f32_e32 v57, v61, v59
	v_add_f32_e32 v57, v58, v57
	v_add_f32_e32 v58, v60, v62
	v_sub_f32_e32 v61, v59, v58
	v_pk_add_f32 v[64:65], v[58:59], v[60:61] neg_lo:[0,1] neg_hi:[0,1]
	v_mov_b32_e32 v63, v58
	v_pk_add_f32 v[58:59], v[64:65], v[62:63] neg_lo:[0,1] neg_hi:[0,1]
	v_cvt_f32_i32_e32 v60, v66
	v_add_f32_e32 v57, v57, v59
	v_add_f32_e32 v57, v58, v57
	;; [unrolled: 1-line block ×4, first 2 shown]
	v_sub_f32_e32 v59, v58, v70
	v_mul_f32_e32 v57, v68, v57
	v_sub_f32_e32 v59, v69, v59
	v_add_f32_e32 v57, v59, v57
	v_add_f32_e32 v61, v58, v57
	v_mul_f32_e32 v62, v61, v61
	v_mov_b32_e32 v59, 0x3ecc95a3
	v_fmac_f32_e32 v59, 0x3e9b6dac, v62
	v_sub_f32_e32 v58, v61, v58
	v_fmaak_f32 v59, v62, v59, 0x3f2aaada
	v_sub_f32_e32 v57, v57, v58
	v_ldexp_f32 v63, v61, 1
	v_mul_f32_e32 v61, v61, v62
	v_mov_b32_e32 v58, 0x3f317218
	v_pk_mul_f32 v[58:59], v[60:61], v[58:59]
	v_ldexp_f32 v57, v57, 1
	v_fma_f32 v61, v60, s6, -v58
	v_fmamk_f32 v62, v60, 0xb102e308, v61
	v_pk_add_f32 v[60:61], v[58:59], v[62:63]
	v_mov_b32_e32 v64, v58
	v_sub_f32_e32 v63, v61, v63
	v_sub_f32_e32 v63, v59, v63
	v_add_f32_e32 v65, v57, v63
	v_pk_add_f32 v[58:59], v[60:61], v[58:59] neg_lo:[0,1] neg_hi:[0,1]
	v_pk_add_f32 v[66:67], v[60:61], v[64:65]
	v_mov_b32_e32 v63, v60
	v_mov_b32_e32 v59, v67
	v_pk_add_f32 v[68:69], v[62:63], v[58:59] neg_lo:[0,1] neg_hi:[0,1]
	v_pk_add_f32 v[58:59], v[62:63], v[58:59]
	v_mov_b32_e32 v64, v65
	v_mov_b32_e32 v62, v59
	v_pk_add_f32 v[70:71], v[62:63], v[60:61] neg_lo:[0,1] neg_hi:[0,1]
	v_mov_b32_e32 v58, v67
	v_mov_b32_e32 v57, v70
	v_pk_add_f32 v[72:73], v[66:67], v[56:57] neg_lo:[0,1] neg_hi:[0,1]
	v_mov_b32_e32 v66, v61
	v_mov_b32_e32 v67, v70
	;; [unrolled: 1-line block ×3, first 2 shown]
	v_pk_add_f32 v[58:59], v[58:59], v[66:67] neg_lo:[0,1] neg_hi:[0,1]
	v_mov_b32_e32 v65, v60
	v_pk_add_f32 v[58:59], v[64:65], v[58:59] neg_lo:[0,1] neg_hi:[0,1]
	v_mov_b32_e32 v72, v68
	v_pk_add_f32 v[60:61], v[72:73], v[58:59]
	s_mov_b32 s6, 0x33800000
	v_mov_b32_e32 v64, v61
	v_pk_add_f32 v[64:65], v[60:61], v[64:65]
	v_cmp_lt_f32_e64 s[6:7], |v74|, s6
	v_pk_add_f32 v[62:63], v[62:63], v[64:65]
	v_mov_b32_e32 v59, v64
	v_mov_b32_e32 v61, v62
	v_pk_add_f32 v[66:67], v[60:61], v[68:69] neg_lo:[0,1] neg_hi:[0,1]
	s_or_b64 vcc, vcc, s[6:7]
	v_sub_f32_e32 v57, v60, v66
	v_pk_add_f32 v[58:59], v[58:59], v[66:67] neg_lo:[0,1] neg_hi:[0,1]
	v_sub_f32_e32 v57, v68, v57
	v_add_f32_e32 v57, v58, v57
	v_add_f32_e32 v57, v57, v59
	;; [unrolled: 1-line block ×3, first 2 shown]
	v_cndmask_b32_e32 v57, v57, v74, vcc
	v_add_f32_e32 v58, v29, v57
.LBB151_101:
	s_or_b64 exec, exec, s[4:5]
	v_mbcnt_lo_u32_b32 v29, -1, 0
	v_mbcnt_hi_u32_b32 v29, -1, v29
	v_and_b32_e32 v57, 15, v29
	v_mov_b32_dpp v59, v58 row_shr:1 row_mask:0xf bank_mask:0xf
	v_cmp_ne_u32_e32 vcc, 0, v57
	s_and_saveexec_b64 s[4:5], vcc
	s_xor_b64 s[4:5], exec, s[4:5]
	s_cbranch_execz .LBB151_105
; %bb.102:
	v_max_f32_e32 v61, v58, v58
	v_max_f32_e32 v62, v59, v59
	v_min_f32_e32 v60, v62, v61
	v_cmp_u_f32_e64 s[48:49], v59, v59
	v_max_f32_e32 v61, v62, v61
	v_cmp_u_f32_e32 vcc, v58, v58
	v_cndmask_b32_e64 v60, v60, v59, s[48:49]
	v_cndmask_b32_e64 v61, v61, v59, s[48:49]
	v_cndmask_b32_e32 v60, v60, v58, vcc
	v_cndmask_b32_e32 v58, v61, v58, vcc
	s_movk_i32 s6, 0x1f8
	v_cmp_neq_f32_e32 vcc, v60, v58
	v_cmp_class_f32_e64 s[48:49], v60, s6
	s_or_b64 vcc, vcc, s[48:49]
	s_and_saveexec_b64 s[48:49], vcc
	s_cbranch_execz .LBB151_104
; %bb.103:
	v_sub_f32_e32 v59, v60, v58
	s_mov_b32 s6, 0x3fb8aa3b
	v_mul_f32_e32 v60, 0x3fb8aa3b, v59
	v_fma_f32 v61, v59, s6, -v60
	v_rndne_f32_e32 v62, v60
	v_fmamk_f32 v61, v59, 0x32a5705f, v61
	v_sub_f32_e32 v60, v60, v62
	v_add_f32_e32 v60, v60, v61
	v_exp_f32_e32 v60, v60
	v_cvt_i32_f32_e32 v61, v62
	s_mov_b32 s6, 0xc2ce8ed0
	v_cmp_ngt_f32_e32 vcc, s6, v59
	s_mov_b32 s6, 0x42b17218
	v_ldexp_f32 v60, v60, v61
	v_cndmask_b32_e32 v60, 0, v60, vcc
	v_mov_b32_e32 v61, 0x7f800000
	v_cmp_nlt_f32_e32 vcc, s6, v59
	s_mov_b32 s6, 0x3f2aaaab
	s_mov_b32 s7, 0x7f800000
	v_cndmask_b32_e32 v76, v61, v60, vcc
	v_add_f32_e32 v59, 1.0, v76
	v_add_f32_e32 v60, -1.0, v59
	v_sub_f32_e32 v61, v60, v59
	v_add_f32_e32 v61, 1.0, v61
	v_sub_f32_e32 v60, v76, v60
	v_add_f32_e32 v62, v60, v61
	v_frexp_mant_f32_e32 v63, v59
	v_cvt_f64_f32_e32 v[60:61], v59
	v_frexp_exp_i32_f64_e32 v60, v[60:61]
	v_cmp_gt_f32_e32 vcc, s6, v63
	s_mov_b32 s6, 0x3f317218
	s_nop 0
	v_subbrev_co_u32_e32 v68, vcc, 0, v60, vcc
	v_sub_u32_e32 v60, 0, v68
	v_ldexp_f32 v59, v59, v60
	v_ldexp_f32 v60, v62, v60
	v_add_f32_e32 v62, -1.0, v59
	v_add_f32_e32 v61, 1.0, v62
	v_sub_f32_e32 v61, v59, v61
	v_add_f32_e32 v63, v60, v61
	v_add_f32_e32 v61, 1.0, v59
	v_add_f32_e32 v64, -1.0, v61
	v_sub_f32_e32 v59, v59, v64
	v_add_f32_e32 v59, v60, v59
	v_add_f32_e32 v69, v61, v59
	v_rcp_f32_e32 v70, v69
	v_sub_f32_e32 v60, v61, v69
	v_add_f32_e32 v61, v62, v63
	v_add_f32_e32 v59, v59, v60
	v_mul_f32_e32 v72, v61, v70
	v_sub_f32_e32 v60, v62, v61
	v_mul_f32_e32 v62, v69, v72
	v_fma_f32 v64, v72, v69, -v62
	v_fmac_f32_e32 v64, v72, v59
	v_add_f32_e32 v71, v63, v60
	v_add_f32_e32 v60, v62, v64
	v_sub_f32_e32 v63, v61, v60
	v_pk_add_f32 v[66:67], v[60:61], v[62:63] neg_lo:[0,1] neg_hi:[0,1]
	v_mov_b32_e32 v65, v60
	v_pk_add_f32 v[60:61], v[66:67], v[64:65] neg_lo:[0,1] neg_hi:[0,1]
	v_cmp_eq_f32_e32 vcc, s7, v76
	v_add_f32_e32 v61, v71, v61
	v_add_f32_e32 v60, v60, v61
	;; [unrolled: 1-line block ×3, first 2 shown]
	v_mul_f32_e32 v71, v70, v61
	v_mul_f32_e32 v62, v69, v71
	v_fma_f32 v64, v71, v69, -v62
	v_fmac_f32_e32 v64, v71, v59
	v_sub_f32_e32 v59, v63, v61
	v_add_f32_e32 v59, v60, v59
	v_add_f32_e32 v60, v62, v64
	v_sub_f32_e32 v63, v61, v60
	v_pk_add_f32 v[66:67], v[60:61], v[62:63] neg_lo:[0,1] neg_hi:[0,1]
	v_mov_b32_e32 v65, v60
	v_pk_add_f32 v[60:61], v[66:67], v[64:65] neg_lo:[0,1] neg_hi:[0,1]
	v_cvt_f32_i32_e32 v62, v68
	v_add_f32_e32 v59, v59, v61
	v_add_f32_e32 v59, v60, v59
	;; [unrolled: 1-line block ×4, first 2 shown]
	v_sub_f32_e32 v61, v60, v72
	v_mul_f32_e32 v59, v70, v59
	v_sub_f32_e32 v61, v71, v61
	v_add_f32_e32 v59, v61, v59
	v_add_f32_e32 v63, v60, v59
	v_mul_f32_e32 v64, v63, v63
	v_mov_b32_e32 v61, 0x3ecc95a3
	v_fmac_f32_e32 v61, 0x3e9b6dac, v64
	v_sub_f32_e32 v60, v63, v60
	v_fmaak_f32 v61, v64, v61, 0x3f2aaada
	v_sub_f32_e32 v59, v59, v60
	v_ldexp_f32 v65, v63, 1
	v_mul_f32_e32 v63, v63, v64
	v_mov_b32_e32 v60, 0x3f317218
	v_pk_mul_f32 v[60:61], v[62:63], v[60:61]
	v_ldexp_f32 v59, v59, 1
	v_fma_f32 v63, v62, s6, -v60
	v_fmamk_f32 v64, v62, 0xb102e308, v63
	v_pk_add_f32 v[62:63], v[60:61], v[64:65]
	v_mov_b32_e32 v66, v60
	v_sub_f32_e32 v65, v63, v65
	v_sub_f32_e32 v65, v61, v65
	v_add_f32_e32 v67, v59, v65
	v_pk_add_f32 v[60:61], v[62:63], v[60:61] neg_lo:[0,1] neg_hi:[0,1]
	v_pk_add_f32 v[68:69], v[62:63], v[66:67]
	v_mov_b32_e32 v65, v62
	v_mov_b32_e32 v61, v69
	v_pk_add_f32 v[70:71], v[64:65], v[60:61] neg_lo:[0,1] neg_hi:[0,1]
	v_pk_add_f32 v[60:61], v[64:65], v[60:61]
	v_mov_b32_e32 v66, v67
	v_mov_b32_e32 v64, v61
	v_pk_add_f32 v[72:73], v[64:65], v[62:63] neg_lo:[0,1] neg_hi:[0,1]
	v_mov_b32_e32 v60, v69
	v_mov_b32_e32 v59, v72
	v_pk_add_f32 v[74:75], v[68:69], v[58:59] neg_lo:[0,1] neg_hi:[0,1]
	v_mov_b32_e32 v68, v63
	v_mov_b32_e32 v69, v72
	;; [unrolled: 1-line block ×3, first 2 shown]
	v_pk_add_f32 v[60:61], v[60:61], v[68:69] neg_lo:[0,1] neg_hi:[0,1]
	v_mov_b32_e32 v67, v62
	v_pk_add_f32 v[60:61], v[66:67], v[60:61] neg_lo:[0,1] neg_hi:[0,1]
	v_mov_b32_e32 v74, v70
	v_pk_add_f32 v[62:63], v[74:75], v[60:61]
	s_mov_b32 s6, 0x33800000
	v_mov_b32_e32 v66, v63
	v_pk_add_f32 v[66:67], v[62:63], v[66:67]
	v_cmp_lt_f32_e64 s[6:7], |v76|, s6
	v_pk_add_f32 v[64:65], v[64:65], v[66:67]
	v_mov_b32_e32 v61, v66
	v_mov_b32_e32 v63, v64
	v_pk_add_f32 v[68:69], v[62:63], v[70:71] neg_lo:[0,1] neg_hi:[0,1]
	s_or_b64 vcc, vcc, s[6:7]
	v_sub_f32_e32 v59, v62, v68
	v_pk_add_f32 v[60:61], v[60:61], v[68:69] neg_lo:[0,1] neg_hi:[0,1]
	v_sub_f32_e32 v59, v70, v59
	v_add_f32_e32 v59, v60, v59
	v_add_f32_e32 v59, v59, v61
	;; [unrolled: 1-line block ×3, first 2 shown]
	v_cndmask_b32_e32 v59, v59, v76, vcc
	v_add_f32_e32 v59, v58, v59
.LBB151_104:
	s_or_b64 exec, exec, s[48:49]
	v_mov_b32_e32 v58, v59
.LBB151_105:
	s_or_b64 exec, exec, s[4:5]
	s_nop 0
	v_mov_b32_dpp v59, v58 row_shr:2 row_mask:0xf bank_mask:0xf
	v_cmp_lt_u32_e32 vcc, 1, v57
	s_and_saveexec_b64 s[4:5], vcc
	s_cbranch_execz .LBB151_109
; %bb.106:
	v_max_f32_e32 v61, v58, v58
	v_max_f32_e32 v62, v59, v59
	v_min_f32_e32 v60, v62, v61
	v_cmp_u_f32_e32 vcc, v59, v59
	v_max_f32_e32 v61, v62, v61
	v_cmp_u_f32_e64 s[48:49], v58, v58
	v_cndmask_b32_e32 v60, v60, v59, vcc
	v_cndmask_b32_e32 v61, v61, v59, vcc
	v_cndmask_b32_e64 v60, v60, v58, s[48:49]
	v_cndmask_b32_e64 v58, v61, v58, s[48:49]
	s_movk_i32 s6, 0x1f8
	v_cmp_neq_f32_e32 vcc, v60, v58
	v_cmp_class_f32_e64 s[6:7], v60, s6
	s_or_b64 s[6:7], vcc, s[6:7]
	s_and_saveexec_b64 s[48:49], s[6:7]
	s_cbranch_execz .LBB151_108
; %bb.107:
	v_sub_f32_e32 v59, v60, v58
	s_mov_b32 s6, 0x3fb8aa3b
	v_mul_f32_e32 v60, 0x3fb8aa3b, v59
	v_fma_f32 v61, v59, s6, -v60
	v_rndne_f32_e32 v62, v60
	v_fmamk_f32 v61, v59, 0x32a5705f, v61
	v_sub_f32_e32 v60, v60, v62
	v_add_f32_e32 v60, v60, v61
	v_exp_f32_e32 v60, v60
	v_cvt_i32_f32_e32 v61, v62
	s_mov_b32 s6, 0xc2ce8ed0
	v_cmp_ngt_f32_e32 vcc, s6, v59
	s_mov_b32 s6, 0x42b17218
	v_ldexp_f32 v60, v60, v61
	v_cndmask_b32_e32 v60, 0, v60, vcc
	v_mov_b32_e32 v61, 0x7f800000
	v_cmp_nlt_f32_e32 vcc, s6, v59
	s_mov_b32 s6, 0x3f2aaaab
	s_mov_b32 s7, 0x7f800000
	v_cndmask_b32_e32 v76, v61, v60, vcc
	v_add_f32_e32 v59, 1.0, v76
	v_add_f32_e32 v60, -1.0, v59
	v_sub_f32_e32 v61, v60, v59
	v_add_f32_e32 v61, 1.0, v61
	v_sub_f32_e32 v60, v76, v60
	v_add_f32_e32 v62, v60, v61
	v_frexp_mant_f32_e32 v63, v59
	v_cvt_f64_f32_e32 v[60:61], v59
	v_frexp_exp_i32_f64_e32 v60, v[60:61]
	v_cmp_gt_f32_e32 vcc, s6, v63
	s_mov_b32 s6, 0x3f317218
	s_nop 0
	v_subbrev_co_u32_e32 v68, vcc, 0, v60, vcc
	v_sub_u32_e32 v60, 0, v68
	v_ldexp_f32 v59, v59, v60
	v_ldexp_f32 v60, v62, v60
	v_add_f32_e32 v62, -1.0, v59
	v_add_f32_e32 v61, 1.0, v62
	v_sub_f32_e32 v61, v59, v61
	v_add_f32_e32 v63, v60, v61
	v_add_f32_e32 v61, 1.0, v59
	v_add_f32_e32 v64, -1.0, v61
	v_sub_f32_e32 v59, v59, v64
	v_add_f32_e32 v59, v60, v59
	v_add_f32_e32 v69, v61, v59
	v_rcp_f32_e32 v70, v69
	v_sub_f32_e32 v60, v61, v69
	v_add_f32_e32 v61, v62, v63
	v_add_f32_e32 v59, v59, v60
	v_mul_f32_e32 v72, v61, v70
	v_sub_f32_e32 v60, v62, v61
	v_mul_f32_e32 v62, v69, v72
	v_fma_f32 v64, v72, v69, -v62
	v_fmac_f32_e32 v64, v72, v59
	v_add_f32_e32 v71, v63, v60
	v_add_f32_e32 v60, v62, v64
	v_sub_f32_e32 v63, v61, v60
	v_pk_add_f32 v[66:67], v[60:61], v[62:63] neg_lo:[0,1] neg_hi:[0,1]
	v_mov_b32_e32 v65, v60
	v_pk_add_f32 v[60:61], v[66:67], v[64:65] neg_lo:[0,1] neg_hi:[0,1]
	v_cmp_eq_f32_e32 vcc, s7, v76
	v_add_f32_e32 v61, v71, v61
	v_add_f32_e32 v60, v60, v61
	;; [unrolled: 1-line block ×3, first 2 shown]
	v_mul_f32_e32 v71, v70, v61
	v_mul_f32_e32 v62, v69, v71
	v_fma_f32 v64, v71, v69, -v62
	v_fmac_f32_e32 v64, v71, v59
	v_sub_f32_e32 v59, v63, v61
	v_add_f32_e32 v59, v60, v59
	v_add_f32_e32 v60, v62, v64
	v_sub_f32_e32 v63, v61, v60
	v_pk_add_f32 v[66:67], v[60:61], v[62:63] neg_lo:[0,1] neg_hi:[0,1]
	v_mov_b32_e32 v65, v60
	v_pk_add_f32 v[60:61], v[66:67], v[64:65] neg_lo:[0,1] neg_hi:[0,1]
	v_cvt_f32_i32_e32 v62, v68
	v_add_f32_e32 v59, v59, v61
	v_add_f32_e32 v59, v60, v59
	;; [unrolled: 1-line block ×4, first 2 shown]
	v_sub_f32_e32 v61, v60, v72
	v_mul_f32_e32 v59, v70, v59
	v_sub_f32_e32 v61, v71, v61
	v_add_f32_e32 v59, v61, v59
	v_add_f32_e32 v63, v60, v59
	v_mul_f32_e32 v64, v63, v63
	v_mov_b32_e32 v61, 0x3ecc95a3
	v_fmac_f32_e32 v61, 0x3e9b6dac, v64
	v_sub_f32_e32 v60, v63, v60
	v_fmaak_f32 v61, v64, v61, 0x3f2aaada
	v_sub_f32_e32 v59, v59, v60
	v_ldexp_f32 v65, v63, 1
	v_mul_f32_e32 v63, v63, v64
	v_mov_b32_e32 v60, 0x3f317218
	v_pk_mul_f32 v[60:61], v[62:63], v[60:61]
	v_ldexp_f32 v59, v59, 1
	v_fma_f32 v63, v62, s6, -v60
	v_fmamk_f32 v64, v62, 0xb102e308, v63
	v_pk_add_f32 v[62:63], v[60:61], v[64:65]
	v_mov_b32_e32 v66, v60
	v_sub_f32_e32 v65, v63, v65
	v_sub_f32_e32 v65, v61, v65
	v_add_f32_e32 v67, v59, v65
	v_pk_add_f32 v[60:61], v[62:63], v[60:61] neg_lo:[0,1] neg_hi:[0,1]
	v_pk_add_f32 v[68:69], v[62:63], v[66:67]
	v_mov_b32_e32 v65, v62
	v_mov_b32_e32 v61, v69
	v_pk_add_f32 v[70:71], v[64:65], v[60:61] neg_lo:[0,1] neg_hi:[0,1]
	v_pk_add_f32 v[60:61], v[64:65], v[60:61]
	v_mov_b32_e32 v66, v67
	v_mov_b32_e32 v64, v61
	v_pk_add_f32 v[72:73], v[64:65], v[62:63] neg_lo:[0,1] neg_hi:[0,1]
	v_mov_b32_e32 v60, v69
	v_mov_b32_e32 v59, v72
	v_pk_add_f32 v[74:75], v[68:69], v[58:59] neg_lo:[0,1] neg_hi:[0,1]
	v_mov_b32_e32 v68, v63
	v_mov_b32_e32 v69, v72
	;; [unrolled: 1-line block ×3, first 2 shown]
	v_pk_add_f32 v[60:61], v[60:61], v[68:69] neg_lo:[0,1] neg_hi:[0,1]
	v_mov_b32_e32 v67, v62
	v_pk_add_f32 v[60:61], v[66:67], v[60:61] neg_lo:[0,1] neg_hi:[0,1]
	v_mov_b32_e32 v74, v70
	v_pk_add_f32 v[62:63], v[74:75], v[60:61]
	s_mov_b32 s6, 0x33800000
	v_mov_b32_e32 v66, v63
	v_pk_add_f32 v[66:67], v[62:63], v[66:67]
	v_cmp_lt_f32_e64 s[6:7], |v76|, s6
	v_pk_add_f32 v[64:65], v[64:65], v[66:67]
	v_mov_b32_e32 v61, v66
	v_mov_b32_e32 v63, v64
	v_pk_add_f32 v[68:69], v[62:63], v[70:71] neg_lo:[0,1] neg_hi:[0,1]
	s_or_b64 vcc, vcc, s[6:7]
	v_sub_f32_e32 v59, v62, v68
	v_pk_add_f32 v[60:61], v[60:61], v[68:69] neg_lo:[0,1] neg_hi:[0,1]
	v_sub_f32_e32 v59, v70, v59
	v_add_f32_e32 v59, v60, v59
	v_add_f32_e32 v59, v59, v61
	;; [unrolled: 1-line block ×3, first 2 shown]
	v_cndmask_b32_e32 v59, v59, v76, vcc
	v_add_f32_e32 v59, v58, v59
.LBB151_108:
	s_or_b64 exec, exec, s[48:49]
	v_mov_b32_e32 v58, v59
.LBB151_109:
	s_or_b64 exec, exec, s[4:5]
	s_nop 0
	v_mov_b32_dpp v59, v58 row_shr:4 row_mask:0xf bank_mask:0xf
	v_cmp_lt_u32_e32 vcc, 3, v57
	s_and_saveexec_b64 s[4:5], vcc
	s_cbranch_execz .LBB151_113
; %bb.110:
	v_max_f32_e32 v61, v58, v58
	v_max_f32_e32 v62, v59, v59
	v_min_f32_e32 v60, v62, v61
	v_cmp_u_f32_e32 vcc, v59, v59
	v_max_f32_e32 v61, v62, v61
	v_cmp_u_f32_e64 s[48:49], v58, v58
	v_cndmask_b32_e32 v60, v60, v59, vcc
	v_cndmask_b32_e32 v61, v61, v59, vcc
	v_cndmask_b32_e64 v60, v60, v58, s[48:49]
	v_cndmask_b32_e64 v58, v61, v58, s[48:49]
	s_movk_i32 s6, 0x1f8
	v_cmp_neq_f32_e32 vcc, v60, v58
	v_cmp_class_f32_e64 s[6:7], v60, s6
	s_or_b64 s[6:7], vcc, s[6:7]
	s_and_saveexec_b64 s[48:49], s[6:7]
	s_cbranch_execz .LBB151_112
; %bb.111:
	v_sub_f32_e32 v59, v60, v58
	s_mov_b32 s6, 0x3fb8aa3b
	v_mul_f32_e32 v60, 0x3fb8aa3b, v59
	v_fma_f32 v61, v59, s6, -v60
	v_rndne_f32_e32 v62, v60
	v_fmamk_f32 v61, v59, 0x32a5705f, v61
	v_sub_f32_e32 v60, v60, v62
	v_add_f32_e32 v60, v60, v61
	v_exp_f32_e32 v60, v60
	v_cvt_i32_f32_e32 v61, v62
	s_mov_b32 s6, 0xc2ce8ed0
	v_cmp_ngt_f32_e32 vcc, s6, v59
	s_mov_b32 s6, 0x42b17218
	v_ldexp_f32 v60, v60, v61
	v_cndmask_b32_e32 v60, 0, v60, vcc
	v_mov_b32_e32 v61, 0x7f800000
	v_cmp_nlt_f32_e32 vcc, s6, v59
	s_mov_b32 s6, 0x3f2aaaab
	s_mov_b32 s7, 0x7f800000
	v_cndmask_b32_e32 v76, v61, v60, vcc
	v_add_f32_e32 v59, 1.0, v76
	v_add_f32_e32 v60, -1.0, v59
	v_sub_f32_e32 v61, v60, v59
	v_add_f32_e32 v61, 1.0, v61
	v_sub_f32_e32 v60, v76, v60
	v_add_f32_e32 v62, v60, v61
	v_frexp_mant_f32_e32 v63, v59
	v_cvt_f64_f32_e32 v[60:61], v59
	v_frexp_exp_i32_f64_e32 v60, v[60:61]
	v_cmp_gt_f32_e32 vcc, s6, v63
	s_mov_b32 s6, 0x3f317218
	s_nop 0
	v_subbrev_co_u32_e32 v68, vcc, 0, v60, vcc
	v_sub_u32_e32 v60, 0, v68
	v_ldexp_f32 v59, v59, v60
	v_ldexp_f32 v60, v62, v60
	v_add_f32_e32 v62, -1.0, v59
	v_add_f32_e32 v61, 1.0, v62
	v_sub_f32_e32 v61, v59, v61
	v_add_f32_e32 v63, v60, v61
	v_add_f32_e32 v61, 1.0, v59
	v_add_f32_e32 v64, -1.0, v61
	v_sub_f32_e32 v59, v59, v64
	v_add_f32_e32 v59, v60, v59
	v_add_f32_e32 v69, v61, v59
	v_rcp_f32_e32 v70, v69
	v_sub_f32_e32 v60, v61, v69
	v_add_f32_e32 v61, v62, v63
	v_add_f32_e32 v59, v59, v60
	v_mul_f32_e32 v72, v61, v70
	v_sub_f32_e32 v60, v62, v61
	v_mul_f32_e32 v62, v69, v72
	v_fma_f32 v64, v72, v69, -v62
	v_fmac_f32_e32 v64, v72, v59
	v_add_f32_e32 v71, v63, v60
	v_add_f32_e32 v60, v62, v64
	v_sub_f32_e32 v63, v61, v60
	v_pk_add_f32 v[66:67], v[60:61], v[62:63] neg_lo:[0,1] neg_hi:[0,1]
	v_mov_b32_e32 v65, v60
	v_pk_add_f32 v[60:61], v[66:67], v[64:65] neg_lo:[0,1] neg_hi:[0,1]
	v_cmp_eq_f32_e32 vcc, s7, v76
	v_add_f32_e32 v61, v71, v61
	v_add_f32_e32 v60, v60, v61
	;; [unrolled: 1-line block ×3, first 2 shown]
	v_mul_f32_e32 v71, v70, v61
	v_mul_f32_e32 v62, v69, v71
	v_fma_f32 v64, v71, v69, -v62
	v_fmac_f32_e32 v64, v71, v59
	v_sub_f32_e32 v59, v63, v61
	v_add_f32_e32 v59, v60, v59
	v_add_f32_e32 v60, v62, v64
	v_sub_f32_e32 v63, v61, v60
	v_pk_add_f32 v[66:67], v[60:61], v[62:63] neg_lo:[0,1] neg_hi:[0,1]
	v_mov_b32_e32 v65, v60
	v_pk_add_f32 v[60:61], v[66:67], v[64:65] neg_lo:[0,1] neg_hi:[0,1]
	v_cvt_f32_i32_e32 v62, v68
	v_add_f32_e32 v59, v59, v61
	v_add_f32_e32 v59, v60, v59
	;; [unrolled: 1-line block ×4, first 2 shown]
	v_sub_f32_e32 v61, v60, v72
	v_mul_f32_e32 v59, v70, v59
	v_sub_f32_e32 v61, v71, v61
	v_add_f32_e32 v59, v61, v59
	v_add_f32_e32 v63, v60, v59
	v_mul_f32_e32 v64, v63, v63
	v_mov_b32_e32 v61, 0x3ecc95a3
	v_fmac_f32_e32 v61, 0x3e9b6dac, v64
	v_sub_f32_e32 v60, v63, v60
	v_fmaak_f32 v61, v64, v61, 0x3f2aaada
	v_sub_f32_e32 v59, v59, v60
	v_ldexp_f32 v65, v63, 1
	v_mul_f32_e32 v63, v63, v64
	v_mov_b32_e32 v60, 0x3f317218
	v_pk_mul_f32 v[60:61], v[62:63], v[60:61]
	v_ldexp_f32 v59, v59, 1
	v_fma_f32 v63, v62, s6, -v60
	v_fmamk_f32 v64, v62, 0xb102e308, v63
	v_pk_add_f32 v[62:63], v[60:61], v[64:65]
	v_mov_b32_e32 v66, v60
	v_sub_f32_e32 v65, v63, v65
	v_sub_f32_e32 v65, v61, v65
	v_add_f32_e32 v67, v59, v65
	v_pk_add_f32 v[60:61], v[62:63], v[60:61] neg_lo:[0,1] neg_hi:[0,1]
	v_pk_add_f32 v[68:69], v[62:63], v[66:67]
	v_mov_b32_e32 v65, v62
	v_mov_b32_e32 v61, v69
	v_pk_add_f32 v[70:71], v[64:65], v[60:61] neg_lo:[0,1] neg_hi:[0,1]
	v_pk_add_f32 v[60:61], v[64:65], v[60:61]
	v_mov_b32_e32 v66, v67
	v_mov_b32_e32 v64, v61
	v_pk_add_f32 v[72:73], v[64:65], v[62:63] neg_lo:[0,1] neg_hi:[0,1]
	v_mov_b32_e32 v60, v69
	v_mov_b32_e32 v59, v72
	v_pk_add_f32 v[74:75], v[68:69], v[58:59] neg_lo:[0,1] neg_hi:[0,1]
	v_mov_b32_e32 v68, v63
	v_mov_b32_e32 v69, v72
	;; [unrolled: 1-line block ×3, first 2 shown]
	v_pk_add_f32 v[60:61], v[60:61], v[68:69] neg_lo:[0,1] neg_hi:[0,1]
	v_mov_b32_e32 v67, v62
	v_pk_add_f32 v[60:61], v[66:67], v[60:61] neg_lo:[0,1] neg_hi:[0,1]
	v_mov_b32_e32 v74, v70
	v_pk_add_f32 v[62:63], v[74:75], v[60:61]
	s_mov_b32 s6, 0x33800000
	v_mov_b32_e32 v66, v63
	v_pk_add_f32 v[66:67], v[62:63], v[66:67]
	v_cmp_lt_f32_e64 s[6:7], |v76|, s6
	v_pk_add_f32 v[64:65], v[64:65], v[66:67]
	v_mov_b32_e32 v61, v66
	v_mov_b32_e32 v63, v64
	v_pk_add_f32 v[68:69], v[62:63], v[70:71] neg_lo:[0,1] neg_hi:[0,1]
	s_or_b64 vcc, vcc, s[6:7]
	v_sub_f32_e32 v59, v62, v68
	v_pk_add_f32 v[60:61], v[60:61], v[68:69] neg_lo:[0,1] neg_hi:[0,1]
	v_sub_f32_e32 v59, v70, v59
	v_add_f32_e32 v59, v60, v59
	v_add_f32_e32 v59, v59, v61
	;; [unrolled: 1-line block ×3, first 2 shown]
	v_cndmask_b32_e32 v59, v59, v76, vcc
	v_add_f32_e32 v59, v58, v59
.LBB151_112:
	s_or_b64 exec, exec, s[48:49]
	v_mov_b32_e32 v58, v59
.LBB151_113:
	s_or_b64 exec, exec, s[4:5]
	s_nop 0
	v_mov_b32_dpp v59, v58 row_shr:8 row_mask:0xf bank_mask:0xf
	v_cmp_lt_u32_e32 vcc, 7, v57
	s_and_saveexec_b64 s[4:5], vcc
	s_cbranch_execz .LBB151_117
; %bb.114:
	v_max_f32_e32 v57, v58, v58
	v_max_f32_e32 v61, v59, v59
	v_min_f32_e32 v60, v61, v57
	v_cmp_u_f32_e32 vcc, v59, v59
	v_max_f32_e32 v57, v61, v57
	v_cmp_u_f32_e64 s[48:49], v58, v58
	v_cndmask_b32_e32 v60, v60, v59, vcc
	v_cndmask_b32_e32 v57, v57, v59, vcc
	v_cndmask_b32_e64 v60, v60, v58, s[48:49]
	v_cndmask_b32_e64 v57, v57, v58, s[48:49]
	s_movk_i32 s6, 0x1f8
	v_cmp_neq_f32_e32 vcc, v60, v57
	v_cmp_class_f32_e64 s[6:7], v60, s6
	s_or_b64 s[6:7], vcc, s[6:7]
	s_and_saveexec_b64 s[48:49], s[6:7]
	s_cbranch_execz .LBB151_116
; %bb.115:
	v_sub_f32_e32 v58, v60, v57
	s_mov_b32 s6, 0x3fb8aa3b
	v_mul_f32_e32 v59, 0x3fb8aa3b, v58
	v_fma_f32 v60, v58, s6, -v59
	v_rndne_f32_e32 v61, v59
	v_fmamk_f32 v60, v58, 0x32a5705f, v60
	v_sub_f32_e32 v59, v59, v61
	v_add_f32_e32 v59, v59, v60
	v_exp_f32_e32 v59, v59
	v_cvt_i32_f32_e32 v60, v61
	s_mov_b32 s6, 0xc2ce8ed0
	v_cmp_ngt_f32_e32 vcc, s6, v58
	s_mov_b32 s6, 0x42b17218
	v_ldexp_f32 v59, v59, v60
	v_cndmask_b32_e32 v59, 0, v59, vcc
	v_mov_b32_e32 v60, 0x7f800000
	v_cmp_nlt_f32_e32 vcc, s6, v58
	s_mov_b32 s6, 0x3f2aaaab
	s_mov_b32 s7, 0x7f800000
	v_cndmask_b32_e32 v74, v60, v59, vcc
	v_add_f32_e32 v60, 1.0, v74
	v_add_f32_e32 v58, -1.0, v60
	v_sub_f32_e32 v59, v58, v60
	v_add_f32_e32 v59, 1.0, v59
	v_sub_f32_e32 v58, v74, v58
	v_add_f32_e32 v61, v58, v59
	v_frexp_mant_f32_e32 v62, v60
	v_cvt_f64_f32_e32 v[58:59], v60
	v_frexp_exp_i32_f64_e32 v58, v[58:59]
	v_cmp_gt_f32_e32 vcc, s6, v62
	s_mov_b32 s6, 0x3f317218
	s_nop 0
	v_subbrev_co_u32_e32 v66, vcc, 0, v58, vcc
	v_sub_u32_e32 v58, 0, v66
	v_ldexp_f32 v59, v60, v58
	v_add_f32_e32 v60, -1.0, v59
	v_add_f32_e32 v62, 1.0, v59
	v_ldexp_f32 v58, v61, v58
	v_add_f32_e32 v61, 1.0, v60
	v_add_f32_e32 v63, -1.0, v62
	v_sub_f32_e32 v61, v59, v61
	v_sub_f32_e32 v59, v59, v63
	v_add_f32_e32 v61, v58, v61
	v_add_f32_e32 v58, v58, v59
	;; [unrolled: 1-line block ×3, first 2 shown]
	v_rcp_f32_e32 v69, v67
	v_sub_f32_e32 v59, v62, v67
	v_add_f32_e32 v68, v58, v59
	v_add_f32_e32 v59, v60, v61
	v_mul_f32_e32 v71, v59, v69
	v_sub_f32_e32 v58, v60, v59
	v_mul_f32_e32 v60, v67, v71
	v_fma_f32 v62, v71, v67, -v60
	v_fmac_f32_e32 v62, v71, v68
	v_add_f32_e32 v70, v61, v58
	v_add_f32_e32 v58, v60, v62
	v_sub_f32_e32 v61, v59, v58
	v_pk_add_f32 v[64:65], v[58:59], v[60:61] neg_lo:[0,1] neg_hi:[0,1]
	v_mov_b32_e32 v63, v58
	v_pk_add_f32 v[58:59], v[64:65], v[62:63] neg_lo:[0,1] neg_hi:[0,1]
	v_cmp_eq_f32_e32 vcc, s7, v74
	v_add_f32_e32 v59, v70, v59
	v_add_f32_e32 v58, v58, v59
	;; [unrolled: 1-line block ×3, first 2 shown]
	v_mul_f32_e32 v70, v69, v59
	v_mul_f32_e32 v60, v67, v70
	v_fma_f32 v62, v70, v67, -v60
	v_fmac_f32_e32 v62, v70, v68
	v_sub_f32_e32 v61, v61, v59
	v_add_f32_e32 v67, v58, v61
	v_add_f32_e32 v58, v60, v62
	v_sub_f32_e32 v61, v59, v58
	v_pk_add_f32 v[64:65], v[58:59], v[60:61] neg_lo:[0,1] neg_hi:[0,1]
	v_mov_b32_e32 v63, v58
	v_pk_add_f32 v[58:59], v[64:65], v[62:63] neg_lo:[0,1] neg_hi:[0,1]
	v_cvt_f32_i32_e32 v60, v66
	v_add_f32_e32 v59, v67, v59
	v_add_f32_e32 v58, v58, v59
	;; [unrolled: 1-line block ×4, first 2 shown]
	v_sub_f32_e32 v59, v61, v71
	v_mul_f32_e32 v58, v69, v58
	v_sub_f32_e32 v59, v70, v59
	v_add_f32_e32 v58, v59, v58
	v_add_f32_e32 v62, v61, v58
	v_mul_f32_e32 v64, v62, v62
	v_mov_b32_e32 v59, 0x3ecc95a3
	v_sub_f32_e32 v61, v62, v61
	v_fmac_f32_e32 v59, 0x3e9b6dac, v64
	v_sub_f32_e32 v58, v58, v61
	v_fmaak_f32 v59, v64, v59, 0x3f2aaada
	v_ldexp_f32 v65, v58, 1
	v_mul_f32_e32 v61, v62, v64
	v_mov_b32_e32 v58, 0x3f317218
	v_pk_mul_f32 v[58:59], v[60:61], v[58:59]
	v_ldexp_f32 v63, v62, 1
	v_fma_f32 v61, v60, s6, -v58
	v_fmamk_f32 v62, v60, 0xb102e308, v61
	v_pk_add_f32 v[60:61], v[58:59], v[62:63]
	v_mov_b32_e32 v64, v58
	v_sub_f32_e32 v63, v61, v63
	v_sub_f32_e32 v63, v59, v63
	v_add_f32_e32 v65, v65, v63
	v_pk_add_f32 v[58:59], v[60:61], v[58:59] neg_lo:[0,1] neg_hi:[0,1]
	v_pk_add_f32 v[66:67], v[60:61], v[64:65]
	v_mov_b32_e32 v63, v60
	v_mov_b32_e32 v59, v67
	v_pk_add_f32 v[68:69], v[62:63], v[58:59] neg_lo:[0,1] neg_hi:[0,1]
	v_pk_add_f32 v[58:59], v[62:63], v[58:59]
	v_mov_b32_e32 v64, v65
	v_mov_b32_e32 v62, v59
	v_pk_add_f32 v[70:71], v[62:63], v[60:61] neg_lo:[0,1] neg_hi:[0,1]
	v_mov_b32_e32 v58, v67
	v_mov_b32_e32 v63, v70
	v_pk_add_f32 v[72:73], v[66:67], v[62:63] neg_lo:[0,1] neg_hi:[0,1]
	v_mov_b32_e32 v66, v61
	v_mov_b32_e32 v67, v70
	;; [unrolled: 1-line block ×3, first 2 shown]
	v_pk_add_f32 v[58:59], v[58:59], v[66:67] neg_lo:[0,1] neg_hi:[0,1]
	v_mov_b32_e32 v65, v60
	v_pk_add_f32 v[58:59], v[64:65], v[58:59] neg_lo:[0,1] neg_hi:[0,1]
	v_mov_b32_e32 v72, v68
	v_pk_add_f32 v[60:61], v[72:73], v[58:59]
	s_mov_b32 s6, 0x33800000
	v_mov_b32_e32 v64, v61
	v_pk_add_f32 v[64:65], v[60:61], v[64:65]
	v_cmp_lt_f32_e64 s[6:7], |v74|, s6
	v_pk_add_f32 v[62:63], v[62:63], v[64:65]
	v_mov_b32_e32 v59, v64
	v_mov_b32_e32 v61, v62
	v_pk_add_f32 v[66:67], v[60:61], v[68:69] neg_lo:[0,1] neg_hi:[0,1]
	s_or_b64 vcc, vcc, s[6:7]
	v_sub_f32_e32 v60, v60, v66
	v_pk_add_f32 v[58:59], v[58:59], v[66:67] neg_lo:[0,1] neg_hi:[0,1]
	v_sub_f32_e32 v60, v68, v60
	v_add_f32_e32 v58, v58, v60
	v_add_f32_e32 v58, v58, v59
	;; [unrolled: 1-line block ×3, first 2 shown]
	v_cndmask_b32_e32 v58, v58, v74, vcc
	v_add_f32_e32 v59, v57, v58
.LBB151_116:
	s_or_b64 exec, exec, s[48:49]
	v_mov_b32_e32 v58, v59
.LBB151_117:
	s_or_b64 exec, exec, s[4:5]
	v_and_b32_e32 v57, 16, v29
	v_mov_b32_dpp v59, v58 row_bcast:15 row_mask:0xf bank_mask:0xf
	v_cmp_ne_u32_e32 vcc, 0, v57
	s_and_saveexec_b64 s[4:5], vcc
	s_cbranch_execz .LBB151_121
; %bb.118:
	v_max_f32_e32 v57, v58, v58
	v_max_f32_e32 v61, v59, v59
	v_min_f32_e32 v60, v61, v57
	v_cmp_u_f32_e32 vcc, v59, v59
	v_max_f32_e32 v57, v61, v57
	v_cmp_u_f32_e64 s[48:49], v58, v58
	v_cndmask_b32_e32 v60, v60, v59, vcc
	v_cndmask_b32_e32 v57, v57, v59, vcc
	v_cndmask_b32_e64 v60, v60, v58, s[48:49]
	v_cndmask_b32_e64 v57, v57, v58, s[48:49]
	s_movk_i32 s6, 0x1f8
	v_cmp_neq_f32_e32 vcc, v60, v57
	v_cmp_class_f32_e64 s[6:7], v60, s6
	s_or_b64 s[6:7], vcc, s[6:7]
	s_and_saveexec_b64 s[48:49], s[6:7]
	s_cbranch_execz .LBB151_120
; %bb.119:
	v_sub_f32_e32 v58, v60, v57
	s_mov_b32 s6, 0x3fb8aa3b
	v_mul_f32_e32 v59, 0x3fb8aa3b, v58
	v_fma_f32 v60, v58, s6, -v59
	v_rndne_f32_e32 v61, v59
	v_fmamk_f32 v60, v58, 0x32a5705f, v60
	v_sub_f32_e32 v59, v59, v61
	v_add_f32_e32 v59, v59, v60
	v_exp_f32_e32 v59, v59
	v_cvt_i32_f32_e32 v60, v61
	s_mov_b32 s6, 0xc2ce8ed0
	v_cmp_ngt_f32_e32 vcc, s6, v58
	s_mov_b32 s6, 0x42b17218
	v_ldexp_f32 v59, v59, v60
	v_cndmask_b32_e32 v59, 0, v59, vcc
	v_mov_b32_e32 v60, 0x7f800000
	v_cmp_nlt_f32_e32 vcc, s6, v58
	s_mov_b32 s6, 0x3f2aaaab
	s_mov_b32 s7, 0x7f800000
	v_cndmask_b32_e32 v74, v60, v59, vcc
	v_add_f32_e32 v60, 1.0, v74
	v_add_f32_e32 v58, -1.0, v60
	v_sub_f32_e32 v59, v58, v60
	v_add_f32_e32 v59, 1.0, v59
	v_sub_f32_e32 v58, v74, v58
	v_add_f32_e32 v61, v58, v59
	v_frexp_mant_f32_e32 v62, v60
	v_cvt_f64_f32_e32 v[58:59], v60
	v_frexp_exp_i32_f64_e32 v58, v[58:59]
	v_cmp_gt_f32_e32 vcc, s6, v62
	s_mov_b32 s6, 0x3f317218
	s_nop 0
	v_subbrev_co_u32_e32 v66, vcc, 0, v58, vcc
	v_sub_u32_e32 v58, 0, v66
	v_ldexp_f32 v59, v60, v58
	v_add_f32_e32 v60, -1.0, v59
	v_add_f32_e32 v62, 1.0, v59
	v_ldexp_f32 v58, v61, v58
	v_add_f32_e32 v61, 1.0, v60
	v_add_f32_e32 v63, -1.0, v62
	v_sub_f32_e32 v61, v59, v61
	v_sub_f32_e32 v59, v59, v63
	v_add_f32_e32 v61, v58, v61
	v_add_f32_e32 v58, v58, v59
	;; [unrolled: 1-line block ×3, first 2 shown]
	v_rcp_f32_e32 v69, v67
	v_sub_f32_e32 v59, v62, v67
	v_add_f32_e32 v68, v58, v59
	v_add_f32_e32 v59, v60, v61
	v_mul_f32_e32 v71, v59, v69
	v_sub_f32_e32 v58, v60, v59
	v_mul_f32_e32 v60, v67, v71
	v_fma_f32 v62, v71, v67, -v60
	v_fmac_f32_e32 v62, v71, v68
	v_add_f32_e32 v70, v61, v58
	v_add_f32_e32 v58, v60, v62
	v_sub_f32_e32 v61, v59, v58
	v_pk_add_f32 v[64:65], v[58:59], v[60:61] neg_lo:[0,1] neg_hi:[0,1]
	v_mov_b32_e32 v63, v58
	v_pk_add_f32 v[58:59], v[64:65], v[62:63] neg_lo:[0,1] neg_hi:[0,1]
	v_cmp_eq_f32_e32 vcc, s7, v74
	v_add_f32_e32 v59, v70, v59
	v_add_f32_e32 v58, v58, v59
	;; [unrolled: 1-line block ×3, first 2 shown]
	v_mul_f32_e32 v70, v69, v59
	v_mul_f32_e32 v60, v67, v70
	v_fma_f32 v62, v70, v67, -v60
	v_fmac_f32_e32 v62, v70, v68
	v_sub_f32_e32 v61, v61, v59
	v_add_f32_e32 v67, v58, v61
	v_add_f32_e32 v58, v60, v62
	v_sub_f32_e32 v61, v59, v58
	v_pk_add_f32 v[64:65], v[58:59], v[60:61] neg_lo:[0,1] neg_hi:[0,1]
	v_mov_b32_e32 v63, v58
	v_pk_add_f32 v[58:59], v[64:65], v[62:63] neg_lo:[0,1] neg_hi:[0,1]
	v_cvt_f32_i32_e32 v60, v66
	v_add_f32_e32 v59, v67, v59
	v_add_f32_e32 v58, v58, v59
	;; [unrolled: 1-line block ×4, first 2 shown]
	v_sub_f32_e32 v59, v61, v71
	v_mul_f32_e32 v58, v69, v58
	v_sub_f32_e32 v59, v70, v59
	v_add_f32_e32 v58, v59, v58
	v_add_f32_e32 v62, v61, v58
	v_mul_f32_e32 v64, v62, v62
	v_mov_b32_e32 v59, 0x3ecc95a3
	v_sub_f32_e32 v61, v62, v61
	v_fmac_f32_e32 v59, 0x3e9b6dac, v64
	v_sub_f32_e32 v58, v58, v61
	v_fmaak_f32 v59, v64, v59, 0x3f2aaada
	v_ldexp_f32 v65, v58, 1
	v_mul_f32_e32 v61, v62, v64
	v_mov_b32_e32 v58, 0x3f317218
	v_pk_mul_f32 v[58:59], v[60:61], v[58:59]
	v_ldexp_f32 v63, v62, 1
	v_fma_f32 v61, v60, s6, -v58
	v_fmamk_f32 v62, v60, 0xb102e308, v61
	v_pk_add_f32 v[60:61], v[58:59], v[62:63]
	v_mov_b32_e32 v64, v58
	v_sub_f32_e32 v63, v61, v63
	v_sub_f32_e32 v63, v59, v63
	v_add_f32_e32 v65, v65, v63
	v_pk_add_f32 v[58:59], v[60:61], v[58:59] neg_lo:[0,1] neg_hi:[0,1]
	v_pk_add_f32 v[66:67], v[60:61], v[64:65]
	v_mov_b32_e32 v63, v60
	v_mov_b32_e32 v59, v67
	v_pk_add_f32 v[68:69], v[62:63], v[58:59] neg_lo:[0,1] neg_hi:[0,1]
	v_pk_add_f32 v[58:59], v[62:63], v[58:59]
	v_mov_b32_e32 v64, v65
	v_mov_b32_e32 v62, v59
	v_pk_add_f32 v[70:71], v[62:63], v[60:61] neg_lo:[0,1] neg_hi:[0,1]
	v_mov_b32_e32 v58, v67
	v_mov_b32_e32 v63, v70
	v_pk_add_f32 v[72:73], v[66:67], v[62:63] neg_lo:[0,1] neg_hi:[0,1]
	v_mov_b32_e32 v66, v61
	v_mov_b32_e32 v67, v70
	;; [unrolled: 1-line block ×3, first 2 shown]
	v_pk_add_f32 v[58:59], v[58:59], v[66:67] neg_lo:[0,1] neg_hi:[0,1]
	v_mov_b32_e32 v65, v60
	v_pk_add_f32 v[58:59], v[64:65], v[58:59] neg_lo:[0,1] neg_hi:[0,1]
	v_mov_b32_e32 v72, v68
	v_pk_add_f32 v[60:61], v[72:73], v[58:59]
	s_mov_b32 s6, 0x33800000
	v_mov_b32_e32 v64, v61
	v_pk_add_f32 v[64:65], v[60:61], v[64:65]
	v_cmp_lt_f32_e64 s[6:7], |v74|, s6
	v_pk_add_f32 v[62:63], v[62:63], v[64:65]
	v_mov_b32_e32 v59, v64
	v_mov_b32_e32 v61, v62
	v_pk_add_f32 v[66:67], v[60:61], v[68:69] neg_lo:[0,1] neg_hi:[0,1]
	s_or_b64 vcc, vcc, s[6:7]
	v_sub_f32_e32 v60, v60, v66
	v_pk_add_f32 v[58:59], v[58:59], v[66:67] neg_lo:[0,1] neg_hi:[0,1]
	v_sub_f32_e32 v60, v68, v60
	v_add_f32_e32 v58, v58, v60
	v_add_f32_e32 v58, v58, v59
	;; [unrolled: 1-line block ×3, first 2 shown]
	v_cndmask_b32_e32 v58, v58, v74, vcc
	v_add_f32_e32 v59, v57, v58
.LBB151_120:
	s_or_b64 exec, exec, s[48:49]
	v_mov_b32_e32 v58, v59
.LBB151_121:
	s_or_b64 exec, exec, s[4:5]
	s_nop 0
	v_mov_b32_dpp v59, v58 row_bcast:31 row_mask:0xf bank_mask:0xf
	v_cmp_lt_u32_e32 vcc, 31, v29
	s_and_saveexec_b64 s[4:5], vcc
	s_cbranch_execz .LBB151_125
; %bb.122:
	v_max_f32_e32 v57, v58, v58
	v_max_f32_e32 v61, v59, v59
	v_min_f32_e32 v60, v61, v57
	v_cmp_u_f32_e32 vcc, v59, v59
	v_max_f32_e32 v57, v61, v57
	v_cmp_u_f32_e64 s[48:49], v58, v58
	v_cndmask_b32_e32 v60, v60, v59, vcc
	v_cndmask_b32_e32 v57, v57, v59, vcc
	v_cndmask_b32_e64 v60, v60, v58, s[48:49]
	v_cndmask_b32_e64 v57, v57, v58, s[48:49]
	s_movk_i32 s6, 0x1f8
	v_cmp_neq_f32_e32 vcc, v60, v57
	v_cmp_class_f32_e64 s[6:7], v60, s6
	s_or_b64 s[6:7], vcc, s[6:7]
	s_and_saveexec_b64 s[48:49], s[6:7]
	s_cbranch_execz .LBB151_124
; %bb.123:
	v_sub_f32_e32 v58, v60, v57
	s_mov_b32 s6, 0x3fb8aa3b
	v_mul_f32_e32 v59, 0x3fb8aa3b, v58
	v_fma_f32 v60, v58, s6, -v59
	v_rndne_f32_e32 v61, v59
	v_fmamk_f32 v60, v58, 0x32a5705f, v60
	v_sub_f32_e32 v59, v59, v61
	v_add_f32_e32 v59, v59, v60
	v_exp_f32_e32 v59, v59
	v_cvt_i32_f32_e32 v60, v61
	s_mov_b32 s6, 0xc2ce8ed0
	v_cmp_ngt_f32_e32 vcc, s6, v58
	s_mov_b32 s6, 0x42b17218
	v_ldexp_f32 v59, v59, v60
	v_cndmask_b32_e32 v59, 0, v59, vcc
	v_mov_b32_e32 v60, 0x7f800000
	v_cmp_nlt_f32_e32 vcc, s6, v58
	s_mov_b32 s6, 0x3f2aaaab
	s_mov_b32 s7, 0x7f800000
	v_cndmask_b32_e32 v74, v60, v59, vcc
	v_add_f32_e32 v60, 1.0, v74
	v_add_f32_e32 v58, -1.0, v60
	v_sub_f32_e32 v59, v58, v60
	v_add_f32_e32 v59, 1.0, v59
	v_sub_f32_e32 v58, v74, v58
	v_add_f32_e32 v61, v58, v59
	v_frexp_mant_f32_e32 v62, v60
	v_cvt_f64_f32_e32 v[58:59], v60
	v_frexp_exp_i32_f64_e32 v58, v[58:59]
	v_cmp_gt_f32_e32 vcc, s6, v62
	s_mov_b32 s6, 0x3f317218
	s_nop 0
	v_subbrev_co_u32_e32 v66, vcc, 0, v58, vcc
	v_sub_u32_e32 v58, 0, v66
	v_ldexp_f32 v59, v60, v58
	v_add_f32_e32 v60, -1.0, v59
	v_add_f32_e32 v62, 1.0, v59
	v_ldexp_f32 v58, v61, v58
	v_add_f32_e32 v61, 1.0, v60
	v_add_f32_e32 v63, -1.0, v62
	v_sub_f32_e32 v61, v59, v61
	v_sub_f32_e32 v59, v59, v63
	v_add_f32_e32 v61, v58, v61
	v_add_f32_e32 v58, v58, v59
	;; [unrolled: 1-line block ×3, first 2 shown]
	v_rcp_f32_e32 v69, v67
	v_sub_f32_e32 v59, v62, v67
	v_add_f32_e32 v68, v58, v59
	v_add_f32_e32 v59, v60, v61
	v_mul_f32_e32 v71, v59, v69
	v_sub_f32_e32 v58, v60, v59
	v_mul_f32_e32 v60, v67, v71
	v_fma_f32 v62, v71, v67, -v60
	v_fmac_f32_e32 v62, v71, v68
	v_add_f32_e32 v70, v61, v58
	v_add_f32_e32 v58, v60, v62
	v_sub_f32_e32 v61, v59, v58
	v_pk_add_f32 v[64:65], v[58:59], v[60:61] neg_lo:[0,1] neg_hi:[0,1]
	v_mov_b32_e32 v63, v58
	v_pk_add_f32 v[58:59], v[64:65], v[62:63] neg_lo:[0,1] neg_hi:[0,1]
	v_cmp_eq_f32_e32 vcc, s7, v74
	v_add_f32_e32 v59, v70, v59
	v_add_f32_e32 v58, v58, v59
	v_add_f32_e32 v59, v61, v58
	v_mul_f32_e32 v70, v69, v59
	v_mul_f32_e32 v60, v67, v70
	v_fma_f32 v62, v70, v67, -v60
	v_fmac_f32_e32 v62, v70, v68
	v_sub_f32_e32 v61, v61, v59
	v_add_f32_e32 v67, v58, v61
	v_add_f32_e32 v58, v60, v62
	v_sub_f32_e32 v61, v59, v58
	v_pk_add_f32 v[64:65], v[58:59], v[60:61] neg_lo:[0,1] neg_hi:[0,1]
	v_mov_b32_e32 v63, v58
	v_pk_add_f32 v[58:59], v[64:65], v[62:63] neg_lo:[0,1] neg_hi:[0,1]
	v_cvt_f32_i32_e32 v60, v66
	v_add_f32_e32 v59, v67, v59
	v_add_f32_e32 v58, v58, v59
	;; [unrolled: 1-line block ×4, first 2 shown]
	v_sub_f32_e32 v59, v61, v71
	v_mul_f32_e32 v58, v69, v58
	v_sub_f32_e32 v59, v70, v59
	v_add_f32_e32 v58, v59, v58
	v_add_f32_e32 v62, v61, v58
	v_mul_f32_e32 v64, v62, v62
	v_mov_b32_e32 v59, 0x3ecc95a3
	v_sub_f32_e32 v61, v62, v61
	v_fmac_f32_e32 v59, 0x3e9b6dac, v64
	v_sub_f32_e32 v58, v58, v61
	v_fmaak_f32 v59, v64, v59, 0x3f2aaada
	v_ldexp_f32 v65, v58, 1
	v_mul_f32_e32 v61, v62, v64
	v_mov_b32_e32 v58, 0x3f317218
	v_pk_mul_f32 v[58:59], v[60:61], v[58:59]
	v_ldexp_f32 v63, v62, 1
	v_fma_f32 v61, v60, s6, -v58
	v_fmamk_f32 v62, v60, 0xb102e308, v61
	v_pk_add_f32 v[60:61], v[58:59], v[62:63]
	v_mov_b32_e32 v64, v58
	v_sub_f32_e32 v63, v61, v63
	v_sub_f32_e32 v63, v59, v63
	v_add_f32_e32 v65, v65, v63
	v_pk_add_f32 v[58:59], v[60:61], v[58:59] neg_lo:[0,1] neg_hi:[0,1]
	v_pk_add_f32 v[66:67], v[60:61], v[64:65]
	v_mov_b32_e32 v63, v60
	v_mov_b32_e32 v59, v67
	v_pk_add_f32 v[68:69], v[62:63], v[58:59] neg_lo:[0,1] neg_hi:[0,1]
	v_pk_add_f32 v[58:59], v[62:63], v[58:59]
	v_mov_b32_e32 v64, v65
	v_mov_b32_e32 v62, v59
	v_pk_add_f32 v[70:71], v[62:63], v[60:61] neg_lo:[0,1] neg_hi:[0,1]
	v_mov_b32_e32 v58, v67
	v_mov_b32_e32 v63, v70
	v_pk_add_f32 v[72:73], v[66:67], v[62:63] neg_lo:[0,1] neg_hi:[0,1]
	v_mov_b32_e32 v66, v61
	v_mov_b32_e32 v67, v70
	;; [unrolled: 1-line block ×3, first 2 shown]
	v_pk_add_f32 v[58:59], v[58:59], v[66:67] neg_lo:[0,1] neg_hi:[0,1]
	v_mov_b32_e32 v65, v60
	v_pk_add_f32 v[58:59], v[64:65], v[58:59] neg_lo:[0,1] neg_hi:[0,1]
	v_mov_b32_e32 v72, v68
	v_pk_add_f32 v[60:61], v[72:73], v[58:59]
	s_mov_b32 s6, 0x33800000
	v_mov_b32_e32 v64, v61
	v_pk_add_f32 v[64:65], v[60:61], v[64:65]
	v_cmp_lt_f32_e64 s[6:7], |v74|, s6
	v_pk_add_f32 v[62:63], v[62:63], v[64:65]
	v_mov_b32_e32 v59, v64
	v_mov_b32_e32 v61, v62
	v_pk_add_f32 v[66:67], v[60:61], v[68:69] neg_lo:[0,1] neg_hi:[0,1]
	s_or_b64 vcc, vcc, s[6:7]
	v_sub_f32_e32 v60, v60, v66
	v_pk_add_f32 v[58:59], v[58:59], v[66:67] neg_lo:[0,1] neg_hi:[0,1]
	v_sub_f32_e32 v60, v68, v60
	v_add_f32_e32 v58, v58, v60
	v_add_f32_e32 v58, v58, v59
	;; [unrolled: 1-line block ×3, first 2 shown]
	v_cndmask_b32_e32 v58, v58, v74, vcc
	v_add_f32_e32 v59, v57, v58
.LBB151_124:
	s_or_b64 exec, exec, s[48:49]
	v_mov_b32_e32 v58, v59
.LBB151_125:
	s_or_b64 exec, exec, s[4:5]
	v_add_u32_e32 v57, -1, v29
	v_and_b32_e32 v59, 64, v29
	v_cmp_lt_i32_e32 vcc, v57, v59
	s_nop 1
	v_cndmask_b32_e32 v29, v57, v29, vcc
	v_lshlrev_b32_e32 v29, 2, v29
	ds_bpermute_b32 v29, v29, v58
	s_waitcnt lgkmcnt(0)
	v_max_f32_e32 v57, v29, v29
	v_cmp_u_f32_e32 vcc, v29, v29
	v_min_f32_e32 v58, v57, v56
	v_max_f32_e32 v56, v57, v56
	v_cndmask_b32_e32 v57, v58, v29, vcc
	v_cndmask_b32_e32 v58, v56, v29, vcc
	v_cndmask_b32_e64 v56, v57, v28, s[98:99]
	v_cndmask_b32_e64 v28, v58, v28, s[98:99]
	v_cmp_neq_f32_e32 vcc, v56, v28
	v_cmp_class_f32_e64 s[4:5], v56, s33
	s_or_b64 s[6:7], vcc, s[4:5]
	s_and_saveexec_b64 s[4:5], s[6:7]
	s_cbranch_execz .LBB151_127
; %bb.126:
	v_sub_f32_e32 v29, v56, v28
	s_mov_b32 s6, 0x3fb8aa3b
	v_mul_f32_e32 v56, 0x3fb8aa3b, v29
	v_fma_f32 v57, v29, s6, -v56
	v_rndne_f32_e32 v58, v56
	v_fmamk_f32 v57, v29, 0x32a5705f, v57
	v_sub_f32_e32 v56, v56, v58
	v_add_f32_e32 v56, v56, v57
	v_exp_f32_e32 v56, v56
	v_cvt_i32_f32_e32 v57, v58
	s_mov_b32 s6, 0xc2ce8ed0
	v_cmp_ngt_f32_e32 vcc, s6, v29
	s_mov_b32 s6, 0x42b17218
	v_ldexp_f32 v56, v56, v57
	v_cndmask_b32_e32 v56, 0, v56, vcc
	v_mov_b32_e32 v57, 0x7f800000
	v_cmp_nlt_f32_e32 vcc, s6, v29
	s_mov_b32 s6, 0x3f2aaaab
	s_mov_b32 s7, 0x7f800000
	v_cndmask_b32_e32 v72, v57, v56, vcc
	v_add_f32_e32 v29, 1.0, v72
	v_add_f32_e32 v56, -1.0, v29
	v_sub_f32_e32 v57, v56, v29
	v_add_f32_e32 v57, 1.0, v57
	v_sub_f32_e32 v56, v72, v56
	v_add_f32_e32 v58, v56, v57
	v_frexp_mant_f32_e32 v59, v29
	v_cvt_f64_f32_e32 v[56:57], v29
	v_frexp_exp_i32_f64_e32 v56, v[56:57]
	v_cmp_gt_f32_e32 vcc, s6, v59
	s_mov_b32 s6, 0x3f317218
	s_nop 0
	v_subbrev_co_u32_e32 v64, vcc, 0, v56, vcc
	v_sub_u32_e32 v56, 0, v64
	v_ldexp_f32 v29, v29, v56
	v_ldexp_f32 v56, v58, v56
	v_add_f32_e32 v58, -1.0, v29
	v_add_f32_e32 v57, 1.0, v58
	v_sub_f32_e32 v57, v29, v57
	v_add_f32_e32 v59, v56, v57
	v_add_f32_e32 v57, 1.0, v29
	v_add_f32_e32 v60, -1.0, v57
	v_sub_f32_e32 v29, v29, v60
	v_add_f32_e32 v29, v56, v29
	v_add_f32_e32 v65, v57, v29
	v_rcp_f32_e32 v66, v65
	v_sub_f32_e32 v56, v57, v65
	v_add_f32_e32 v57, v58, v59
	v_add_f32_e32 v29, v29, v56
	v_mul_f32_e32 v68, v57, v66
	v_sub_f32_e32 v56, v58, v57
	v_mul_f32_e32 v58, v65, v68
	v_fma_f32 v60, v68, v65, -v58
	v_fmac_f32_e32 v60, v68, v29
	v_add_f32_e32 v67, v59, v56
	v_add_f32_e32 v56, v58, v60
	v_sub_f32_e32 v59, v57, v56
	v_pk_add_f32 v[62:63], v[56:57], v[58:59] neg_lo:[0,1] neg_hi:[0,1]
	v_mov_b32_e32 v61, v56
	v_pk_add_f32 v[56:57], v[62:63], v[60:61] neg_lo:[0,1] neg_hi:[0,1]
	v_cmp_eq_f32_e32 vcc, s7, v72
	v_add_f32_e32 v57, v67, v57
	v_add_f32_e32 v56, v56, v57
	;; [unrolled: 1-line block ×3, first 2 shown]
	v_mul_f32_e32 v67, v66, v57
	v_mul_f32_e32 v58, v65, v67
	v_fma_f32 v60, v67, v65, -v58
	v_fmac_f32_e32 v60, v67, v29
	v_sub_f32_e32 v29, v59, v57
	v_add_f32_e32 v29, v56, v29
	v_add_f32_e32 v56, v58, v60
	v_sub_f32_e32 v59, v57, v56
	v_pk_add_f32 v[62:63], v[56:57], v[58:59] neg_lo:[0,1] neg_hi:[0,1]
	v_mov_b32_e32 v61, v56
	v_pk_add_f32 v[56:57], v[62:63], v[60:61] neg_lo:[0,1] neg_hi:[0,1]
	v_cvt_f32_i32_e32 v58, v64
	v_add_f32_e32 v29, v29, v57
	v_add_f32_e32 v29, v56, v29
	;; [unrolled: 1-line block ×4, first 2 shown]
	v_sub_f32_e32 v57, v56, v68
	v_mul_f32_e32 v29, v66, v29
	v_sub_f32_e32 v57, v67, v57
	v_add_f32_e32 v29, v57, v29
	v_add_f32_e32 v59, v56, v29
	v_mul_f32_e32 v60, v59, v59
	v_mov_b32_e32 v57, 0x3ecc95a3
	v_fmac_f32_e32 v57, 0x3e9b6dac, v60
	v_sub_f32_e32 v56, v59, v56
	v_fmaak_f32 v57, v60, v57, 0x3f2aaada
	v_sub_f32_e32 v29, v29, v56
	v_ldexp_f32 v61, v59, 1
	v_mul_f32_e32 v59, v59, v60
	v_mov_b32_e32 v56, 0x3f317218
	v_pk_mul_f32 v[56:57], v[58:59], v[56:57]
	v_ldexp_f32 v29, v29, 1
	v_fma_f32 v59, v58, s6, -v56
	v_fmamk_f32 v60, v58, 0xb102e308, v59
	v_pk_add_f32 v[58:59], v[56:57], v[60:61]
	v_mov_b32_e32 v62, v56
	v_sub_f32_e32 v61, v59, v61
	v_sub_f32_e32 v61, v57, v61
	v_add_f32_e32 v63, v29, v61
	v_pk_add_f32 v[56:57], v[58:59], v[56:57] neg_lo:[0,1] neg_hi:[0,1]
	v_pk_add_f32 v[64:65], v[58:59], v[62:63]
	v_mov_b32_e32 v61, v58
	v_mov_b32_e32 v57, v65
	v_pk_add_f32 v[66:67], v[60:61], v[56:57] neg_lo:[0,1] neg_hi:[0,1]
	v_pk_add_f32 v[56:57], v[60:61], v[56:57]
	v_mov_b32_e32 v62, v63
	v_mov_b32_e32 v60, v57
	v_pk_add_f32 v[68:69], v[60:61], v[58:59] neg_lo:[0,1] neg_hi:[0,1]
	v_mov_b32_e32 v56, v65
	v_mov_b32_e32 v29, v68
	v_pk_add_f32 v[70:71], v[64:65], v[28:29] neg_lo:[0,1] neg_hi:[0,1]
	v_mov_b32_e32 v64, v59
	v_mov_b32_e32 v65, v68
	;; [unrolled: 1-line block ×3, first 2 shown]
	v_pk_add_f32 v[56:57], v[56:57], v[64:65] neg_lo:[0,1] neg_hi:[0,1]
	v_mov_b32_e32 v63, v58
	v_pk_add_f32 v[56:57], v[62:63], v[56:57] neg_lo:[0,1] neg_hi:[0,1]
	v_mov_b32_e32 v70, v66
	v_pk_add_f32 v[58:59], v[70:71], v[56:57]
	s_mov_b32 s6, 0x33800000
	v_mov_b32_e32 v62, v59
	v_pk_add_f32 v[62:63], v[58:59], v[62:63]
	v_cmp_lt_f32_e64 s[6:7], |v72|, s6
	v_pk_add_f32 v[60:61], v[60:61], v[62:63]
	v_mov_b32_e32 v57, v62
	v_mov_b32_e32 v59, v60
	v_pk_add_f32 v[64:65], v[58:59], v[66:67] neg_lo:[0,1] neg_hi:[0,1]
	s_or_b64 vcc, vcc, s[6:7]
	v_sub_f32_e32 v29, v58, v64
	v_pk_add_f32 v[56:57], v[56:57], v[64:65] neg_lo:[0,1] neg_hi:[0,1]
	v_sub_f32_e32 v29, v66, v29
	v_add_f32_e32 v29, v56, v29
	v_add_f32_e32 v29, v29, v57
	;; [unrolled: 1-line block ×3, first 2 shown]
	v_cndmask_b32_e32 v29, v29, v72, vcc
	v_add_f32_e32 v29, v28, v29
.LBB151_127:
	s_or_b64 exec, exec, s[4:5]
	v_cmp_eq_u32_e32 vcc, 0, v0
	; wave barrier
	s_nop 1
	v_cndmask_b32_e32 v29, v29, v54, vcc
	ds_write_b32 v55, v29
	; wave barrier
	ds_read_b32 v28, v55 offset:4
	v_max_f32_e32 v57, v29, v29
	v_cmp_u_f32_e32 vcc, v29, v29
	s_waitcnt lgkmcnt(0)
	v_max_f32_e32 v58, v28, v28
	v_min_f32_e32 v56, v57, v58
	v_max_f32_e32 v57, v57, v58
	v_cndmask_b32_e32 v56, v56, v29, vcc
	v_cmp_u_f32_e64 s[48:49], v28, v28
	v_cndmask_b32_e32 v57, v57, v29, vcc
	s_nop 0
	v_cndmask_b32_e64 v56, v56, v28, s[48:49]
	v_cndmask_b32_e64 v28, v57, v28, s[48:49]
	v_cmp_neq_f32_e32 vcc, v56, v28
	v_cmp_class_f32_e64 s[4:5], v56, s33
	s_or_b64 s[6:7], vcc, s[4:5]
	s_and_saveexec_b64 s[4:5], s[6:7]
	s_cbranch_execz .LBB151_129
; %bb.128:
	v_sub_f32_e32 v29, v56, v28
	s_mov_b32 s6, 0x3fb8aa3b
	v_mul_f32_e32 v56, 0x3fb8aa3b, v29
	v_fma_f32 v57, v29, s6, -v56
	v_rndne_f32_e32 v58, v56
	v_fmamk_f32 v57, v29, 0x32a5705f, v57
	v_sub_f32_e32 v56, v56, v58
	v_add_f32_e32 v56, v56, v57
	v_exp_f32_e32 v56, v56
	v_cvt_i32_f32_e32 v57, v58
	s_mov_b32 s6, 0xc2ce8ed0
	v_cmp_ngt_f32_e32 vcc, s6, v29
	s_mov_b32 s6, 0x42b17218
	v_ldexp_f32 v56, v56, v57
	v_cndmask_b32_e32 v56, 0, v56, vcc
	v_mov_b32_e32 v57, 0x7f800000
	v_cmp_nlt_f32_e32 vcc, s6, v29
	s_mov_b32 s6, 0x3f2aaaab
	s_mov_b32 s7, 0x7f800000
	v_cndmask_b32_e32 v72, v57, v56, vcc
	v_add_f32_e32 v29, 1.0, v72
	v_add_f32_e32 v56, -1.0, v29
	v_sub_f32_e32 v57, v56, v29
	v_add_f32_e32 v57, 1.0, v57
	v_sub_f32_e32 v56, v72, v56
	v_add_f32_e32 v58, v56, v57
	v_frexp_mant_f32_e32 v59, v29
	v_cvt_f64_f32_e32 v[56:57], v29
	v_frexp_exp_i32_f64_e32 v56, v[56:57]
	v_cmp_gt_f32_e32 vcc, s6, v59
	s_mov_b32 s6, 0x3f317218
	s_nop 0
	v_subbrev_co_u32_e32 v64, vcc, 0, v56, vcc
	v_sub_u32_e32 v56, 0, v64
	v_ldexp_f32 v29, v29, v56
	v_ldexp_f32 v56, v58, v56
	v_add_f32_e32 v58, -1.0, v29
	v_add_f32_e32 v57, 1.0, v58
	v_sub_f32_e32 v57, v29, v57
	v_add_f32_e32 v59, v56, v57
	v_add_f32_e32 v57, 1.0, v29
	v_add_f32_e32 v60, -1.0, v57
	v_sub_f32_e32 v29, v29, v60
	v_add_f32_e32 v29, v56, v29
	v_add_f32_e32 v65, v57, v29
	v_rcp_f32_e32 v66, v65
	v_sub_f32_e32 v56, v57, v65
	v_add_f32_e32 v57, v58, v59
	v_add_f32_e32 v29, v29, v56
	v_mul_f32_e32 v68, v57, v66
	v_sub_f32_e32 v56, v58, v57
	v_mul_f32_e32 v58, v65, v68
	v_fma_f32 v60, v68, v65, -v58
	v_fmac_f32_e32 v60, v68, v29
	v_add_f32_e32 v67, v59, v56
	v_add_f32_e32 v56, v58, v60
	v_sub_f32_e32 v59, v57, v56
	v_pk_add_f32 v[62:63], v[56:57], v[58:59] neg_lo:[0,1] neg_hi:[0,1]
	v_mov_b32_e32 v61, v56
	v_pk_add_f32 v[56:57], v[62:63], v[60:61] neg_lo:[0,1] neg_hi:[0,1]
	v_cmp_eq_f32_e32 vcc, s7, v72
	v_add_f32_e32 v57, v67, v57
	v_add_f32_e32 v56, v56, v57
	;; [unrolled: 1-line block ×3, first 2 shown]
	v_mul_f32_e32 v67, v66, v57
	v_mul_f32_e32 v58, v65, v67
	v_fma_f32 v60, v67, v65, -v58
	v_fmac_f32_e32 v60, v67, v29
	v_sub_f32_e32 v29, v59, v57
	v_add_f32_e32 v29, v56, v29
	v_add_f32_e32 v56, v58, v60
	v_sub_f32_e32 v59, v57, v56
	v_pk_add_f32 v[62:63], v[56:57], v[58:59] neg_lo:[0,1] neg_hi:[0,1]
	v_mov_b32_e32 v61, v56
	v_pk_add_f32 v[56:57], v[62:63], v[60:61] neg_lo:[0,1] neg_hi:[0,1]
	v_cvt_f32_i32_e32 v58, v64
	v_add_f32_e32 v29, v29, v57
	v_add_f32_e32 v29, v56, v29
	;; [unrolled: 1-line block ×4, first 2 shown]
	v_sub_f32_e32 v57, v56, v68
	v_mul_f32_e32 v29, v66, v29
	v_sub_f32_e32 v57, v67, v57
	v_add_f32_e32 v29, v57, v29
	v_add_f32_e32 v59, v56, v29
	v_mul_f32_e32 v60, v59, v59
	v_mov_b32_e32 v57, 0x3ecc95a3
	v_fmac_f32_e32 v57, 0x3e9b6dac, v60
	v_sub_f32_e32 v56, v59, v56
	v_fmaak_f32 v57, v60, v57, 0x3f2aaada
	v_sub_f32_e32 v29, v29, v56
	v_ldexp_f32 v61, v59, 1
	v_mul_f32_e32 v59, v59, v60
	v_mov_b32_e32 v56, 0x3f317218
	v_pk_mul_f32 v[56:57], v[58:59], v[56:57]
	v_ldexp_f32 v29, v29, 1
	v_fma_f32 v59, v58, s6, -v56
	v_fmamk_f32 v60, v58, 0xb102e308, v59
	v_pk_add_f32 v[58:59], v[56:57], v[60:61]
	v_mov_b32_e32 v62, v56
	v_sub_f32_e32 v61, v59, v61
	v_sub_f32_e32 v61, v57, v61
	v_add_f32_e32 v63, v29, v61
	v_pk_add_f32 v[56:57], v[58:59], v[56:57] neg_lo:[0,1] neg_hi:[0,1]
	v_pk_add_f32 v[64:65], v[58:59], v[62:63]
	v_mov_b32_e32 v61, v58
	v_mov_b32_e32 v57, v65
	v_pk_add_f32 v[66:67], v[60:61], v[56:57] neg_lo:[0,1] neg_hi:[0,1]
	v_pk_add_f32 v[56:57], v[60:61], v[56:57]
	v_mov_b32_e32 v62, v63
	v_mov_b32_e32 v60, v57
	v_pk_add_f32 v[68:69], v[60:61], v[58:59] neg_lo:[0,1] neg_hi:[0,1]
	v_mov_b32_e32 v56, v65
	v_mov_b32_e32 v29, v68
	v_pk_add_f32 v[70:71], v[64:65], v[28:29] neg_lo:[0,1] neg_hi:[0,1]
	v_mov_b32_e32 v64, v59
	v_mov_b32_e32 v65, v68
	v_mov_b32_e32 v67, v57
	v_pk_add_f32 v[56:57], v[56:57], v[64:65] neg_lo:[0,1] neg_hi:[0,1]
	v_mov_b32_e32 v63, v58
	v_pk_add_f32 v[56:57], v[62:63], v[56:57] neg_lo:[0,1] neg_hi:[0,1]
	v_mov_b32_e32 v70, v66
	v_pk_add_f32 v[58:59], v[70:71], v[56:57]
	s_mov_b32 s6, 0x33800000
	v_mov_b32_e32 v62, v59
	v_pk_add_f32 v[62:63], v[58:59], v[62:63]
	v_cmp_lt_f32_e64 s[6:7], |v72|, s6
	v_pk_add_f32 v[60:61], v[60:61], v[62:63]
	v_mov_b32_e32 v57, v62
	v_mov_b32_e32 v59, v60
	v_pk_add_f32 v[64:65], v[58:59], v[66:67] neg_lo:[0,1] neg_hi:[0,1]
	s_or_b64 vcc, vcc, s[6:7]
	v_sub_f32_e32 v29, v58, v64
	v_pk_add_f32 v[56:57], v[56:57], v[64:65] neg_lo:[0,1] neg_hi:[0,1]
	v_sub_f32_e32 v29, v66, v29
	v_add_f32_e32 v29, v56, v29
	v_add_f32_e32 v29, v29, v57
	;; [unrolled: 1-line block ×3, first 2 shown]
	v_cndmask_b32_e32 v29, v29, v72, vcc
	v_add_f32_e32 v29, v28, v29
.LBB151_129:
	s_or_b64 exec, exec, s[4:5]
	ds_read_b32 v28, v55 offset:8
	v_max_f32_e32 v57, v29, v29
	v_cmp_u_f32_e32 vcc, v29, v29
	ds_write_b32 v55, v29 offset:4
	s_waitcnt lgkmcnt(1)
	v_max_f32_e32 v58, v28, v28
	v_min_f32_e32 v56, v57, v58
	v_max_f32_e32 v57, v57, v58
	v_cmp_u_f32_e64 s[48:49], v28, v28
	v_cndmask_b32_e32 v56, v56, v29, vcc
	v_cndmask_b32_e32 v57, v57, v29, vcc
	v_cndmask_b32_e64 v56, v56, v28, s[48:49]
	v_cndmask_b32_e64 v28, v57, v28, s[48:49]
	v_cmp_neq_f32_e32 vcc, v56, v28
	v_cmp_class_f32_e64 s[4:5], v56, s33
	s_or_b64 s[6:7], vcc, s[4:5]
	s_and_saveexec_b64 s[4:5], s[6:7]
	s_cbranch_execz .LBB151_131
; %bb.130:
	v_sub_f32_e32 v29, v56, v28
	s_mov_b32 s6, 0x3fb8aa3b
	v_mul_f32_e32 v56, 0x3fb8aa3b, v29
	v_fma_f32 v57, v29, s6, -v56
	v_rndne_f32_e32 v58, v56
	v_fmamk_f32 v57, v29, 0x32a5705f, v57
	v_sub_f32_e32 v56, v56, v58
	v_add_f32_e32 v56, v56, v57
	v_exp_f32_e32 v56, v56
	v_cvt_i32_f32_e32 v57, v58
	s_mov_b32 s6, 0xc2ce8ed0
	v_cmp_ngt_f32_e32 vcc, s6, v29
	s_mov_b32 s6, 0x42b17218
	v_ldexp_f32 v56, v56, v57
	v_cndmask_b32_e32 v56, 0, v56, vcc
	v_mov_b32_e32 v57, 0x7f800000
	v_cmp_nlt_f32_e32 vcc, s6, v29
	s_mov_b32 s6, 0x3f2aaaab
	s_mov_b32 s7, 0x7f800000
	v_cndmask_b32_e32 v72, v57, v56, vcc
	v_add_f32_e32 v29, 1.0, v72
	v_add_f32_e32 v56, -1.0, v29
	v_sub_f32_e32 v57, v56, v29
	v_add_f32_e32 v57, 1.0, v57
	v_sub_f32_e32 v56, v72, v56
	v_add_f32_e32 v58, v56, v57
	v_frexp_mant_f32_e32 v59, v29
	v_cvt_f64_f32_e32 v[56:57], v29
	v_frexp_exp_i32_f64_e32 v56, v[56:57]
	v_cmp_gt_f32_e32 vcc, s6, v59
	s_mov_b32 s6, 0x3f317218
	s_nop 0
	v_subbrev_co_u32_e32 v64, vcc, 0, v56, vcc
	v_sub_u32_e32 v56, 0, v64
	v_ldexp_f32 v29, v29, v56
	v_ldexp_f32 v56, v58, v56
	v_add_f32_e32 v58, -1.0, v29
	v_add_f32_e32 v57, 1.0, v58
	v_sub_f32_e32 v57, v29, v57
	v_add_f32_e32 v59, v56, v57
	v_add_f32_e32 v57, 1.0, v29
	v_add_f32_e32 v60, -1.0, v57
	v_sub_f32_e32 v29, v29, v60
	v_add_f32_e32 v29, v56, v29
	v_add_f32_e32 v65, v57, v29
	v_rcp_f32_e32 v66, v65
	v_sub_f32_e32 v56, v57, v65
	v_add_f32_e32 v57, v58, v59
	v_add_f32_e32 v29, v29, v56
	v_mul_f32_e32 v68, v57, v66
	v_sub_f32_e32 v56, v58, v57
	v_mul_f32_e32 v58, v65, v68
	v_fma_f32 v60, v68, v65, -v58
	v_fmac_f32_e32 v60, v68, v29
	v_add_f32_e32 v67, v59, v56
	v_add_f32_e32 v56, v58, v60
	v_sub_f32_e32 v59, v57, v56
	v_pk_add_f32 v[62:63], v[56:57], v[58:59] neg_lo:[0,1] neg_hi:[0,1]
	v_mov_b32_e32 v61, v56
	v_pk_add_f32 v[56:57], v[62:63], v[60:61] neg_lo:[0,1] neg_hi:[0,1]
	v_cmp_eq_f32_e32 vcc, s7, v72
	v_add_f32_e32 v57, v67, v57
	v_add_f32_e32 v56, v56, v57
	v_add_f32_e32 v57, v59, v56
	v_mul_f32_e32 v67, v66, v57
	v_mul_f32_e32 v58, v65, v67
	v_fma_f32 v60, v67, v65, -v58
	v_fmac_f32_e32 v60, v67, v29
	v_sub_f32_e32 v29, v59, v57
	v_add_f32_e32 v29, v56, v29
	v_add_f32_e32 v56, v58, v60
	v_sub_f32_e32 v59, v57, v56
	v_pk_add_f32 v[62:63], v[56:57], v[58:59] neg_lo:[0,1] neg_hi:[0,1]
	v_mov_b32_e32 v61, v56
	v_pk_add_f32 v[56:57], v[62:63], v[60:61] neg_lo:[0,1] neg_hi:[0,1]
	v_cvt_f32_i32_e32 v58, v64
	v_add_f32_e32 v29, v29, v57
	v_add_f32_e32 v29, v56, v29
	;; [unrolled: 1-line block ×4, first 2 shown]
	v_sub_f32_e32 v57, v56, v68
	v_mul_f32_e32 v29, v66, v29
	v_sub_f32_e32 v57, v67, v57
	v_add_f32_e32 v29, v57, v29
	v_add_f32_e32 v59, v56, v29
	v_mul_f32_e32 v60, v59, v59
	v_mov_b32_e32 v57, 0x3ecc95a3
	v_fmac_f32_e32 v57, 0x3e9b6dac, v60
	v_sub_f32_e32 v56, v59, v56
	v_fmaak_f32 v57, v60, v57, 0x3f2aaada
	v_sub_f32_e32 v29, v29, v56
	v_ldexp_f32 v61, v59, 1
	v_mul_f32_e32 v59, v59, v60
	v_mov_b32_e32 v56, 0x3f317218
	v_pk_mul_f32 v[56:57], v[58:59], v[56:57]
	v_ldexp_f32 v29, v29, 1
	v_fma_f32 v59, v58, s6, -v56
	v_fmamk_f32 v60, v58, 0xb102e308, v59
	v_pk_add_f32 v[58:59], v[56:57], v[60:61]
	v_mov_b32_e32 v62, v56
	v_sub_f32_e32 v61, v59, v61
	v_sub_f32_e32 v61, v57, v61
	v_add_f32_e32 v63, v29, v61
	v_pk_add_f32 v[56:57], v[58:59], v[56:57] neg_lo:[0,1] neg_hi:[0,1]
	v_pk_add_f32 v[64:65], v[58:59], v[62:63]
	v_mov_b32_e32 v61, v58
	v_mov_b32_e32 v57, v65
	v_pk_add_f32 v[66:67], v[60:61], v[56:57] neg_lo:[0,1] neg_hi:[0,1]
	v_pk_add_f32 v[56:57], v[60:61], v[56:57]
	v_mov_b32_e32 v62, v63
	v_mov_b32_e32 v60, v57
	v_pk_add_f32 v[68:69], v[60:61], v[58:59] neg_lo:[0,1] neg_hi:[0,1]
	v_mov_b32_e32 v56, v65
	v_mov_b32_e32 v29, v68
	v_pk_add_f32 v[70:71], v[64:65], v[28:29] neg_lo:[0,1] neg_hi:[0,1]
	v_mov_b32_e32 v64, v59
	v_mov_b32_e32 v65, v68
	;; [unrolled: 1-line block ×3, first 2 shown]
	v_pk_add_f32 v[56:57], v[56:57], v[64:65] neg_lo:[0,1] neg_hi:[0,1]
	v_mov_b32_e32 v63, v58
	v_pk_add_f32 v[56:57], v[62:63], v[56:57] neg_lo:[0,1] neg_hi:[0,1]
	v_mov_b32_e32 v70, v66
	v_pk_add_f32 v[58:59], v[70:71], v[56:57]
	s_mov_b32 s6, 0x33800000
	v_mov_b32_e32 v62, v59
	v_pk_add_f32 v[62:63], v[58:59], v[62:63]
	v_cmp_lt_f32_e64 s[6:7], |v72|, s6
	v_pk_add_f32 v[60:61], v[60:61], v[62:63]
	v_mov_b32_e32 v57, v62
	v_mov_b32_e32 v59, v60
	v_pk_add_f32 v[64:65], v[58:59], v[66:67] neg_lo:[0,1] neg_hi:[0,1]
	s_or_b64 vcc, vcc, s[6:7]
	v_sub_f32_e32 v29, v58, v64
	v_pk_add_f32 v[56:57], v[56:57], v[64:65] neg_lo:[0,1] neg_hi:[0,1]
	v_sub_f32_e32 v29, v66, v29
	v_add_f32_e32 v29, v56, v29
	v_add_f32_e32 v29, v29, v57
	;; [unrolled: 1-line block ×3, first 2 shown]
	v_cndmask_b32_e32 v29, v29, v72, vcc
	v_add_f32_e32 v29, v28, v29
.LBB151_131:
	s_or_b64 exec, exec, s[4:5]
	ds_read_b32 v28, v55 offset:12
	v_max_f32_e32 v57, v29, v29
	v_cmp_u_f32_e32 vcc, v29, v29
	ds_write_b32 v55, v29 offset:8
	s_waitcnt lgkmcnt(1)
	v_max_f32_e32 v58, v28, v28
	v_min_f32_e32 v56, v57, v58
	v_max_f32_e32 v57, v57, v58
	v_cmp_u_f32_e64 s[48:49], v28, v28
	v_cndmask_b32_e32 v56, v56, v29, vcc
	v_cndmask_b32_e32 v57, v57, v29, vcc
	v_cndmask_b32_e64 v56, v56, v28, s[48:49]
	v_cndmask_b32_e64 v28, v57, v28, s[48:49]
	v_cmp_neq_f32_e32 vcc, v56, v28
	v_cmp_class_f32_e64 s[4:5], v56, s33
	s_or_b64 s[6:7], vcc, s[4:5]
	s_and_saveexec_b64 s[4:5], s[6:7]
	s_cbranch_execz .LBB151_133
; %bb.132:
	v_sub_f32_e32 v29, v56, v28
	s_mov_b32 s6, 0x3fb8aa3b
	v_mul_f32_e32 v56, 0x3fb8aa3b, v29
	v_fma_f32 v57, v29, s6, -v56
	v_rndne_f32_e32 v58, v56
	v_fmamk_f32 v57, v29, 0x32a5705f, v57
	v_sub_f32_e32 v56, v56, v58
	v_add_f32_e32 v56, v56, v57
	v_exp_f32_e32 v56, v56
	v_cvt_i32_f32_e32 v57, v58
	s_mov_b32 s6, 0xc2ce8ed0
	v_cmp_ngt_f32_e32 vcc, s6, v29
	s_mov_b32 s6, 0x42b17218
	v_ldexp_f32 v56, v56, v57
	v_cndmask_b32_e32 v56, 0, v56, vcc
	v_mov_b32_e32 v57, 0x7f800000
	v_cmp_nlt_f32_e32 vcc, s6, v29
	s_mov_b32 s6, 0x3f2aaaab
	s_mov_b32 s7, 0x7f800000
	v_cndmask_b32_e32 v72, v57, v56, vcc
	v_add_f32_e32 v29, 1.0, v72
	v_add_f32_e32 v56, -1.0, v29
	v_sub_f32_e32 v57, v56, v29
	v_add_f32_e32 v57, 1.0, v57
	v_sub_f32_e32 v56, v72, v56
	v_add_f32_e32 v58, v56, v57
	v_frexp_mant_f32_e32 v59, v29
	v_cvt_f64_f32_e32 v[56:57], v29
	v_frexp_exp_i32_f64_e32 v56, v[56:57]
	v_cmp_gt_f32_e32 vcc, s6, v59
	s_mov_b32 s6, 0x3f317218
	s_nop 0
	v_subbrev_co_u32_e32 v64, vcc, 0, v56, vcc
	v_sub_u32_e32 v56, 0, v64
	v_ldexp_f32 v29, v29, v56
	v_ldexp_f32 v56, v58, v56
	v_add_f32_e32 v58, -1.0, v29
	v_add_f32_e32 v57, 1.0, v58
	v_sub_f32_e32 v57, v29, v57
	v_add_f32_e32 v59, v56, v57
	v_add_f32_e32 v57, 1.0, v29
	v_add_f32_e32 v60, -1.0, v57
	v_sub_f32_e32 v29, v29, v60
	v_add_f32_e32 v29, v56, v29
	v_add_f32_e32 v65, v57, v29
	v_rcp_f32_e32 v66, v65
	v_sub_f32_e32 v56, v57, v65
	v_add_f32_e32 v57, v58, v59
	v_add_f32_e32 v29, v29, v56
	v_mul_f32_e32 v68, v57, v66
	v_sub_f32_e32 v56, v58, v57
	v_mul_f32_e32 v58, v65, v68
	v_fma_f32 v60, v68, v65, -v58
	v_fmac_f32_e32 v60, v68, v29
	v_add_f32_e32 v67, v59, v56
	v_add_f32_e32 v56, v58, v60
	v_sub_f32_e32 v59, v57, v56
	v_pk_add_f32 v[62:63], v[56:57], v[58:59] neg_lo:[0,1] neg_hi:[0,1]
	v_mov_b32_e32 v61, v56
	v_pk_add_f32 v[56:57], v[62:63], v[60:61] neg_lo:[0,1] neg_hi:[0,1]
	v_cmp_eq_f32_e32 vcc, s7, v72
	v_add_f32_e32 v57, v67, v57
	v_add_f32_e32 v56, v56, v57
	;; [unrolled: 1-line block ×3, first 2 shown]
	v_mul_f32_e32 v67, v66, v57
	v_mul_f32_e32 v58, v65, v67
	v_fma_f32 v60, v67, v65, -v58
	v_fmac_f32_e32 v60, v67, v29
	v_sub_f32_e32 v29, v59, v57
	v_add_f32_e32 v29, v56, v29
	v_add_f32_e32 v56, v58, v60
	v_sub_f32_e32 v59, v57, v56
	v_pk_add_f32 v[62:63], v[56:57], v[58:59] neg_lo:[0,1] neg_hi:[0,1]
	v_mov_b32_e32 v61, v56
	v_pk_add_f32 v[56:57], v[62:63], v[60:61] neg_lo:[0,1] neg_hi:[0,1]
	v_cvt_f32_i32_e32 v58, v64
	v_add_f32_e32 v29, v29, v57
	v_add_f32_e32 v29, v56, v29
	;; [unrolled: 1-line block ×4, first 2 shown]
	v_sub_f32_e32 v57, v56, v68
	v_mul_f32_e32 v29, v66, v29
	v_sub_f32_e32 v57, v67, v57
	v_add_f32_e32 v29, v57, v29
	v_add_f32_e32 v59, v56, v29
	v_mul_f32_e32 v60, v59, v59
	v_mov_b32_e32 v57, 0x3ecc95a3
	v_fmac_f32_e32 v57, 0x3e9b6dac, v60
	v_sub_f32_e32 v56, v59, v56
	v_fmaak_f32 v57, v60, v57, 0x3f2aaada
	v_sub_f32_e32 v29, v29, v56
	v_ldexp_f32 v61, v59, 1
	v_mul_f32_e32 v59, v59, v60
	v_mov_b32_e32 v56, 0x3f317218
	v_pk_mul_f32 v[56:57], v[58:59], v[56:57]
	v_ldexp_f32 v29, v29, 1
	v_fma_f32 v59, v58, s6, -v56
	v_fmamk_f32 v60, v58, 0xb102e308, v59
	v_pk_add_f32 v[58:59], v[56:57], v[60:61]
	v_mov_b32_e32 v62, v56
	v_sub_f32_e32 v61, v59, v61
	v_sub_f32_e32 v61, v57, v61
	v_add_f32_e32 v63, v29, v61
	v_pk_add_f32 v[56:57], v[58:59], v[56:57] neg_lo:[0,1] neg_hi:[0,1]
	v_pk_add_f32 v[64:65], v[58:59], v[62:63]
	v_mov_b32_e32 v61, v58
	v_mov_b32_e32 v57, v65
	v_pk_add_f32 v[66:67], v[60:61], v[56:57] neg_lo:[0,1] neg_hi:[0,1]
	v_pk_add_f32 v[56:57], v[60:61], v[56:57]
	v_mov_b32_e32 v62, v63
	v_mov_b32_e32 v60, v57
	v_pk_add_f32 v[68:69], v[60:61], v[58:59] neg_lo:[0,1] neg_hi:[0,1]
	v_mov_b32_e32 v56, v65
	v_mov_b32_e32 v29, v68
	v_pk_add_f32 v[70:71], v[64:65], v[28:29] neg_lo:[0,1] neg_hi:[0,1]
	v_mov_b32_e32 v64, v59
	v_mov_b32_e32 v65, v68
	;; [unrolled: 1-line block ×3, first 2 shown]
	v_pk_add_f32 v[56:57], v[56:57], v[64:65] neg_lo:[0,1] neg_hi:[0,1]
	v_mov_b32_e32 v63, v58
	v_pk_add_f32 v[56:57], v[62:63], v[56:57] neg_lo:[0,1] neg_hi:[0,1]
	v_mov_b32_e32 v70, v66
	v_pk_add_f32 v[58:59], v[70:71], v[56:57]
	s_mov_b32 s6, 0x33800000
	v_mov_b32_e32 v62, v59
	v_pk_add_f32 v[62:63], v[58:59], v[62:63]
	v_cmp_lt_f32_e64 s[6:7], |v72|, s6
	v_pk_add_f32 v[60:61], v[60:61], v[62:63]
	v_mov_b32_e32 v57, v62
	v_mov_b32_e32 v59, v60
	v_pk_add_f32 v[64:65], v[58:59], v[66:67] neg_lo:[0,1] neg_hi:[0,1]
	s_or_b64 vcc, vcc, s[6:7]
	v_sub_f32_e32 v29, v58, v64
	v_pk_add_f32 v[56:57], v[56:57], v[64:65] neg_lo:[0,1] neg_hi:[0,1]
	v_sub_f32_e32 v29, v66, v29
	v_add_f32_e32 v29, v56, v29
	v_add_f32_e32 v29, v29, v57
	;; [unrolled: 1-line block ×3, first 2 shown]
	v_cndmask_b32_e32 v29, v29, v72, vcc
	v_add_f32_e32 v29, v28, v29
.LBB151_133:
	s_or_b64 exec, exec, s[4:5]
	ds_write_b32 v55, v29 offset:12
.LBB151_134:
	s_or_b64 exec, exec, s[2:3]
	s_load_dwordx2 s[48:49], s[0:1], 0x18
	v_mul_u32_u24_e32 v28, 0x5c, v0
	v_cmp_ne_u32_e64 s[0:1], 0, v0
	s_waitcnt lgkmcnt(0)
	s_barrier
	s_and_saveexec_b64 s[2:3], s[0:1]
	s_cbranch_execz .LBB151_136
; %bb.135:
	v_add_u32_e32 v0, -1, v0
	v_lshrrev_b32_e32 v29, 5, v0
	v_add_lshl_u32 v0, v29, v0, 2
	ds_read_b32 v54, v0
.LBB151_136:
	s_or_b64 exec, exec, s[2:3]
	s_and_saveexec_b64 s[2:3], s[0:1]
	s_cbranch_execz .LBB151_140
; %bb.137:
	s_waitcnt lgkmcnt(0)
	v_max_f32_e32 v0, v54, v54
	v_min_f32_e32 v29, v0, v53
	v_cmp_u_f32_e32 vcc, v54, v54
	v_max_f32_e32 v0, v0, v53
	s_movk_i32 s0, 0x1f8
	v_cndmask_b32_e32 v29, v29, v54, vcc
	v_cndmask_b32_e32 v0, v0, v54, vcc
	v_cndmask_b32_e64 v29, v29, v2, s[96:97]
	v_cndmask_b32_e64 v0, v0, v2, s[96:97]
	v_cmp_neq_f32_e32 vcc, v29, v0
	v_cmp_class_f32_e64 s[0:1], v29, s0
	s_or_b64 s[4:5], vcc, s[0:1]
	s_and_saveexec_b64 s[0:1], s[4:5]
	s_cbranch_execz .LBB151_139
; %bb.138:
	v_sub_f32_e32 v2, v29, v0
	s_mov_b32 s4, 0x3fb8aa3b
	v_mul_f32_e32 v29, 0x3fb8aa3b, v2
	v_fma_f32 v51, v2, s4, -v29
	v_rndne_f32_e32 v52, v29
	v_fmamk_f32 v51, v2, 0x32a5705f, v51
	v_sub_f32_e32 v29, v29, v52
	v_add_f32_e32 v29, v29, v51
	v_exp_f32_e32 v29, v29
	v_cvt_i32_f32_e32 v51, v52
	s_mov_b32 s4, 0xc2ce8ed0
	v_cmp_ngt_f32_e32 vcc, s4, v2
	s_mov_b32 s4, 0x42b17218
	v_ldexp_f32 v29, v29, v51
	v_cndmask_b32_e32 v29, 0, v29, vcc
	v_mov_b32_e32 v51, 0x7f800000
	v_cmp_nlt_f32_e32 vcc, s4, v2
	s_mov_b32 s4, 0x3f2aaaab
	s_mov_b32 s5, 0x7f800000
	v_cndmask_b32_e32 v51, v51, v29, vcc
	v_add_f32_e32 v2, 1.0, v51
	v_add_f32_e32 v29, -1.0, v2
	v_sub_f32_e32 v52, v29, v2
	v_add_f32_e32 v52, 1.0, v52
	v_sub_f32_e32 v29, v51, v29
	v_add_f32_e32 v29, v29, v52
	v_frexp_mant_f32_e32 v54, v2
	v_cvt_f64_f32_e32 v[52:53], v2
	v_frexp_exp_i32_f64_e32 v52, v[52:53]
	v_cmp_gt_f32_e32 vcc, s4, v54
	s_mov_b32 s4, 0x3f317218
	s_nop 0
	v_subbrev_co_u32_e32 v60, vcc, 0, v52, vcc
	v_sub_u32_e32 v52, 0, v60
	v_ldexp_f32 v2, v2, v52
	v_ldexp_f32 v29, v29, v52
	v_add_f32_e32 v52, -1.0, v2
	v_add_f32_e32 v53, 1.0, v52
	v_sub_f32_e32 v53, v2, v53
	v_add_f32_e32 v54, v29, v53
	v_add_f32_e32 v53, 1.0, v2
	v_add_f32_e32 v55, -1.0, v53
	v_sub_f32_e32 v2, v2, v55
	v_add_f32_e32 v2, v29, v2
	v_add_f32_e32 v29, v53, v2
	v_rcp_f32_e32 v61, v29
	v_sub_f32_e32 v53, v53, v29
	v_add_f32_e32 v2, v2, v53
	v_add_f32_e32 v53, v52, v54
	v_sub_f32_e32 v52, v52, v53
	v_mul_f32_e32 v63, v53, v61
	v_add_f32_e32 v62, v54, v52
	v_mul_f32_e32 v54, v29, v63
	v_fma_f32 v56, v63, v29, -v54
	v_fmac_f32_e32 v56, v63, v2
	v_add_f32_e32 v52, v54, v56
	v_sub_f32_e32 v55, v53, v52
	v_pk_add_f32 v[58:59], v[52:53], v[54:55] neg_lo:[0,1] neg_hi:[0,1]
	v_mov_b32_e32 v57, v52
	v_pk_add_f32 v[52:53], v[58:59], v[56:57] neg_lo:[0,1] neg_hi:[0,1]
	v_cmp_eq_f32_e32 vcc, s5, v51
	v_add_f32_e32 v53, v62, v53
	v_add_f32_e32 v52, v52, v53
	;; [unrolled: 1-line block ×3, first 2 shown]
	v_mul_f32_e32 v62, v61, v53
	v_mul_f32_e32 v54, v29, v62
	v_fma_f32 v56, v62, v29, -v54
	v_fmac_f32_e32 v56, v62, v2
	v_sub_f32_e32 v2, v55, v53
	v_add_f32_e32 v2, v52, v2
	v_add_f32_e32 v52, v54, v56
	v_sub_f32_e32 v55, v53, v52
	v_pk_add_f32 v[58:59], v[52:53], v[54:55] neg_lo:[0,1] neg_hi:[0,1]
	v_mov_b32_e32 v57, v52
	v_pk_add_f32 v[52:53], v[58:59], v[56:57] neg_lo:[0,1] neg_hi:[0,1]
	v_add_f32_e32 v29, v63, v62
	v_add_f32_e32 v2, v2, v53
	;; [unrolled: 1-line block ×4, first 2 shown]
	v_sub_f32_e32 v52, v29, v63
	v_mul_f32_e32 v2, v61, v2
	v_sub_f32_e32 v52, v62, v52
	v_add_f32_e32 v2, v52, v2
	v_add_f32_e32 v52, v29, v2
	v_cvt_f32_i32_e32 v54, v60
	v_mul_f32_e32 v55, v52, v52
	v_mov_b32_e32 v53, 0x3ecc95a3
	v_fmac_f32_e32 v53, 0x3e9b6dac, v55
	v_fmaak_f32 v53, v55, v53, 0x3f2aaada
	v_sub_f32_e32 v29, v52, v29
	v_ldexp_f32 v57, v52, 1
	v_mul_f32_e32 v55, v52, v55
	v_mov_b32_e32 v52, 0x3f317218
	v_pk_mul_f32 v[52:53], v[54:55], v[52:53]
	v_sub_f32_e32 v2, v2, v29
	v_fma_f32 v29, v54, s4, -v52
	v_fmamk_f32 v56, v54, 0xb102e308, v29
	v_pk_add_f32 v[54:55], v[52:53], v[56:57]
	v_ldexp_f32 v2, v2, 1
	v_sub_f32_e32 v29, v55, v57
	v_sub_f32_e32 v29, v53, v29
	v_add_f32_e32 v59, v2, v29
	v_mov_b32_e32 v58, v52
	v_pk_add_f32 v[52:53], v[54:55], v[52:53] neg_lo:[0,1] neg_hi:[0,1]
	v_pk_add_f32 v[60:61], v[54:55], v[58:59]
	v_mov_b32_e32 v57, v54
	v_mov_b32_e32 v53, v61
	v_pk_add_f32 v[62:63], v[56:57], v[52:53] neg_lo:[0,1] neg_hi:[0,1]
	v_pk_add_f32 v[52:53], v[56:57], v[52:53]
	s_mov_b32 s4, 0x33800000
	v_mov_b32_e32 v2, v53
	v_pk_add_f32 v[56:57], v[2:3], v[54:55] neg_lo:[0,1] neg_hi:[0,1]
	v_mov_b32_e32 v52, v61
	v_mov_b32_e32 v29, v56
	v_pk_add_f32 v[64:65], v[60:61], v[28:29] neg_lo:[0,1] neg_hi:[0,1]
	v_mov_b32_e32 v60, v55
	v_mov_b32_e32 v61, v56
	;; [unrolled: 1-line block ×3, first 2 shown]
	v_pk_add_f32 v[52:53], v[52:53], v[60:61] neg_lo:[0,1] neg_hi:[0,1]
	v_mov_b32_e32 v56, v59
	v_mov_b32_e32 v57, v54
	v_pk_add_f32 v[52:53], v[56:57], v[52:53] neg_lo:[0,1] neg_hi:[0,1]
	v_mov_b32_e32 v64, v62
	v_pk_add_f32 v[54:55], v[64:65], v[52:53]
	v_cmp_lt_f32_e64 s[4:5], |v51|, s4
	v_mov_b32_e32 v56, v55
	v_pk_add_f32 v[56:57], v[54:55], v[56:57]
	s_or_b64 vcc, vcc, s[4:5]
	v_pk_add_f32 v[58:59], v[2:3], v[56:57]
	v_mov_b32_e32 v53, v56
	v_mov_b32_e32 v55, v58
	v_pk_add_f32 v[60:61], v[54:55], v[62:63] neg_lo:[0,1] neg_hi:[0,1]
	s_nop 0
	v_sub_f32_e32 v2, v54, v60
	v_pk_add_f32 v[52:53], v[52:53], v[60:61] neg_lo:[0,1] neg_hi:[0,1]
	v_sub_f32_e32 v2, v62, v2
	v_add_f32_e32 v2, v52, v2
	v_add_f32_e32 v2, v2, v53
	;; [unrolled: 1-line block ×3, first 2 shown]
	v_cndmask_b32_e32 v2, v2, v51, vcc
	v_add_f32_e32 v54, v0, v2
.LBB151_139:
	s_or_b64 exec, exec, s[0:1]
	v_max_f32_e32 v0, v54, v54
	v_min_f32_e32 v51, v0, v34
	v_max_f32_e32 v52, v0, v34
	v_mov_b32_e32 v2, v54
	;;#ASMSTART
	;;#ASMEND
.LBB151_140:
	s_or_b64 exec, exec, s[2:3]
	v_cmp_u_f32_e32 vcc, v2, v2
	s_movk_i32 s2, 0x1f8
	s_nop 0
	v_cndmask_b32_e32 v0, v51, v2, vcc
	v_cndmask_b32_e64 v29, v0, v3, s[50:51]
	v_cndmask_b32_e32 v0, v52, v2, vcc
	v_cndmask_b32_e64 v0, v0, v3, s[50:51]
	v_cmp_neq_f32_e32 vcc, v29, v0
	v_cmp_class_f32_e64 s[0:1], v29, s2
	s_or_b64 s[4:5], vcc, s[0:1]
	v_mov_b32_e32 v3, v2
	s_and_saveexec_b64 s[0:1], s[4:5]
	s_cbranch_execz .LBB151_142
; %bb.141:
	v_sub_f32_e32 v3, v29, v0
	s_mov_b32 s3, 0x3fb8aa3b
	v_mul_f32_e32 v29, 0x3fb8aa3b, v3
	v_fma_f32 v34, v3, s3, -v29
	v_rndne_f32_e32 v51, v29
	v_fmamk_f32 v34, v3, 0x32a5705f, v34
	v_sub_f32_e32 v29, v29, v51
	v_add_f32_e32 v29, v29, v34
	v_exp_f32_e32 v29, v29
	v_cvt_i32_f32_e32 v34, v51
	s_mov_b32 s3, 0xc2ce8ed0
	v_cmp_ngt_f32_e32 vcc, s3, v3
	s_mov_b32 s3, 0x42b17218
	v_ldexp_f32 v29, v29, v34
	v_cndmask_b32_e32 v29, 0, v29, vcc
	v_mov_b32_e32 v34, 0x7f800000
	v_cmp_nlt_f32_e32 vcc, s3, v3
	s_mov_b32 s3, 0x3f2aaaab
	s_mov_b32 s4, 0x7f800000
	v_cndmask_b32_e32 v29, v34, v29, vcc
	v_add_f32_e32 v3, 1.0, v29
	v_add_f32_e32 v34, -1.0, v3
	v_sub_f32_e32 v51, v34, v3
	v_add_f32_e32 v51, 1.0, v51
	v_sub_f32_e32 v34, v29, v34
	v_add_f32_e32 v34, v34, v51
	v_frexp_mant_f32_e32 v51, v3
	v_cvt_f64_f32_e32 v[52:53], v3
	v_frexp_exp_i32_f64_e32 v52, v[52:53]
	v_cmp_gt_f32_e32 vcc, s3, v51
	s_mov_b32 s3, 0x3f317218
	s_nop 0
	v_subbrev_co_u32_e32 v51, vcc, 0, v52, vcc
	v_sub_u32_e32 v52, 0, v51
	v_ldexp_f32 v3, v3, v52
	v_ldexp_f32 v34, v34, v52
	v_add_f32_e32 v52, -1.0, v3
	v_add_f32_e32 v53, 1.0, v52
	v_sub_f32_e32 v53, v3, v53
	s_waitcnt lgkmcnt(0)
	v_add_f32_e32 v54, v34, v53
	v_add_f32_e32 v53, 1.0, v3
	v_add_f32_e32 v55, -1.0, v53
	v_sub_f32_e32 v3, v3, v55
	v_add_f32_e32 v3, v34, v3
	v_add_f32_e32 v34, v53, v3
	v_rcp_f32_e32 v60, v34
	v_sub_f32_e32 v53, v53, v34
	v_add_f32_e32 v3, v3, v53
	v_add_f32_e32 v53, v52, v54
	v_sub_f32_e32 v52, v52, v53
	v_mul_f32_e32 v62, v53, v60
	v_add_f32_e32 v61, v54, v52
	v_mul_f32_e32 v54, v34, v62
	v_fma_f32 v56, v62, v34, -v54
	v_fmac_f32_e32 v56, v62, v3
	v_add_f32_e32 v52, v54, v56
	v_sub_f32_e32 v55, v53, v52
	v_pk_add_f32 v[58:59], v[52:53], v[54:55] neg_lo:[0,1] neg_hi:[0,1]
	v_mov_b32_e32 v57, v52
	v_pk_add_f32 v[52:53], v[58:59], v[56:57] neg_lo:[0,1] neg_hi:[0,1]
	v_cmp_eq_f32_e32 vcc, s4, v29
	v_add_f32_e32 v53, v61, v53
	v_add_f32_e32 v52, v52, v53
	;; [unrolled: 1-line block ×3, first 2 shown]
	v_mul_f32_e32 v61, v60, v53
	v_mul_f32_e32 v54, v34, v61
	v_fma_f32 v56, v61, v34, -v54
	v_fmac_f32_e32 v56, v61, v3
	v_sub_f32_e32 v3, v55, v53
	v_add_f32_e32 v3, v52, v3
	v_add_f32_e32 v52, v54, v56
	v_sub_f32_e32 v55, v53, v52
	v_pk_add_f32 v[58:59], v[52:53], v[54:55] neg_lo:[0,1] neg_hi:[0,1]
	v_mov_b32_e32 v57, v52
	v_pk_add_f32 v[52:53], v[58:59], v[56:57] neg_lo:[0,1] neg_hi:[0,1]
	v_add_f32_e32 v34, v62, v61
	v_add_f32_e32 v3, v3, v53
	;; [unrolled: 1-line block ×4, first 2 shown]
	v_sub_f32_e32 v52, v34, v62
	v_mul_f32_e32 v3, v60, v3
	v_sub_f32_e32 v52, v61, v52
	v_add_f32_e32 v3, v52, v3
	v_add_f32_e32 v52, v34, v3
	v_cvt_f32_i32_e32 v54, v51
	v_mul_f32_e32 v55, v52, v52
	v_mov_b32_e32 v53, 0x3ecc95a3
	v_fmac_f32_e32 v53, 0x3e9b6dac, v55
	v_fmaak_f32 v53, v55, v53, 0x3f2aaada
	v_sub_f32_e32 v34, v52, v34
	v_ldexp_f32 v57, v52, 1
	v_mul_f32_e32 v55, v52, v55
	v_mov_b32_e32 v52, 0x3f317218
	v_pk_mul_f32 v[52:53], v[54:55], v[52:53]
	v_sub_f32_e32 v3, v3, v34
	v_fma_f32 v34, v54, s3, -v52
	v_fmamk_f32 v56, v54, 0xb102e308, v34
	v_pk_add_f32 v[54:55], v[52:53], v[56:57]
	v_ldexp_f32 v3, v3, 1
	v_sub_f32_e32 v34, v55, v57
	v_sub_f32_e32 v34, v53, v34
	v_add_f32_e32 v59, v3, v34
	v_mov_b32_e32 v58, v52
	v_pk_add_f32 v[52:53], v[54:55], v[52:53] neg_lo:[0,1] neg_hi:[0,1]
	v_pk_add_f32 v[60:61], v[54:55], v[58:59]
	v_mov_b32_e32 v57, v54
	v_mov_b32_e32 v53, v61
	v_pk_add_f32 v[62:63], v[56:57], v[52:53] neg_lo:[0,1] neg_hi:[0,1]
	v_pk_add_f32 v[52:53], v[56:57], v[52:53]
	s_mov_b32 s3, 0x33800000
	v_mov_b32_e32 v34, v53
	v_pk_add_f32 v[56:57], v[34:35], v[54:55] neg_lo:[0,1] neg_hi:[0,1]
	v_mov_b32_e32 v52, v61
	v_mov_b32_e32 v3, v56
	v_pk_add_f32 v[64:65], v[60:61], v[2:3] neg_lo:[0,1] neg_hi:[0,1]
	v_mov_b32_e32 v60, v55
	v_mov_b32_e32 v61, v56
	;; [unrolled: 1-line block ×3, first 2 shown]
	v_pk_add_f32 v[52:53], v[52:53], v[60:61] neg_lo:[0,1] neg_hi:[0,1]
	v_mov_b32_e32 v56, v59
	v_mov_b32_e32 v57, v54
	v_pk_add_f32 v[52:53], v[56:57], v[52:53] neg_lo:[0,1] neg_hi:[0,1]
	v_mov_b32_e32 v64, v62
	v_pk_add_f32 v[54:55], v[64:65], v[52:53]
	v_cmp_lt_f32_e64 s[4:5], |v29|, s3
	v_mov_b32_e32 v56, v55
	v_pk_add_f32 v[56:57], v[54:55], v[56:57]
	s_or_b64 vcc, vcc, s[4:5]
	v_pk_add_f32 v[58:59], v[34:35], v[56:57]
	v_mov_b32_e32 v53, v56
	v_mov_b32_e32 v55, v58
	v_pk_add_f32 v[60:61], v[54:55], v[62:63] neg_lo:[0,1] neg_hi:[0,1]
	s_nop 0
	v_sub_f32_e32 v3, v54, v60
	v_pk_add_f32 v[52:53], v[52:53], v[60:61] neg_lo:[0,1] neg_hi:[0,1]
	v_sub_f32_e32 v3, v62, v3
	v_add_f32_e32 v3, v52, v3
	v_add_f32_e32 v3, v3, v53
	;; [unrolled: 1-line block ×3, first 2 shown]
	v_cndmask_b32_e32 v3, v3, v29, vcc
	v_add_f32_e32 v3, v0, v3
.LBB151_142:
	s_or_b64 exec, exec, s[0:1]
	v_max_f32_e32 v0, v3, v3
	v_min_f32_e32 v29, v0, v1
	v_cmp_u_f32_e32 vcc, v3, v3
	v_max_f32_e32 v0, v0, v1
	s_nop 0
	v_cndmask_b32_e32 v29, v29, v3, vcc
	v_cndmask_b32_e32 v0, v0, v3, vcc
	v_cndmask_b32_e64 v29, v29, v4, s[52:53]
	v_cndmask_b32_e64 v0, v0, v4, s[52:53]
	v_cmp_neq_f32_e32 vcc, v29, v0
	v_cmp_class_f32_e64 s[0:1], v29, s2
	s_or_b64 s[2:3], vcc, s[0:1]
	v_mov_b32_e32 v4, v3
	s_and_saveexec_b64 s[0:1], s[2:3]
	s_cbranch_execz .LBB151_144
; %bb.143:
	v_sub_f32_e32 v1, v29, v0
	s_mov_b32 s2, 0x3fb8aa3b
	v_mul_f32_e32 v4, 0x3fb8aa3b, v1
	v_fma_f32 v29, v1, s2, -v4
	v_rndne_f32_e32 v34, v4
	v_fmamk_f32 v29, v1, 0x32a5705f, v29
	v_sub_f32_e32 v4, v4, v34
	v_add_f32_e32 v4, v4, v29
	v_exp_f32_e32 v4, v4
	v_cvt_i32_f32_e32 v29, v34
	s_mov_b32 s2, 0xc2ce8ed0
	v_cmp_ngt_f32_e32 vcc, s2, v1
	s_mov_b32 s2, 0x42b17218
	v_ldexp_f32 v4, v4, v29
	v_cndmask_b32_e32 v4, 0, v4, vcc
	v_mov_b32_e32 v29, 0x7f800000
	v_cmp_nlt_f32_e32 vcc, s2, v1
	s_mov_b32 s2, 0x3f2aaaab
	s_mov_b32 s3, 0x7f800000
	v_cndmask_b32_e32 v29, v29, v4, vcc
	v_add_f32_e32 v1, 1.0, v29
	v_add_f32_e32 v4, -1.0, v1
	v_sub_f32_e32 v34, v4, v1
	v_add_f32_e32 v34, 1.0, v34
	v_sub_f32_e32 v4, v29, v4
	v_add_f32_e32 v4, v4, v34
	v_frexp_mant_f32_e32 v34, v1
	v_cvt_f64_f32_e32 v[52:53], v1
	v_frexp_exp_i32_f64_e32 v51, v[52:53]
	v_cmp_gt_f32_e32 vcc, s2, v34
	s_mov_b32 s2, 0x3f317218
	s_nop 0
	v_subbrev_co_u32_e32 v34, vcc, 0, v51, vcc
	v_sub_u32_e32 v51, 0, v34
	v_ldexp_f32 v1, v1, v51
	v_ldexp_f32 v4, v4, v51
	v_add_f32_e32 v51, -1.0, v1
	v_add_f32_e32 v53, 1.0, v1
	v_add_f32_e32 v52, 1.0, v51
	s_waitcnt lgkmcnt(0)
	v_add_f32_e32 v54, -1.0, v53
	v_sub_f32_e32 v52, v1, v52
	v_sub_f32_e32 v1, v1, v54
	v_add_f32_e32 v1, v4, v1
	v_add_f32_e32 v52, v4, v52
	v_add_f32_e32 v4, v53, v1
	v_rcp_f32_e32 v60, v4
	v_sub_f32_e32 v53, v53, v4
	v_add_f32_e32 v1, v1, v53
	v_add_f32_e32 v53, v51, v52
	v_mul_f32_e32 v61, v53, v60
	v_mul_f32_e32 v54, v4, v61
	v_fma_f32 v56, v61, v4, -v54
	v_sub_f32_e32 v51, v51, v53
	v_fmac_f32_e32 v56, v61, v1
	v_add_f32_e32 v51, v52, v51
	v_add_f32_e32 v52, v54, v56
	v_sub_f32_e32 v55, v53, v52
	v_pk_add_f32 v[58:59], v[52:53], v[54:55] neg_lo:[0,1] neg_hi:[0,1]
	v_mov_b32_e32 v57, v52
	v_pk_add_f32 v[52:53], v[58:59], v[56:57] neg_lo:[0,1] neg_hi:[0,1]
	v_cmp_eq_f32_e32 vcc, s3, v29
	v_add_f32_e32 v51, v51, v53
	v_add_f32_e32 v51, v52, v51
	;; [unrolled: 1-line block ×3, first 2 shown]
	v_mul_f32_e32 v62, v60, v53
	v_mul_f32_e32 v54, v4, v62
	v_fma_f32 v56, v62, v4, -v54
	v_fmac_f32_e32 v56, v62, v1
	v_add_f32_e32 v52, v54, v56
	v_sub_f32_e32 v1, v55, v53
	v_sub_f32_e32 v55, v53, v52
	v_pk_add_f32 v[58:59], v[52:53], v[54:55] neg_lo:[0,1] neg_hi:[0,1]
	v_mov_b32_e32 v57, v52
	v_add_f32_e32 v1, v51, v1
	v_pk_add_f32 v[52:53], v[58:59], v[56:57] neg_lo:[0,1] neg_hi:[0,1]
	v_add_f32_e32 v4, v61, v62
	v_add_f32_e32 v1, v1, v53
	;; [unrolled: 1-line block ×4, first 2 shown]
	v_sub_f32_e32 v51, v4, v61
	v_mul_f32_e32 v1, v60, v1
	v_sub_f32_e32 v51, v62, v51
	v_add_f32_e32 v1, v51, v1
	v_add_f32_e32 v51, v4, v1
	v_cvt_f32_i32_e32 v54, v34
	v_mul_f32_e32 v52, v51, v51
	v_mov_b32_e32 v53, 0x3ecc95a3
	v_fmac_f32_e32 v53, 0x3e9b6dac, v52
	v_fmaak_f32 v53, v52, v53, 0x3f2aaada
	v_mul_f32_e32 v55, v51, v52
	v_mov_b32_e32 v52, 0x3f317218
	v_sub_f32_e32 v4, v51, v4
	v_pk_mul_f32 v[52:53], v[54:55], v[52:53]
	v_sub_f32_e32 v1, v1, v4
	v_fma_f32 v4, v54, s2, -v52
	v_ldexp_f32 v57, v51, 1
	v_fmamk_f32 v56, v54, 0xb102e308, v4
	v_pk_add_f32 v[54:55], v[52:53], v[56:57]
	v_ldexp_f32 v1, v1, 1
	v_sub_f32_e32 v4, v55, v57
	v_sub_f32_e32 v4, v53, v4
	v_add_f32_e32 v59, v1, v4
	v_mov_b32_e32 v58, v52
	v_pk_add_f32 v[52:53], v[54:55], v[52:53] neg_lo:[0,1] neg_hi:[0,1]
	v_pk_add_f32 v[60:61], v[54:55], v[58:59]
	v_mov_b32_e32 v57, v54
	v_mov_b32_e32 v53, v61
	v_pk_add_f32 v[62:63], v[56:57], v[52:53] neg_lo:[0,1] neg_hi:[0,1]
	v_pk_add_f32 v[52:53], v[56:57], v[52:53]
	s_mov_b32 s2, 0x33800000
	v_mov_b32_e32 v4, v53
	v_pk_add_f32 v[56:57], v[4:5], v[54:55] neg_lo:[0,1] neg_hi:[0,1]
	v_mov_b32_e32 v52, v61
	v_mov_b32_e32 v1, v56
	v_pk_add_f32 v[64:65], v[60:61], v[0:1] neg_lo:[0,1] neg_hi:[0,1]
	v_mov_b32_e32 v60, v55
	v_mov_b32_e32 v61, v56
	v_mov_b32_e32 v63, v53
	v_pk_add_f32 v[52:53], v[52:53], v[60:61] neg_lo:[0,1] neg_hi:[0,1]
	v_mov_b32_e32 v56, v59
	v_mov_b32_e32 v57, v54
	v_pk_add_f32 v[52:53], v[56:57], v[52:53] neg_lo:[0,1] neg_hi:[0,1]
	v_mov_b32_e32 v64, v62
	v_pk_add_f32 v[54:55], v[64:65], v[52:53]
	v_cmp_lt_f32_e64 s[2:3], |v29|, s2
	v_mov_b32_e32 v34, v55
	v_pk_add_f32 v[56:57], v[54:55], v[34:35]
	s_or_b64 vcc, vcc, s[2:3]
	v_pk_add_f32 v[58:59], v[4:5], v[56:57]
	v_mov_b32_e32 v53, v56
	v_mov_b32_e32 v55, v58
	v_pk_add_f32 v[60:61], v[54:55], v[62:63] neg_lo:[0,1] neg_hi:[0,1]
	s_nop 0
	v_sub_f32_e32 v1, v54, v60
	v_pk_add_f32 v[52:53], v[52:53], v[60:61] neg_lo:[0,1] neg_hi:[0,1]
	v_sub_f32_e32 v1, v62, v1
	v_add_f32_e32 v1, v52, v1
	v_add_f32_e32 v1, v1, v53
	;; [unrolled: 1-line block ×3, first 2 shown]
	v_cndmask_b32_e32 v1, v1, v29, vcc
	v_add_f32_e32 v4, v0, v1
.LBB151_144:
	s_or_b64 exec, exec, s[0:1]
	v_max_f32_e32 v0, v4, v4
	v_min_f32_e32 v1, v0, v27
	v_cmp_u_f32_e32 vcc, v4, v4
	v_max_f32_e32 v0, v0, v27
	s_movk_i32 s2, 0x1f8
	v_cndmask_b32_e32 v1, v1, v4, vcc
	v_cndmask_b32_e32 v0, v0, v4, vcc
	v_cndmask_b32_e64 v1, v1, v5, s[54:55]
	v_cndmask_b32_e64 v0, v0, v5, s[54:55]
	v_cmp_neq_f32_e32 vcc, v1, v0
	v_cmp_class_f32_e64 s[0:1], v1, s2
	s_or_b64 s[4:5], vcc, s[0:1]
	v_mov_b32_e32 v5, v4
	s_and_saveexec_b64 s[0:1], s[4:5]
	s_cbranch_execz .LBB151_146
; %bb.145:
	v_sub_f32_e32 v1, v1, v0
	s_mov_b32 s3, 0x3fb8aa3b
	v_mul_f32_e32 v5, 0x3fb8aa3b, v1
	v_fma_f32 v27, v1, s3, -v5
	v_rndne_f32_e32 v29, v5
	v_fmamk_f32 v27, v1, 0x32a5705f, v27
	v_sub_f32_e32 v5, v5, v29
	v_add_f32_e32 v5, v5, v27
	v_exp_f32_e32 v5, v5
	v_cvt_i32_f32_e32 v27, v29
	s_mov_b32 s3, 0xc2ce8ed0
	v_cmp_ngt_f32_e32 vcc, s3, v1
	s_mov_b32 s3, 0x42b17218
	v_ldexp_f32 v5, v5, v27
	v_cndmask_b32_e32 v5, 0, v5, vcc
	v_mov_b32_e32 v27, 0x7f800000
	v_cmp_nlt_f32_e32 vcc, s3, v1
	s_mov_b32 s3, 0x3f2aaaab
	s_mov_b32 s4, 0x7f800000
	v_cndmask_b32_e32 v5, v27, v5, vcc
	v_add_f32_e32 v1, 1.0, v5
	v_add_f32_e32 v27, -1.0, v1
	v_sub_f32_e32 v29, v27, v1
	v_add_f32_e32 v29, 1.0, v29
	v_sub_f32_e32 v27, v5, v27
	v_add_f32_e32 v27, v27, v29
	v_frexp_mant_f32_e32 v29, v1
	v_cvt_f64_f32_e32 v[52:53], v1
	v_frexp_exp_i32_f64_e32 v34, v[52:53]
	v_cmp_gt_f32_e32 vcc, s3, v29
	s_mov_b32 s3, 0x3f317218
	s_nop 0
	v_subbrev_co_u32_e32 v29, vcc, 0, v34, vcc
	v_sub_u32_e32 v34, 0, v29
	v_ldexp_f32 v1, v1, v34
	v_ldexp_f32 v27, v27, v34
	v_add_f32_e32 v34, -1.0, v1
	v_add_f32_e32 v52, 1.0, v1
	v_add_f32_e32 v51, 1.0, v34
	v_add_f32_e32 v53, -1.0, v52
	v_sub_f32_e32 v51, v1, v51
	v_sub_f32_e32 v1, v1, v53
	v_add_f32_e32 v1, v27, v1
	v_add_f32_e32 v51, v27, v51
	;; [unrolled: 1-line block ×3, first 2 shown]
	v_rcp_f32_e32 v60, v27
	v_add_f32_e32 v53, v34, v51
	v_sub_f32_e32 v34, v34, v53
	v_add_f32_e32 v34, v51, v34
	v_mul_f32_e32 v51, v53, v60
	v_sub_f32_e32 v52, v52, v27
	s_waitcnt lgkmcnt(0)
	v_mul_f32_e32 v54, v27, v51
	v_add_f32_e32 v1, v1, v52
	v_fma_f32 v56, v51, v27, -v54
	v_fmac_f32_e32 v56, v51, v1
	v_add_f32_e32 v52, v54, v56
	v_sub_f32_e32 v55, v53, v52
	v_pk_add_f32 v[58:59], v[52:53], v[54:55] neg_lo:[0,1] neg_hi:[0,1]
	v_mov_b32_e32 v57, v52
	v_pk_add_f32 v[52:53], v[58:59], v[56:57] neg_lo:[0,1] neg_hi:[0,1]
	v_cmp_eq_f32_e32 vcc, s4, v5
	v_add_f32_e32 v34, v34, v53
	v_add_f32_e32 v34, v52, v34
	;; [unrolled: 1-line block ×3, first 2 shown]
	v_mul_f32_e32 v61, v60, v53
	v_mul_f32_e32 v54, v27, v61
	v_fma_f32 v56, v61, v27, -v54
	v_fmac_f32_e32 v56, v61, v1
	v_add_f32_e32 v52, v54, v56
	v_sub_f32_e32 v1, v55, v53
	v_sub_f32_e32 v55, v53, v52
	v_pk_add_f32 v[58:59], v[52:53], v[54:55] neg_lo:[0,1] neg_hi:[0,1]
	v_mov_b32_e32 v57, v52
	v_add_f32_e32 v1, v34, v1
	v_pk_add_f32 v[52:53], v[58:59], v[56:57] neg_lo:[0,1] neg_hi:[0,1]
	v_add_f32_e32 v27, v51, v61
	v_add_f32_e32 v1, v1, v53
	;; [unrolled: 1-line block ×4, first 2 shown]
	v_sub_f32_e32 v34, v27, v51
	v_mul_f32_e32 v1, v60, v1
	v_sub_f32_e32 v34, v61, v34
	v_add_f32_e32 v1, v34, v1
	v_add_f32_e32 v34, v27, v1
	v_cvt_f32_i32_e32 v54, v29
	v_mul_f32_e32 v51, v34, v34
	v_mov_b32_e32 v52, 0x3ecc95a3
	v_fmac_f32_e32 v52, 0x3e9b6dac, v51
	v_fmaak_f32 v53, v51, v52, 0x3f2aaada
	v_mul_f32_e32 v55, v34, v51
	v_mov_b32_e32 v52, 0x3f317218
	v_sub_f32_e32 v27, v34, v27
	v_pk_mul_f32 v[52:53], v[54:55], v[52:53]
	v_sub_f32_e32 v1, v1, v27
	v_fma_f32 v27, v54, s3, -v52
	v_ldexp_f32 v57, v34, 1
	v_fmamk_f32 v56, v54, 0xb102e308, v27
	v_pk_add_f32 v[54:55], v[52:53], v[56:57]
	v_ldexp_f32 v1, v1, 1
	v_sub_f32_e32 v27, v55, v57
	v_sub_f32_e32 v27, v53, v27
	v_add_f32_e32 v59, v1, v27
	v_mov_b32_e32 v58, v52
	v_pk_add_f32 v[52:53], v[54:55], v[52:53] neg_lo:[0,1] neg_hi:[0,1]
	v_pk_add_f32 v[60:61], v[54:55], v[58:59]
	v_mov_b32_e32 v57, v54
	v_mov_b32_e32 v53, v61
	v_pk_add_f32 v[62:63], v[56:57], v[52:53] neg_lo:[0,1] neg_hi:[0,1]
	v_pk_add_f32 v[52:53], v[56:57], v[52:53]
	s_mov_b32 s3, 0x33800000
	v_mov_b32_e32 v34, v53
	v_pk_add_f32 v[56:57], v[34:35], v[54:55] neg_lo:[0,1] neg_hi:[0,1]
	v_mov_b32_e32 v52, v61
	v_mov_b32_e32 v1, v56
	v_pk_add_f32 v[64:65], v[60:61], v[0:1] neg_lo:[0,1] neg_hi:[0,1]
	v_mov_b32_e32 v60, v55
	v_mov_b32_e32 v61, v56
	;; [unrolled: 1-line block ×3, first 2 shown]
	v_pk_add_f32 v[52:53], v[52:53], v[60:61] neg_lo:[0,1] neg_hi:[0,1]
	v_mov_b32_e32 v56, v59
	v_mov_b32_e32 v57, v54
	v_pk_add_f32 v[52:53], v[56:57], v[52:53] neg_lo:[0,1] neg_hi:[0,1]
	v_mov_b32_e32 v64, v62
	v_pk_add_f32 v[54:55], v[64:65], v[52:53]
	v_cmp_lt_f32_e64 s[4:5], |v5|, s3
	v_mov_b32_e32 v56, v55
	v_pk_add_f32 v[56:57], v[54:55], v[56:57]
	s_or_b64 vcc, vcc, s[4:5]
	v_pk_add_f32 v[58:59], v[34:35], v[56:57]
	v_mov_b32_e32 v53, v56
	v_mov_b32_e32 v55, v58
	v_pk_add_f32 v[60:61], v[54:55], v[62:63] neg_lo:[0,1] neg_hi:[0,1]
	s_nop 0
	v_sub_f32_e32 v1, v54, v60
	v_pk_add_f32 v[52:53], v[52:53], v[60:61] neg_lo:[0,1] neg_hi:[0,1]
	v_sub_f32_e32 v1, v62, v1
	v_add_f32_e32 v1, v52, v1
	v_add_f32_e32 v1, v1, v53
	;; [unrolled: 1-line block ×3, first 2 shown]
	v_cndmask_b32_e32 v1, v1, v5, vcc
	v_add_f32_e32 v5, v0, v1
.LBB151_146:
	s_or_b64 exec, exec, s[0:1]
	v_max_f32_e32 v0, v5, v5
	v_min_f32_e32 v1, v0, v30
	v_cmp_u_f32_e32 vcc, v5, v5
	v_max_f32_e32 v0, v0, v30
	s_nop 0
	v_cndmask_b32_e32 v1, v1, v5, vcc
	v_cndmask_b32_e32 v0, v0, v5, vcc
	v_cndmask_b32_e64 v1, v1, v22, s[56:57]
	v_cndmask_b32_e64 v0, v0, v22, s[56:57]
	v_cmp_neq_f32_e32 vcc, v1, v0
	v_cmp_class_f32_e64 s[0:1], v1, s2
	s_or_b64 s[2:3], vcc, s[0:1]
	v_mov_b32_e32 v22, v5
	s_and_saveexec_b64 s[0:1], s[2:3]
	s_cbranch_execz .LBB151_148
; %bb.147:
	v_sub_f32_e32 v1, v1, v0
	s_mov_b32 s2, 0x3fb8aa3b
	v_mul_f32_e32 v22, 0x3fb8aa3b, v1
	v_fma_f32 v27, v1, s2, -v22
	v_rndne_f32_e32 v29, v22
	v_fmamk_f32 v27, v1, 0x32a5705f, v27
	v_sub_f32_e32 v22, v22, v29
	v_add_f32_e32 v22, v22, v27
	v_exp_f32_e32 v22, v22
	v_cvt_i32_f32_e32 v27, v29
	s_mov_b32 s2, 0xc2ce8ed0
	v_cmp_ngt_f32_e32 vcc, s2, v1
	s_mov_b32 s2, 0x42b17218
	v_ldexp_f32 v22, v22, v27
	v_cndmask_b32_e32 v22, 0, v22, vcc
	v_mov_b32_e32 v27, 0x7f800000
	v_cmp_nlt_f32_e32 vcc, s2, v1
	s_mov_b32 s2, 0x3f2aaaab
	s_mov_b32 s3, 0x7f800000
	v_cndmask_b32_e32 v27, v27, v22, vcc
	v_add_f32_e32 v1, 1.0, v27
	v_add_f32_e32 v22, -1.0, v1
	v_sub_f32_e32 v29, v22, v1
	v_add_f32_e32 v29, 1.0, v29
	v_sub_f32_e32 v22, v27, v22
	v_add_f32_e32 v22, v22, v29
	v_frexp_mant_f32_e32 v29, v1
	v_cvt_f64_f32_e32 v[52:53], v1
	v_frexp_exp_i32_f64_e32 v30, v[52:53]
	v_cmp_gt_f32_e32 vcc, s2, v29
	s_mov_b32 s2, 0x3f317218
	s_nop 0
	v_subbrev_co_u32_e32 v29, vcc, 0, v30, vcc
	v_sub_u32_e32 v30, 0, v29
	v_ldexp_f32 v1, v1, v30
	v_ldexp_f32 v22, v22, v30
	v_add_f32_e32 v30, -1.0, v1
	v_add_f32_e32 v51, 1.0, v1
	v_add_f32_e32 v34, 1.0, v30
	v_add_f32_e32 v52, -1.0, v51
	v_sub_f32_e32 v34, v1, v34
	v_sub_f32_e32 v1, v1, v52
	v_add_f32_e32 v1, v22, v1
	v_add_f32_e32 v34, v22, v34
	;; [unrolled: 1-line block ×3, first 2 shown]
	v_sub_f32_e32 v51, v51, v22
	v_add_f32_e32 v1, v1, v51
	v_rcp_f32_e32 v51, v22
	v_add_f32_e32 v53, v30, v34
	v_sub_f32_e32 v30, v30, v53
	v_add_f32_e32 v30, v34, v30
	v_mul_f32_e32 v34, v53, v51
	s_waitcnt lgkmcnt(0)
	v_mul_f32_e32 v54, v22, v34
	v_fma_f32 v56, v34, v22, -v54
	v_fmac_f32_e32 v56, v34, v1
	v_add_f32_e32 v52, v54, v56
	v_sub_f32_e32 v55, v53, v52
	v_pk_add_f32 v[58:59], v[52:53], v[54:55] neg_lo:[0,1] neg_hi:[0,1]
	v_mov_b32_e32 v57, v52
	v_pk_add_f32 v[52:53], v[58:59], v[56:57] neg_lo:[0,1] neg_hi:[0,1]
	v_cmp_eq_f32_e32 vcc, s3, v27
	v_add_f32_e32 v30, v30, v53
	v_add_f32_e32 v30, v52, v30
	;; [unrolled: 1-line block ×3, first 2 shown]
	v_mul_f32_e32 v60, v51, v53
	v_mul_f32_e32 v54, v22, v60
	v_fma_f32 v56, v60, v22, -v54
	v_fmac_f32_e32 v56, v60, v1
	v_add_f32_e32 v52, v54, v56
	v_sub_f32_e32 v1, v55, v53
	v_sub_f32_e32 v55, v53, v52
	v_pk_add_f32 v[58:59], v[52:53], v[54:55] neg_lo:[0,1] neg_hi:[0,1]
	v_mov_b32_e32 v57, v52
	v_add_f32_e32 v1, v30, v1
	v_pk_add_f32 v[52:53], v[58:59], v[56:57] neg_lo:[0,1] neg_hi:[0,1]
	v_add_f32_e32 v22, v34, v60
	v_add_f32_e32 v1, v1, v53
	;; [unrolled: 1-line block ×4, first 2 shown]
	v_sub_f32_e32 v30, v22, v34
	v_mul_f32_e32 v1, v51, v1
	v_sub_f32_e32 v30, v60, v30
	v_add_f32_e32 v1, v30, v1
	v_add_f32_e32 v30, v22, v1
	v_cvt_f32_i32_e32 v54, v29
	v_mul_f32_e32 v34, v30, v30
	v_mov_b32_e32 v51, 0x3ecc95a3
	v_fmac_f32_e32 v51, 0x3e9b6dac, v34
	v_fmaak_f32 v53, v34, v51, 0x3f2aaada
	v_mul_f32_e32 v55, v30, v34
	v_mov_b32_e32 v52, 0x3f317218
	v_sub_f32_e32 v22, v30, v22
	v_pk_mul_f32 v[52:53], v[54:55], v[52:53]
	v_sub_f32_e32 v1, v1, v22
	v_fma_f32 v22, v54, s2, -v52
	v_ldexp_f32 v57, v30, 1
	v_fmamk_f32 v56, v54, 0xb102e308, v22
	v_pk_add_f32 v[54:55], v[52:53], v[56:57]
	v_ldexp_f32 v1, v1, 1
	v_sub_f32_e32 v22, v55, v57
	v_sub_f32_e32 v22, v53, v22
	v_add_f32_e32 v59, v1, v22
	v_mov_b32_e32 v58, v52
	v_pk_add_f32 v[52:53], v[54:55], v[52:53] neg_lo:[0,1] neg_hi:[0,1]
	v_pk_add_f32 v[60:61], v[54:55], v[58:59]
	v_mov_b32_e32 v57, v54
	v_mov_b32_e32 v53, v61
	v_pk_add_f32 v[62:63], v[56:57], v[52:53] neg_lo:[0,1] neg_hi:[0,1]
	v_pk_add_f32 v[52:53], v[56:57], v[52:53]
	s_mov_b32 s2, 0x33800000
	v_mov_b32_e32 v22, v53
	v_pk_add_f32 v[56:57], v[22:23], v[54:55] neg_lo:[0,1] neg_hi:[0,1]
	v_mov_b32_e32 v52, v61
	v_mov_b32_e32 v1, v56
	v_pk_add_f32 v[64:65], v[60:61], v[0:1] neg_lo:[0,1] neg_hi:[0,1]
	v_mov_b32_e32 v60, v55
	v_mov_b32_e32 v61, v56
	;; [unrolled: 1-line block ×3, first 2 shown]
	v_pk_add_f32 v[52:53], v[52:53], v[60:61] neg_lo:[0,1] neg_hi:[0,1]
	v_mov_b32_e32 v56, v59
	v_mov_b32_e32 v57, v54
	v_pk_add_f32 v[52:53], v[56:57], v[52:53] neg_lo:[0,1] neg_hi:[0,1]
	v_mov_b32_e32 v64, v62
	v_pk_add_f32 v[54:55], v[64:65], v[52:53]
	v_cmp_lt_f32_e64 s[2:3], |v27|, s2
	v_mov_b32_e32 v30, v55
	v_pk_add_f32 v[56:57], v[54:55], v[30:31]
	s_or_b64 vcc, vcc, s[2:3]
	v_pk_add_f32 v[58:59], v[22:23], v[56:57]
	v_mov_b32_e32 v53, v56
	v_mov_b32_e32 v55, v58
	v_pk_add_f32 v[60:61], v[54:55], v[62:63] neg_lo:[0,1] neg_hi:[0,1]
	s_nop 0
	v_sub_f32_e32 v1, v54, v60
	v_pk_add_f32 v[52:53], v[52:53], v[60:61] neg_lo:[0,1] neg_hi:[0,1]
	v_sub_f32_e32 v1, v62, v1
	v_add_f32_e32 v1, v52, v1
	v_add_f32_e32 v1, v1, v53
	;; [unrolled: 1-line block ×3, first 2 shown]
	v_cndmask_b32_e32 v1, v1, v27, vcc
	v_add_f32_e32 v22, v0, v1
.LBB151_148:
	s_or_b64 exec, exec, s[0:1]
	v_max_f32_e32 v0, v22, v22
	v_min_f32_e32 v1, v0, v31
	v_cmp_u_f32_e32 vcc, v22, v22
	v_max_f32_e32 v0, v0, v31
	s_movk_i32 s2, 0x1f8
	v_cndmask_b32_e32 v1, v1, v22, vcc
	v_cndmask_b32_e32 v0, v0, v22, vcc
	v_cndmask_b32_e64 v1, v1, v23, s[58:59]
	v_cndmask_b32_e64 v0, v0, v23, s[58:59]
	v_cmp_neq_f32_e32 vcc, v1, v0
	v_cmp_class_f32_e64 s[0:1], v1, s2
	s_or_b64 s[4:5], vcc, s[0:1]
	v_mov_b32_e32 v23, v22
	s_and_saveexec_b64 s[0:1], s[4:5]
	s_cbranch_execz .LBB151_150
; %bb.149:
	v_sub_f32_e32 v1, v1, v0
	s_mov_b32 s3, 0x3fb8aa3b
	v_mul_f32_e32 v23, 0x3fb8aa3b, v1
	v_fma_f32 v27, v1, s3, -v23
	v_rndne_f32_e32 v29, v23
	v_fmamk_f32 v27, v1, 0x32a5705f, v27
	v_sub_f32_e32 v23, v23, v29
	v_add_f32_e32 v23, v23, v27
	v_exp_f32_e32 v23, v23
	v_cvt_i32_f32_e32 v27, v29
	s_mov_b32 s3, 0xc2ce8ed0
	v_cmp_ngt_f32_e32 vcc, s3, v1
	s_mov_b32 s3, 0x42b17218
	v_ldexp_f32 v23, v23, v27
	v_cndmask_b32_e32 v23, 0, v23, vcc
	v_mov_b32_e32 v27, 0x7f800000
	v_cmp_nlt_f32_e32 vcc, s3, v1
	s_mov_b32 s3, 0x3f2aaaab
	s_mov_b32 s4, 0x7f800000
	v_cndmask_b32_e32 v23, v27, v23, vcc
	v_add_f32_e32 v1, 1.0, v23
	v_add_f32_e32 v27, -1.0, v1
	v_sub_f32_e32 v29, v27, v1
	v_add_f32_e32 v29, 1.0, v29
	v_sub_f32_e32 v27, v23, v27
	v_add_f32_e32 v27, v27, v29
	v_frexp_mant_f32_e32 v29, v1
	v_cvt_f64_f32_e32 v[30:31], v1
	v_frexp_exp_i32_f64_e32 v30, v[30:31]
	v_cmp_gt_f32_e32 vcc, s3, v29
	s_mov_b32 s3, 0x3f317218
	s_nop 0
	v_subbrev_co_u32_e32 v29, vcc, 0, v30, vcc
	v_sub_u32_e32 v30, 0, v29
	v_ldexp_f32 v1, v1, v30
	v_ldexp_f32 v27, v27, v30
	v_add_f32_e32 v30, -1.0, v1
	v_add_f32_e32 v31, 1.0, v30
	v_sub_f32_e32 v31, v1, v31
	v_add_f32_e32 v34, v27, v31
	v_add_f32_e32 v31, 1.0, v1
	v_add_f32_e32 v51, -1.0, v31
	v_sub_f32_e32 v1, v1, v51
	v_add_f32_e32 v1, v27, v1
	v_add_f32_e32 v27, v31, v1
	v_rcp_f32_e32 v51, v27
	v_sub_f32_e32 v31, v31, v27
	v_add_f32_e32 v1, v1, v31
	v_add_f32_e32 v31, v30, v34
	v_mul_f32_e32 v58, v31, v51
	v_mul_f32_e32 v52, v27, v58
	s_waitcnt lgkmcnt(0)
	v_fma_f32 v54, v58, v27, -v52
	v_sub_f32_e32 v30, v30, v31
	v_fmac_f32_e32 v54, v58, v1
	v_add_f32_e32 v34, v34, v30
	v_add_f32_e32 v30, v52, v54
	v_sub_f32_e32 v53, v31, v30
	v_pk_add_f32 v[56:57], v[30:31], v[52:53] neg_lo:[0,1] neg_hi:[0,1]
	v_mov_b32_e32 v55, v30
	v_pk_add_f32 v[30:31], v[56:57], v[54:55] neg_lo:[0,1] neg_hi:[0,1]
	v_cmp_eq_f32_e32 vcc, s4, v23
	v_add_f32_e32 v31, v34, v31
	v_add_f32_e32 v30, v30, v31
	;; [unrolled: 1-line block ×3, first 2 shown]
	v_mul_f32_e32 v34, v51, v31
	v_mul_f32_e32 v52, v27, v34
	v_fma_f32 v54, v34, v27, -v52
	v_fmac_f32_e32 v54, v34, v1
	v_sub_f32_e32 v1, v53, v31
	v_add_f32_e32 v1, v30, v1
	v_add_f32_e32 v30, v52, v54
	v_sub_f32_e32 v53, v31, v30
	v_pk_add_f32 v[56:57], v[30:31], v[52:53] neg_lo:[0,1] neg_hi:[0,1]
	v_mov_b32_e32 v55, v30
	v_pk_add_f32 v[30:31], v[56:57], v[54:55] neg_lo:[0,1] neg_hi:[0,1]
	v_add_f32_e32 v27, v58, v34
	v_add_f32_e32 v1, v1, v31
	;; [unrolled: 1-line block ×4, first 2 shown]
	v_sub_f32_e32 v30, v27, v58
	v_mul_f32_e32 v1, v51, v1
	v_sub_f32_e32 v30, v34, v30
	v_add_f32_e32 v1, v30, v1
	v_add_f32_e32 v30, v27, v1
	v_cvt_f32_i32_e32 v52, v29
	v_mul_f32_e32 v34, v30, v30
	v_mov_b32_e32 v31, 0x3ecc95a3
	v_fmac_f32_e32 v31, 0x3e9b6dac, v34
	v_fmaak_f32 v31, v34, v31, 0x3f2aaada
	v_sub_f32_e32 v27, v30, v27
	v_ldexp_f32 v55, v30, 1
	v_mul_f32_e32 v53, v30, v34
	v_mov_b32_e32 v30, 0x3f317218
	v_pk_mul_f32 v[30:31], v[52:53], v[30:31]
	v_sub_f32_e32 v1, v1, v27
	v_fma_f32 v27, v52, s3, -v30
	v_fmamk_f32 v54, v52, 0xb102e308, v27
	v_pk_add_f32 v[52:53], v[30:31], v[54:55]
	v_ldexp_f32 v1, v1, 1
	v_sub_f32_e32 v27, v53, v55
	v_sub_f32_e32 v27, v31, v27
	v_add_f32_e32 v57, v1, v27
	v_mov_b32_e32 v56, v30
	v_pk_add_f32 v[30:31], v[52:53], v[30:31] neg_lo:[0,1] neg_hi:[0,1]
	v_pk_add_f32 v[58:59], v[52:53], v[56:57]
	v_mov_b32_e32 v55, v52
	v_mov_b32_e32 v31, v59
	v_pk_add_f32 v[60:61], v[54:55], v[30:31] neg_lo:[0,1] neg_hi:[0,1]
	v_pk_add_f32 v[30:31], v[54:55], v[30:31]
	s_mov_b32 s3, 0x33800000
	v_mov_b32_e32 v34, v31
	v_pk_add_f32 v[54:55], v[34:35], v[52:53] neg_lo:[0,1] neg_hi:[0,1]
	v_mov_b32_e32 v30, v59
	v_mov_b32_e32 v1, v54
	v_pk_add_f32 v[62:63], v[58:59], v[0:1] neg_lo:[0,1] neg_hi:[0,1]
	v_mov_b32_e32 v58, v53
	v_mov_b32_e32 v59, v54
	;; [unrolled: 1-line block ×3, first 2 shown]
	v_pk_add_f32 v[30:31], v[30:31], v[58:59] neg_lo:[0,1] neg_hi:[0,1]
	v_mov_b32_e32 v54, v57
	v_mov_b32_e32 v55, v52
	v_pk_add_f32 v[30:31], v[54:55], v[30:31] neg_lo:[0,1] neg_hi:[0,1]
	v_mov_b32_e32 v62, v60
	v_pk_add_f32 v[52:53], v[62:63], v[30:31]
	v_cmp_lt_f32_e64 s[4:5], |v23|, s3
	v_mov_b32_e32 v54, v53
	v_pk_add_f32 v[54:55], v[52:53], v[54:55]
	s_or_b64 vcc, vcc, s[4:5]
	v_pk_add_f32 v[56:57], v[34:35], v[54:55]
	v_mov_b32_e32 v31, v54
	v_mov_b32_e32 v53, v56
	v_pk_add_f32 v[58:59], v[52:53], v[60:61] neg_lo:[0,1] neg_hi:[0,1]
	s_nop 0
	v_sub_f32_e32 v1, v52, v58
	v_pk_add_f32 v[30:31], v[30:31], v[58:59] neg_lo:[0,1] neg_hi:[0,1]
	v_sub_f32_e32 v1, v60, v1
	v_add_f32_e32 v1, v30, v1
	v_add_f32_e32 v1, v1, v31
	;; [unrolled: 1-line block ×3, first 2 shown]
	v_cndmask_b32_e32 v1, v1, v23, vcc
	v_add_f32_e32 v23, v0, v1
.LBB151_150:
	s_or_b64 exec, exec, s[0:1]
	v_max_f32_e32 v0, v23, v23
	v_min_f32_e32 v1, v0, v32
	v_cmp_u_f32_e32 vcc, v23, v23
	v_max_f32_e32 v0, v0, v32
	s_nop 0
	v_cndmask_b32_e32 v1, v1, v23, vcc
	v_cndmask_b32_e32 v0, v0, v23, vcc
	v_cndmask_b32_e64 v1, v1, v24, s[60:61]
	v_cndmask_b32_e64 v0, v0, v24, s[60:61]
	v_cmp_neq_f32_e32 vcc, v1, v0
	v_cmp_class_f32_e64 s[0:1], v1, s2
	s_or_b64 s[2:3], vcc, s[0:1]
	v_mov_b32_e32 v24, v23
	s_and_saveexec_b64 s[0:1], s[2:3]
	s_cbranch_execz .LBB151_152
; %bb.151:
	v_sub_f32_e32 v1, v1, v0
	s_mov_b32 s2, 0x3fb8aa3b
	v_mul_f32_e32 v24, 0x3fb8aa3b, v1
	v_fma_f32 v27, v1, s2, -v24
	v_rndne_f32_e32 v29, v24
	v_fmamk_f32 v27, v1, 0x32a5705f, v27
	v_sub_f32_e32 v24, v24, v29
	v_add_f32_e32 v24, v24, v27
	v_exp_f32_e32 v24, v24
	v_cvt_i32_f32_e32 v27, v29
	s_mov_b32 s2, 0xc2ce8ed0
	v_cmp_ngt_f32_e32 vcc, s2, v1
	s_mov_b32 s2, 0x42b17218
	v_ldexp_f32 v24, v24, v27
	v_cndmask_b32_e32 v24, 0, v24, vcc
	v_mov_b32_e32 v27, 0x7f800000
	v_cmp_nlt_f32_e32 vcc, s2, v1
	s_mov_b32 s2, 0x3f2aaaab
	s_mov_b32 s3, 0x7f800000
	v_cndmask_b32_e32 v27, v27, v24, vcc
	v_add_f32_e32 v1, 1.0, v27
	v_add_f32_e32 v24, -1.0, v1
	v_sub_f32_e32 v29, v24, v1
	v_add_f32_e32 v29, 1.0, v29
	v_sub_f32_e32 v24, v27, v24
	v_add_f32_e32 v24, v24, v29
	v_frexp_mant_f32_e32 v29, v1
	v_cvt_f64_f32_e32 v[30:31], v1
	v_frexp_exp_i32_f64_e32 v30, v[30:31]
	v_cmp_gt_f32_e32 vcc, s2, v29
	s_mov_b32 s2, 0x3f317218
	s_nop 0
	v_subbrev_co_u32_e32 v29, vcc, 0, v30, vcc
	v_sub_u32_e32 v30, 0, v29
	v_ldexp_f32 v1, v1, v30
	v_ldexp_f32 v24, v24, v30
	v_add_f32_e32 v30, -1.0, v1
	v_add_f32_e32 v31, 1.0, v30
	v_sub_f32_e32 v31, v1, v31
	v_add_f32_e32 v32, v24, v31
	v_add_f32_e32 v31, 1.0, v1
	v_add_f32_e32 v34, -1.0, v31
	v_sub_f32_e32 v1, v1, v34
	v_add_f32_e32 v1, v24, v1
	v_add_f32_e32 v24, v31, v1
	v_rcp_f32_e32 v34, v24
	v_sub_f32_e32 v31, v31, v24
	v_add_f32_e32 v1, v1, v31
	v_add_f32_e32 v31, v30, v32
	v_mul_f32_e32 v51, v31, v34
	v_mul_f32_e32 v52, v24, v51
	s_waitcnt lgkmcnt(0)
	v_fma_f32 v54, v51, v24, -v52
	v_sub_f32_e32 v30, v30, v31
	v_fmac_f32_e32 v54, v51, v1
	v_add_f32_e32 v32, v32, v30
	v_add_f32_e32 v30, v52, v54
	v_sub_f32_e32 v53, v31, v30
	v_pk_add_f32 v[56:57], v[30:31], v[52:53] neg_lo:[0,1] neg_hi:[0,1]
	v_mov_b32_e32 v55, v30
	v_pk_add_f32 v[30:31], v[56:57], v[54:55] neg_lo:[0,1] neg_hi:[0,1]
	v_cmp_eq_f32_e32 vcc, s3, v27
	v_add_f32_e32 v31, v32, v31
	v_add_f32_e32 v30, v30, v31
	;; [unrolled: 1-line block ×3, first 2 shown]
	v_mul_f32_e32 v32, v34, v31
	v_mul_f32_e32 v52, v24, v32
	v_fma_f32 v54, v32, v24, -v52
	v_fmac_f32_e32 v54, v32, v1
	v_sub_f32_e32 v1, v53, v31
	v_add_f32_e32 v1, v30, v1
	v_add_f32_e32 v30, v52, v54
	v_sub_f32_e32 v53, v31, v30
	v_pk_add_f32 v[56:57], v[30:31], v[52:53] neg_lo:[0,1] neg_hi:[0,1]
	v_mov_b32_e32 v55, v30
	v_pk_add_f32 v[30:31], v[56:57], v[54:55] neg_lo:[0,1] neg_hi:[0,1]
	v_add_f32_e32 v24, v51, v32
	v_add_f32_e32 v1, v1, v31
	;; [unrolled: 1-line block ×4, first 2 shown]
	v_sub_f32_e32 v30, v24, v51
	v_mul_f32_e32 v1, v34, v1
	v_sub_f32_e32 v30, v32, v30
	v_add_f32_e32 v1, v30, v1
	v_add_f32_e32 v30, v24, v1
	v_cvt_f32_i32_e32 v52, v29
	v_mul_f32_e32 v32, v30, v30
	v_mov_b32_e32 v31, 0x3ecc95a3
	v_fmac_f32_e32 v31, 0x3e9b6dac, v32
	v_fmaak_f32 v31, v32, v31, 0x3f2aaada
	v_sub_f32_e32 v24, v30, v24
	v_ldexp_f32 v55, v30, 1
	v_mul_f32_e32 v53, v30, v32
	v_mov_b32_e32 v30, 0x3f317218
	v_pk_mul_f32 v[30:31], v[52:53], v[30:31]
	v_sub_f32_e32 v1, v1, v24
	v_fma_f32 v24, v52, s2, -v30
	v_fmamk_f32 v54, v52, 0xb102e308, v24
	v_pk_add_f32 v[52:53], v[30:31], v[54:55]
	v_ldexp_f32 v1, v1, 1
	v_sub_f32_e32 v24, v53, v55
	v_sub_f32_e32 v24, v31, v24
	v_add_f32_e32 v57, v1, v24
	v_mov_b32_e32 v56, v30
	v_pk_add_f32 v[30:31], v[52:53], v[30:31] neg_lo:[0,1] neg_hi:[0,1]
	v_pk_add_f32 v[58:59], v[52:53], v[56:57]
	v_mov_b32_e32 v55, v52
	v_mov_b32_e32 v31, v59
	v_pk_add_f32 v[60:61], v[54:55], v[30:31] neg_lo:[0,1] neg_hi:[0,1]
	v_pk_add_f32 v[30:31], v[54:55], v[30:31]
	s_mov_b32 s2, 0x33800000
	v_mov_b32_e32 v24, v31
	v_pk_add_f32 v[54:55], v[24:25], v[52:53] neg_lo:[0,1] neg_hi:[0,1]
	v_mov_b32_e32 v30, v59
	v_mov_b32_e32 v1, v54
	v_pk_add_f32 v[62:63], v[58:59], v[0:1] neg_lo:[0,1] neg_hi:[0,1]
	v_mov_b32_e32 v58, v53
	v_mov_b32_e32 v59, v54
	;; [unrolled: 1-line block ×3, first 2 shown]
	v_pk_add_f32 v[30:31], v[30:31], v[58:59] neg_lo:[0,1] neg_hi:[0,1]
	v_mov_b32_e32 v54, v57
	v_mov_b32_e32 v55, v52
	v_pk_add_f32 v[30:31], v[54:55], v[30:31] neg_lo:[0,1] neg_hi:[0,1]
	v_mov_b32_e32 v62, v60
	v_pk_add_f32 v[52:53], v[62:63], v[30:31]
	v_cmp_lt_f32_e64 s[2:3], |v27|, s2
	v_mov_b32_e32 v32, v53
	v_pk_add_f32 v[54:55], v[52:53], v[32:33]
	s_or_b64 vcc, vcc, s[2:3]
	v_pk_add_f32 v[56:57], v[24:25], v[54:55]
	v_mov_b32_e32 v31, v54
	v_mov_b32_e32 v53, v56
	v_pk_add_f32 v[58:59], v[52:53], v[60:61] neg_lo:[0,1] neg_hi:[0,1]
	s_nop 0
	v_sub_f32_e32 v1, v52, v58
	v_pk_add_f32 v[30:31], v[30:31], v[58:59] neg_lo:[0,1] neg_hi:[0,1]
	v_sub_f32_e32 v1, v60, v1
	v_add_f32_e32 v1, v30, v1
	v_add_f32_e32 v1, v1, v31
	;; [unrolled: 1-line block ×3, first 2 shown]
	v_cndmask_b32_e32 v1, v1, v27, vcc
	v_add_f32_e32 v24, v0, v1
.LBB151_152:
	s_or_b64 exec, exec, s[0:1]
	v_max_f32_e32 v0, v24, v24
	v_min_f32_e32 v1, v0, v33
	v_cmp_u_f32_e32 vcc, v24, v24
	v_max_f32_e32 v0, v0, v33
	s_movk_i32 s2, 0x1f8
	v_cndmask_b32_e32 v1, v1, v24, vcc
	v_cndmask_b32_e32 v0, v0, v24, vcc
	v_cndmask_b32_e64 v1, v1, v25, s[62:63]
	v_cndmask_b32_e64 v0, v0, v25, s[62:63]
	v_cmp_neq_f32_e32 vcc, v1, v0
	v_cmp_class_f32_e64 s[0:1], v1, s2
	s_or_b64 s[4:5], vcc, s[0:1]
	v_mov_b32_e32 v25, v24
	s_and_saveexec_b64 s[0:1], s[4:5]
	s_cbranch_execz .LBB151_154
; %bb.153:
	v_sub_f32_e32 v1, v1, v0
	s_mov_b32 s3, 0x3fb8aa3b
	v_mul_f32_e32 v25, 0x3fb8aa3b, v1
	v_fma_f32 v27, v1, s3, -v25
	v_rndne_f32_e32 v29, v25
	v_fmamk_f32 v27, v1, 0x32a5705f, v27
	v_sub_f32_e32 v25, v25, v29
	v_add_f32_e32 v25, v25, v27
	v_exp_f32_e32 v25, v25
	v_cvt_i32_f32_e32 v27, v29
	s_mov_b32 s3, 0xc2ce8ed0
	v_cmp_ngt_f32_e32 vcc, s3, v1
	s_mov_b32 s3, 0x42b17218
	v_ldexp_f32 v25, v25, v27
	v_cndmask_b32_e32 v25, 0, v25, vcc
	v_mov_b32_e32 v27, 0x7f800000
	v_cmp_nlt_f32_e32 vcc, s3, v1
	s_mov_b32 s3, 0x3f2aaaab
	s_mov_b32 s4, 0x7f800000
	v_cndmask_b32_e32 v25, v27, v25, vcc
	v_add_f32_e32 v1, 1.0, v25
	v_add_f32_e32 v27, -1.0, v1
	v_sub_f32_e32 v29, v27, v1
	v_add_f32_e32 v29, 1.0, v29
	v_sub_f32_e32 v27, v25, v27
	v_add_f32_e32 v27, v27, v29
	v_frexp_mant_f32_e32 v29, v1
	v_cvt_f64_f32_e32 v[30:31], v1
	v_frexp_exp_i32_f64_e32 v30, v[30:31]
	v_cmp_gt_f32_e32 vcc, s3, v29
	s_mov_b32 s3, 0x3f317218
	s_nop 0
	v_subbrev_co_u32_e32 v29, vcc, 0, v30, vcc
	v_sub_u32_e32 v30, 0, v29
	v_ldexp_f32 v1, v1, v30
	v_ldexp_f32 v27, v27, v30
	v_add_f32_e32 v30, -1.0, v1
	v_add_f32_e32 v31, 1.0, v30
	v_sub_f32_e32 v31, v1, v31
	v_add_f32_e32 v32, v27, v31
	v_add_f32_e32 v31, 1.0, v1
	v_add_f32_e32 v33, -1.0, v31
	v_sub_f32_e32 v1, v1, v33
	v_add_f32_e32 v1, v27, v1
	v_add_f32_e32 v27, v31, v1
	v_rcp_f32_e32 v34, v27
	v_sub_f32_e32 v31, v31, v27
	v_add_f32_e32 v1, v1, v31
	v_add_f32_e32 v31, v30, v32
	v_sub_f32_e32 v30, v30, v31
	v_mul_f32_e32 v56, v31, v34
	v_add_f32_e32 v51, v32, v30
	v_mul_f32_e32 v32, v27, v56
	v_fma_f32 v52, v56, v27, -v32
	v_fmac_f32_e32 v52, v56, v1
	v_add_f32_e32 v30, v32, v52
	v_sub_f32_e32 v33, v31, v30
	s_waitcnt lgkmcnt(0)
	v_pk_add_f32 v[54:55], v[30:31], v[32:33] neg_lo:[0,1] neg_hi:[0,1]
	v_mov_b32_e32 v53, v30
	v_pk_add_f32 v[30:31], v[54:55], v[52:53] neg_lo:[0,1] neg_hi:[0,1]
	v_cmp_eq_f32_e32 vcc, s4, v25
	v_add_f32_e32 v31, v51, v31
	v_add_f32_e32 v30, v30, v31
	;; [unrolled: 1-line block ×3, first 2 shown]
	v_mul_f32_e32 v51, v34, v31
	v_mul_f32_e32 v32, v27, v51
	v_fma_f32 v52, v51, v27, -v32
	v_fmac_f32_e32 v52, v51, v1
	v_sub_f32_e32 v1, v33, v31
	v_add_f32_e32 v1, v30, v1
	v_add_f32_e32 v30, v32, v52
	v_sub_f32_e32 v33, v31, v30
	v_pk_add_f32 v[54:55], v[30:31], v[32:33] neg_lo:[0,1] neg_hi:[0,1]
	v_mov_b32_e32 v53, v30
	v_pk_add_f32 v[30:31], v[54:55], v[52:53] neg_lo:[0,1] neg_hi:[0,1]
	v_add_f32_e32 v27, v56, v51
	v_add_f32_e32 v1, v1, v31
	v_add_f32_e32 v1, v30, v1
	v_add_f32_e32 v1, v33, v1
	v_sub_f32_e32 v30, v27, v56
	v_mul_f32_e32 v1, v34, v1
	v_sub_f32_e32 v30, v51, v30
	v_add_f32_e32 v1, v30, v1
	v_add_f32_e32 v30, v27, v1
	v_cvt_f32_i32_e32 v32, v29
	v_mul_f32_e32 v33, v30, v30
	v_mov_b32_e32 v31, 0x3ecc95a3
	v_fmac_f32_e32 v31, 0x3e9b6dac, v33
	v_fmaak_f32 v31, v33, v31, 0x3f2aaada
	v_sub_f32_e32 v27, v30, v27
	v_ldexp_f32 v53, v30, 1
	v_mul_f32_e32 v33, v30, v33
	v_mov_b32_e32 v30, 0x3f317218
	v_pk_mul_f32 v[30:31], v[32:33], v[30:31]
	v_sub_f32_e32 v1, v1, v27
	v_fma_f32 v27, v32, s3, -v30
	v_fmamk_f32 v52, v32, 0xb102e308, v27
	v_pk_add_f32 v[32:33], v[30:31], v[52:53]
	v_ldexp_f32 v1, v1, 1
	v_sub_f32_e32 v27, v33, v53
	v_sub_f32_e32 v27, v31, v27
	v_add_f32_e32 v55, v1, v27
	v_mov_b32_e32 v54, v30
	v_pk_add_f32 v[30:31], v[32:33], v[30:31] neg_lo:[0,1] neg_hi:[0,1]
	v_pk_add_f32 v[56:57], v[32:33], v[54:55]
	v_mov_b32_e32 v53, v32
	v_mov_b32_e32 v31, v57
	v_pk_add_f32 v[58:59], v[52:53], v[30:31] neg_lo:[0,1] neg_hi:[0,1]
	v_pk_add_f32 v[30:31], v[52:53], v[30:31]
	s_mov_b32 s3, 0x33800000
	v_mov_b32_e32 v34, v31
	v_pk_add_f32 v[52:53], v[34:35], v[32:33] neg_lo:[0,1] neg_hi:[0,1]
	v_mov_b32_e32 v30, v57
	v_mov_b32_e32 v1, v52
	v_pk_add_f32 v[60:61], v[56:57], v[0:1] neg_lo:[0,1] neg_hi:[0,1]
	v_mov_b32_e32 v56, v33
	v_mov_b32_e32 v57, v52
	v_mov_b32_e32 v59, v31
	v_pk_add_f32 v[30:31], v[30:31], v[56:57] neg_lo:[0,1] neg_hi:[0,1]
	v_mov_b32_e32 v52, v55
	v_mov_b32_e32 v53, v32
	v_pk_add_f32 v[30:31], v[52:53], v[30:31] neg_lo:[0,1] neg_hi:[0,1]
	v_mov_b32_e32 v60, v58
	v_pk_add_f32 v[32:33], v[60:61], v[30:31]
	v_cmp_lt_f32_e64 s[4:5], |v25|, s3
	v_mov_b32_e32 v52, v33
	v_pk_add_f32 v[52:53], v[32:33], v[52:53]
	s_or_b64 vcc, vcc, s[4:5]
	v_pk_add_f32 v[54:55], v[34:35], v[52:53]
	v_mov_b32_e32 v31, v52
	v_mov_b32_e32 v33, v54
	v_pk_add_f32 v[56:57], v[32:33], v[58:59] neg_lo:[0,1] neg_hi:[0,1]
	s_nop 0
	v_sub_f32_e32 v1, v32, v56
	v_pk_add_f32 v[30:31], v[30:31], v[56:57] neg_lo:[0,1] neg_hi:[0,1]
	v_sub_f32_e32 v1, v58, v1
	v_add_f32_e32 v1, v30, v1
	v_add_f32_e32 v1, v1, v31
	;; [unrolled: 1-line block ×3, first 2 shown]
	v_cndmask_b32_e32 v1, v1, v25, vcc
	v_add_f32_e32 v25, v0, v1
.LBB151_154:
	s_or_b64 exec, exec, s[0:1]
	v_max_f32_e32 v0, v25, v25
	v_min_f32_e32 v1, v0, v35
	v_cmp_u_f32_e32 vcc, v25, v25
	v_max_f32_e32 v0, v0, v35
	s_nop 0
	v_cndmask_b32_e32 v1, v1, v25, vcc
	v_cndmask_b32_e32 v0, v0, v25, vcc
	v_cndmask_b32_e64 v1, v1, v18, s[64:65]
	v_cndmask_b32_e64 v0, v0, v18, s[64:65]
	v_cmp_neq_f32_e32 vcc, v1, v0
	v_cmp_class_f32_e64 s[0:1], v1, s2
	s_or_b64 s[2:3], vcc, s[0:1]
	v_mov_b32_e32 v18, v25
	s_and_saveexec_b64 s[0:1], s[2:3]
	s_cbranch_execz .LBB151_156
; %bb.155:
	v_sub_f32_e32 v1, v1, v0
	s_mov_b32 s2, 0x3fb8aa3b
	v_mul_f32_e32 v18, 0x3fb8aa3b, v1
	v_fma_f32 v27, v1, s2, -v18
	v_rndne_f32_e32 v29, v18
	v_fmamk_f32 v27, v1, 0x32a5705f, v27
	v_sub_f32_e32 v18, v18, v29
	v_add_f32_e32 v18, v18, v27
	v_exp_f32_e32 v18, v18
	v_cvt_i32_f32_e32 v27, v29
	s_mov_b32 s2, 0xc2ce8ed0
	v_cmp_ngt_f32_e32 vcc, s2, v1
	s_mov_b32 s2, 0x42b17218
	v_ldexp_f32 v18, v18, v27
	v_cndmask_b32_e32 v18, 0, v18, vcc
	v_mov_b32_e32 v27, 0x7f800000
	v_cmp_nlt_f32_e32 vcc, s2, v1
	s_mov_b32 s2, 0x3f2aaaab
	s_mov_b32 s3, 0x7f800000
	v_cndmask_b32_e32 v27, v27, v18, vcc
	v_add_f32_e32 v1, 1.0, v27
	v_add_f32_e32 v18, -1.0, v1
	v_sub_f32_e32 v29, v18, v1
	v_add_f32_e32 v29, 1.0, v29
	v_sub_f32_e32 v18, v27, v18
	v_add_f32_e32 v18, v18, v29
	v_frexp_mant_f32_e32 v29, v1
	v_cvt_f64_f32_e32 v[30:31], v1
	v_frexp_exp_i32_f64_e32 v30, v[30:31]
	v_cmp_gt_f32_e32 vcc, s2, v29
	s_mov_b32 s2, 0x3f317218
	s_nop 0
	v_subbrev_co_u32_e32 v29, vcc, 0, v30, vcc
	v_sub_u32_e32 v30, 0, v29
	v_ldexp_f32 v1, v1, v30
	v_ldexp_f32 v18, v18, v30
	v_add_f32_e32 v30, -1.0, v1
	v_add_f32_e32 v31, 1.0, v30
	v_sub_f32_e32 v31, v1, v31
	v_add_f32_e32 v32, v18, v31
	v_add_f32_e32 v31, 1.0, v1
	v_add_f32_e32 v33, -1.0, v31
	v_sub_f32_e32 v1, v1, v33
	v_add_f32_e32 v1, v18, v1
	v_add_f32_e32 v18, v31, v1
	v_rcp_f32_e32 v51, v18
	v_sub_f32_e32 v31, v31, v18
	v_add_f32_e32 v1, v1, v31
	v_add_f32_e32 v31, v30, v32
	v_sub_f32_e32 v30, v30, v31
	v_mul_f32_e32 v55, v31, v51
	s_waitcnt lgkmcnt(0)
	v_add_f32_e32 v54, v32, v30
	v_mul_f32_e32 v32, v18, v55
	v_fma_f32 v34, v55, v18, -v32
	v_fmac_f32_e32 v34, v55, v1
	v_add_f32_e32 v30, v32, v34
	v_sub_f32_e32 v33, v31, v30
	v_pk_add_f32 v[52:53], v[30:31], v[32:33] neg_lo:[0,1] neg_hi:[0,1]
	v_mov_b32_e32 v35, v30
	v_pk_add_f32 v[30:31], v[52:53], v[34:35] neg_lo:[0,1] neg_hi:[0,1]
	v_cmp_eq_f32_e32 vcc, s3, v27
	v_add_f32_e32 v31, v54, v31
	v_add_f32_e32 v30, v30, v31
	;; [unrolled: 1-line block ×3, first 2 shown]
	v_mul_f32_e32 v54, v51, v31
	v_mul_f32_e32 v32, v18, v54
	v_fma_f32 v34, v54, v18, -v32
	v_fmac_f32_e32 v34, v54, v1
	v_sub_f32_e32 v1, v33, v31
	v_add_f32_e32 v1, v30, v1
	v_add_f32_e32 v30, v32, v34
	v_sub_f32_e32 v33, v31, v30
	v_pk_add_f32 v[52:53], v[30:31], v[32:33] neg_lo:[0,1] neg_hi:[0,1]
	v_mov_b32_e32 v35, v30
	v_pk_add_f32 v[30:31], v[52:53], v[34:35] neg_lo:[0,1] neg_hi:[0,1]
	v_add_f32_e32 v18, v55, v54
	v_add_f32_e32 v1, v1, v31
	;; [unrolled: 1-line block ×4, first 2 shown]
	v_sub_f32_e32 v30, v18, v55
	v_mul_f32_e32 v1, v51, v1
	v_sub_f32_e32 v30, v54, v30
	v_add_f32_e32 v1, v30, v1
	v_add_f32_e32 v30, v18, v1
	v_cvt_f32_i32_e32 v32, v29
	v_mul_f32_e32 v33, v30, v30
	v_mov_b32_e32 v31, 0x3ecc95a3
	v_fmac_f32_e32 v31, 0x3e9b6dac, v33
	v_fmaak_f32 v31, v33, v31, 0x3f2aaada
	v_sub_f32_e32 v18, v30, v18
	v_ldexp_f32 v35, v30, 1
	v_mul_f32_e32 v33, v30, v33
	v_mov_b32_e32 v30, 0x3f317218
	v_pk_mul_f32 v[30:31], v[32:33], v[30:31]
	v_sub_f32_e32 v1, v1, v18
	v_fma_f32 v18, v32, s2, -v30
	v_fmamk_f32 v34, v32, 0xb102e308, v18
	v_pk_add_f32 v[32:33], v[30:31], v[34:35]
	v_ldexp_f32 v1, v1, 1
	v_sub_f32_e32 v18, v33, v35
	v_sub_f32_e32 v18, v31, v18
	v_add_f32_e32 v53, v1, v18
	v_mov_b32_e32 v52, v30
	v_pk_add_f32 v[30:31], v[32:33], v[30:31] neg_lo:[0,1] neg_hi:[0,1]
	v_pk_add_f32 v[54:55], v[32:33], v[52:53]
	v_mov_b32_e32 v35, v32
	v_mov_b32_e32 v31, v55
	v_pk_add_f32 v[56:57], v[34:35], v[30:31] neg_lo:[0,1] neg_hi:[0,1]
	v_pk_add_f32 v[30:31], v[34:35], v[30:31]
	s_mov_b32 s2, 0x33800000
	v_mov_b32_e32 v18, v31
	v_pk_add_f32 v[34:35], v[18:19], v[32:33] neg_lo:[0,1] neg_hi:[0,1]
	v_mov_b32_e32 v30, v55
	v_mov_b32_e32 v1, v34
	v_pk_add_f32 v[58:59], v[54:55], v[0:1] neg_lo:[0,1] neg_hi:[0,1]
	v_mov_b32_e32 v54, v33
	v_mov_b32_e32 v55, v34
	;; [unrolled: 1-line block ×3, first 2 shown]
	v_pk_add_f32 v[30:31], v[30:31], v[54:55] neg_lo:[0,1] neg_hi:[0,1]
	v_mov_b32_e32 v34, v53
	v_mov_b32_e32 v35, v32
	v_pk_add_f32 v[30:31], v[34:35], v[30:31] neg_lo:[0,1] neg_hi:[0,1]
	v_mov_b32_e32 v58, v56
	v_pk_add_f32 v[32:33], v[58:59], v[30:31]
	v_cmp_lt_f32_e64 s[2:3], |v27|, s2
	v_mov_b32_e32 v34, v33
	v_pk_add_f32 v[34:35], v[32:33], v[34:35]
	s_or_b64 vcc, vcc, s[2:3]
	v_pk_add_f32 v[52:53], v[18:19], v[34:35]
	v_mov_b32_e32 v31, v34
	v_mov_b32_e32 v33, v52
	v_pk_add_f32 v[54:55], v[32:33], v[56:57] neg_lo:[0,1] neg_hi:[0,1]
	s_nop 0
	v_sub_f32_e32 v1, v32, v54
	v_pk_add_f32 v[30:31], v[30:31], v[54:55] neg_lo:[0,1] neg_hi:[0,1]
	v_sub_f32_e32 v1, v56, v1
	v_add_f32_e32 v1, v30, v1
	v_add_f32_e32 v1, v1, v31
	;; [unrolled: 1-line block ×3, first 2 shown]
	v_cndmask_b32_e32 v1, v1, v27, vcc
	v_add_f32_e32 v18, v0, v1
.LBB151_156:
	s_or_b64 exec, exec, s[0:1]
	v_max_f32_e32 v0, v18, v18
	v_min_f32_e32 v1, v0, v36
	v_cmp_u_f32_e32 vcc, v18, v18
	v_max_f32_e32 v0, v0, v36
	s_movk_i32 s2, 0x1f8
	v_cndmask_b32_e32 v1, v1, v18, vcc
	v_cndmask_b32_e32 v0, v0, v18, vcc
	v_cndmask_b32_e64 v1, v1, v19, s[66:67]
	v_cndmask_b32_e64 v0, v0, v19, s[66:67]
	v_cmp_neq_f32_e32 vcc, v1, v0
	v_cmp_class_f32_e64 s[0:1], v1, s2
	s_or_b64 s[4:5], vcc, s[0:1]
	v_mov_b32_e32 v19, v18
	s_and_saveexec_b64 s[0:1], s[4:5]
	s_cbranch_execz .LBB151_158
; %bb.157:
	v_sub_f32_e32 v1, v1, v0
	s_mov_b32 s3, 0x3fb8aa3b
	v_mul_f32_e32 v19, 0x3fb8aa3b, v1
	v_fma_f32 v27, v1, s3, -v19
	v_rndne_f32_e32 v29, v19
	v_fmamk_f32 v27, v1, 0x32a5705f, v27
	v_sub_f32_e32 v19, v19, v29
	v_add_f32_e32 v19, v19, v27
	v_exp_f32_e32 v19, v19
	v_cvt_i32_f32_e32 v27, v29
	s_mov_b32 s3, 0xc2ce8ed0
	v_cmp_ngt_f32_e32 vcc, s3, v1
	s_mov_b32 s3, 0x42b17218
	v_ldexp_f32 v19, v19, v27
	v_cndmask_b32_e32 v19, 0, v19, vcc
	v_mov_b32_e32 v27, 0x7f800000
	v_cmp_nlt_f32_e32 vcc, s3, v1
	s_mov_b32 s3, 0x3f2aaaab
	s_mov_b32 s4, 0x7f800000
	v_cndmask_b32_e32 v19, v27, v19, vcc
	v_add_f32_e32 v1, 1.0, v19
	v_add_f32_e32 v27, -1.0, v1
	v_sub_f32_e32 v29, v27, v1
	v_add_f32_e32 v29, 1.0, v29
	v_sub_f32_e32 v27, v19, v27
	v_add_f32_e32 v27, v27, v29
	v_frexp_mant_f32_e32 v29, v1
	v_cvt_f64_f32_e32 v[30:31], v1
	v_frexp_exp_i32_f64_e32 v30, v[30:31]
	v_cmp_gt_f32_e32 vcc, s3, v29
	s_mov_b32 s3, 0x3f317218
	s_nop 0
	v_subbrev_co_u32_e32 v29, vcc, 0, v30, vcc
	v_sub_u32_e32 v30, 0, v29
	v_ldexp_f32 v1, v1, v30
	v_ldexp_f32 v27, v27, v30
	v_add_f32_e32 v30, -1.0, v1
	v_add_f32_e32 v31, 1.0, v30
	v_sub_f32_e32 v31, v1, v31
	v_add_f32_e32 v32, v27, v31
	v_add_f32_e32 v31, 1.0, v1
	v_add_f32_e32 v33, -1.0, v31
	v_sub_f32_e32 v1, v1, v33
	v_add_f32_e32 v1, v27, v1
	v_add_f32_e32 v27, v31, v1
	v_rcp_f32_e32 v36, v27
	v_sub_f32_e32 v31, v31, v27
	v_add_f32_e32 v1, v1, v31
	v_add_f32_e32 v31, v30, v32
	v_sub_f32_e32 v30, v30, v31
	s_waitcnt lgkmcnt(0)
	v_mul_f32_e32 v54, v31, v36
	v_add_f32_e32 v51, v32, v30
	v_mul_f32_e32 v32, v27, v54
	v_fma_f32 v34, v54, v27, -v32
	v_fmac_f32_e32 v34, v54, v1
	v_add_f32_e32 v30, v32, v34
	v_sub_f32_e32 v33, v31, v30
	v_pk_add_f32 v[52:53], v[30:31], v[32:33] neg_lo:[0,1] neg_hi:[0,1]
	v_mov_b32_e32 v35, v30
	v_pk_add_f32 v[30:31], v[52:53], v[34:35] neg_lo:[0,1] neg_hi:[0,1]
	v_cmp_eq_f32_e32 vcc, s4, v19
	v_add_f32_e32 v31, v51, v31
	v_add_f32_e32 v30, v30, v31
	;; [unrolled: 1-line block ×3, first 2 shown]
	v_mul_f32_e32 v51, v36, v31
	v_mul_f32_e32 v32, v27, v51
	v_fma_f32 v34, v51, v27, -v32
	v_fmac_f32_e32 v34, v51, v1
	v_sub_f32_e32 v1, v33, v31
	v_add_f32_e32 v1, v30, v1
	v_add_f32_e32 v30, v32, v34
	v_sub_f32_e32 v33, v31, v30
	v_pk_add_f32 v[52:53], v[30:31], v[32:33] neg_lo:[0,1] neg_hi:[0,1]
	v_mov_b32_e32 v35, v30
	v_pk_add_f32 v[30:31], v[52:53], v[34:35] neg_lo:[0,1] neg_hi:[0,1]
	v_add_f32_e32 v27, v54, v51
	v_add_f32_e32 v1, v1, v31
	;; [unrolled: 1-line block ×4, first 2 shown]
	v_sub_f32_e32 v30, v27, v54
	v_mul_f32_e32 v1, v36, v1
	v_sub_f32_e32 v30, v51, v30
	v_add_f32_e32 v1, v30, v1
	v_add_f32_e32 v30, v27, v1
	v_cvt_f32_i32_e32 v32, v29
	v_mul_f32_e32 v33, v30, v30
	v_mov_b32_e32 v31, 0x3ecc95a3
	v_fmac_f32_e32 v31, 0x3e9b6dac, v33
	v_fmaak_f32 v31, v33, v31, 0x3f2aaada
	v_sub_f32_e32 v27, v30, v27
	v_ldexp_f32 v35, v30, 1
	v_mul_f32_e32 v33, v30, v33
	v_mov_b32_e32 v30, 0x3f317218
	v_pk_mul_f32 v[30:31], v[32:33], v[30:31]
	v_sub_f32_e32 v1, v1, v27
	v_fma_f32 v27, v32, s3, -v30
	v_fmamk_f32 v34, v32, 0xb102e308, v27
	v_pk_add_f32 v[32:33], v[30:31], v[34:35]
	v_ldexp_f32 v1, v1, 1
	v_sub_f32_e32 v27, v33, v35
	v_sub_f32_e32 v27, v31, v27
	v_add_f32_e32 v53, v1, v27
	v_mov_b32_e32 v52, v30
	v_pk_add_f32 v[30:31], v[32:33], v[30:31] neg_lo:[0,1] neg_hi:[0,1]
	v_pk_add_f32 v[54:55], v[32:33], v[52:53]
	v_mov_b32_e32 v35, v32
	v_mov_b32_e32 v31, v55
	v_pk_add_f32 v[56:57], v[34:35], v[30:31] neg_lo:[0,1] neg_hi:[0,1]
	v_pk_add_f32 v[30:31], v[34:35], v[30:31]
	v_mov_b32_e32 v52, v53
	v_mov_b32_e32 v34, v31
	v_pk_add_f32 v[58:59], v[34:35], v[32:33] neg_lo:[0,1] neg_hi:[0,1]
	v_mov_b32_e32 v30, v55
	v_mov_b32_e32 v1, v58
	v_pk_add_f32 v[60:61], v[54:55], v[0:1] neg_lo:[0,1] neg_hi:[0,1]
	v_mov_b32_e32 v54, v33
	v_mov_b32_e32 v55, v58
	;; [unrolled: 1-line block ×3, first 2 shown]
	v_pk_add_f32 v[30:31], v[30:31], v[54:55] neg_lo:[0,1] neg_hi:[0,1]
	v_mov_b32_e32 v53, v32
	v_pk_add_f32 v[30:31], v[52:53], v[30:31] neg_lo:[0,1] neg_hi:[0,1]
	v_mov_b32_e32 v60, v56
	v_pk_add_f32 v[32:33], v[60:61], v[30:31]
	s_mov_b32 s3, 0x33800000
	v_mov_b32_e32 v36, v33
	v_pk_add_f32 v[52:53], v[32:33], v[36:37]
	v_cmp_lt_f32_e64 s[4:5], |v19|, s3
	v_pk_add_f32 v[34:35], v[34:35], v[52:53]
	v_mov_b32_e32 v31, v52
	v_mov_b32_e32 v33, v34
	v_pk_add_f32 v[54:55], v[32:33], v[56:57] neg_lo:[0,1] neg_hi:[0,1]
	s_or_b64 vcc, vcc, s[4:5]
	v_sub_f32_e32 v1, v32, v54
	v_pk_add_f32 v[30:31], v[30:31], v[54:55] neg_lo:[0,1] neg_hi:[0,1]
	v_sub_f32_e32 v1, v56, v1
	v_add_f32_e32 v1, v30, v1
	v_add_f32_e32 v1, v1, v31
	;; [unrolled: 1-line block ×3, first 2 shown]
	v_cndmask_b32_e32 v1, v1, v19, vcc
	v_add_f32_e32 v19, v0, v1
.LBB151_158:
	s_or_b64 exec, exec, s[0:1]
	v_max_f32_e32 v0, v19, v19
	v_min_f32_e32 v1, v0, v37
	v_cmp_u_f32_e32 vcc, v19, v19
	v_max_f32_e32 v0, v0, v37
	s_nop 0
	v_cndmask_b32_e32 v1, v1, v19, vcc
	v_cndmask_b32_e32 v0, v0, v19, vcc
	v_cndmask_b32_e64 v1, v1, v20, s[68:69]
	v_cndmask_b32_e64 v0, v0, v20, s[68:69]
	v_cmp_neq_f32_e32 vcc, v1, v0
	v_cmp_class_f32_e64 s[0:1], v1, s2
	s_or_b64 s[2:3], vcc, s[0:1]
	v_mov_b32_e32 v20, v19
	s_and_saveexec_b64 s[0:1], s[2:3]
	s_cbranch_execz .LBB151_160
; %bb.159:
	v_sub_f32_e32 v1, v1, v0
	s_mov_b32 s2, 0x3fb8aa3b
	v_mul_f32_e32 v20, 0x3fb8aa3b, v1
	v_fma_f32 v27, v1, s2, -v20
	v_rndne_f32_e32 v29, v20
	v_fmamk_f32 v27, v1, 0x32a5705f, v27
	v_sub_f32_e32 v20, v20, v29
	v_add_f32_e32 v20, v20, v27
	v_exp_f32_e32 v20, v20
	v_cvt_i32_f32_e32 v27, v29
	s_mov_b32 s2, 0xc2ce8ed0
	v_cmp_ngt_f32_e32 vcc, s2, v1
	s_mov_b32 s2, 0x42b17218
	v_ldexp_f32 v20, v20, v27
	v_cndmask_b32_e32 v20, 0, v20, vcc
	v_mov_b32_e32 v27, 0x7f800000
	v_cmp_nlt_f32_e32 vcc, s2, v1
	s_mov_b32 s2, 0x3f2aaaab
	s_mov_b32 s3, 0x7f800000
	v_cndmask_b32_e32 v27, v27, v20, vcc
	v_add_f32_e32 v1, 1.0, v27
	v_add_f32_e32 v20, -1.0, v1
	v_sub_f32_e32 v29, v20, v1
	v_add_f32_e32 v29, 1.0, v29
	v_sub_f32_e32 v20, v27, v20
	v_add_f32_e32 v20, v20, v29
	v_frexp_mant_f32_e32 v29, v1
	v_cvt_f64_f32_e32 v[30:31], v1
	v_frexp_exp_i32_f64_e32 v30, v[30:31]
	v_cmp_gt_f32_e32 vcc, s2, v29
	s_mov_b32 s2, 0x3f317218
	s_nop 0
	v_subbrev_co_u32_e32 v29, vcc, 0, v30, vcc
	v_sub_u32_e32 v30, 0, v29
	v_ldexp_f32 v1, v1, v30
	v_ldexp_f32 v20, v20, v30
	v_add_f32_e32 v30, -1.0, v1
	v_add_f32_e32 v31, 1.0, v30
	v_sub_f32_e32 v31, v1, v31
	v_add_f32_e32 v32, v20, v31
	v_add_f32_e32 v31, 1.0, v1
	v_add_f32_e32 v33, -1.0, v31
	v_sub_f32_e32 v1, v1, v33
	v_add_f32_e32 v1, v20, v1
	v_add_f32_e32 v20, v31, v1
	v_rcp_f32_e32 v51, v20
	v_sub_f32_e32 v31, v31, v20
	v_add_f32_e32 v1, v1, v31
	v_add_f32_e32 v31, v30, v32
	v_sub_f32_e32 v30, v30, v31
	v_mul_f32_e32 v53, v31, v51
	v_add_f32_e32 v52, v32, v30
	v_mul_f32_e32 v32, v20, v53
	v_fma_f32 v34, v53, v20, -v32
	v_fmac_f32_e32 v34, v53, v1
	v_add_f32_e32 v30, v32, v34
	v_sub_f32_e32 v33, v31, v30
	v_pk_add_f32 v[36:37], v[30:31], v[32:33] neg_lo:[0,1] neg_hi:[0,1]
	v_mov_b32_e32 v35, v30
	v_pk_add_f32 v[30:31], v[36:37], v[34:35] neg_lo:[0,1] neg_hi:[0,1]
	v_cmp_eq_f32_e32 vcc, s3, v27
	v_add_f32_e32 v31, v52, v31
	v_add_f32_e32 v30, v30, v31
	;; [unrolled: 1-line block ×3, first 2 shown]
	v_mul_f32_e32 v52, v51, v31
	v_mul_f32_e32 v32, v20, v52
	v_fma_f32 v34, v52, v20, -v32
	v_fmac_f32_e32 v34, v52, v1
	v_sub_f32_e32 v1, v33, v31
	v_add_f32_e32 v1, v30, v1
	v_add_f32_e32 v30, v32, v34
	v_sub_f32_e32 v33, v31, v30
	v_pk_add_f32 v[36:37], v[30:31], v[32:33] neg_lo:[0,1] neg_hi:[0,1]
	v_mov_b32_e32 v35, v30
	v_pk_add_f32 v[30:31], v[36:37], v[34:35] neg_lo:[0,1] neg_hi:[0,1]
	v_add_f32_e32 v20, v53, v52
	v_add_f32_e32 v1, v1, v31
	;; [unrolled: 1-line block ×4, first 2 shown]
	v_sub_f32_e32 v30, v20, v53
	v_mul_f32_e32 v1, v51, v1
	v_sub_f32_e32 v30, v52, v30
	v_add_f32_e32 v1, v30, v1
	v_add_f32_e32 v30, v20, v1
	v_cvt_f32_i32_e32 v32, v29
	v_mul_f32_e32 v33, v30, v30
	v_mov_b32_e32 v31, 0x3ecc95a3
	v_fmac_f32_e32 v31, 0x3e9b6dac, v33
	v_fmaak_f32 v31, v33, v31, 0x3f2aaada
	v_sub_f32_e32 v20, v30, v20
	v_ldexp_f32 v35, v30, 1
	v_mul_f32_e32 v33, v30, v33
	v_mov_b32_e32 v30, 0x3f317218
	v_pk_mul_f32 v[30:31], v[32:33], v[30:31]
	v_sub_f32_e32 v1, v1, v20
	v_fma_f32 v20, v32, s2, -v30
	v_fmamk_f32 v34, v32, 0xb102e308, v20
	v_pk_add_f32 v[32:33], v[30:31], v[34:35]
	v_ldexp_f32 v1, v1, 1
	v_sub_f32_e32 v20, v33, v35
	v_sub_f32_e32 v20, v31, v20
	v_add_f32_e32 v37, v1, v20
	v_mov_b32_e32 v36, v30
	v_pk_add_f32 v[30:31], v[32:33], v[30:31] neg_lo:[0,1] neg_hi:[0,1]
	v_pk_add_f32 v[52:53], v[32:33], v[36:37]
	v_mov_b32_e32 v35, v32
	v_mov_b32_e32 v31, v53
	s_waitcnt lgkmcnt(0)
	v_pk_add_f32 v[54:55], v[34:35], v[30:31] neg_lo:[0,1] neg_hi:[0,1]
	v_pk_add_f32 v[30:31], v[34:35], v[30:31]
	s_mov_b32 s2, 0x33800000
	v_mov_b32_e32 v20, v31
	v_pk_add_f32 v[34:35], v[20:21], v[32:33] neg_lo:[0,1] neg_hi:[0,1]
	v_mov_b32_e32 v30, v53
	v_mov_b32_e32 v1, v34
	v_pk_add_f32 v[56:57], v[52:53], v[0:1] neg_lo:[0,1] neg_hi:[0,1]
	v_mov_b32_e32 v52, v33
	v_mov_b32_e32 v53, v34
	;; [unrolled: 1-line block ×3, first 2 shown]
	v_pk_add_f32 v[30:31], v[30:31], v[52:53] neg_lo:[0,1] neg_hi:[0,1]
	v_mov_b32_e32 v34, v37
	v_mov_b32_e32 v35, v32
	v_pk_add_f32 v[30:31], v[34:35], v[30:31] neg_lo:[0,1] neg_hi:[0,1]
	v_mov_b32_e32 v56, v54
	v_pk_add_f32 v[32:33], v[56:57], v[30:31]
	v_cmp_lt_f32_e64 s[2:3], |v27|, s2
	v_mov_b32_e32 v34, v33
	v_pk_add_f32 v[34:35], v[32:33], v[34:35]
	s_or_b64 vcc, vcc, s[2:3]
	v_pk_add_f32 v[36:37], v[20:21], v[34:35]
	v_mov_b32_e32 v31, v34
	v_mov_b32_e32 v33, v36
	v_pk_add_f32 v[52:53], v[32:33], v[54:55] neg_lo:[0,1] neg_hi:[0,1]
	s_nop 0
	v_sub_f32_e32 v1, v32, v52
	v_pk_add_f32 v[30:31], v[30:31], v[52:53] neg_lo:[0,1] neg_hi:[0,1]
	v_sub_f32_e32 v1, v54, v1
	v_add_f32_e32 v1, v30, v1
	v_add_f32_e32 v1, v1, v31
	;; [unrolled: 1-line block ×3, first 2 shown]
	v_cndmask_b32_e32 v1, v1, v27, vcc
	v_add_f32_e32 v20, v0, v1
.LBB151_160:
	s_or_b64 exec, exec, s[0:1]
	v_max_f32_e32 v0, v20, v20
	v_min_f32_e32 v1, v0, v38
	v_cmp_u_f32_e32 vcc, v20, v20
	v_max_f32_e32 v0, v0, v38
	s_movk_i32 s2, 0x1f8
	v_cndmask_b32_e32 v1, v1, v20, vcc
	v_cndmask_b32_e32 v0, v0, v20, vcc
	v_cndmask_b32_e64 v1, v1, v21, s[70:71]
	v_cndmask_b32_e64 v0, v0, v21, s[70:71]
	v_cmp_neq_f32_e32 vcc, v1, v0
	v_cmp_class_f32_e64 s[0:1], v1, s2
	s_or_b64 s[4:5], vcc, s[0:1]
	v_mov_b32_e32 v21, v20
	s_and_saveexec_b64 s[0:1], s[4:5]
	s_cbranch_execz .LBB151_162
; %bb.161:
	v_sub_f32_e32 v1, v1, v0
	s_mov_b32 s3, 0x3fb8aa3b
	v_mul_f32_e32 v21, 0x3fb8aa3b, v1
	v_fma_f32 v27, v1, s3, -v21
	v_rndne_f32_e32 v29, v21
	v_fmamk_f32 v27, v1, 0x32a5705f, v27
	v_sub_f32_e32 v21, v21, v29
	v_add_f32_e32 v21, v21, v27
	v_exp_f32_e32 v21, v21
	v_cvt_i32_f32_e32 v27, v29
	s_mov_b32 s3, 0xc2ce8ed0
	v_cmp_ngt_f32_e32 vcc, s3, v1
	s_mov_b32 s3, 0x42b17218
	v_ldexp_f32 v21, v21, v27
	v_cndmask_b32_e32 v21, 0, v21, vcc
	v_mov_b32_e32 v27, 0x7f800000
	v_cmp_nlt_f32_e32 vcc, s3, v1
	s_mov_b32 s3, 0x3f2aaaab
	s_mov_b32 s4, 0x7f800000
	v_cndmask_b32_e32 v21, v27, v21, vcc
	v_add_f32_e32 v1, 1.0, v21
	v_add_f32_e32 v27, -1.0, v1
	v_sub_f32_e32 v29, v27, v1
	v_add_f32_e32 v29, 1.0, v29
	v_sub_f32_e32 v27, v21, v27
	v_add_f32_e32 v27, v27, v29
	v_frexp_mant_f32_e32 v29, v1
	v_cvt_f64_f32_e32 v[30:31], v1
	v_frexp_exp_i32_f64_e32 v30, v[30:31]
	v_cmp_gt_f32_e32 vcc, s3, v29
	s_mov_b32 s3, 0x3f317218
	s_nop 0
	v_subbrev_co_u32_e32 v29, vcc, 0, v30, vcc
	v_sub_u32_e32 v30, 0, v29
	v_ldexp_f32 v1, v1, v30
	v_ldexp_f32 v27, v27, v30
	v_add_f32_e32 v30, -1.0, v1
	v_add_f32_e32 v31, 1.0, v30
	v_sub_f32_e32 v31, v1, v31
	v_add_f32_e32 v32, v27, v31
	v_add_f32_e32 v31, 1.0, v1
	v_add_f32_e32 v33, -1.0, v31
	v_sub_f32_e32 v1, v1, v33
	v_add_f32_e32 v1, v27, v1
	v_add_f32_e32 v27, v31, v1
	v_rcp_f32_e32 v38, v27
	v_sub_f32_e32 v31, v31, v27
	v_add_f32_e32 v1, v1, v31
	v_add_f32_e32 v31, v30, v32
	v_sub_f32_e32 v30, v30, v31
	v_mul_f32_e32 v52, v31, v38
	v_add_f32_e32 v51, v32, v30
	v_mul_f32_e32 v32, v27, v52
	v_fma_f32 v34, v52, v27, -v32
	v_fmac_f32_e32 v34, v52, v1
	v_add_f32_e32 v30, v32, v34
	v_sub_f32_e32 v33, v31, v30
	v_pk_add_f32 v[36:37], v[30:31], v[32:33] neg_lo:[0,1] neg_hi:[0,1]
	v_mov_b32_e32 v35, v30
	v_pk_add_f32 v[30:31], v[36:37], v[34:35] neg_lo:[0,1] neg_hi:[0,1]
	v_cmp_eq_f32_e32 vcc, s4, v21
	v_add_f32_e32 v31, v51, v31
	v_add_f32_e32 v30, v30, v31
	;; [unrolled: 1-line block ×3, first 2 shown]
	v_mul_f32_e32 v51, v38, v31
	v_mul_f32_e32 v32, v27, v51
	v_fma_f32 v34, v51, v27, -v32
	v_fmac_f32_e32 v34, v51, v1
	v_sub_f32_e32 v1, v33, v31
	v_add_f32_e32 v1, v30, v1
	v_add_f32_e32 v30, v32, v34
	v_sub_f32_e32 v33, v31, v30
	v_pk_add_f32 v[36:37], v[30:31], v[32:33] neg_lo:[0,1] neg_hi:[0,1]
	v_mov_b32_e32 v35, v30
	v_pk_add_f32 v[30:31], v[36:37], v[34:35] neg_lo:[0,1] neg_hi:[0,1]
	v_add_f32_e32 v27, v52, v51
	v_add_f32_e32 v1, v1, v31
	;; [unrolled: 1-line block ×4, first 2 shown]
	v_sub_f32_e32 v30, v27, v52
	v_mul_f32_e32 v1, v38, v1
	v_sub_f32_e32 v30, v51, v30
	v_add_f32_e32 v1, v30, v1
	v_add_f32_e32 v30, v27, v1
	v_cvt_f32_i32_e32 v32, v29
	v_mul_f32_e32 v33, v30, v30
	v_mov_b32_e32 v31, 0x3ecc95a3
	v_fmac_f32_e32 v31, 0x3e9b6dac, v33
	v_fmaak_f32 v31, v33, v31, 0x3f2aaada
	v_sub_f32_e32 v27, v30, v27
	v_ldexp_f32 v35, v30, 1
	v_mul_f32_e32 v33, v30, v33
	v_mov_b32_e32 v30, 0x3f317218
	v_pk_mul_f32 v[30:31], v[32:33], v[30:31]
	v_sub_f32_e32 v1, v1, v27
	v_fma_f32 v27, v32, s3, -v30
	v_fmamk_f32 v34, v32, 0xb102e308, v27
	v_pk_add_f32 v[32:33], v[30:31], v[34:35]
	v_ldexp_f32 v1, v1, 1
	v_sub_f32_e32 v27, v33, v35
	v_sub_f32_e32 v27, v31, v27
	v_add_f32_e32 v37, v1, v27
	v_mov_b32_e32 v36, v30
	v_pk_add_f32 v[30:31], v[32:33], v[30:31] neg_lo:[0,1] neg_hi:[0,1]
	v_pk_add_f32 v[52:53], v[32:33], v[36:37]
	v_mov_b32_e32 v35, v32
	v_mov_b32_e32 v31, v53
	s_waitcnt lgkmcnt(0)
	v_pk_add_f32 v[54:55], v[34:35], v[30:31] neg_lo:[0,1] neg_hi:[0,1]
	v_pk_add_f32 v[30:31], v[34:35], v[30:31]
	v_mov_b32_e32 v36, v37
	v_mov_b32_e32 v34, v31
	v_pk_add_f32 v[56:57], v[34:35], v[32:33] neg_lo:[0,1] neg_hi:[0,1]
	v_mov_b32_e32 v30, v53
	v_mov_b32_e32 v1, v56
	v_pk_add_f32 v[58:59], v[52:53], v[0:1] neg_lo:[0,1] neg_hi:[0,1]
	v_mov_b32_e32 v52, v33
	v_mov_b32_e32 v53, v56
	v_mov_b32_e32 v55, v31
	v_pk_add_f32 v[30:31], v[30:31], v[52:53] neg_lo:[0,1] neg_hi:[0,1]
	v_mov_b32_e32 v37, v32
	v_pk_add_f32 v[30:31], v[36:37], v[30:31] neg_lo:[0,1] neg_hi:[0,1]
	v_mov_b32_e32 v58, v54
	v_pk_add_f32 v[32:33], v[58:59], v[30:31]
	s_mov_b32 s3, 0x33800000
	v_mov_b32_e32 v36, v33
	v_pk_add_f32 v[36:37], v[32:33], v[36:37]
	v_cmp_lt_f32_e64 s[4:5], |v21|, s3
	v_pk_add_f32 v[34:35], v[34:35], v[36:37]
	v_mov_b32_e32 v31, v36
	v_mov_b32_e32 v33, v34
	v_pk_add_f32 v[52:53], v[32:33], v[54:55] neg_lo:[0,1] neg_hi:[0,1]
	s_or_b64 vcc, vcc, s[4:5]
	v_sub_f32_e32 v1, v32, v52
	v_pk_add_f32 v[30:31], v[30:31], v[52:53] neg_lo:[0,1] neg_hi:[0,1]
	v_sub_f32_e32 v1, v54, v1
	v_add_f32_e32 v1, v30, v1
	v_add_f32_e32 v1, v1, v31
	;; [unrolled: 1-line block ×3, first 2 shown]
	v_cndmask_b32_e32 v1, v1, v21, vcc
	v_add_f32_e32 v21, v0, v1
.LBB151_162:
	s_or_b64 exec, exec, s[0:1]
	v_max_f32_e32 v0, v21, v21
	v_min_f32_e32 v1, v0, v39
	v_cmp_u_f32_e32 vcc, v21, v21
	v_max_f32_e32 v0, v0, v39
	s_nop 0
	v_cndmask_b32_e32 v1, v1, v21, vcc
	v_cndmask_b32_e32 v0, v0, v21, vcc
	v_cndmask_b32_e64 v1, v1, v14, s[72:73]
	v_cndmask_b32_e64 v0, v0, v14, s[72:73]
	v_cmp_neq_f32_e32 vcc, v1, v0
	v_cmp_class_f32_e64 s[0:1], v1, s2
	s_or_b64 s[2:3], vcc, s[0:1]
	v_mov_b32_e32 v14, v21
	s_and_saveexec_b64 s[0:1], s[2:3]
	s_cbranch_execz .LBB151_164
; %bb.163:
	v_sub_f32_e32 v1, v1, v0
	s_mov_b32 s2, 0x3fb8aa3b
	v_mul_f32_e32 v14, 0x3fb8aa3b, v1
	v_fma_f32 v27, v1, s2, -v14
	v_rndne_f32_e32 v29, v14
	v_fmamk_f32 v27, v1, 0x32a5705f, v27
	v_sub_f32_e32 v14, v14, v29
	v_add_f32_e32 v14, v14, v27
	v_exp_f32_e32 v14, v14
	v_cvt_i32_f32_e32 v27, v29
	s_mov_b32 s2, 0xc2ce8ed0
	v_cmp_ngt_f32_e32 vcc, s2, v1
	s_mov_b32 s2, 0x42b17218
	v_ldexp_f32 v14, v14, v27
	v_cndmask_b32_e32 v14, 0, v14, vcc
	v_mov_b32_e32 v27, 0x7f800000
	v_cmp_nlt_f32_e32 vcc, s2, v1
	s_mov_b32 s2, 0x3f2aaaab
	s_mov_b32 s3, 0x7f800000
	v_cndmask_b32_e32 v27, v27, v14, vcc
	v_add_f32_e32 v1, 1.0, v27
	v_add_f32_e32 v14, -1.0, v1
	v_sub_f32_e32 v29, v14, v1
	v_add_f32_e32 v29, 1.0, v29
	v_sub_f32_e32 v14, v27, v14
	v_add_f32_e32 v14, v14, v29
	v_frexp_mant_f32_e32 v29, v1
	v_cvt_f64_f32_e32 v[30:31], v1
	v_frexp_exp_i32_f64_e32 v30, v[30:31]
	v_cmp_gt_f32_e32 vcc, s2, v29
	s_mov_b32 s2, 0x3f317218
	s_nop 0
	v_subbrev_co_u32_e32 v29, vcc, 0, v30, vcc
	v_sub_u32_e32 v30, 0, v29
	v_ldexp_f32 v1, v1, v30
	v_ldexp_f32 v14, v14, v30
	v_add_f32_e32 v30, -1.0, v1
	v_add_f32_e32 v31, 1.0, v30
	v_sub_f32_e32 v31, v1, v31
	v_add_f32_e32 v32, v14, v31
	v_add_f32_e32 v31, 1.0, v1
	v_add_f32_e32 v33, -1.0, v31
	v_sub_f32_e32 v1, v1, v33
	v_add_f32_e32 v1, v14, v1
	v_add_f32_e32 v14, v31, v1
	v_rcp_f32_e32 v38, v14
	v_sub_f32_e32 v31, v31, v14
	v_add_f32_e32 v1, v1, v31
	v_add_f32_e32 v31, v30, v32
	v_sub_f32_e32 v30, v30, v31
	v_mul_f32_e32 v51, v31, v38
	v_add_f32_e32 v39, v32, v30
	v_mul_f32_e32 v32, v14, v51
	v_fma_f32 v34, v51, v14, -v32
	v_fmac_f32_e32 v34, v51, v1
	v_add_f32_e32 v30, v32, v34
	v_sub_f32_e32 v33, v31, v30
	v_pk_add_f32 v[36:37], v[30:31], v[32:33] neg_lo:[0,1] neg_hi:[0,1]
	v_mov_b32_e32 v35, v30
	v_pk_add_f32 v[30:31], v[36:37], v[34:35] neg_lo:[0,1] neg_hi:[0,1]
	v_cmp_eq_f32_e32 vcc, s3, v27
	v_add_f32_e32 v31, v39, v31
	v_add_f32_e32 v30, v30, v31
	;; [unrolled: 1-line block ×3, first 2 shown]
	v_mul_f32_e32 v39, v38, v31
	v_mul_f32_e32 v32, v14, v39
	v_fma_f32 v34, v39, v14, -v32
	v_fmac_f32_e32 v34, v39, v1
	v_sub_f32_e32 v1, v33, v31
	v_add_f32_e32 v1, v30, v1
	v_add_f32_e32 v30, v32, v34
	v_sub_f32_e32 v33, v31, v30
	v_pk_add_f32 v[36:37], v[30:31], v[32:33] neg_lo:[0,1] neg_hi:[0,1]
	v_mov_b32_e32 v35, v30
	v_pk_add_f32 v[30:31], v[36:37], v[34:35] neg_lo:[0,1] neg_hi:[0,1]
	v_add_f32_e32 v14, v51, v39
	v_add_f32_e32 v1, v1, v31
	;; [unrolled: 1-line block ×4, first 2 shown]
	v_sub_f32_e32 v30, v14, v51
	v_mul_f32_e32 v1, v38, v1
	v_sub_f32_e32 v30, v39, v30
	v_add_f32_e32 v1, v30, v1
	v_add_f32_e32 v30, v14, v1
	v_cvt_f32_i32_e32 v32, v29
	v_mul_f32_e32 v33, v30, v30
	v_mov_b32_e32 v31, 0x3ecc95a3
	v_fmac_f32_e32 v31, 0x3e9b6dac, v33
	v_fmaak_f32 v31, v33, v31, 0x3f2aaada
	v_sub_f32_e32 v14, v30, v14
	v_ldexp_f32 v35, v30, 1
	v_mul_f32_e32 v33, v30, v33
	v_mov_b32_e32 v30, 0x3f317218
	v_pk_mul_f32 v[30:31], v[32:33], v[30:31]
	v_sub_f32_e32 v1, v1, v14
	v_fma_f32 v14, v32, s2, -v30
	v_fmamk_f32 v34, v32, 0xb102e308, v14
	v_pk_add_f32 v[32:33], v[30:31], v[34:35]
	v_ldexp_f32 v1, v1, 1
	v_sub_f32_e32 v14, v33, v35
	v_sub_f32_e32 v14, v31, v14
	v_add_f32_e32 v37, v1, v14
	v_mov_b32_e32 v36, v30
	v_pk_add_f32 v[30:31], v[32:33], v[30:31] neg_lo:[0,1] neg_hi:[0,1]
	v_pk_add_f32 v[38:39], v[32:33], v[36:37]
	v_mov_b32_e32 v35, v32
	v_mov_b32_e32 v31, v39
	v_pk_add_f32 v[52:53], v[34:35], v[30:31] neg_lo:[0,1] neg_hi:[0,1]
	v_pk_add_f32 v[30:31], v[34:35], v[30:31]
	s_mov_b32 s2, 0x33800000
	v_mov_b32_e32 v14, v31
	v_pk_add_f32 v[34:35], v[14:15], v[32:33] neg_lo:[0,1] neg_hi:[0,1]
	v_mov_b32_e32 v30, v39
	v_mov_b32_e32 v1, v34
	s_waitcnt lgkmcnt(0)
	v_pk_add_f32 v[54:55], v[38:39], v[0:1] neg_lo:[0,1] neg_hi:[0,1]
	v_mov_b32_e32 v38, v33
	v_mov_b32_e32 v39, v34
	;; [unrolled: 1-line block ×3, first 2 shown]
	v_pk_add_f32 v[30:31], v[30:31], v[38:39] neg_lo:[0,1] neg_hi:[0,1]
	v_mov_b32_e32 v34, v37
	v_mov_b32_e32 v35, v32
	v_pk_add_f32 v[30:31], v[34:35], v[30:31] neg_lo:[0,1] neg_hi:[0,1]
	v_mov_b32_e32 v54, v52
	v_pk_add_f32 v[32:33], v[54:55], v[30:31]
	v_cmp_lt_f32_e64 s[2:3], |v27|, s2
	v_mov_b32_e32 v34, v33
	v_pk_add_f32 v[34:35], v[32:33], v[34:35]
	s_or_b64 vcc, vcc, s[2:3]
	v_pk_add_f32 v[36:37], v[14:15], v[34:35]
	v_mov_b32_e32 v31, v34
	v_mov_b32_e32 v33, v36
	v_pk_add_f32 v[38:39], v[32:33], v[52:53] neg_lo:[0,1] neg_hi:[0,1]
	s_nop 0
	v_sub_f32_e32 v1, v32, v38
	v_pk_add_f32 v[30:31], v[30:31], v[38:39] neg_lo:[0,1] neg_hi:[0,1]
	v_sub_f32_e32 v1, v52, v1
	v_add_f32_e32 v1, v30, v1
	v_add_f32_e32 v1, v1, v31
	;; [unrolled: 1-line block ×3, first 2 shown]
	v_cndmask_b32_e32 v1, v1, v27, vcc
	v_add_f32_e32 v14, v0, v1
.LBB151_164:
	s_or_b64 exec, exec, s[0:1]
	v_max_f32_e32 v0, v14, v14
	v_min_f32_e32 v1, v0, v40
	v_cmp_u_f32_e32 vcc, v14, v14
	v_max_f32_e32 v0, v0, v40
	s_movk_i32 s2, 0x1f8
	v_cndmask_b32_e32 v1, v1, v14, vcc
	v_cndmask_b32_e32 v0, v0, v14, vcc
	v_cndmask_b32_e64 v1, v1, v15, s[74:75]
	v_cndmask_b32_e64 v0, v0, v15, s[74:75]
	v_cmp_neq_f32_e32 vcc, v1, v0
	v_cmp_class_f32_e64 s[0:1], v1, s2
	s_or_b64 s[4:5], vcc, s[0:1]
	v_mov_b32_e32 v15, v14
	s_and_saveexec_b64 s[0:1], s[4:5]
	s_cbranch_execz .LBB151_166
; %bb.165:
	v_sub_f32_e32 v1, v1, v0
	s_mov_b32 s3, 0x3fb8aa3b
	v_mul_f32_e32 v15, 0x3fb8aa3b, v1
	v_fma_f32 v27, v1, s3, -v15
	v_rndne_f32_e32 v29, v15
	v_fmamk_f32 v27, v1, 0x32a5705f, v27
	v_sub_f32_e32 v15, v15, v29
	v_add_f32_e32 v15, v15, v27
	v_exp_f32_e32 v15, v15
	v_cvt_i32_f32_e32 v27, v29
	s_mov_b32 s3, 0xc2ce8ed0
	v_cmp_ngt_f32_e32 vcc, s3, v1
	s_mov_b32 s3, 0x42b17218
	v_ldexp_f32 v15, v15, v27
	v_cndmask_b32_e32 v15, 0, v15, vcc
	v_mov_b32_e32 v27, 0x7f800000
	v_cmp_nlt_f32_e32 vcc, s3, v1
	s_mov_b32 s3, 0x3f2aaaab
	s_mov_b32 s4, 0x7f800000
	v_cndmask_b32_e32 v15, v27, v15, vcc
	v_add_f32_e32 v1, 1.0, v15
	v_add_f32_e32 v27, -1.0, v1
	v_sub_f32_e32 v29, v27, v1
	v_add_f32_e32 v29, 1.0, v29
	v_sub_f32_e32 v27, v15, v27
	v_add_f32_e32 v27, v27, v29
	v_frexp_mant_f32_e32 v29, v1
	v_cvt_f64_f32_e32 v[30:31], v1
	v_frexp_exp_i32_f64_e32 v30, v[30:31]
	v_cmp_gt_f32_e32 vcc, s3, v29
	s_mov_b32 s3, 0x3f317218
	s_nop 0
	v_subbrev_co_u32_e32 v29, vcc, 0, v30, vcc
	v_sub_u32_e32 v30, 0, v29
	v_ldexp_f32 v1, v1, v30
	v_ldexp_f32 v27, v27, v30
	v_add_f32_e32 v30, -1.0, v1
	v_add_f32_e32 v31, 1.0, v30
	v_sub_f32_e32 v31, v1, v31
	v_add_f32_e32 v32, v27, v31
	v_add_f32_e32 v31, 1.0, v1
	v_add_f32_e32 v33, -1.0, v31
	v_sub_f32_e32 v1, v1, v33
	v_add_f32_e32 v1, v27, v1
	v_add_f32_e32 v27, v31, v1
	v_rcp_f32_e32 v38, v27
	v_sub_f32_e32 v31, v31, v27
	v_add_f32_e32 v1, v1, v31
	v_add_f32_e32 v31, v30, v32
	v_sub_f32_e32 v30, v30, v31
	v_mul_f32_e32 v40, v31, v38
	v_add_f32_e32 v39, v32, v30
	v_mul_f32_e32 v32, v27, v40
	v_fma_f32 v34, v40, v27, -v32
	v_fmac_f32_e32 v34, v40, v1
	v_add_f32_e32 v30, v32, v34
	v_sub_f32_e32 v33, v31, v30
	v_pk_add_f32 v[36:37], v[30:31], v[32:33] neg_lo:[0,1] neg_hi:[0,1]
	v_mov_b32_e32 v35, v30
	v_pk_add_f32 v[30:31], v[36:37], v[34:35] neg_lo:[0,1] neg_hi:[0,1]
	v_cmp_eq_f32_e32 vcc, s4, v15
	v_add_f32_e32 v31, v39, v31
	v_add_f32_e32 v30, v30, v31
	;; [unrolled: 1-line block ×3, first 2 shown]
	v_mul_f32_e32 v39, v38, v31
	v_mul_f32_e32 v32, v27, v39
	v_fma_f32 v34, v39, v27, -v32
	v_fmac_f32_e32 v34, v39, v1
	v_sub_f32_e32 v1, v33, v31
	v_add_f32_e32 v1, v30, v1
	v_add_f32_e32 v30, v32, v34
	v_sub_f32_e32 v33, v31, v30
	v_pk_add_f32 v[36:37], v[30:31], v[32:33] neg_lo:[0,1] neg_hi:[0,1]
	v_mov_b32_e32 v35, v30
	v_pk_add_f32 v[30:31], v[36:37], v[34:35] neg_lo:[0,1] neg_hi:[0,1]
	v_add_f32_e32 v27, v40, v39
	v_add_f32_e32 v1, v1, v31
	v_add_f32_e32 v1, v30, v1
	v_add_f32_e32 v1, v33, v1
	v_sub_f32_e32 v30, v27, v40
	v_mul_f32_e32 v1, v38, v1
	v_sub_f32_e32 v30, v39, v30
	v_add_f32_e32 v1, v30, v1
	v_add_f32_e32 v30, v27, v1
	v_cvt_f32_i32_e32 v32, v29
	v_mul_f32_e32 v33, v30, v30
	v_mov_b32_e32 v31, 0x3ecc95a3
	v_fmac_f32_e32 v31, 0x3e9b6dac, v33
	v_fmaak_f32 v31, v33, v31, 0x3f2aaada
	v_sub_f32_e32 v27, v30, v27
	v_ldexp_f32 v35, v30, 1
	v_mul_f32_e32 v33, v30, v33
	v_mov_b32_e32 v30, 0x3f317218
	v_pk_mul_f32 v[30:31], v[32:33], v[30:31]
	v_sub_f32_e32 v1, v1, v27
	v_fma_f32 v27, v32, s3, -v30
	v_fmamk_f32 v34, v32, 0xb102e308, v27
	v_pk_add_f32 v[32:33], v[30:31], v[34:35]
	v_ldexp_f32 v1, v1, 1
	v_sub_f32_e32 v27, v33, v35
	v_sub_f32_e32 v27, v31, v27
	v_add_f32_e32 v37, v1, v27
	v_mov_b32_e32 v36, v30
	v_pk_add_f32 v[30:31], v[32:33], v[30:31] neg_lo:[0,1] neg_hi:[0,1]
	v_pk_add_f32 v[38:39], v[32:33], v[36:37]
	v_mov_b32_e32 v35, v32
	v_mov_b32_e32 v31, v39
	v_pk_add_f32 v[52:53], v[34:35], v[30:31] neg_lo:[0,1] neg_hi:[0,1]
	v_pk_add_f32 v[30:31], v[34:35], v[30:31]
	v_mov_b32_e32 v36, v37
	v_mov_b32_e32 v34, v31
	s_waitcnt lgkmcnt(0)
	v_pk_add_f32 v[54:55], v[34:35], v[32:33] neg_lo:[0,1] neg_hi:[0,1]
	v_mov_b32_e32 v30, v39
	v_mov_b32_e32 v1, v54
	v_pk_add_f32 v[56:57], v[38:39], v[0:1] neg_lo:[0,1] neg_hi:[0,1]
	v_mov_b32_e32 v38, v33
	v_mov_b32_e32 v39, v54
	;; [unrolled: 1-line block ×3, first 2 shown]
	v_pk_add_f32 v[30:31], v[30:31], v[38:39] neg_lo:[0,1] neg_hi:[0,1]
	v_mov_b32_e32 v37, v32
	v_pk_add_f32 v[30:31], v[36:37], v[30:31] neg_lo:[0,1] neg_hi:[0,1]
	v_mov_b32_e32 v56, v52
	v_pk_add_f32 v[32:33], v[56:57], v[30:31]
	s_mov_b32 s3, 0x33800000
	v_mov_b32_e32 v36, v33
	v_pk_add_f32 v[36:37], v[32:33], v[36:37]
	v_cmp_lt_f32_e64 s[4:5], |v15|, s3
	v_pk_add_f32 v[34:35], v[34:35], v[36:37]
	v_mov_b32_e32 v31, v36
	v_mov_b32_e32 v33, v34
	v_pk_add_f32 v[38:39], v[32:33], v[52:53] neg_lo:[0,1] neg_hi:[0,1]
	s_or_b64 vcc, vcc, s[4:5]
	v_sub_f32_e32 v1, v32, v38
	v_pk_add_f32 v[30:31], v[30:31], v[38:39] neg_lo:[0,1] neg_hi:[0,1]
	v_sub_f32_e32 v1, v52, v1
	v_add_f32_e32 v1, v30, v1
	v_add_f32_e32 v1, v1, v31
	;; [unrolled: 1-line block ×3, first 2 shown]
	v_cndmask_b32_e32 v1, v1, v15, vcc
	v_add_f32_e32 v15, v0, v1
.LBB151_166:
	s_or_b64 exec, exec, s[0:1]
	v_max_f32_e32 v0, v15, v15
	v_min_f32_e32 v1, v0, v41
	v_cmp_u_f32_e32 vcc, v15, v15
	v_max_f32_e32 v0, v0, v41
	s_nop 0
	v_cndmask_b32_e32 v1, v1, v15, vcc
	v_cndmask_b32_e32 v0, v0, v15, vcc
	v_cndmask_b32_e64 v1, v1, v16, s[76:77]
	v_cndmask_b32_e64 v0, v0, v16, s[76:77]
	v_cmp_neq_f32_e32 vcc, v1, v0
	v_cmp_class_f32_e64 s[0:1], v1, s2
	s_or_b64 s[2:3], vcc, s[0:1]
	v_mov_b32_e32 v16, v15
	s_and_saveexec_b64 s[0:1], s[2:3]
	s_cbranch_execz .LBB151_168
; %bb.167:
	v_sub_f32_e32 v1, v1, v0
	s_mov_b32 s2, 0x3fb8aa3b
	v_mul_f32_e32 v16, 0x3fb8aa3b, v1
	v_fma_f32 v27, v1, s2, -v16
	v_rndne_f32_e32 v29, v16
	v_fmamk_f32 v27, v1, 0x32a5705f, v27
	v_sub_f32_e32 v16, v16, v29
	v_add_f32_e32 v16, v16, v27
	v_exp_f32_e32 v16, v16
	v_cvt_i32_f32_e32 v27, v29
	s_mov_b32 s2, 0xc2ce8ed0
	v_cmp_ngt_f32_e32 vcc, s2, v1
	s_mov_b32 s2, 0x42b17218
	v_ldexp_f32 v16, v16, v27
	v_cndmask_b32_e32 v16, 0, v16, vcc
	v_mov_b32_e32 v27, 0x7f800000
	v_cmp_nlt_f32_e32 vcc, s2, v1
	s_mov_b32 s2, 0x3f2aaaab
	s_mov_b32 s3, 0x7f800000
	v_cndmask_b32_e32 v27, v27, v16, vcc
	v_add_f32_e32 v1, 1.0, v27
	v_add_f32_e32 v16, -1.0, v1
	v_sub_f32_e32 v29, v16, v1
	v_add_f32_e32 v29, 1.0, v29
	v_sub_f32_e32 v16, v27, v16
	v_add_f32_e32 v16, v16, v29
	v_frexp_mant_f32_e32 v29, v1
	v_cvt_f64_f32_e32 v[30:31], v1
	v_frexp_exp_i32_f64_e32 v30, v[30:31]
	v_cmp_gt_f32_e32 vcc, s2, v29
	s_mov_b32 s2, 0x3f317218
	s_nop 0
	v_subbrev_co_u32_e32 v29, vcc, 0, v30, vcc
	v_sub_u32_e32 v30, 0, v29
	v_ldexp_f32 v1, v1, v30
	v_ldexp_f32 v16, v16, v30
	v_add_f32_e32 v30, -1.0, v1
	v_add_f32_e32 v31, 1.0, v30
	v_sub_f32_e32 v31, v1, v31
	v_add_f32_e32 v32, v16, v31
	v_add_f32_e32 v31, 1.0, v1
	v_add_f32_e32 v33, -1.0, v31
	v_sub_f32_e32 v1, v1, v33
	v_add_f32_e32 v1, v16, v1
	v_add_f32_e32 v16, v31, v1
	v_rcp_f32_e32 v38, v16
	v_sub_f32_e32 v31, v31, v16
	v_add_f32_e32 v1, v1, v31
	v_add_f32_e32 v31, v30, v32
	v_sub_f32_e32 v30, v30, v31
	v_mul_f32_e32 v40, v31, v38
	v_add_f32_e32 v39, v32, v30
	v_mul_f32_e32 v32, v16, v40
	v_fma_f32 v34, v40, v16, -v32
	v_fmac_f32_e32 v34, v40, v1
	v_add_f32_e32 v30, v32, v34
	v_sub_f32_e32 v33, v31, v30
	v_pk_add_f32 v[36:37], v[30:31], v[32:33] neg_lo:[0,1] neg_hi:[0,1]
	v_mov_b32_e32 v35, v30
	v_pk_add_f32 v[30:31], v[36:37], v[34:35] neg_lo:[0,1] neg_hi:[0,1]
	v_cmp_eq_f32_e32 vcc, s3, v27
	v_add_f32_e32 v31, v39, v31
	v_add_f32_e32 v30, v30, v31
	;; [unrolled: 1-line block ×3, first 2 shown]
	v_mul_f32_e32 v39, v38, v31
	v_mul_f32_e32 v32, v16, v39
	v_fma_f32 v34, v39, v16, -v32
	v_fmac_f32_e32 v34, v39, v1
	v_sub_f32_e32 v1, v33, v31
	v_add_f32_e32 v1, v30, v1
	v_add_f32_e32 v30, v32, v34
	v_sub_f32_e32 v33, v31, v30
	v_pk_add_f32 v[36:37], v[30:31], v[32:33] neg_lo:[0,1] neg_hi:[0,1]
	v_mov_b32_e32 v35, v30
	v_pk_add_f32 v[30:31], v[36:37], v[34:35] neg_lo:[0,1] neg_hi:[0,1]
	v_add_f32_e32 v16, v40, v39
	v_add_f32_e32 v1, v1, v31
	;; [unrolled: 1-line block ×4, first 2 shown]
	v_sub_f32_e32 v30, v16, v40
	v_mul_f32_e32 v1, v38, v1
	v_sub_f32_e32 v30, v39, v30
	v_add_f32_e32 v1, v30, v1
	v_add_f32_e32 v30, v16, v1
	v_cvt_f32_i32_e32 v32, v29
	v_mul_f32_e32 v33, v30, v30
	v_mov_b32_e32 v31, 0x3ecc95a3
	v_fmac_f32_e32 v31, 0x3e9b6dac, v33
	v_fmaak_f32 v31, v33, v31, 0x3f2aaada
	v_sub_f32_e32 v16, v30, v16
	v_ldexp_f32 v35, v30, 1
	v_mul_f32_e32 v33, v30, v33
	v_mov_b32_e32 v30, 0x3f317218
	v_pk_mul_f32 v[30:31], v[32:33], v[30:31]
	v_sub_f32_e32 v1, v1, v16
	v_fma_f32 v16, v32, s2, -v30
	v_fmamk_f32 v34, v32, 0xb102e308, v16
	v_pk_add_f32 v[32:33], v[30:31], v[34:35]
	v_ldexp_f32 v1, v1, 1
	v_sub_f32_e32 v16, v33, v35
	v_sub_f32_e32 v16, v31, v16
	v_add_f32_e32 v37, v1, v16
	v_mov_b32_e32 v36, v30
	v_pk_add_f32 v[30:31], v[32:33], v[30:31] neg_lo:[0,1] neg_hi:[0,1]
	v_pk_add_f32 v[38:39], v[32:33], v[36:37]
	v_mov_b32_e32 v35, v32
	v_mov_b32_e32 v31, v39
	v_pk_add_f32 v[40:41], v[34:35], v[30:31] neg_lo:[0,1] neg_hi:[0,1]
	v_pk_add_f32 v[30:31], v[34:35], v[30:31]
	s_mov_b32 s2, 0x33800000
	v_mov_b32_e32 v16, v31
	v_pk_add_f32 v[34:35], v[16:17], v[32:33] neg_lo:[0,1] neg_hi:[0,1]
	v_mov_b32_e32 v30, v39
	v_mov_b32_e32 v1, v34
	v_pk_add_f32 v[52:53], v[38:39], v[0:1] neg_lo:[0,1] neg_hi:[0,1]
	v_mov_b32_e32 v38, v33
	v_mov_b32_e32 v39, v34
	;; [unrolled: 1-line block ×3, first 2 shown]
	v_pk_add_f32 v[30:31], v[30:31], v[38:39] neg_lo:[0,1] neg_hi:[0,1]
	v_mov_b32_e32 v34, v37
	v_mov_b32_e32 v35, v32
	v_pk_add_f32 v[30:31], v[34:35], v[30:31] neg_lo:[0,1] neg_hi:[0,1]
	v_mov_b32_e32 v52, v40
	v_pk_add_f32 v[32:33], v[52:53], v[30:31]
	v_cmp_lt_f32_e64 s[2:3], |v27|, s2
	v_mov_b32_e32 v34, v33
	v_pk_add_f32 v[34:35], v[32:33], v[34:35]
	s_or_b64 vcc, vcc, s[2:3]
	v_pk_add_f32 v[36:37], v[16:17], v[34:35]
	v_mov_b32_e32 v31, v34
	v_mov_b32_e32 v33, v36
	v_pk_add_f32 v[38:39], v[32:33], v[40:41] neg_lo:[0,1] neg_hi:[0,1]
	s_nop 0
	v_sub_f32_e32 v1, v32, v38
	v_pk_add_f32 v[30:31], v[30:31], v[38:39] neg_lo:[0,1] neg_hi:[0,1]
	v_sub_f32_e32 v1, v40, v1
	v_add_f32_e32 v1, v30, v1
	v_add_f32_e32 v1, v1, v31
	;; [unrolled: 1-line block ×3, first 2 shown]
	v_cndmask_b32_e32 v1, v1, v27, vcc
	v_add_f32_e32 v16, v0, v1
.LBB151_168:
	s_or_b64 exec, exec, s[0:1]
	v_max_f32_e32 v0, v16, v16
	v_min_f32_e32 v1, v0, v42
	v_cmp_u_f32_e32 vcc, v16, v16
	v_max_f32_e32 v0, v0, v42
	s_movk_i32 s2, 0x1f8
	v_cndmask_b32_e32 v1, v1, v16, vcc
	v_cndmask_b32_e32 v0, v0, v16, vcc
	v_cndmask_b32_e64 v1, v1, v17, s[78:79]
	v_cndmask_b32_e64 v0, v0, v17, s[78:79]
	v_cmp_neq_f32_e32 vcc, v1, v0
	v_cmp_class_f32_e64 s[0:1], v1, s2
	s_or_b64 s[4:5], vcc, s[0:1]
	v_mov_b32_e32 v17, v16
	s_and_saveexec_b64 s[0:1], s[4:5]
	s_cbranch_execz .LBB151_170
; %bb.169:
	v_sub_f32_e32 v1, v1, v0
	s_mov_b32 s3, 0x3fb8aa3b
	v_mul_f32_e32 v17, 0x3fb8aa3b, v1
	v_fma_f32 v27, v1, s3, -v17
	v_rndne_f32_e32 v29, v17
	v_fmamk_f32 v27, v1, 0x32a5705f, v27
	v_sub_f32_e32 v17, v17, v29
	v_add_f32_e32 v17, v17, v27
	v_exp_f32_e32 v17, v17
	v_cvt_i32_f32_e32 v27, v29
	s_mov_b32 s3, 0xc2ce8ed0
	v_cmp_ngt_f32_e32 vcc, s3, v1
	s_mov_b32 s3, 0x42b17218
	v_ldexp_f32 v17, v17, v27
	v_cndmask_b32_e32 v17, 0, v17, vcc
	v_mov_b32_e32 v27, 0x7f800000
	v_cmp_nlt_f32_e32 vcc, s3, v1
	s_mov_b32 s3, 0x3f2aaaab
	s_mov_b32 s4, 0x7f800000
	v_cndmask_b32_e32 v17, v27, v17, vcc
	v_add_f32_e32 v1, 1.0, v17
	v_add_f32_e32 v27, -1.0, v1
	v_sub_f32_e32 v29, v27, v1
	v_add_f32_e32 v29, 1.0, v29
	v_sub_f32_e32 v27, v17, v27
	v_add_f32_e32 v27, v27, v29
	v_frexp_mant_f32_e32 v29, v1
	v_cvt_f64_f32_e32 v[30:31], v1
	v_frexp_exp_i32_f64_e32 v30, v[30:31]
	v_cmp_gt_f32_e32 vcc, s3, v29
	s_mov_b32 s3, 0x3f317218
	s_nop 0
	v_subbrev_co_u32_e32 v29, vcc, 0, v30, vcc
	v_sub_u32_e32 v30, 0, v29
	v_ldexp_f32 v1, v1, v30
	v_ldexp_f32 v27, v27, v30
	v_add_f32_e32 v30, -1.0, v1
	v_add_f32_e32 v31, 1.0, v30
	v_sub_f32_e32 v31, v1, v31
	v_add_f32_e32 v32, v27, v31
	v_add_f32_e32 v31, 1.0, v1
	v_add_f32_e32 v33, -1.0, v31
	v_sub_f32_e32 v1, v1, v33
	v_add_f32_e32 v1, v27, v1
	v_add_f32_e32 v27, v31, v1
	v_rcp_f32_e32 v38, v27
	v_sub_f32_e32 v31, v31, v27
	v_add_f32_e32 v1, v1, v31
	v_add_f32_e32 v31, v30, v32
	v_sub_f32_e32 v30, v30, v31
	v_mul_f32_e32 v40, v31, v38
	v_add_f32_e32 v39, v32, v30
	v_mul_f32_e32 v32, v27, v40
	v_fma_f32 v34, v40, v27, -v32
	v_fmac_f32_e32 v34, v40, v1
	v_add_f32_e32 v30, v32, v34
	v_sub_f32_e32 v33, v31, v30
	v_pk_add_f32 v[36:37], v[30:31], v[32:33] neg_lo:[0,1] neg_hi:[0,1]
	v_mov_b32_e32 v35, v30
	v_pk_add_f32 v[30:31], v[36:37], v[34:35] neg_lo:[0,1] neg_hi:[0,1]
	v_cmp_eq_f32_e32 vcc, s4, v17
	v_add_f32_e32 v31, v39, v31
	v_add_f32_e32 v30, v30, v31
	;; [unrolled: 1-line block ×3, first 2 shown]
	v_mul_f32_e32 v39, v38, v31
	v_mul_f32_e32 v32, v27, v39
	v_fma_f32 v34, v39, v27, -v32
	v_fmac_f32_e32 v34, v39, v1
	v_sub_f32_e32 v1, v33, v31
	v_add_f32_e32 v1, v30, v1
	v_add_f32_e32 v30, v32, v34
	v_sub_f32_e32 v33, v31, v30
	v_pk_add_f32 v[36:37], v[30:31], v[32:33] neg_lo:[0,1] neg_hi:[0,1]
	v_mov_b32_e32 v35, v30
	v_pk_add_f32 v[30:31], v[36:37], v[34:35] neg_lo:[0,1] neg_hi:[0,1]
	v_add_f32_e32 v27, v40, v39
	v_add_f32_e32 v1, v1, v31
	;; [unrolled: 1-line block ×4, first 2 shown]
	v_sub_f32_e32 v30, v27, v40
	v_mul_f32_e32 v1, v38, v1
	v_sub_f32_e32 v30, v39, v30
	v_add_f32_e32 v1, v30, v1
	v_add_f32_e32 v30, v27, v1
	v_cvt_f32_i32_e32 v32, v29
	v_mul_f32_e32 v33, v30, v30
	v_mov_b32_e32 v31, 0x3ecc95a3
	v_fmac_f32_e32 v31, 0x3e9b6dac, v33
	v_fmaak_f32 v31, v33, v31, 0x3f2aaada
	v_sub_f32_e32 v27, v30, v27
	v_ldexp_f32 v35, v30, 1
	v_mul_f32_e32 v33, v30, v33
	v_mov_b32_e32 v30, 0x3f317218
	v_pk_mul_f32 v[30:31], v[32:33], v[30:31]
	v_sub_f32_e32 v1, v1, v27
	v_fma_f32 v27, v32, s3, -v30
	v_fmamk_f32 v34, v32, 0xb102e308, v27
	v_pk_add_f32 v[32:33], v[30:31], v[34:35]
	v_ldexp_f32 v1, v1, 1
	v_sub_f32_e32 v27, v33, v35
	v_sub_f32_e32 v27, v31, v27
	v_add_f32_e32 v37, v1, v27
	v_mov_b32_e32 v36, v30
	v_pk_add_f32 v[30:31], v[32:33], v[30:31] neg_lo:[0,1] neg_hi:[0,1]
	v_pk_add_f32 v[38:39], v[32:33], v[36:37]
	v_mov_b32_e32 v35, v32
	v_mov_b32_e32 v31, v39
	v_pk_add_f32 v[40:41], v[34:35], v[30:31] neg_lo:[0,1] neg_hi:[0,1]
	v_pk_add_f32 v[30:31], v[34:35], v[30:31]
	v_mov_b32_e32 v36, v37
	v_mov_b32_e32 v34, v31
	v_pk_add_f32 v[52:53], v[34:35], v[32:33] neg_lo:[0,1] neg_hi:[0,1]
	v_mov_b32_e32 v30, v39
	v_mov_b32_e32 v1, v52
	s_waitcnt lgkmcnt(0)
	v_pk_add_f32 v[54:55], v[38:39], v[0:1] neg_lo:[0,1] neg_hi:[0,1]
	v_mov_b32_e32 v38, v33
	v_mov_b32_e32 v39, v52
	;; [unrolled: 1-line block ×3, first 2 shown]
	v_pk_add_f32 v[30:31], v[30:31], v[38:39] neg_lo:[0,1] neg_hi:[0,1]
	v_mov_b32_e32 v37, v32
	v_pk_add_f32 v[30:31], v[36:37], v[30:31] neg_lo:[0,1] neg_hi:[0,1]
	v_mov_b32_e32 v54, v40
	v_pk_add_f32 v[32:33], v[54:55], v[30:31]
	s_mov_b32 s3, 0x33800000
	v_mov_b32_e32 v36, v33
	v_pk_add_f32 v[36:37], v[32:33], v[36:37]
	v_cmp_lt_f32_e64 s[4:5], |v17|, s3
	v_pk_add_f32 v[34:35], v[34:35], v[36:37]
	v_mov_b32_e32 v31, v36
	v_mov_b32_e32 v33, v34
	v_pk_add_f32 v[38:39], v[32:33], v[40:41] neg_lo:[0,1] neg_hi:[0,1]
	s_or_b64 vcc, vcc, s[4:5]
	v_sub_f32_e32 v1, v32, v38
	v_pk_add_f32 v[30:31], v[30:31], v[38:39] neg_lo:[0,1] neg_hi:[0,1]
	v_sub_f32_e32 v1, v40, v1
	v_add_f32_e32 v1, v30, v1
	v_add_f32_e32 v1, v1, v31
	;; [unrolled: 1-line block ×3, first 2 shown]
	v_cndmask_b32_e32 v1, v1, v17, vcc
	v_add_f32_e32 v17, v0, v1
.LBB151_170:
	s_or_b64 exec, exec, s[0:1]
	v_max_f32_e32 v0, v17, v17
	v_min_f32_e32 v1, v0, v43
	v_cmp_u_f32_e32 vcc, v17, v17
	v_max_f32_e32 v0, v0, v43
	s_nop 0
	v_cndmask_b32_e32 v1, v1, v17, vcc
	v_cndmask_b32_e32 v0, v0, v17, vcc
	v_cndmask_b32_e64 v1, v1, v10, s[80:81]
	v_cndmask_b32_e64 v0, v0, v10, s[80:81]
	v_cmp_neq_f32_e32 vcc, v1, v0
	v_cmp_class_f32_e64 s[0:1], v1, s2
	s_or_b64 s[2:3], vcc, s[0:1]
	v_mov_b32_e32 v10, v17
	s_and_saveexec_b64 s[0:1], s[2:3]
	s_cbranch_execz .LBB151_172
; %bb.171:
	v_sub_f32_e32 v1, v1, v0
	s_mov_b32 s2, 0x3fb8aa3b
	v_mul_f32_e32 v10, 0x3fb8aa3b, v1
	v_fma_f32 v27, v1, s2, -v10
	v_rndne_f32_e32 v29, v10
	v_fmamk_f32 v27, v1, 0x32a5705f, v27
	v_sub_f32_e32 v10, v10, v29
	v_add_f32_e32 v10, v10, v27
	v_exp_f32_e32 v10, v10
	v_cvt_i32_f32_e32 v27, v29
	s_mov_b32 s2, 0xc2ce8ed0
	v_cmp_ngt_f32_e32 vcc, s2, v1
	s_mov_b32 s2, 0x42b17218
	v_ldexp_f32 v10, v10, v27
	v_cndmask_b32_e32 v10, 0, v10, vcc
	v_mov_b32_e32 v27, 0x7f800000
	v_cmp_nlt_f32_e32 vcc, s2, v1
	s_mov_b32 s2, 0x3f2aaaab
	s_mov_b32 s3, 0x7f800000
	v_cndmask_b32_e32 v27, v27, v10, vcc
	v_add_f32_e32 v1, 1.0, v27
	v_add_f32_e32 v10, -1.0, v1
	v_sub_f32_e32 v29, v10, v1
	v_add_f32_e32 v29, 1.0, v29
	v_sub_f32_e32 v10, v27, v10
	v_add_f32_e32 v10, v10, v29
	v_frexp_mant_f32_e32 v29, v1
	v_cvt_f64_f32_e32 v[30:31], v1
	v_frexp_exp_i32_f64_e32 v30, v[30:31]
	v_cmp_gt_f32_e32 vcc, s2, v29
	s_mov_b32 s2, 0x3f317218
	s_nop 0
	v_subbrev_co_u32_e32 v29, vcc, 0, v30, vcc
	v_sub_u32_e32 v30, 0, v29
	v_ldexp_f32 v1, v1, v30
	v_ldexp_f32 v10, v10, v30
	v_add_f32_e32 v30, -1.0, v1
	v_add_f32_e32 v31, 1.0, v30
	v_sub_f32_e32 v31, v1, v31
	v_add_f32_e32 v32, v10, v31
	v_add_f32_e32 v31, 1.0, v1
	v_add_f32_e32 v33, -1.0, v31
	v_sub_f32_e32 v1, v1, v33
	v_add_f32_e32 v1, v10, v1
	v_add_f32_e32 v10, v31, v1
	v_rcp_f32_e32 v38, v10
	v_sub_f32_e32 v31, v31, v10
	v_add_f32_e32 v1, v1, v31
	v_add_f32_e32 v31, v30, v32
	v_sub_f32_e32 v30, v30, v31
	v_mul_f32_e32 v40, v31, v38
	v_add_f32_e32 v39, v32, v30
	v_mul_f32_e32 v32, v10, v40
	v_fma_f32 v34, v40, v10, -v32
	v_fmac_f32_e32 v34, v40, v1
	v_add_f32_e32 v30, v32, v34
	v_sub_f32_e32 v33, v31, v30
	v_pk_add_f32 v[36:37], v[30:31], v[32:33] neg_lo:[0,1] neg_hi:[0,1]
	v_mov_b32_e32 v35, v30
	v_pk_add_f32 v[30:31], v[36:37], v[34:35] neg_lo:[0,1] neg_hi:[0,1]
	v_cmp_eq_f32_e32 vcc, s3, v27
	v_add_f32_e32 v31, v39, v31
	v_add_f32_e32 v30, v30, v31
	;; [unrolled: 1-line block ×3, first 2 shown]
	v_mul_f32_e32 v39, v38, v31
	v_mul_f32_e32 v32, v10, v39
	v_fma_f32 v34, v39, v10, -v32
	v_fmac_f32_e32 v34, v39, v1
	v_sub_f32_e32 v1, v33, v31
	v_add_f32_e32 v1, v30, v1
	v_add_f32_e32 v30, v32, v34
	v_sub_f32_e32 v33, v31, v30
	v_pk_add_f32 v[36:37], v[30:31], v[32:33] neg_lo:[0,1] neg_hi:[0,1]
	v_mov_b32_e32 v35, v30
	v_pk_add_f32 v[30:31], v[36:37], v[34:35] neg_lo:[0,1] neg_hi:[0,1]
	v_add_f32_e32 v10, v40, v39
	v_add_f32_e32 v1, v1, v31
	;; [unrolled: 1-line block ×4, first 2 shown]
	v_sub_f32_e32 v30, v10, v40
	v_mul_f32_e32 v1, v38, v1
	v_sub_f32_e32 v30, v39, v30
	v_add_f32_e32 v1, v30, v1
	v_add_f32_e32 v30, v10, v1
	v_cvt_f32_i32_e32 v32, v29
	v_mul_f32_e32 v33, v30, v30
	v_mov_b32_e32 v31, 0x3ecc95a3
	v_fmac_f32_e32 v31, 0x3e9b6dac, v33
	v_fmaak_f32 v31, v33, v31, 0x3f2aaada
	v_sub_f32_e32 v10, v30, v10
	v_ldexp_f32 v35, v30, 1
	v_mul_f32_e32 v33, v30, v33
	v_mov_b32_e32 v30, 0x3f317218
	v_pk_mul_f32 v[30:31], v[32:33], v[30:31]
	v_sub_f32_e32 v1, v1, v10
	v_fma_f32 v10, v32, s2, -v30
	v_fmamk_f32 v34, v32, 0xb102e308, v10
	v_pk_add_f32 v[32:33], v[30:31], v[34:35]
	v_ldexp_f32 v1, v1, 1
	v_sub_f32_e32 v10, v33, v35
	v_sub_f32_e32 v10, v31, v10
	v_add_f32_e32 v37, v1, v10
	v_mov_b32_e32 v36, v30
	v_pk_add_f32 v[30:31], v[32:33], v[30:31] neg_lo:[0,1] neg_hi:[0,1]
	v_pk_add_f32 v[38:39], v[32:33], v[36:37]
	v_mov_b32_e32 v35, v32
	v_mov_b32_e32 v31, v39
	v_pk_add_f32 v[40:41], v[34:35], v[30:31] neg_lo:[0,1] neg_hi:[0,1]
	v_pk_add_f32 v[30:31], v[34:35], v[30:31]
	s_mov_b32 s2, 0x33800000
	v_mov_b32_e32 v10, v31
	v_pk_add_f32 v[34:35], v[10:11], v[32:33] neg_lo:[0,1] neg_hi:[0,1]
	v_mov_b32_e32 v30, v39
	v_mov_b32_e32 v1, v34
	v_pk_add_f32 v[42:43], v[38:39], v[0:1] neg_lo:[0,1] neg_hi:[0,1]
	v_mov_b32_e32 v38, v33
	v_mov_b32_e32 v39, v34
	v_mov_b32_e32 v41, v31
	v_pk_add_f32 v[30:31], v[30:31], v[38:39] neg_lo:[0,1] neg_hi:[0,1]
	v_mov_b32_e32 v34, v37
	v_mov_b32_e32 v35, v32
	v_pk_add_f32 v[30:31], v[34:35], v[30:31] neg_lo:[0,1] neg_hi:[0,1]
	v_mov_b32_e32 v42, v40
	v_pk_add_f32 v[32:33], v[42:43], v[30:31]
	v_cmp_lt_f32_e64 s[2:3], |v27|, s2
	v_mov_b32_e32 v34, v33
	v_pk_add_f32 v[34:35], v[32:33], v[34:35]
	s_or_b64 vcc, vcc, s[2:3]
	v_pk_add_f32 v[36:37], v[10:11], v[34:35]
	v_mov_b32_e32 v31, v34
	v_mov_b32_e32 v33, v36
	v_pk_add_f32 v[38:39], v[32:33], v[40:41] neg_lo:[0,1] neg_hi:[0,1]
	s_nop 0
	v_sub_f32_e32 v1, v32, v38
	v_pk_add_f32 v[30:31], v[30:31], v[38:39] neg_lo:[0,1] neg_hi:[0,1]
	v_sub_f32_e32 v1, v40, v1
	v_add_f32_e32 v1, v30, v1
	v_add_f32_e32 v1, v1, v31
	;; [unrolled: 1-line block ×3, first 2 shown]
	v_cndmask_b32_e32 v1, v1, v27, vcc
	v_add_f32_e32 v10, v0, v1
.LBB151_172:
	s_or_b64 exec, exec, s[0:1]
	v_max_f32_e32 v0, v10, v10
	v_min_f32_e32 v1, v0, v44
	v_cmp_u_f32_e32 vcc, v10, v10
	v_max_f32_e32 v0, v0, v44
	s_movk_i32 s2, 0x1f8
	v_cndmask_b32_e32 v1, v1, v10, vcc
	v_cndmask_b32_e32 v0, v0, v10, vcc
	v_cndmask_b32_e64 v1, v1, v11, s[82:83]
	v_cndmask_b32_e64 v0, v0, v11, s[82:83]
	v_cmp_neq_f32_e32 vcc, v1, v0
	v_cmp_class_f32_e64 s[0:1], v1, s2
	s_or_b64 s[4:5], vcc, s[0:1]
	v_mov_b32_e32 v11, v10
	s_and_saveexec_b64 s[0:1], s[4:5]
	s_cbranch_execz .LBB151_174
; %bb.173:
	v_sub_f32_e32 v1, v1, v0
	s_mov_b32 s3, 0x3fb8aa3b
	v_mul_f32_e32 v11, 0x3fb8aa3b, v1
	v_fma_f32 v27, v1, s3, -v11
	v_rndne_f32_e32 v29, v11
	v_fmamk_f32 v27, v1, 0x32a5705f, v27
	v_sub_f32_e32 v11, v11, v29
	v_add_f32_e32 v11, v11, v27
	v_exp_f32_e32 v11, v11
	v_cvt_i32_f32_e32 v27, v29
	s_mov_b32 s3, 0xc2ce8ed0
	v_cmp_ngt_f32_e32 vcc, s3, v1
	s_mov_b32 s3, 0x42b17218
	v_ldexp_f32 v11, v11, v27
	v_cndmask_b32_e32 v11, 0, v11, vcc
	v_mov_b32_e32 v27, 0x7f800000
	v_cmp_nlt_f32_e32 vcc, s3, v1
	s_mov_b32 s3, 0x3f2aaaab
	s_mov_b32 s4, 0x7f800000
	v_cndmask_b32_e32 v11, v27, v11, vcc
	v_add_f32_e32 v1, 1.0, v11
	v_add_f32_e32 v27, -1.0, v1
	v_sub_f32_e32 v29, v27, v1
	v_add_f32_e32 v29, 1.0, v29
	v_sub_f32_e32 v27, v11, v27
	v_add_f32_e32 v27, v27, v29
	v_frexp_mant_f32_e32 v29, v1
	v_cvt_f64_f32_e32 v[30:31], v1
	v_frexp_exp_i32_f64_e32 v30, v[30:31]
	v_cmp_gt_f32_e32 vcc, s3, v29
	s_mov_b32 s3, 0x3f317218
	s_nop 0
	v_subbrev_co_u32_e32 v29, vcc, 0, v30, vcc
	v_sub_u32_e32 v30, 0, v29
	v_ldexp_f32 v1, v1, v30
	v_ldexp_f32 v27, v27, v30
	v_add_f32_e32 v30, -1.0, v1
	v_add_f32_e32 v31, 1.0, v30
	v_sub_f32_e32 v31, v1, v31
	v_add_f32_e32 v32, v27, v31
	v_add_f32_e32 v31, 1.0, v1
	v_add_f32_e32 v33, -1.0, v31
	v_sub_f32_e32 v1, v1, v33
	v_add_f32_e32 v1, v27, v1
	v_add_f32_e32 v27, v31, v1
	v_rcp_f32_e32 v38, v27
	v_sub_f32_e32 v31, v31, v27
	v_add_f32_e32 v1, v1, v31
	v_add_f32_e32 v31, v30, v32
	v_sub_f32_e32 v30, v30, v31
	v_mul_f32_e32 v40, v31, v38
	v_add_f32_e32 v39, v32, v30
	v_mul_f32_e32 v32, v27, v40
	v_fma_f32 v34, v40, v27, -v32
	v_fmac_f32_e32 v34, v40, v1
	v_add_f32_e32 v30, v32, v34
	v_sub_f32_e32 v33, v31, v30
	v_pk_add_f32 v[36:37], v[30:31], v[32:33] neg_lo:[0,1] neg_hi:[0,1]
	v_mov_b32_e32 v35, v30
	v_pk_add_f32 v[30:31], v[36:37], v[34:35] neg_lo:[0,1] neg_hi:[0,1]
	v_cmp_eq_f32_e32 vcc, s4, v11
	v_add_f32_e32 v31, v39, v31
	v_add_f32_e32 v30, v30, v31
	;; [unrolled: 1-line block ×3, first 2 shown]
	v_mul_f32_e32 v39, v38, v31
	v_mul_f32_e32 v32, v27, v39
	v_fma_f32 v34, v39, v27, -v32
	v_fmac_f32_e32 v34, v39, v1
	v_sub_f32_e32 v1, v33, v31
	v_add_f32_e32 v1, v30, v1
	v_add_f32_e32 v30, v32, v34
	v_sub_f32_e32 v33, v31, v30
	v_pk_add_f32 v[36:37], v[30:31], v[32:33] neg_lo:[0,1] neg_hi:[0,1]
	v_mov_b32_e32 v35, v30
	v_pk_add_f32 v[30:31], v[36:37], v[34:35] neg_lo:[0,1] neg_hi:[0,1]
	v_add_f32_e32 v27, v40, v39
	v_add_f32_e32 v1, v1, v31
	v_add_f32_e32 v1, v30, v1
	v_add_f32_e32 v1, v33, v1
	v_sub_f32_e32 v30, v27, v40
	v_mul_f32_e32 v1, v38, v1
	v_sub_f32_e32 v30, v39, v30
	v_add_f32_e32 v1, v30, v1
	v_add_f32_e32 v30, v27, v1
	v_cvt_f32_i32_e32 v32, v29
	v_mul_f32_e32 v33, v30, v30
	v_mov_b32_e32 v31, 0x3ecc95a3
	v_fmac_f32_e32 v31, 0x3e9b6dac, v33
	v_fmaak_f32 v31, v33, v31, 0x3f2aaada
	v_sub_f32_e32 v27, v30, v27
	v_ldexp_f32 v35, v30, 1
	v_mul_f32_e32 v33, v30, v33
	v_mov_b32_e32 v30, 0x3f317218
	v_pk_mul_f32 v[30:31], v[32:33], v[30:31]
	v_sub_f32_e32 v1, v1, v27
	v_fma_f32 v27, v32, s3, -v30
	v_fmamk_f32 v34, v32, 0xb102e308, v27
	v_pk_add_f32 v[32:33], v[30:31], v[34:35]
	v_ldexp_f32 v1, v1, 1
	v_sub_f32_e32 v27, v33, v35
	v_sub_f32_e32 v27, v31, v27
	v_add_f32_e32 v37, v1, v27
	v_mov_b32_e32 v36, v30
	v_pk_add_f32 v[30:31], v[32:33], v[30:31] neg_lo:[0,1] neg_hi:[0,1]
	v_pk_add_f32 v[38:39], v[32:33], v[36:37]
	v_mov_b32_e32 v35, v32
	v_mov_b32_e32 v31, v39
	v_pk_add_f32 v[40:41], v[34:35], v[30:31] neg_lo:[0,1] neg_hi:[0,1]
	v_pk_add_f32 v[30:31], v[34:35], v[30:31]
	v_mov_b32_e32 v36, v37
	v_mov_b32_e32 v34, v31
	v_pk_add_f32 v[42:43], v[34:35], v[32:33] neg_lo:[0,1] neg_hi:[0,1]
	v_mov_b32_e32 v30, v39
	v_mov_b32_e32 v1, v42
	v_pk_add_f32 v[52:53], v[38:39], v[0:1] neg_lo:[0,1] neg_hi:[0,1]
	v_mov_b32_e32 v38, v33
	v_mov_b32_e32 v39, v42
	v_mov_b32_e32 v41, v31
	v_pk_add_f32 v[30:31], v[30:31], v[38:39] neg_lo:[0,1] neg_hi:[0,1]
	v_mov_b32_e32 v37, v32
	v_pk_add_f32 v[30:31], v[36:37], v[30:31] neg_lo:[0,1] neg_hi:[0,1]
	v_mov_b32_e32 v52, v40
	v_pk_add_f32 v[32:33], v[52:53], v[30:31]
	s_mov_b32 s3, 0x33800000
	v_mov_b32_e32 v36, v33
	v_pk_add_f32 v[36:37], v[32:33], v[36:37]
	v_cmp_lt_f32_e64 s[4:5], |v11|, s3
	v_pk_add_f32 v[34:35], v[34:35], v[36:37]
	v_mov_b32_e32 v31, v36
	v_mov_b32_e32 v33, v34
	v_pk_add_f32 v[38:39], v[32:33], v[40:41] neg_lo:[0,1] neg_hi:[0,1]
	s_or_b64 vcc, vcc, s[4:5]
	v_sub_f32_e32 v1, v32, v38
	v_pk_add_f32 v[30:31], v[30:31], v[38:39] neg_lo:[0,1] neg_hi:[0,1]
	v_sub_f32_e32 v1, v40, v1
	v_add_f32_e32 v1, v30, v1
	v_add_f32_e32 v1, v1, v31
	;; [unrolled: 1-line block ×3, first 2 shown]
	v_cndmask_b32_e32 v1, v1, v11, vcc
	v_add_f32_e32 v11, v0, v1
.LBB151_174:
	s_or_b64 exec, exec, s[0:1]
	v_max_f32_e32 v0, v11, v11
	v_min_f32_e32 v1, v0, v45
	v_cmp_u_f32_e32 vcc, v11, v11
	v_max_f32_e32 v0, v0, v45
	s_nop 0
	v_cndmask_b32_e32 v1, v1, v11, vcc
	v_cndmask_b32_e32 v0, v0, v11, vcc
	v_cndmask_b32_e64 v1, v1, v12, s[84:85]
	v_cndmask_b32_e64 v0, v0, v12, s[84:85]
	v_cmp_neq_f32_e32 vcc, v1, v0
	v_cmp_class_f32_e64 s[0:1], v1, s2
	s_or_b64 s[2:3], vcc, s[0:1]
	v_mov_b32_e32 v12, v11
	s_and_saveexec_b64 s[0:1], s[2:3]
	s_cbranch_execz .LBB151_176
; %bb.175:
	v_sub_f32_e32 v1, v1, v0
	s_mov_b32 s2, 0x3fb8aa3b
	v_mul_f32_e32 v12, 0x3fb8aa3b, v1
	v_fma_f32 v27, v1, s2, -v12
	v_rndne_f32_e32 v29, v12
	v_fmamk_f32 v27, v1, 0x32a5705f, v27
	v_sub_f32_e32 v12, v12, v29
	v_add_f32_e32 v12, v12, v27
	v_exp_f32_e32 v12, v12
	v_cvt_i32_f32_e32 v27, v29
	s_mov_b32 s2, 0xc2ce8ed0
	v_cmp_ngt_f32_e32 vcc, s2, v1
	s_mov_b32 s2, 0x42b17218
	v_ldexp_f32 v12, v12, v27
	v_cndmask_b32_e32 v12, 0, v12, vcc
	v_mov_b32_e32 v27, 0x7f800000
	v_cmp_nlt_f32_e32 vcc, s2, v1
	s_mov_b32 s2, 0x3f2aaaab
	s_mov_b32 s3, 0x7f800000
	v_cndmask_b32_e32 v27, v27, v12, vcc
	v_add_f32_e32 v1, 1.0, v27
	v_add_f32_e32 v12, -1.0, v1
	v_sub_f32_e32 v29, v12, v1
	v_add_f32_e32 v29, 1.0, v29
	v_sub_f32_e32 v12, v27, v12
	v_add_f32_e32 v12, v12, v29
	v_frexp_mant_f32_e32 v29, v1
	v_cvt_f64_f32_e32 v[30:31], v1
	v_frexp_exp_i32_f64_e32 v30, v[30:31]
	v_cmp_gt_f32_e32 vcc, s2, v29
	s_mov_b32 s2, 0x3f317218
	s_nop 0
	v_subbrev_co_u32_e32 v29, vcc, 0, v30, vcc
	v_sub_u32_e32 v30, 0, v29
	v_ldexp_f32 v1, v1, v30
	v_ldexp_f32 v12, v12, v30
	v_add_f32_e32 v30, -1.0, v1
	v_add_f32_e32 v31, 1.0, v30
	v_sub_f32_e32 v31, v1, v31
	v_add_f32_e32 v32, v12, v31
	v_add_f32_e32 v31, 1.0, v1
	v_add_f32_e32 v33, -1.0, v31
	v_sub_f32_e32 v1, v1, v33
	v_add_f32_e32 v1, v12, v1
	v_add_f32_e32 v12, v31, v1
	v_rcp_f32_e32 v38, v12
	v_sub_f32_e32 v31, v31, v12
	v_add_f32_e32 v1, v1, v31
	v_add_f32_e32 v31, v30, v32
	v_sub_f32_e32 v30, v30, v31
	v_mul_f32_e32 v40, v31, v38
	v_add_f32_e32 v39, v32, v30
	v_mul_f32_e32 v32, v12, v40
	v_fma_f32 v34, v40, v12, -v32
	v_fmac_f32_e32 v34, v40, v1
	v_add_f32_e32 v30, v32, v34
	v_sub_f32_e32 v33, v31, v30
	v_pk_add_f32 v[36:37], v[30:31], v[32:33] neg_lo:[0,1] neg_hi:[0,1]
	v_mov_b32_e32 v35, v30
	v_pk_add_f32 v[30:31], v[36:37], v[34:35] neg_lo:[0,1] neg_hi:[0,1]
	v_cmp_eq_f32_e32 vcc, s3, v27
	v_add_f32_e32 v31, v39, v31
	v_add_f32_e32 v30, v30, v31
	;; [unrolled: 1-line block ×3, first 2 shown]
	v_mul_f32_e32 v39, v38, v31
	v_mul_f32_e32 v32, v12, v39
	v_fma_f32 v34, v39, v12, -v32
	v_fmac_f32_e32 v34, v39, v1
	v_sub_f32_e32 v1, v33, v31
	v_add_f32_e32 v1, v30, v1
	v_add_f32_e32 v30, v32, v34
	v_sub_f32_e32 v33, v31, v30
	v_pk_add_f32 v[36:37], v[30:31], v[32:33] neg_lo:[0,1] neg_hi:[0,1]
	v_mov_b32_e32 v35, v30
	v_pk_add_f32 v[30:31], v[36:37], v[34:35] neg_lo:[0,1] neg_hi:[0,1]
	v_add_f32_e32 v12, v40, v39
	v_add_f32_e32 v1, v1, v31
	;; [unrolled: 1-line block ×4, first 2 shown]
	v_sub_f32_e32 v30, v12, v40
	v_mul_f32_e32 v1, v38, v1
	v_sub_f32_e32 v30, v39, v30
	v_add_f32_e32 v1, v30, v1
	v_add_f32_e32 v30, v12, v1
	v_cvt_f32_i32_e32 v32, v29
	v_mul_f32_e32 v33, v30, v30
	v_mov_b32_e32 v31, 0x3ecc95a3
	v_fmac_f32_e32 v31, 0x3e9b6dac, v33
	v_fmaak_f32 v31, v33, v31, 0x3f2aaada
	v_sub_f32_e32 v12, v30, v12
	v_ldexp_f32 v35, v30, 1
	v_mul_f32_e32 v33, v30, v33
	v_mov_b32_e32 v30, 0x3f317218
	v_pk_mul_f32 v[30:31], v[32:33], v[30:31]
	v_sub_f32_e32 v1, v1, v12
	v_fma_f32 v12, v32, s2, -v30
	v_fmamk_f32 v34, v32, 0xb102e308, v12
	v_pk_add_f32 v[32:33], v[30:31], v[34:35]
	v_ldexp_f32 v1, v1, 1
	v_sub_f32_e32 v12, v33, v35
	v_sub_f32_e32 v12, v31, v12
	v_add_f32_e32 v37, v1, v12
	v_mov_b32_e32 v36, v30
	v_pk_add_f32 v[30:31], v[32:33], v[30:31] neg_lo:[0,1] neg_hi:[0,1]
	v_pk_add_f32 v[38:39], v[32:33], v[36:37]
	v_mov_b32_e32 v35, v32
	v_mov_b32_e32 v31, v39
	v_pk_add_f32 v[40:41], v[34:35], v[30:31] neg_lo:[0,1] neg_hi:[0,1]
	v_pk_add_f32 v[30:31], v[34:35], v[30:31]
	s_mov_b32 s2, 0x33800000
	v_mov_b32_e32 v12, v31
	v_pk_add_f32 v[34:35], v[12:13], v[32:33] neg_lo:[0,1] neg_hi:[0,1]
	v_mov_b32_e32 v30, v39
	v_mov_b32_e32 v1, v34
	v_pk_add_f32 v[42:43], v[38:39], v[0:1] neg_lo:[0,1] neg_hi:[0,1]
	v_mov_b32_e32 v38, v33
	v_mov_b32_e32 v39, v34
	;; [unrolled: 1-line block ×3, first 2 shown]
	v_pk_add_f32 v[30:31], v[30:31], v[38:39] neg_lo:[0,1] neg_hi:[0,1]
	v_mov_b32_e32 v34, v37
	v_mov_b32_e32 v35, v32
	v_pk_add_f32 v[30:31], v[34:35], v[30:31] neg_lo:[0,1] neg_hi:[0,1]
	v_mov_b32_e32 v42, v40
	v_pk_add_f32 v[32:33], v[42:43], v[30:31]
	v_cmp_lt_f32_e64 s[2:3], |v27|, s2
	v_mov_b32_e32 v34, v33
	v_pk_add_f32 v[34:35], v[32:33], v[34:35]
	s_or_b64 vcc, vcc, s[2:3]
	v_pk_add_f32 v[36:37], v[12:13], v[34:35]
	v_mov_b32_e32 v31, v34
	v_mov_b32_e32 v33, v36
	v_pk_add_f32 v[38:39], v[32:33], v[40:41] neg_lo:[0,1] neg_hi:[0,1]
	s_nop 0
	v_sub_f32_e32 v1, v32, v38
	v_pk_add_f32 v[30:31], v[30:31], v[38:39] neg_lo:[0,1] neg_hi:[0,1]
	v_sub_f32_e32 v1, v40, v1
	v_add_f32_e32 v1, v30, v1
	v_add_f32_e32 v1, v1, v31
	v_add_f32_e32 v1, v36, v1
	v_cndmask_b32_e32 v1, v1, v27, vcc
	v_add_f32_e32 v12, v0, v1
.LBB151_176:
	s_or_b64 exec, exec, s[0:1]
	v_max_f32_e32 v0, v12, v12
	v_min_f32_e32 v1, v0, v46
	v_cmp_u_f32_e32 vcc, v12, v12
	v_max_f32_e32 v0, v0, v46
	s_movk_i32 s2, 0x1f8
	v_cndmask_b32_e32 v1, v1, v12, vcc
	v_cndmask_b32_e32 v0, v0, v12, vcc
	v_cndmask_b32_e64 v1, v1, v13, s[86:87]
	v_cndmask_b32_e64 v0, v0, v13, s[86:87]
	v_cmp_neq_f32_e32 vcc, v1, v0
	v_cmp_class_f32_e64 s[0:1], v1, s2
	s_or_b64 s[4:5], vcc, s[0:1]
	v_mov_b32_e32 v13, v12
	s_and_saveexec_b64 s[0:1], s[4:5]
	s_cbranch_execz .LBB151_178
; %bb.177:
	v_sub_f32_e32 v1, v1, v0
	s_mov_b32 s3, 0x3fb8aa3b
	v_mul_f32_e32 v13, 0x3fb8aa3b, v1
	v_fma_f32 v27, v1, s3, -v13
	v_rndne_f32_e32 v29, v13
	v_fmamk_f32 v27, v1, 0x32a5705f, v27
	v_sub_f32_e32 v13, v13, v29
	v_add_f32_e32 v13, v13, v27
	v_exp_f32_e32 v13, v13
	v_cvt_i32_f32_e32 v27, v29
	s_mov_b32 s3, 0xc2ce8ed0
	v_cmp_ngt_f32_e32 vcc, s3, v1
	s_mov_b32 s3, 0x42b17218
	v_ldexp_f32 v13, v13, v27
	v_cndmask_b32_e32 v13, 0, v13, vcc
	v_mov_b32_e32 v27, 0x7f800000
	v_cmp_nlt_f32_e32 vcc, s3, v1
	s_mov_b32 s3, 0x3f2aaaab
	s_mov_b32 s4, 0x7f800000
	v_cndmask_b32_e32 v13, v27, v13, vcc
	v_add_f32_e32 v1, 1.0, v13
	v_add_f32_e32 v27, -1.0, v1
	v_sub_f32_e32 v29, v27, v1
	v_add_f32_e32 v29, 1.0, v29
	v_sub_f32_e32 v27, v13, v27
	v_add_f32_e32 v27, v27, v29
	v_frexp_mant_f32_e32 v29, v1
	v_cvt_f64_f32_e32 v[30:31], v1
	v_frexp_exp_i32_f64_e32 v30, v[30:31]
	v_cmp_gt_f32_e32 vcc, s3, v29
	s_mov_b32 s3, 0x3f317218
	s_nop 0
	v_subbrev_co_u32_e32 v29, vcc, 0, v30, vcc
	v_sub_u32_e32 v30, 0, v29
	v_ldexp_f32 v1, v1, v30
	v_ldexp_f32 v27, v27, v30
	v_add_f32_e32 v30, -1.0, v1
	v_add_f32_e32 v31, 1.0, v30
	v_sub_f32_e32 v31, v1, v31
	v_add_f32_e32 v32, v27, v31
	v_add_f32_e32 v31, 1.0, v1
	v_add_f32_e32 v33, -1.0, v31
	v_sub_f32_e32 v1, v1, v33
	v_add_f32_e32 v1, v27, v1
	v_add_f32_e32 v27, v31, v1
	v_rcp_f32_e32 v38, v27
	v_sub_f32_e32 v31, v31, v27
	v_add_f32_e32 v1, v1, v31
	v_add_f32_e32 v31, v30, v32
	v_sub_f32_e32 v30, v30, v31
	v_mul_f32_e32 v40, v31, v38
	v_add_f32_e32 v39, v32, v30
	v_mul_f32_e32 v32, v27, v40
	v_fma_f32 v34, v40, v27, -v32
	v_fmac_f32_e32 v34, v40, v1
	v_add_f32_e32 v30, v32, v34
	v_sub_f32_e32 v33, v31, v30
	v_pk_add_f32 v[36:37], v[30:31], v[32:33] neg_lo:[0,1] neg_hi:[0,1]
	v_mov_b32_e32 v35, v30
	v_pk_add_f32 v[30:31], v[36:37], v[34:35] neg_lo:[0,1] neg_hi:[0,1]
	v_cmp_eq_f32_e32 vcc, s4, v13
	v_add_f32_e32 v31, v39, v31
	v_add_f32_e32 v30, v30, v31
	;; [unrolled: 1-line block ×3, first 2 shown]
	v_mul_f32_e32 v39, v38, v31
	v_mul_f32_e32 v32, v27, v39
	v_fma_f32 v34, v39, v27, -v32
	v_fmac_f32_e32 v34, v39, v1
	v_sub_f32_e32 v1, v33, v31
	v_add_f32_e32 v1, v30, v1
	v_add_f32_e32 v30, v32, v34
	v_sub_f32_e32 v33, v31, v30
	v_pk_add_f32 v[36:37], v[30:31], v[32:33] neg_lo:[0,1] neg_hi:[0,1]
	v_mov_b32_e32 v35, v30
	v_pk_add_f32 v[30:31], v[36:37], v[34:35] neg_lo:[0,1] neg_hi:[0,1]
	v_add_f32_e32 v27, v40, v39
	v_add_f32_e32 v1, v1, v31
	;; [unrolled: 1-line block ×4, first 2 shown]
	v_sub_f32_e32 v30, v27, v40
	v_mul_f32_e32 v1, v38, v1
	v_sub_f32_e32 v30, v39, v30
	v_add_f32_e32 v1, v30, v1
	v_add_f32_e32 v30, v27, v1
	v_cvt_f32_i32_e32 v32, v29
	v_mul_f32_e32 v33, v30, v30
	v_mov_b32_e32 v31, 0x3ecc95a3
	v_fmac_f32_e32 v31, 0x3e9b6dac, v33
	v_fmaak_f32 v31, v33, v31, 0x3f2aaada
	v_sub_f32_e32 v27, v30, v27
	v_ldexp_f32 v35, v30, 1
	v_mul_f32_e32 v33, v30, v33
	v_mov_b32_e32 v30, 0x3f317218
	v_pk_mul_f32 v[30:31], v[32:33], v[30:31]
	v_sub_f32_e32 v1, v1, v27
	v_fma_f32 v27, v32, s3, -v30
	v_fmamk_f32 v34, v32, 0xb102e308, v27
	v_pk_add_f32 v[32:33], v[30:31], v[34:35]
	v_ldexp_f32 v1, v1, 1
	v_sub_f32_e32 v27, v33, v35
	v_sub_f32_e32 v27, v31, v27
	v_add_f32_e32 v37, v1, v27
	v_mov_b32_e32 v36, v30
	v_pk_add_f32 v[30:31], v[32:33], v[30:31] neg_lo:[0,1] neg_hi:[0,1]
	v_pk_add_f32 v[38:39], v[32:33], v[36:37]
	v_mov_b32_e32 v35, v32
	v_mov_b32_e32 v31, v39
	v_pk_add_f32 v[40:41], v[34:35], v[30:31] neg_lo:[0,1] neg_hi:[0,1]
	v_pk_add_f32 v[30:31], v[34:35], v[30:31]
	v_mov_b32_e32 v36, v37
	v_mov_b32_e32 v34, v31
	v_pk_add_f32 v[42:43], v[34:35], v[32:33] neg_lo:[0,1] neg_hi:[0,1]
	v_mov_b32_e32 v30, v39
	v_mov_b32_e32 v1, v42
	v_pk_add_f32 v[44:45], v[38:39], v[0:1] neg_lo:[0,1] neg_hi:[0,1]
	v_mov_b32_e32 v38, v33
	v_mov_b32_e32 v39, v42
	;; [unrolled: 1-line block ×3, first 2 shown]
	v_pk_add_f32 v[30:31], v[30:31], v[38:39] neg_lo:[0,1] neg_hi:[0,1]
	v_mov_b32_e32 v37, v32
	v_pk_add_f32 v[30:31], v[36:37], v[30:31] neg_lo:[0,1] neg_hi:[0,1]
	v_mov_b32_e32 v44, v40
	v_pk_add_f32 v[32:33], v[44:45], v[30:31]
	s_mov_b32 s3, 0x33800000
	v_mov_b32_e32 v36, v33
	v_pk_add_f32 v[36:37], v[32:33], v[36:37]
	v_cmp_lt_f32_e64 s[4:5], |v13|, s3
	v_pk_add_f32 v[34:35], v[34:35], v[36:37]
	v_mov_b32_e32 v31, v36
	v_mov_b32_e32 v33, v34
	v_pk_add_f32 v[38:39], v[32:33], v[40:41] neg_lo:[0,1] neg_hi:[0,1]
	s_or_b64 vcc, vcc, s[4:5]
	v_sub_f32_e32 v1, v32, v38
	v_pk_add_f32 v[30:31], v[30:31], v[38:39] neg_lo:[0,1] neg_hi:[0,1]
	v_sub_f32_e32 v1, v40, v1
	v_add_f32_e32 v1, v30, v1
	v_add_f32_e32 v1, v1, v31
	;; [unrolled: 1-line block ×3, first 2 shown]
	v_cndmask_b32_e32 v1, v1, v13, vcc
	v_add_f32_e32 v13, v0, v1
.LBB151_178:
	s_or_b64 exec, exec, s[0:1]
	v_max_f32_e32 v0, v13, v13
	v_min_f32_e32 v1, v0, v47
	v_cmp_u_f32_e32 vcc, v13, v13
	v_max_f32_e32 v0, v0, v47
	s_nop 0
	v_cndmask_b32_e32 v1, v1, v13, vcc
	v_cndmask_b32_e32 v0, v0, v13, vcc
	v_cndmask_b32_e64 v1, v1, v6, s[88:89]
	v_cndmask_b32_e64 v0, v0, v6, s[88:89]
	v_cmp_neq_f32_e32 vcc, v1, v0
	v_cmp_class_f32_e64 s[0:1], v1, s2
	s_or_b64 s[2:3], vcc, s[0:1]
	v_mov_b32_e32 v6, v13
	s_and_saveexec_b64 s[0:1], s[2:3]
	s_cbranch_execz .LBB151_180
; %bb.179:
	v_sub_f32_e32 v1, v1, v0
	s_mov_b32 s2, 0x3fb8aa3b
	v_mul_f32_e32 v6, 0x3fb8aa3b, v1
	v_fma_f32 v27, v1, s2, -v6
	v_rndne_f32_e32 v29, v6
	v_fmamk_f32 v27, v1, 0x32a5705f, v27
	v_sub_f32_e32 v6, v6, v29
	v_add_f32_e32 v6, v6, v27
	v_exp_f32_e32 v6, v6
	v_cvt_i32_f32_e32 v27, v29
	s_mov_b32 s2, 0xc2ce8ed0
	v_cmp_ngt_f32_e32 vcc, s2, v1
	s_mov_b32 s2, 0x42b17218
	v_ldexp_f32 v6, v6, v27
	v_cndmask_b32_e32 v6, 0, v6, vcc
	v_mov_b32_e32 v27, 0x7f800000
	v_cmp_nlt_f32_e32 vcc, s2, v1
	s_mov_b32 s2, 0x3f2aaaab
	s_mov_b32 s3, 0x7f800000
	v_cndmask_b32_e32 v27, v27, v6, vcc
	v_add_f32_e32 v1, 1.0, v27
	v_add_f32_e32 v6, -1.0, v1
	v_sub_f32_e32 v29, v6, v1
	v_add_f32_e32 v29, 1.0, v29
	v_sub_f32_e32 v6, v27, v6
	v_add_f32_e32 v6, v6, v29
	v_frexp_mant_f32_e32 v29, v1
	v_cvt_f64_f32_e32 v[30:31], v1
	v_frexp_exp_i32_f64_e32 v30, v[30:31]
	v_cmp_gt_f32_e32 vcc, s2, v29
	s_mov_b32 s2, 0x3f317218
	s_nop 0
	v_subbrev_co_u32_e32 v29, vcc, 0, v30, vcc
	v_sub_u32_e32 v30, 0, v29
	v_ldexp_f32 v1, v1, v30
	v_ldexp_f32 v6, v6, v30
	v_add_f32_e32 v30, -1.0, v1
	v_add_f32_e32 v31, 1.0, v30
	v_sub_f32_e32 v31, v1, v31
	v_add_f32_e32 v32, v6, v31
	v_add_f32_e32 v31, 1.0, v1
	v_add_f32_e32 v33, -1.0, v31
	v_sub_f32_e32 v1, v1, v33
	v_add_f32_e32 v1, v6, v1
	v_add_f32_e32 v6, v31, v1
	v_rcp_f32_e32 v38, v6
	v_sub_f32_e32 v31, v31, v6
	v_add_f32_e32 v1, v1, v31
	v_add_f32_e32 v31, v30, v32
	v_sub_f32_e32 v30, v30, v31
	v_mul_f32_e32 v40, v31, v38
	v_add_f32_e32 v39, v32, v30
	v_mul_f32_e32 v32, v6, v40
	v_fma_f32 v34, v40, v6, -v32
	v_fmac_f32_e32 v34, v40, v1
	v_add_f32_e32 v30, v32, v34
	v_sub_f32_e32 v33, v31, v30
	v_pk_add_f32 v[36:37], v[30:31], v[32:33] neg_lo:[0,1] neg_hi:[0,1]
	v_mov_b32_e32 v35, v30
	v_pk_add_f32 v[30:31], v[36:37], v[34:35] neg_lo:[0,1] neg_hi:[0,1]
	v_cmp_eq_f32_e32 vcc, s3, v27
	v_add_f32_e32 v31, v39, v31
	v_add_f32_e32 v30, v30, v31
	;; [unrolled: 1-line block ×3, first 2 shown]
	v_mul_f32_e32 v39, v38, v31
	v_mul_f32_e32 v32, v6, v39
	v_fma_f32 v34, v39, v6, -v32
	v_fmac_f32_e32 v34, v39, v1
	v_sub_f32_e32 v1, v33, v31
	v_add_f32_e32 v1, v30, v1
	v_add_f32_e32 v30, v32, v34
	v_sub_f32_e32 v33, v31, v30
	v_pk_add_f32 v[36:37], v[30:31], v[32:33] neg_lo:[0,1] neg_hi:[0,1]
	v_mov_b32_e32 v35, v30
	v_pk_add_f32 v[30:31], v[36:37], v[34:35] neg_lo:[0,1] neg_hi:[0,1]
	v_add_f32_e32 v6, v40, v39
	v_add_f32_e32 v1, v1, v31
	;; [unrolled: 1-line block ×4, first 2 shown]
	v_sub_f32_e32 v30, v6, v40
	v_mul_f32_e32 v1, v38, v1
	v_sub_f32_e32 v30, v39, v30
	v_add_f32_e32 v1, v30, v1
	v_add_f32_e32 v30, v6, v1
	v_cvt_f32_i32_e32 v32, v29
	v_mul_f32_e32 v33, v30, v30
	v_mov_b32_e32 v31, 0x3ecc95a3
	v_fmac_f32_e32 v31, 0x3e9b6dac, v33
	v_fmaak_f32 v31, v33, v31, 0x3f2aaada
	v_sub_f32_e32 v6, v30, v6
	v_ldexp_f32 v35, v30, 1
	v_mul_f32_e32 v33, v30, v33
	v_mov_b32_e32 v30, 0x3f317218
	v_pk_mul_f32 v[30:31], v[32:33], v[30:31]
	v_sub_f32_e32 v1, v1, v6
	v_fma_f32 v6, v32, s2, -v30
	v_fmamk_f32 v34, v32, 0xb102e308, v6
	v_pk_add_f32 v[32:33], v[30:31], v[34:35]
	v_ldexp_f32 v1, v1, 1
	v_sub_f32_e32 v6, v33, v35
	v_sub_f32_e32 v6, v31, v6
	v_add_f32_e32 v37, v1, v6
	v_mov_b32_e32 v36, v30
	v_pk_add_f32 v[30:31], v[32:33], v[30:31] neg_lo:[0,1] neg_hi:[0,1]
	v_pk_add_f32 v[38:39], v[32:33], v[36:37]
	v_mov_b32_e32 v35, v32
	v_mov_b32_e32 v31, v39
	v_pk_add_f32 v[40:41], v[34:35], v[30:31] neg_lo:[0,1] neg_hi:[0,1]
	v_pk_add_f32 v[30:31], v[34:35], v[30:31]
	s_mov_b32 s2, 0x33800000
	v_mov_b32_e32 v6, v31
	v_pk_add_f32 v[34:35], v[6:7], v[32:33] neg_lo:[0,1] neg_hi:[0,1]
	v_mov_b32_e32 v30, v39
	v_mov_b32_e32 v1, v34
	v_pk_add_f32 v[42:43], v[38:39], v[0:1] neg_lo:[0,1] neg_hi:[0,1]
	v_mov_b32_e32 v38, v33
	v_mov_b32_e32 v39, v34
	;; [unrolled: 1-line block ×3, first 2 shown]
	v_pk_add_f32 v[30:31], v[30:31], v[38:39] neg_lo:[0,1] neg_hi:[0,1]
	v_mov_b32_e32 v34, v37
	v_mov_b32_e32 v35, v32
	v_pk_add_f32 v[30:31], v[34:35], v[30:31] neg_lo:[0,1] neg_hi:[0,1]
	v_mov_b32_e32 v42, v40
	v_pk_add_f32 v[32:33], v[42:43], v[30:31]
	v_cmp_lt_f32_e64 s[2:3], |v27|, s2
	v_mov_b32_e32 v34, v33
	v_pk_add_f32 v[34:35], v[32:33], v[34:35]
	s_or_b64 vcc, vcc, s[2:3]
	v_pk_add_f32 v[36:37], v[6:7], v[34:35]
	v_mov_b32_e32 v31, v34
	v_mov_b32_e32 v33, v36
	v_pk_add_f32 v[38:39], v[32:33], v[40:41] neg_lo:[0,1] neg_hi:[0,1]
	s_nop 0
	v_sub_f32_e32 v1, v32, v38
	v_pk_add_f32 v[30:31], v[30:31], v[38:39] neg_lo:[0,1] neg_hi:[0,1]
	v_sub_f32_e32 v1, v40, v1
	v_add_f32_e32 v1, v30, v1
	v_add_f32_e32 v1, v1, v31
	;; [unrolled: 1-line block ×3, first 2 shown]
	v_cndmask_b32_e32 v1, v1, v27, vcc
	v_add_f32_e32 v6, v0, v1
.LBB151_180:
	s_or_b64 exec, exec, s[0:1]
	v_max_f32_e32 v0, v6, v6
	v_min_f32_e32 v1, v0, v48
	v_cmp_u_f32_e32 vcc, v6, v6
	v_max_f32_e32 v0, v0, v48
	s_movk_i32 s2, 0x1f8
	v_cndmask_b32_e32 v1, v1, v6, vcc
	v_cndmask_b32_e32 v0, v0, v6, vcc
	v_cndmask_b32_e64 v1, v1, v7, s[90:91]
	v_cndmask_b32_e64 v0, v0, v7, s[90:91]
	v_cmp_neq_f32_e32 vcc, v1, v0
	v_cmp_class_f32_e64 s[0:1], v1, s2
	s_or_b64 s[4:5], vcc, s[0:1]
	v_mov_b32_e32 v7, v6
	s_and_saveexec_b64 s[0:1], s[4:5]
	s_cbranch_execz .LBB151_182
; %bb.181:
	v_sub_f32_e32 v1, v1, v0
	s_mov_b32 s3, 0x3fb8aa3b
	v_mul_f32_e32 v7, 0x3fb8aa3b, v1
	v_fma_f32 v27, v1, s3, -v7
	v_rndne_f32_e32 v29, v7
	v_fmamk_f32 v27, v1, 0x32a5705f, v27
	v_sub_f32_e32 v7, v7, v29
	v_add_f32_e32 v7, v7, v27
	v_exp_f32_e32 v7, v7
	v_cvt_i32_f32_e32 v27, v29
	s_mov_b32 s3, 0xc2ce8ed0
	v_cmp_ngt_f32_e32 vcc, s3, v1
	s_mov_b32 s3, 0x42b17218
	v_ldexp_f32 v7, v7, v27
	v_cndmask_b32_e32 v7, 0, v7, vcc
	v_mov_b32_e32 v27, 0x7f800000
	v_cmp_nlt_f32_e32 vcc, s3, v1
	s_mov_b32 s3, 0x3f2aaaab
	s_mov_b32 s4, 0x7f800000
	v_cndmask_b32_e32 v7, v27, v7, vcc
	v_add_f32_e32 v1, 1.0, v7
	v_add_f32_e32 v27, -1.0, v1
	v_sub_f32_e32 v29, v27, v1
	v_add_f32_e32 v29, 1.0, v29
	v_sub_f32_e32 v27, v7, v27
	v_add_f32_e32 v27, v27, v29
	v_frexp_mant_f32_e32 v29, v1
	v_cvt_f64_f32_e32 v[30:31], v1
	v_frexp_exp_i32_f64_e32 v30, v[30:31]
	v_cmp_gt_f32_e32 vcc, s3, v29
	s_mov_b32 s3, 0x3f317218
	s_nop 0
	v_subbrev_co_u32_e32 v29, vcc, 0, v30, vcc
	v_sub_u32_e32 v30, 0, v29
	v_ldexp_f32 v1, v1, v30
	v_ldexp_f32 v27, v27, v30
	v_add_f32_e32 v30, -1.0, v1
	v_add_f32_e32 v31, 1.0, v30
	v_sub_f32_e32 v31, v1, v31
	v_add_f32_e32 v32, v27, v31
	v_add_f32_e32 v31, 1.0, v1
	v_add_f32_e32 v33, -1.0, v31
	v_sub_f32_e32 v1, v1, v33
	v_add_f32_e32 v1, v27, v1
	v_add_f32_e32 v27, v31, v1
	v_rcp_f32_e32 v38, v27
	v_sub_f32_e32 v31, v31, v27
	v_add_f32_e32 v1, v1, v31
	v_add_f32_e32 v31, v30, v32
	v_sub_f32_e32 v30, v30, v31
	v_mul_f32_e32 v40, v31, v38
	v_add_f32_e32 v39, v32, v30
	v_mul_f32_e32 v32, v27, v40
	v_fma_f32 v34, v40, v27, -v32
	v_fmac_f32_e32 v34, v40, v1
	v_add_f32_e32 v30, v32, v34
	v_sub_f32_e32 v33, v31, v30
	v_pk_add_f32 v[36:37], v[30:31], v[32:33] neg_lo:[0,1] neg_hi:[0,1]
	v_mov_b32_e32 v35, v30
	v_pk_add_f32 v[30:31], v[36:37], v[34:35] neg_lo:[0,1] neg_hi:[0,1]
	v_cmp_eq_f32_e32 vcc, s4, v7
	v_add_f32_e32 v31, v39, v31
	v_add_f32_e32 v30, v30, v31
	;; [unrolled: 1-line block ×3, first 2 shown]
	v_mul_f32_e32 v39, v38, v31
	v_mul_f32_e32 v32, v27, v39
	v_fma_f32 v34, v39, v27, -v32
	v_fmac_f32_e32 v34, v39, v1
	v_sub_f32_e32 v1, v33, v31
	v_add_f32_e32 v1, v30, v1
	v_add_f32_e32 v30, v32, v34
	v_sub_f32_e32 v33, v31, v30
	v_pk_add_f32 v[36:37], v[30:31], v[32:33] neg_lo:[0,1] neg_hi:[0,1]
	v_mov_b32_e32 v35, v30
	v_pk_add_f32 v[30:31], v[36:37], v[34:35] neg_lo:[0,1] neg_hi:[0,1]
	v_add_f32_e32 v27, v40, v39
	v_add_f32_e32 v1, v1, v31
	;; [unrolled: 1-line block ×4, first 2 shown]
	v_sub_f32_e32 v30, v27, v40
	v_mul_f32_e32 v1, v38, v1
	v_sub_f32_e32 v30, v39, v30
	v_add_f32_e32 v1, v30, v1
	v_add_f32_e32 v30, v27, v1
	v_cvt_f32_i32_e32 v32, v29
	v_mul_f32_e32 v33, v30, v30
	v_mov_b32_e32 v31, 0x3ecc95a3
	v_fmac_f32_e32 v31, 0x3e9b6dac, v33
	v_fmaak_f32 v31, v33, v31, 0x3f2aaada
	v_sub_f32_e32 v27, v30, v27
	v_ldexp_f32 v35, v30, 1
	v_mul_f32_e32 v33, v30, v33
	v_mov_b32_e32 v30, 0x3f317218
	v_pk_mul_f32 v[30:31], v[32:33], v[30:31]
	v_sub_f32_e32 v1, v1, v27
	v_fma_f32 v27, v32, s3, -v30
	v_fmamk_f32 v34, v32, 0xb102e308, v27
	v_pk_add_f32 v[32:33], v[30:31], v[34:35]
	v_ldexp_f32 v1, v1, 1
	v_sub_f32_e32 v27, v33, v35
	v_sub_f32_e32 v27, v31, v27
	v_add_f32_e32 v37, v1, v27
	v_mov_b32_e32 v36, v30
	v_pk_add_f32 v[30:31], v[32:33], v[30:31] neg_lo:[0,1] neg_hi:[0,1]
	v_pk_add_f32 v[38:39], v[32:33], v[36:37]
	v_mov_b32_e32 v35, v32
	v_mov_b32_e32 v31, v39
	v_pk_add_f32 v[40:41], v[34:35], v[30:31] neg_lo:[0,1] neg_hi:[0,1]
	v_pk_add_f32 v[30:31], v[34:35], v[30:31]
	v_mov_b32_e32 v36, v37
	v_mov_b32_e32 v34, v31
	v_pk_add_f32 v[42:43], v[34:35], v[32:33] neg_lo:[0,1] neg_hi:[0,1]
	v_mov_b32_e32 v30, v39
	v_mov_b32_e32 v1, v42
	v_pk_add_f32 v[44:45], v[38:39], v[0:1] neg_lo:[0,1] neg_hi:[0,1]
	v_mov_b32_e32 v38, v33
	v_mov_b32_e32 v39, v42
	v_mov_b32_e32 v41, v31
	v_pk_add_f32 v[30:31], v[30:31], v[38:39] neg_lo:[0,1] neg_hi:[0,1]
	v_mov_b32_e32 v37, v32
	v_pk_add_f32 v[30:31], v[36:37], v[30:31] neg_lo:[0,1] neg_hi:[0,1]
	v_mov_b32_e32 v44, v40
	v_pk_add_f32 v[32:33], v[44:45], v[30:31]
	s_mov_b32 s3, 0x33800000
	v_mov_b32_e32 v36, v33
	v_pk_add_f32 v[36:37], v[32:33], v[36:37]
	v_cmp_lt_f32_e64 s[4:5], |v7|, s3
	v_pk_add_f32 v[34:35], v[34:35], v[36:37]
	v_mov_b32_e32 v31, v36
	v_mov_b32_e32 v33, v34
	v_pk_add_f32 v[38:39], v[32:33], v[40:41] neg_lo:[0,1] neg_hi:[0,1]
	s_or_b64 vcc, vcc, s[4:5]
	v_sub_f32_e32 v1, v32, v38
	v_pk_add_f32 v[30:31], v[30:31], v[38:39] neg_lo:[0,1] neg_hi:[0,1]
	v_sub_f32_e32 v1, v40, v1
	v_add_f32_e32 v1, v30, v1
	v_add_f32_e32 v1, v1, v31
	;; [unrolled: 1-line block ×3, first 2 shown]
	v_cndmask_b32_e32 v1, v1, v7, vcc
	v_add_f32_e32 v7, v0, v1
.LBB151_182:
	s_or_b64 exec, exec, s[0:1]
	v_max_f32_e32 v0, v7, v7
	v_min_f32_e32 v1, v0, v49
	v_cmp_u_f32_e32 vcc, v7, v7
	v_max_f32_e32 v0, v0, v49
	s_nop 0
	v_cndmask_b32_e32 v1, v1, v7, vcc
	v_cndmask_b32_e32 v0, v0, v7, vcc
	v_cndmask_b32_e64 v1, v1, v8, s[92:93]
	v_cndmask_b32_e64 v0, v0, v8, s[92:93]
	v_cmp_neq_f32_e32 vcc, v1, v0
	v_cmp_class_f32_e64 s[0:1], v1, s2
	s_or_b64 s[2:3], vcc, s[0:1]
	v_mov_b32_e32 v8, v7
	s_and_saveexec_b64 s[0:1], s[2:3]
	s_cbranch_execz .LBB151_184
; %bb.183:
	v_sub_f32_e32 v1, v1, v0
	s_mov_b32 s2, 0x3fb8aa3b
	v_mul_f32_e32 v8, 0x3fb8aa3b, v1
	v_fma_f32 v27, v1, s2, -v8
	v_rndne_f32_e32 v29, v8
	v_fmamk_f32 v27, v1, 0x32a5705f, v27
	v_sub_f32_e32 v8, v8, v29
	v_add_f32_e32 v8, v8, v27
	v_exp_f32_e32 v8, v8
	v_cvt_i32_f32_e32 v27, v29
	s_mov_b32 s2, 0xc2ce8ed0
	v_cmp_ngt_f32_e32 vcc, s2, v1
	s_mov_b32 s2, 0x42b17218
	v_ldexp_f32 v8, v8, v27
	v_cndmask_b32_e32 v8, 0, v8, vcc
	v_mov_b32_e32 v27, 0x7f800000
	v_cmp_nlt_f32_e32 vcc, s2, v1
	s_mov_b32 s2, 0x3f2aaaab
	s_mov_b32 s3, 0x7f800000
	v_cndmask_b32_e32 v27, v27, v8, vcc
	v_add_f32_e32 v1, 1.0, v27
	v_add_f32_e32 v8, -1.0, v1
	v_sub_f32_e32 v29, v8, v1
	v_add_f32_e32 v29, 1.0, v29
	v_sub_f32_e32 v8, v27, v8
	v_add_f32_e32 v8, v8, v29
	v_frexp_mant_f32_e32 v29, v1
	v_cvt_f64_f32_e32 v[30:31], v1
	v_frexp_exp_i32_f64_e32 v30, v[30:31]
	v_cmp_gt_f32_e32 vcc, s2, v29
	s_mov_b32 s2, 0x3f317218
	s_nop 0
	v_subbrev_co_u32_e32 v29, vcc, 0, v30, vcc
	v_sub_u32_e32 v30, 0, v29
	v_ldexp_f32 v1, v1, v30
	v_ldexp_f32 v8, v8, v30
	v_add_f32_e32 v30, -1.0, v1
	v_add_f32_e32 v31, 1.0, v30
	v_sub_f32_e32 v31, v1, v31
	v_add_f32_e32 v32, v8, v31
	v_add_f32_e32 v31, 1.0, v1
	v_add_f32_e32 v33, -1.0, v31
	v_sub_f32_e32 v1, v1, v33
	v_add_f32_e32 v1, v8, v1
	v_add_f32_e32 v8, v31, v1
	v_rcp_f32_e32 v38, v8
	v_sub_f32_e32 v31, v31, v8
	v_add_f32_e32 v1, v1, v31
	v_add_f32_e32 v31, v30, v32
	v_sub_f32_e32 v30, v30, v31
	v_mul_f32_e32 v40, v31, v38
	v_add_f32_e32 v39, v32, v30
	v_mul_f32_e32 v32, v8, v40
	v_fma_f32 v34, v40, v8, -v32
	v_fmac_f32_e32 v34, v40, v1
	v_add_f32_e32 v30, v32, v34
	v_sub_f32_e32 v33, v31, v30
	v_pk_add_f32 v[36:37], v[30:31], v[32:33] neg_lo:[0,1] neg_hi:[0,1]
	v_mov_b32_e32 v35, v30
	v_pk_add_f32 v[30:31], v[36:37], v[34:35] neg_lo:[0,1] neg_hi:[0,1]
	v_cmp_eq_f32_e32 vcc, s3, v27
	v_add_f32_e32 v31, v39, v31
	v_add_f32_e32 v30, v30, v31
	;; [unrolled: 1-line block ×3, first 2 shown]
	v_mul_f32_e32 v39, v38, v31
	v_mul_f32_e32 v32, v8, v39
	v_fma_f32 v34, v39, v8, -v32
	v_fmac_f32_e32 v34, v39, v1
	v_sub_f32_e32 v1, v33, v31
	v_add_f32_e32 v1, v30, v1
	v_add_f32_e32 v30, v32, v34
	v_sub_f32_e32 v33, v31, v30
	v_pk_add_f32 v[36:37], v[30:31], v[32:33] neg_lo:[0,1] neg_hi:[0,1]
	v_mov_b32_e32 v35, v30
	v_pk_add_f32 v[30:31], v[36:37], v[34:35] neg_lo:[0,1] neg_hi:[0,1]
	v_add_f32_e32 v8, v40, v39
	v_add_f32_e32 v1, v1, v31
	;; [unrolled: 1-line block ×4, first 2 shown]
	v_sub_f32_e32 v30, v8, v40
	v_mul_f32_e32 v1, v38, v1
	v_sub_f32_e32 v30, v39, v30
	v_add_f32_e32 v1, v30, v1
	v_add_f32_e32 v30, v8, v1
	v_cvt_f32_i32_e32 v32, v29
	v_mul_f32_e32 v33, v30, v30
	v_mov_b32_e32 v31, 0x3ecc95a3
	v_fmac_f32_e32 v31, 0x3e9b6dac, v33
	v_fmaak_f32 v31, v33, v31, 0x3f2aaada
	v_sub_f32_e32 v8, v30, v8
	v_ldexp_f32 v35, v30, 1
	v_mul_f32_e32 v33, v30, v33
	v_mov_b32_e32 v30, 0x3f317218
	v_pk_mul_f32 v[30:31], v[32:33], v[30:31]
	v_sub_f32_e32 v1, v1, v8
	v_fma_f32 v8, v32, s2, -v30
	v_fmamk_f32 v34, v32, 0xb102e308, v8
	v_pk_add_f32 v[32:33], v[30:31], v[34:35]
	v_ldexp_f32 v1, v1, 1
	v_sub_f32_e32 v8, v33, v35
	v_sub_f32_e32 v8, v31, v8
	v_add_f32_e32 v37, v1, v8
	v_mov_b32_e32 v36, v30
	v_pk_add_f32 v[30:31], v[32:33], v[30:31] neg_lo:[0,1] neg_hi:[0,1]
	v_pk_add_f32 v[38:39], v[32:33], v[36:37]
	v_mov_b32_e32 v35, v32
	v_mov_b32_e32 v31, v39
	v_pk_add_f32 v[40:41], v[34:35], v[30:31] neg_lo:[0,1] neg_hi:[0,1]
	v_pk_add_f32 v[30:31], v[34:35], v[30:31]
	s_mov_b32 s2, 0x33800000
	v_mov_b32_e32 v8, v31
	v_pk_add_f32 v[34:35], v[8:9], v[32:33] neg_lo:[0,1] neg_hi:[0,1]
	v_mov_b32_e32 v30, v39
	v_mov_b32_e32 v1, v34
	v_pk_add_f32 v[42:43], v[38:39], v[0:1] neg_lo:[0,1] neg_hi:[0,1]
	v_mov_b32_e32 v38, v33
	v_mov_b32_e32 v39, v34
	;; [unrolled: 1-line block ×3, first 2 shown]
	v_pk_add_f32 v[30:31], v[30:31], v[38:39] neg_lo:[0,1] neg_hi:[0,1]
	v_mov_b32_e32 v34, v37
	v_mov_b32_e32 v35, v32
	v_pk_add_f32 v[30:31], v[34:35], v[30:31] neg_lo:[0,1] neg_hi:[0,1]
	v_mov_b32_e32 v42, v40
	v_pk_add_f32 v[32:33], v[42:43], v[30:31]
	v_cmp_lt_f32_e64 s[2:3], |v27|, s2
	v_mov_b32_e32 v34, v33
	v_pk_add_f32 v[34:35], v[32:33], v[34:35]
	s_or_b64 vcc, vcc, s[2:3]
	v_pk_add_f32 v[36:37], v[8:9], v[34:35]
	v_mov_b32_e32 v31, v34
	v_mov_b32_e32 v33, v36
	v_pk_add_f32 v[38:39], v[32:33], v[40:41] neg_lo:[0,1] neg_hi:[0,1]
	s_nop 0
	v_sub_f32_e32 v1, v32, v38
	v_pk_add_f32 v[30:31], v[30:31], v[38:39] neg_lo:[0,1] neg_hi:[0,1]
	v_sub_f32_e32 v1, v40, v1
	v_add_f32_e32 v1, v30, v1
	v_add_f32_e32 v1, v1, v31
	;; [unrolled: 1-line block ×3, first 2 shown]
	v_cndmask_b32_e32 v1, v1, v27, vcc
	v_add_f32_e32 v8, v0, v1
.LBB151_184:
	s_or_b64 exec, exec, s[0:1]
	v_max_f32_e32 v0, v8, v8
	v_min_f32_e32 v1, v0, v50
	v_cmp_u_f32_e32 vcc, v8, v8
	v_max_f32_e32 v0, v0, v50
	s_movk_i32 s0, 0x1f8
	v_cndmask_b32_e32 v1, v1, v8, vcc
	v_cndmask_b32_e32 v0, v0, v8, vcc
	v_cndmask_b32_e64 v1, v1, v9, s[94:95]
	v_cndmask_b32_e64 v0, v0, v9, s[94:95]
	v_cmp_neq_f32_e32 vcc, v1, v0
	v_cmp_class_f32_e64 s[0:1], v1, s0
	s_or_b64 s[2:3], vcc, s[0:1]
	v_mov_b32_e32 v9, v8
	s_and_saveexec_b64 s[0:1], s[2:3]
	s_cbranch_execz .LBB151_186
; %bb.185:
	v_sub_f32_e32 v1, v1, v0
	s_mov_b32 s2, 0x3fb8aa3b
	v_mul_f32_e32 v9, 0x3fb8aa3b, v1
	v_fma_f32 v27, v1, s2, -v9
	v_rndne_f32_e32 v29, v9
	v_fmamk_f32 v27, v1, 0x32a5705f, v27
	v_sub_f32_e32 v9, v9, v29
	v_add_f32_e32 v9, v9, v27
	v_exp_f32_e32 v9, v9
	v_cvt_i32_f32_e32 v27, v29
	s_mov_b32 s2, 0xc2ce8ed0
	v_cmp_ngt_f32_e32 vcc, s2, v1
	s_mov_b32 s2, 0x42b17218
	v_ldexp_f32 v9, v9, v27
	v_cndmask_b32_e32 v9, 0, v9, vcc
	v_mov_b32_e32 v27, 0x7f800000
	v_cmp_nlt_f32_e32 vcc, s2, v1
	s_mov_b32 s2, 0x3f2aaaab
	s_mov_b32 s3, 0x7f800000
	v_cndmask_b32_e32 v9, v27, v9, vcc
	v_add_f32_e32 v1, 1.0, v9
	v_add_f32_e32 v27, -1.0, v1
	v_sub_f32_e32 v29, v27, v1
	v_add_f32_e32 v29, 1.0, v29
	v_sub_f32_e32 v27, v9, v27
	v_add_f32_e32 v27, v27, v29
	v_frexp_mant_f32_e32 v29, v1
	v_cvt_f64_f32_e32 v[30:31], v1
	v_frexp_exp_i32_f64_e32 v30, v[30:31]
	v_cmp_gt_f32_e32 vcc, s2, v29
	s_mov_b32 s2, 0x3f317218
	s_nop 0
	v_subbrev_co_u32_e32 v29, vcc, 0, v30, vcc
	v_sub_u32_e32 v30, 0, v29
	v_ldexp_f32 v1, v1, v30
	v_ldexp_f32 v27, v27, v30
	v_add_f32_e32 v30, -1.0, v1
	v_add_f32_e32 v31, 1.0, v30
	v_sub_f32_e32 v31, v1, v31
	v_add_f32_e32 v32, v27, v31
	v_add_f32_e32 v31, 1.0, v1
	v_add_f32_e32 v33, -1.0, v31
	v_sub_f32_e32 v1, v1, v33
	v_add_f32_e32 v1, v27, v1
	v_add_f32_e32 v27, v31, v1
	v_rcp_f32_e32 v38, v27
	v_sub_f32_e32 v31, v31, v27
	v_add_f32_e32 v1, v1, v31
	v_add_f32_e32 v31, v30, v32
	v_sub_f32_e32 v30, v30, v31
	v_mul_f32_e32 v40, v31, v38
	v_add_f32_e32 v39, v32, v30
	v_mul_f32_e32 v32, v27, v40
	v_fma_f32 v34, v40, v27, -v32
	v_fmac_f32_e32 v34, v40, v1
	v_add_f32_e32 v30, v32, v34
	v_sub_f32_e32 v33, v31, v30
	v_pk_add_f32 v[36:37], v[30:31], v[32:33] neg_lo:[0,1] neg_hi:[0,1]
	v_mov_b32_e32 v35, v30
	v_pk_add_f32 v[30:31], v[36:37], v[34:35] neg_lo:[0,1] neg_hi:[0,1]
	v_cmp_eq_f32_e32 vcc, s3, v9
	v_add_f32_e32 v31, v39, v31
	v_add_f32_e32 v30, v30, v31
	;; [unrolled: 1-line block ×3, first 2 shown]
	v_mul_f32_e32 v39, v38, v31
	v_mul_f32_e32 v32, v27, v39
	v_fma_f32 v34, v39, v27, -v32
	v_fmac_f32_e32 v34, v39, v1
	v_sub_f32_e32 v1, v33, v31
	v_add_f32_e32 v1, v30, v1
	v_add_f32_e32 v30, v32, v34
	v_sub_f32_e32 v33, v31, v30
	v_pk_add_f32 v[36:37], v[30:31], v[32:33] neg_lo:[0,1] neg_hi:[0,1]
	v_mov_b32_e32 v35, v30
	v_pk_add_f32 v[30:31], v[36:37], v[34:35] neg_lo:[0,1] neg_hi:[0,1]
	v_add_f32_e32 v27, v40, v39
	v_add_f32_e32 v1, v1, v31
	;; [unrolled: 1-line block ×4, first 2 shown]
	v_sub_f32_e32 v30, v27, v40
	v_mul_f32_e32 v1, v38, v1
	v_sub_f32_e32 v30, v39, v30
	v_add_f32_e32 v1, v30, v1
	v_add_f32_e32 v30, v27, v1
	v_cvt_f32_i32_e32 v32, v29
	v_mul_f32_e32 v33, v30, v30
	v_mov_b32_e32 v31, 0x3ecc95a3
	v_fmac_f32_e32 v31, 0x3e9b6dac, v33
	v_fmaak_f32 v31, v33, v31, 0x3f2aaada
	v_sub_f32_e32 v27, v30, v27
	v_ldexp_f32 v35, v30, 1
	v_mul_f32_e32 v33, v30, v33
	v_mov_b32_e32 v30, 0x3f317218
	v_pk_mul_f32 v[30:31], v[32:33], v[30:31]
	v_sub_f32_e32 v1, v1, v27
	v_fma_f32 v27, v32, s2, -v30
	v_fmamk_f32 v34, v32, 0xb102e308, v27
	v_pk_add_f32 v[32:33], v[30:31], v[34:35]
	v_ldexp_f32 v1, v1, 1
	v_sub_f32_e32 v27, v33, v35
	v_sub_f32_e32 v27, v31, v27
	v_add_f32_e32 v37, v1, v27
	v_mov_b32_e32 v36, v30
	v_pk_add_f32 v[30:31], v[32:33], v[30:31] neg_lo:[0,1] neg_hi:[0,1]
	v_pk_add_f32 v[38:39], v[32:33], v[36:37]
	v_mov_b32_e32 v35, v32
	v_mov_b32_e32 v31, v39
	v_pk_add_f32 v[40:41], v[34:35], v[30:31] neg_lo:[0,1] neg_hi:[0,1]
	v_pk_add_f32 v[30:31], v[34:35], v[30:31]
	v_mov_b32_e32 v36, v37
	v_mov_b32_e32 v34, v31
	v_pk_add_f32 v[42:43], v[34:35], v[32:33] neg_lo:[0,1] neg_hi:[0,1]
	v_mov_b32_e32 v30, v39
	v_mov_b32_e32 v1, v42
	v_pk_add_f32 v[44:45], v[38:39], v[0:1] neg_lo:[0,1] neg_hi:[0,1]
	v_mov_b32_e32 v38, v33
	v_mov_b32_e32 v39, v42
	;; [unrolled: 1-line block ×3, first 2 shown]
	v_pk_add_f32 v[30:31], v[30:31], v[38:39] neg_lo:[0,1] neg_hi:[0,1]
	v_mov_b32_e32 v37, v32
	v_pk_add_f32 v[30:31], v[36:37], v[30:31] neg_lo:[0,1] neg_hi:[0,1]
	v_mov_b32_e32 v44, v40
	v_pk_add_f32 v[32:33], v[44:45], v[30:31]
	s_mov_b32 s2, 0x33800000
	v_mov_b32_e32 v36, v33
	v_pk_add_f32 v[36:37], v[32:33], v[36:37]
	v_cmp_lt_f32_e64 s[2:3], |v9|, s2
	v_pk_add_f32 v[34:35], v[34:35], v[36:37]
	v_mov_b32_e32 v31, v36
	v_mov_b32_e32 v33, v34
	v_pk_add_f32 v[38:39], v[32:33], v[40:41] neg_lo:[0,1] neg_hi:[0,1]
	s_or_b64 vcc, vcc, s[2:3]
	v_sub_f32_e32 v1, v32, v38
	v_pk_add_f32 v[30:31], v[30:31], v[38:39] neg_lo:[0,1] neg_hi:[0,1]
	v_sub_f32_e32 v1, v40, v1
	v_add_f32_e32 v1, v30, v1
	v_add_f32_e32 v1, v1, v31
	v_add_f32_e32 v1, v34, v1
	v_cndmask_b32_e32 v1, v1, v9, vcc
	v_add_f32_e32 v9, v0, v1
.LBB151_186:
	s_or_b64 exec, exec, s[0:1]
	v_add_u32_e32 v0, v26, v28
	s_waitcnt lgkmcnt(0)
	s_barrier
	ds_write_b128 v0, v[2:5]
	ds_write_b128 v0, v[22:25] offset:16
	ds_write_b128 v0, v[18:21] offset:32
	;; [unrolled: 1-line block ×5, first 2 shown]
	s_waitcnt lgkmcnt(0)
	s_barrier
	ds_read2st64_b32 v[22:23], v26 offset0:4 offset1:8
	ds_read2st64_b32 v[20:21], v26 offset0:12 offset1:16
	;; [unrolled: 1-line block ×11, first 2 shown]
	ds_read_b32 v24, v26 offset:23552
	v_mov_b32_e32 v27, 0
	v_lshl_add_u64 v[0:1], s[48:49], 0, v[26:27]
	s_mov_b64 s[0:1], exec
	v_readlane_b32 s2, v77, 0
	v_readlane_b32 s3, v77, 1
	s_and_b64 s[2:3], s[0:1], s[2:3]
	s_mov_b64 exec, s[2:3]
	s_cbranch_execz .LBB151_188
; %bb.187:
	ds_read_b32 v25, v26
	s_waitcnt lgkmcnt(0)
	global_store_dword v[0:1], v25, off
.LBB151_188:
	s_or_b64 exec, exec, s[0:1]
	s_mov_b64 s[0:1], exec
	v_readlane_b32 s2, v77, 2
	v_readlane_b32 s3, v77, 3
	s_and_b64 s[2:3], s[0:1], s[2:3]
	s_mov_b64 exec, s[2:3]
	s_cbranch_execz .LBB151_190
; %bb.189:
	s_waitcnt lgkmcnt(11)
	global_store_dword v[0:1], v22, off offset:1024
.LBB151_190:
	s_or_b64 exec, exec, s[0:1]
	s_mov_b64 s[0:1], exec
	v_readlane_b32 s2, v77, 4
	v_readlane_b32 s3, v77, 5
	s_and_b64 s[2:3], s[0:1], s[2:3]
	s_mov_b64 exec, s[2:3]
	s_cbranch_execz .LBB151_192
; %bb.191:
	s_waitcnt lgkmcnt(11)
	global_store_dword v[0:1], v23, off offset:2048
.LBB151_192:
	;; [unrolled: 11-line block ×3, first 2 shown]
	s_or_b64 exec, exec, s[0:1]
	s_mov_b64 s[0:1], exec
	v_readlane_b32 s2, v77, 8
	v_readlane_b32 s3, v77, 9
	s_and_b64 s[2:3], s[0:1], s[2:3]
	s_mov_b64 exec, s[2:3]
	s_cbranch_execnz .LBB151_215
; %bb.195:
	s_or_b64 exec, exec, s[0:1]
	s_and_saveexec_b64 s[0:1], s[8:9]
	s_cbranch_execnz .LBB151_216
.LBB151_196:
	s_or_b64 exec, exec, s[0:1]
	s_and_saveexec_b64 s[0:1], s[10:11]
	s_cbranch_execnz .LBB151_217
.LBB151_197:
	s_or_b64 exec, exec, s[0:1]
	s_and_saveexec_b64 s[0:1], s[12:13]
	s_cbranch_execnz .LBB151_218
.LBB151_198:
	s_or_b64 exec, exec, s[0:1]
	s_and_saveexec_b64 s[0:1], s[14:15]
	s_cbranch_execnz .LBB151_219
.LBB151_199:
	s_or_b64 exec, exec, s[0:1]
	s_and_saveexec_b64 s[0:1], s[16:17]
	s_cbranch_execnz .LBB151_220
.LBB151_200:
	s_or_b64 exec, exec, s[0:1]
	s_and_saveexec_b64 s[0:1], s[18:19]
	s_cbranch_execnz .LBB151_221
.LBB151_201:
	s_or_b64 exec, exec, s[0:1]
	s_and_saveexec_b64 s[0:1], s[20:21]
	s_cbranch_execnz .LBB151_222
.LBB151_202:
	s_or_b64 exec, exec, s[0:1]
	s_and_saveexec_b64 s[0:1], s[22:23]
	s_cbranch_execnz .LBB151_223
.LBB151_203:
	s_or_b64 exec, exec, s[0:1]
	s_and_saveexec_b64 s[0:1], s[24:25]
	s_cbranch_execnz .LBB151_224
.LBB151_204:
	s_or_b64 exec, exec, s[0:1]
	s_and_saveexec_b64 s[0:1], s[26:27]
	s_cbranch_execnz .LBB151_225
.LBB151_205:
	s_or_b64 exec, exec, s[0:1]
	s_and_saveexec_b64 s[0:1], s[28:29]
	s_cbranch_execnz .LBB151_226
.LBB151_206:
	s_or_b64 exec, exec, s[0:1]
	s_and_saveexec_b64 s[0:1], s[30:31]
	s_cbranch_execnz .LBB151_227
.LBB151_207:
	s_or_b64 exec, exec, s[0:1]
	s_and_saveexec_b64 s[0:1], s[34:35]
	s_cbranch_execnz .LBB151_228
.LBB151_208:
	s_or_b64 exec, exec, s[0:1]
	s_and_saveexec_b64 s[0:1], s[36:37]
	s_cbranch_execnz .LBB151_229
.LBB151_209:
	s_or_b64 exec, exec, s[0:1]
	s_and_saveexec_b64 s[0:1], s[38:39]
	s_cbranch_execnz .LBB151_230
.LBB151_210:
	s_or_b64 exec, exec, s[0:1]
	s_and_saveexec_b64 s[0:1], s[40:41]
	s_cbranch_execnz .LBB151_231
.LBB151_211:
	s_or_b64 exec, exec, s[0:1]
	s_and_saveexec_b64 s[0:1], s[42:43]
	s_cbranch_execnz .LBB151_232
.LBB151_212:
	s_or_b64 exec, exec, s[0:1]
	s_and_saveexec_b64 s[0:1], s[44:45]
	s_cbranch_execnz .LBB151_233
.LBB151_213:
	s_or_b64 exec, exec, s[0:1]
	s_and_saveexec_b64 s[0:1], s[46:47]
	s_cbranch_execnz .LBB151_234
.LBB151_214:
	s_endpgm
.LBB151_215:
	s_waitcnt lgkmcnt(11)
	v_add_co_u32_e32 v22, vcc, 0x1000, v0
	s_nop 1
	v_addc_co_u32_e32 v23, vcc, 0, v1, vcc
	s_waitcnt lgkmcnt(10)
	global_store_dword v[22:23], v21, off
	s_or_b64 exec, exec, s[0:1]
	s_and_saveexec_b64 s[0:1], s[8:9]
	s_cbranch_execz .LBB151_196
.LBB151_216:
	s_waitcnt lgkmcnt(10)
	v_add_co_u32_e32 v20, vcc, 0x1000, v0
	s_nop 1
	v_addc_co_u32_e32 v21, vcc, 0, v1, vcc
	s_waitcnt lgkmcnt(9)
	global_store_dword v[20:21], v18, off offset:1024
	s_or_b64 exec, exec, s[0:1]
	s_and_saveexec_b64 s[0:1], s[10:11]
	s_cbranch_execz .LBB151_197
.LBB151_217:
	s_waitcnt lgkmcnt(10)
	v_add_co_u32_e32 v20, vcc, 0x1000, v0
	s_nop 1
	v_addc_co_u32_e32 v21, vcc, 0, v1, vcc
	s_waitcnt lgkmcnt(9)
	global_store_dword v[20:21], v19, off offset:2048
	s_or_b64 exec, exec, s[0:1]
	s_and_saveexec_b64 s[0:1], s[12:13]
	s_cbranch_execz .LBB151_198
.LBB151_218:
	s_waitcnt lgkmcnt(9)
	v_add_co_u32_e32 v18, vcc, 0x1000, v0
	s_nop 1
	v_addc_co_u32_e32 v19, vcc, 0, v1, vcc
	s_waitcnt lgkmcnt(8)
	global_store_dword v[18:19], v16, off offset:3072
	s_or_b64 exec, exec, s[0:1]
	s_and_saveexec_b64 s[0:1], s[14:15]
	s_cbranch_execz .LBB151_199
.LBB151_219:
	s_waitcnt lgkmcnt(9)
	v_add_co_u32_e32 v18, vcc, 0x2000, v0
	s_nop 1
	v_addc_co_u32_e32 v19, vcc, 0, v1, vcc
	s_waitcnt lgkmcnt(8)
	global_store_dword v[18:19], v17, off
	s_or_b64 exec, exec, s[0:1]
	s_and_saveexec_b64 s[0:1], s[16:17]
	s_cbranch_execz .LBB151_200
.LBB151_220:
	s_waitcnt lgkmcnt(8)
	v_add_co_u32_e32 v16, vcc, 0x2000, v0
	s_nop 1
	v_addc_co_u32_e32 v17, vcc, 0, v1, vcc
	s_waitcnt lgkmcnt(7)
	global_store_dword v[16:17], v14, off offset:1024
	s_or_b64 exec, exec, s[0:1]
	s_and_saveexec_b64 s[0:1], s[18:19]
	s_cbranch_execz .LBB151_201
.LBB151_221:
	s_waitcnt lgkmcnt(8)
	v_add_co_u32_e32 v16, vcc, 0x2000, v0
	s_nop 1
	v_addc_co_u32_e32 v17, vcc, 0, v1, vcc
	s_waitcnt lgkmcnt(7)
	global_store_dword v[16:17], v15, off offset:2048
	s_or_b64 exec, exec, s[0:1]
	s_and_saveexec_b64 s[0:1], s[20:21]
	s_cbranch_execz .LBB151_202
.LBB151_222:
	s_waitcnt lgkmcnt(7)
	v_add_co_u32_e32 v14, vcc, 0x2000, v0
	s_nop 1
	v_addc_co_u32_e32 v15, vcc, 0, v1, vcc
	s_waitcnt lgkmcnt(6)
	global_store_dword v[14:15], v12, off offset:3072
	s_or_b64 exec, exec, s[0:1]
	s_and_saveexec_b64 s[0:1], s[22:23]
	s_cbranch_execz .LBB151_203
.LBB151_223:
	s_waitcnt lgkmcnt(7)
	v_add_co_u32_e32 v14, vcc, 0x3000, v0
	s_nop 1
	v_addc_co_u32_e32 v15, vcc, 0, v1, vcc
	s_waitcnt lgkmcnt(6)
	global_store_dword v[14:15], v13, off
	s_or_b64 exec, exec, s[0:1]
	s_and_saveexec_b64 s[0:1], s[24:25]
	s_cbranch_execz .LBB151_204
.LBB151_224:
	s_waitcnt lgkmcnt(6)
	v_add_co_u32_e32 v12, vcc, 0x3000, v0
	s_nop 1
	v_addc_co_u32_e32 v13, vcc, 0, v1, vcc
	s_waitcnt lgkmcnt(5)
	global_store_dword v[12:13], v10, off offset:1024
	s_or_b64 exec, exec, s[0:1]
	s_and_saveexec_b64 s[0:1], s[26:27]
	s_cbranch_execz .LBB151_205
.LBB151_225:
	s_waitcnt lgkmcnt(6)
	v_add_co_u32_e32 v12, vcc, 0x3000, v0
	s_nop 1
	v_addc_co_u32_e32 v13, vcc, 0, v1, vcc
	s_waitcnt lgkmcnt(5)
	global_store_dword v[12:13], v11, off offset:2048
	s_or_b64 exec, exec, s[0:1]
	s_and_saveexec_b64 s[0:1], s[28:29]
	s_cbranch_execz .LBB151_206
.LBB151_226:
	s_waitcnt lgkmcnt(5)
	v_add_co_u32_e32 v10, vcc, 0x3000, v0
	s_nop 1
	v_addc_co_u32_e32 v11, vcc, 0, v1, vcc
	s_waitcnt lgkmcnt(4)
	global_store_dword v[10:11], v8, off offset:3072
	s_or_b64 exec, exec, s[0:1]
	s_and_saveexec_b64 s[0:1], s[30:31]
	s_cbranch_execz .LBB151_207
.LBB151_227:
	s_waitcnt lgkmcnt(5)
	v_add_co_u32_e32 v10, vcc, 0x4000, v0
	s_nop 1
	v_addc_co_u32_e32 v11, vcc, 0, v1, vcc
	s_waitcnt lgkmcnt(4)
	global_store_dword v[10:11], v9, off
	s_or_b64 exec, exec, s[0:1]
	s_and_saveexec_b64 s[0:1], s[34:35]
	s_cbranch_execz .LBB151_208
.LBB151_228:
	s_waitcnt lgkmcnt(4)
	v_add_co_u32_e32 v8, vcc, 0x4000, v0
	s_nop 1
	v_addc_co_u32_e32 v9, vcc, 0, v1, vcc
	s_waitcnt lgkmcnt(3)
	global_store_dword v[8:9], v6, off offset:1024
	s_or_b64 exec, exec, s[0:1]
	s_and_saveexec_b64 s[0:1], s[36:37]
	s_cbranch_execz .LBB151_209
.LBB151_229:
	s_waitcnt lgkmcnt(4)
	v_add_co_u32_e32 v8, vcc, 0x4000, v0
	s_nop 1
	v_addc_co_u32_e32 v9, vcc, 0, v1, vcc
	s_waitcnt lgkmcnt(3)
	global_store_dword v[8:9], v7, off offset:2048
	s_or_b64 exec, exec, s[0:1]
	s_and_saveexec_b64 s[0:1], s[38:39]
	s_cbranch_execz .LBB151_210
.LBB151_230:
	s_waitcnt lgkmcnt(3)
	v_add_co_u32_e32 v6, vcc, 0x4000, v0
	s_nop 1
	v_addc_co_u32_e32 v7, vcc, 0, v1, vcc
	s_waitcnt lgkmcnt(2)
	global_store_dword v[6:7], v4, off offset:3072
	s_or_b64 exec, exec, s[0:1]
	s_and_saveexec_b64 s[0:1], s[40:41]
	s_cbranch_execz .LBB151_211
.LBB151_231:
	s_waitcnt lgkmcnt(3)
	v_add_co_u32_e32 v6, vcc, 0x5000, v0
	s_nop 1
	v_addc_co_u32_e32 v7, vcc, 0, v1, vcc
	s_waitcnt lgkmcnt(2)
	global_store_dword v[6:7], v5, off
	s_or_b64 exec, exec, s[0:1]
	s_and_saveexec_b64 s[0:1], s[42:43]
	s_cbranch_execz .LBB151_212
.LBB151_232:
	s_waitcnt lgkmcnt(2)
	v_add_co_u32_e32 v4, vcc, 0x5000, v0
	s_nop 1
	v_addc_co_u32_e32 v5, vcc, 0, v1, vcc
	s_waitcnt lgkmcnt(1)
	global_store_dword v[4:5], v2, off offset:1024
	s_or_b64 exec, exec, s[0:1]
	s_and_saveexec_b64 s[0:1], s[44:45]
	s_cbranch_execz .LBB151_213
.LBB151_233:
	s_waitcnt lgkmcnt(2)
	v_add_co_u32_e32 v4, vcc, 0x5000, v0
	s_nop 1
	v_addc_co_u32_e32 v5, vcc, 0, v1, vcc
	s_waitcnt lgkmcnt(1)
	global_store_dword v[4:5], v3, off offset:2048
	s_or_b64 exec, exec, s[0:1]
	s_and_saveexec_b64 s[0:1], s[46:47]
	s_cbranch_execz .LBB151_214
.LBB151_234:
	v_add_co_u32_e32 v0, vcc, 0x5000, v0
	s_nop 1
	v_addc_co_u32_e32 v1, vcc, 0, v1, vcc
	s_waitcnt lgkmcnt(0)
	global_store_dword v[0:1], v24, off offset:3072
	s_endpgm
	.section	.rodata,"a",@progbits
	.p2align	6, 0x0
	.amdhsa_kernel _ZN7rocprim17ROCPRIM_400000_NS6detail17trampoline_kernelINS0_14default_configENS1_20scan_config_selectorIfEEZZNS1_9scan_implILNS1_25lookback_scan_determinismE0ELb0ELb0ES3_PKfPffZZZN2at6native31launch_logcumsumexp_cuda_kernelERKNSB_10TensorBaseESF_lENKUlvE_clEvENKUlvE0_clEvEUlffE_fEEDaPvRmT3_T4_T5_mT6_P12ihipStream_tbENKUlT_T0_E_clISt17integral_constantIbLb1EESV_IbLb0EEEEDaSR_SS_EUlSR_E0_NS1_11comp_targetILNS1_3genE5ELNS1_11target_archE942ELNS1_3gpuE9ELNS1_3repE0EEENS1_30default_config_static_selectorELNS0_4arch9wavefront6targetE1EEEvT1_
		.amdhsa_group_segment_fixed_size 24576
		.amdhsa_private_segment_fixed_size 0
		.amdhsa_kernarg_size 32
		.amdhsa_user_sgpr_count 2
		.amdhsa_user_sgpr_dispatch_ptr 0
		.amdhsa_user_sgpr_queue_ptr 0
		.amdhsa_user_sgpr_kernarg_segment_ptr 1
		.amdhsa_user_sgpr_dispatch_id 0
		.amdhsa_user_sgpr_kernarg_preload_length 0
		.amdhsa_user_sgpr_kernarg_preload_offset 0
		.amdhsa_user_sgpr_private_segment_size 0
		.amdhsa_uses_dynamic_stack 0
		.amdhsa_enable_private_segment 0
		.amdhsa_system_sgpr_workgroup_id_x 1
		.amdhsa_system_sgpr_workgroup_id_y 0
		.amdhsa_system_sgpr_workgroup_id_z 0
		.amdhsa_system_sgpr_workgroup_info 0
		.amdhsa_system_vgpr_workitem_id 0
		.amdhsa_next_free_vgpr 78
		.amdhsa_next_free_sgpr 100
		.amdhsa_accum_offset 80
		.amdhsa_reserve_vcc 1
		.amdhsa_float_round_mode_32 0
		.amdhsa_float_round_mode_16_64 0
		.amdhsa_float_denorm_mode_32 3
		.amdhsa_float_denorm_mode_16_64 3
		.amdhsa_dx10_clamp 1
		.amdhsa_ieee_mode 1
		.amdhsa_fp16_overflow 0
		.amdhsa_tg_split 0
		.amdhsa_exception_fp_ieee_invalid_op 0
		.amdhsa_exception_fp_denorm_src 0
		.amdhsa_exception_fp_ieee_div_zero 0
		.amdhsa_exception_fp_ieee_overflow 0
		.amdhsa_exception_fp_ieee_underflow 0
		.amdhsa_exception_fp_ieee_inexact 0
		.amdhsa_exception_int_div_zero 0
	.end_amdhsa_kernel
	.section	.text._ZN7rocprim17ROCPRIM_400000_NS6detail17trampoline_kernelINS0_14default_configENS1_20scan_config_selectorIfEEZZNS1_9scan_implILNS1_25lookback_scan_determinismE0ELb0ELb0ES3_PKfPffZZZN2at6native31launch_logcumsumexp_cuda_kernelERKNSB_10TensorBaseESF_lENKUlvE_clEvENKUlvE0_clEvEUlffE_fEEDaPvRmT3_T4_T5_mT6_P12ihipStream_tbENKUlT_T0_E_clISt17integral_constantIbLb1EESV_IbLb0EEEEDaSR_SS_EUlSR_E0_NS1_11comp_targetILNS1_3genE5ELNS1_11target_archE942ELNS1_3gpuE9ELNS1_3repE0EEENS1_30default_config_static_selectorELNS0_4arch9wavefront6targetE1EEEvT1_,"axG",@progbits,_ZN7rocprim17ROCPRIM_400000_NS6detail17trampoline_kernelINS0_14default_configENS1_20scan_config_selectorIfEEZZNS1_9scan_implILNS1_25lookback_scan_determinismE0ELb0ELb0ES3_PKfPffZZZN2at6native31launch_logcumsumexp_cuda_kernelERKNSB_10TensorBaseESF_lENKUlvE_clEvENKUlvE0_clEvEUlffE_fEEDaPvRmT3_T4_T5_mT6_P12ihipStream_tbENKUlT_T0_E_clISt17integral_constantIbLb1EESV_IbLb0EEEEDaSR_SS_EUlSR_E0_NS1_11comp_targetILNS1_3genE5ELNS1_11target_archE942ELNS1_3gpuE9ELNS1_3repE0EEENS1_30default_config_static_selectorELNS0_4arch9wavefront6targetE1EEEvT1_,comdat
.Lfunc_end151:
	.size	_ZN7rocprim17ROCPRIM_400000_NS6detail17trampoline_kernelINS0_14default_configENS1_20scan_config_selectorIfEEZZNS1_9scan_implILNS1_25lookback_scan_determinismE0ELb0ELb0ES3_PKfPffZZZN2at6native31launch_logcumsumexp_cuda_kernelERKNSB_10TensorBaseESF_lENKUlvE_clEvENKUlvE0_clEvEUlffE_fEEDaPvRmT3_T4_T5_mT6_P12ihipStream_tbENKUlT_T0_E_clISt17integral_constantIbLb1EESV_IbLb0EEEEDaSR_SS_EUlSR_E0_NS1_11comp_targetILNS1_3genE5ELNS1_11target_archE942ELNS1_3gpuE9ELNS1_3repE0EEENS1_30default_config_static_selectorELNS0_4arch9wavefront6targetE1EEEvT1_, .Lfunc_end151-_ZN7rocprim17ROCPRIM_400000_NS6detail17trampoline_kernelINS0_14default_configENS1_20scan_config_selectorIfEEZZNS1_9scan_implILNS1_25lookback_scan_determinismE0ELb0ELb0ES3_PKfPffZZZN2at6native31launch_logcumsumexp_cuda_kernelERKNSB_10TensorBaseESF_lENKUlvE_clEvENKUlvE0_clEvEUlffE_fEEDaPvRmT3_T4_T5_mT6_P12ihipStream_tbENKUlT_T0_E_clISt17integral_constantIbLb1EESV_IbLb0EEEEDaSR_SS_EUlSR_E0_NS1_11comp_targetILNS1_3genE5ELNS1_11target_archE942ELNS1_3gpuE9ELNS1_3repE0EEENS1_30default_config_static_selectorELNS0_4arch9wavefront6targetE1EEEvT1_
                                        ; -- End function
	.section	.AMDGPU.csdata,"",@progbits
; Kernel info:
; codeLenInByte = 53584
; NumSgprs: 106
; NumVgprs: 78
; NumAgprs: 0
; TotalNumVgprs: 78
; ScratchSize: 0
; MemoryBound: 0
; FloatMode: 240
; IeeeMode: 1
; LDSByteSize: 24576 bytes/workgroup (compile time only)
; SGPRBlocks: 13
; VGPRBlocks: 9
; NumSGPRsForWavesPerEU: 106
; NumVGPRsForWavesPerEU: 78
; AccumOffset: 80
; Occupancy: 2
; WaveLimiterHint : 0
; COMPUTE_PGM_RSRC2:SCRATCH_EN: 0
; COMPUTE_PGM_RSRC2:USER_SGPR: 2
; COMPUTE_PGM_RSRC2:TRAP_HANDLER: 0
; COMPUTE_PGM_RSRC2:TGID_X_EN: 1
; COMPUTE_PGM_RSRC2:TGID_Y_EN: 0
; COMPUTE_PGM_RSRC2:TGID_Z_EN: 0
; COMPUTE_PGM_RSRC2:TIDIG_COMP_CNT: 0
; COMPUTE_PGM_RSRC3_GFX90A:ACCUM_OFFSET: 19
; COMPUTE_PGM_RSRC3_GFX90A:TG_SPLIT: 0
	.section	.text._ZN7rocprim17ROCPRIM_400000_NS6detail17trampoline_kernelINS0_14default_configENS1_20scan_config_selectorIfEEZZNS1_9scan_implILNS1_25lookback_scan_determinismE0ELb0ELb0ES3_PKfPffZZZN2at6native31launch_logcumsumexp_cuda_kernelERKNSB_10TensorBaseESF_lENKUlvE_clEvENKUlvE0_clEvEUlffE_fEEDaPvRmT3_T4_T5_mT6_P12ihipStream_tbENKUlT_T0_E_clISt17integral_constantIbLb1EESV_IbLb0EEEEDaSR_SS_EUlSR_E0_NS1_11comp_targetILNS1_3genE4ELNS1_11target_archE910ELNS1_3gpuE8ELNS1_3repE0EEENS1_30default_config_static_selectorELNS0_4arch9wavefront6targetE1EEEvT1_,"axG",@progbits,_ZN7rocprim17ROCPRIM_400000_NS6detail17trampoline_kernelINS0_14default_configENS1_20scan_config_selectorIfEEZZNS1_9scan_implILNS1_25lookback_scan_determinismE0ELb0ELb0ES3_PKfPffZZZN2at6native31launch_logcumsumexp_cuda_kernelERKNSB_10TensorBaseESF_lENKUlvE_clEvENKUlvE0_clEvEUlffE_fEEDaPvRmT3_T4_T5_mT6_P12ihipStream_tbENKUlT_T0_E_clISt17integral_constantIbLb1EESV_IbLb0EEEEDaSR_SS_EUlSR_E0_NS1_11comp_targetILNS1_3genE4ELNS1_11target_archE910ELNS1_3gpuE8ELNS1_3repE0EEENS1_30default_config_static_selectorELNS0_4arch9wavefront6targetE1EEEvT1_,comdat
	.globl	_ZN7rocprim17ROCPRIM_400000_NS6detail17trampoline_kernelINS0_14default_configENS1_20scan_config_selectorIfEEZZNS1_9scan_implILNS1_25lookback_scan_determinismE0ELb0ELb0ES3_PKfPffZZZN2at6native31launch_logcumsumexp_cuda_kernelERKNSB_10TensorBaseESF_lENKUlvE_clEvENKUlvE0_clEvEUlffE_fEEDaPvRmT3_T4_T5_mT6_P12ihipStream_tbENKUlT_T0_E_clISt17integral_constantIbLb1EESV_IbLb0EEEEDaSR_SS_EUlSR_E0_NS1_11comp_targetILNS1_3genE4ELNS1_11target_archE910ELNS1_3gpuE8ELNS1_3repE0EEENS1_30default_config_static_selectorELNS0_4arch9wavefront6targetE1EEEvT1_ ; -- Begin function _ZN7rocprim17ROCPRIM_400000_NS6detail17trampoline_kernelINS0_14default_configENS1_20scan_config_selectorIfEEZZNS1_9scan_implILNS1_25lookback_scan_determinismE0ELb0ELb0ES3_PKfPffZZZN2at6native31launch_logcumsumexp_cuda_kernelERKNSB_10TensorBaseESF_lENKUlvE_clEvENKUlvE0_clEvEUlffE_fEEDaPvRmT3_T4_T5_mT6_P12ihipStream_tbENKUlT_T0_E_clISt17integral_constantIbLb1EESV_IbLb0EEEEDaSR_SS_EUlSR_E0_NS1_11comp_targetILNS1_3genE4ELNS1_11target_archE910ELNS1_3gpuE8ELNS1_3repE0EEENS1_30default_config_static_selectorELNS0_4arch9wavefront6targetE1EEEvT1_
	.p2align	8
	.type	_ZN7rocprim17ROCPRIM_400000_NS6detail17trampoline_kernelINS0_14default_configENS1_20scan_config_selectorIfEEZZNS1_9scan_implILNS1_25lookback_scan_determinismE0ELb0ELb0ES3_PKfPffZZZN2at6native31launch_logcumsumexp_cuda_kernelERKNSB_10TensorBaseESF_lENKUlvE_clEvENKUlvE0_clEvEUlffE_fEEDaPvRmT3_T4_T5_mT6_P12ihipStream_tbENKUlT_T0_E_clISt17integral_constantIbLb1EESV_IbLb0EEEEDaSR_SS_EUlSR_E0_NS1_11comp_targetILNS1_3genE4ELNS1_11target_archE910ELNS1_3gpuE8ELNS1_3repE0EEENS1_30default_config_static_selectorELNS0_4arch9wavefront6targetE1EEEvT1_,@function
_ZN7rocprim17ROCPRIM_400000_NS6detail17trampoline_kernelINS0_14default_configENS1_20scan_config_selectorIfEEZZNS1_9scan_implILNS1_25lookback_scan_determinismE0ELb0ELb0ES3_PKfPffZZZN2at6native31launch_logcumsumexp_cuda_kernelERKNSB_10TensorBaseESF_lENKUlvE_clEvENKUlvE0_clEvEUlffE_fEEDaPvRmT3_T4_T5_mT6_P12ihipStream_tbENKUlT_T0_E_clISt17integral_constantIbLb1EESV_IbLb0EEEEDaSR_SS_EUlSR_E0_NS1_11comp_targetILNS1_3genE4ELNS1_11target_archE910ELNS1_3gpuE8ELNS1_3repE0EEENS1_30default_config_static_selectorELNS0_4arch9wavefront6targetE1EEEvT1_: ; @_ZN7rocprim17ROCPRIM_400000_NS6detail17trampoline_kernelINS0_14default_configENS1_20scan_config_selectorIfEEZZNS1_9scan_implILNS1_25lookback_scan_determinismE0ELb0ELb0ES3_PKfPffZZZN2at6native31launch_logcumsumexp_cuda_kernelERKNSB_10TensorBaseESF_lENKUlvE_clEvENKUlvE0_clEvEUlffE_fEEDaPvRmT3_T4_T5_mT6_P12ihipStream_tbENKUlT_T0_E_clISt17integral_constantIbLb1EESV_IbLb0EEEEDaSR_SS_EUlSR_E0_NS1_11comp_targetILNS1_3genE4ELNS1_11target_archE910ELNS1_3gpuE8ELNS1_3repE0EEENS1_30default_config_static_selectorELNS0_4arch9wavefront6targetE1EEEvT1_
; %bb.0:
	.section	.rodata,"a",@progbits
	.p2align	6, 0x0
	.amdhsa_kernel _ZN7rocprim17ROCPRIM_400000_NS6detail17trampoline_kernelINS0_14default_configENS1_20scan_config_selectorIfEEZZNS1_9scan_implILNS1_25lookback_scan_determinismE0ELb0ELb0ES3_PKfPffZZZN2at6native31launch_logcumsumexp_cuda_kernelERKNSB_10TensorBaseESF_lENKUlvE_clEvENKUlvE0_clEvEUlffE_fEEDaPvRmT3_T4_T5_mT6_P12ihipStream_tbENKUlT_T0_E_clISt17integral_constantIbLb1EESV_IbLb0EEEEDaSR_SS_EUlSR_E0_NS1_11comp_targetILNS1_3genE4ELNS1_11target_archE910ELNS1_3gpuE8ELNS1_3repE0EEENS1_30default_config_static_selectorELNS0_4arch9wavefront6targetE1EEEvT1_
		.amdhsa_group_segment_fixed_size 0
		.amdhsa_private_segment_fixed_size 0
		.amdhsa_kernarg_size 32
		.amdhsa_user_sgpr_count 2
		.amdhsa_user_sgpr_dispatch_ptr 0
		.amdhsa_user_sgpr_queue_ptr 0
		.amdhsa_user_sgpr_kernarg_segment_ptr 1
		.amdhsa_user_sgpr_dispatch_id 0
		.amdhsa_user_sgpr_kernarg_preload_length 0
		.amdhsa_user_sgpr_kernarg_preload_offset 0
		.amdhsa_user_sgpr_private_segment_size 0
		.amdhsa_uses_dynamic_stack 0
		.amdhsa_enable_private_segment 0
		.amdhsa_system_sgpr_workgroup_id_x 1
		.amdhsa_system_sgpr_workgroup_id_y 0
		.amdhsa_system_sgpr_workgroup_id_z 0
		.amdhsa_system_sgpr_workgroup_info 0
		.amdhsa_system_vgpr_workitem_id 0
		.amdhsa_next_free_vgpr 1
		.amdhsa_next_free_sgpr 0
		.amdhsa_accum_offset 4
		.amdhsa_reserve_vcc 0
		.amdhsa_float_round_mode_32 0
		.amdhsa_float_round_mode_16_64 0
		.amdhsa_float_denorm_mode_32 3
		.amdhsa_float_denorm_mode_16_64 3
		.amdhsa_dx10_clamp 1
		.amdhsa_ieee_mode 1
		.amdhsa_fp16_overflow 0
		.amdhsa_tg_split 0
		.amdhsa_exception_fp_ieee_invalid_op 0
		.amdhsa_exception_fp_denorm_src 0
		.amdhsa_exception_fp_ieee_div_zero 0
		.amdhsa_exception_fp_ieee_overflow 0
		.amdhsa_exception_fp_ieee_underflow 0
		.amdhsa_exception_fp_ieee_inexact 0
		.amdhsa_exception_int_div_zero 0
	.end_amdhsa_kernel
	.section	.text._ZN7rocprim17ROCPRIM_400000_NS6detail17trampoline_kernelINS0_14default_configENS1_20scan_config_selectorIfEEZZNS1_9scan_implILNS1_25lookback_scan_determinismE0ELb0ELb0ES3_PKfPffZZZN2at6native31launch_logcumsumexp_cuda_kernelERKNSB_10TensorBaseESF_lENKUlvE_clEvENKUlvE0_clEvEUlffE_fEEDaPvRmT3_T4_T5_mT6_P12ihipStream_tbENKUlT_T0_E_clISt17integral_constantIbLb1EESV_IbLb0EEEEDaSR_SS_EUlSR_E0_NS1_11comp_targetILNS1_3genE4ELNS1_11target_archE910ELNS1_3gpuE8ELNS1_3repE0EEENS1_30default_config_static_selectorELNS0_4arch9wavefront6targetE1EEEvT1_,"axG",@progbits,_ZN7rocprim17ROCPRIM_400000_NS6detail17trampoline_kernelINS0_14default_configENS1_20scan_config_selectorIfEEZZNS1_9scan_implILNS1_25lookback_scan_determinismE0ELb0ELb0ES3_PKfPffZZZN2at6native31launch_logcumsumexp_cuda_kernelERKNSB_10TensorBaseESF_lENKUlvE_clEvENKUlvE0_clEvEUlffE_fEEDaPvRmT3_T4_T5_mT6_P12ihipStream_tbENKUlT_T0_E_clISt17integral_constantIbLb1EESV_IbLb0EEEEDaSR_SS_EUlSR_E0_NS1_11comp_targetILNS1_3genE4ELNS1_11target_archE910ELNS1_3gpuE8ELNS1_3repE0EEENS1_30default_config_static_selectorELNS0_4arch9wavefront6targetE1EEEvT1_,comdat
.Lfunc_end152:
	.size	_ZN7rocprim17ROCPRIM_400000_NS6detail17trampoline_kernelINS0_14default_configENS1_20scan_config_selectorIfEEZZNS1_9scan_implILNS1_25lookback_scan_determinismE0ELb0ELb0ES3_PKfPffZZZN2at6native31launch_logcumsumexp_cuda_kernelERKNSB_10TensorBaseESF_lENKUlvE_clEvENKUlvE0_clEvEUlffE_fEEDaPvRmT3_T4_T5_mT6_P12ihipStream_tbENKUlT_T0_E_clISt17integral_constantIbLb1EESV_IbLb0EEEEDaSR_SS_EUlSR_E0_NS1_11comp_targetILNS1_3genE4ELNS1_11target_archE910ELNS1_3gpuE8ELNS1_3repE0EEENS1_30default_config_static_selectorELNS0_4arch9wavefront6targetE1EEEvT1_, .Lfunc_end152-_ZN7rocprim17ROCPRIM_400000_NS6detail17trampoline_kernelINS0_14default_configENS1_20scan_config_selectorIfEEZZNS1_9scan_implILNS1_25lookback_scan_determinismE0ELb0ELb0ES3_PKfPffZZZN2at6native31launch_logcumsumexp_cuda_kernelERKNSB_10TensorBaseESF_lENKUlvE_clEvENKUlvE0_clEvEUlffE_fEEDaPvRmT3_T4_T5_mT6_P12ihipStream_tbENKUlT_T0_E_clISt17integral_constantIbLb1EESV_IbLb0EEEEDaSR_SS_EUlSR_E0_NS1_11comp_targetILNS1_3genE4ELNS1_11target_archE910ELNS1_3gpuE8ELNS1_3repE0EEENS1_30default_config_static_selectorELNS0_4arch9wavefront6targetE1EEEvT1_
                                        ; -- End function
	.section	.AMDGPU.csdata,"",@progbits
; Kernel info:
; codeLenInByte = 0
; NumSgprs: 6
; NumVgprs: 0
; NumAgprs: 0
; TotalNumVgprs: 0
; ScratchSize: 0
; MemoryBound: 0
; FloatMode: 240
; IeeeMode: 1
; LDSByteSize: 0 bytes/workgroup (compile time only)
; SGPRBlocks: 0
; VGPRBlocks: 0
; NumSGPRsForWavesPerEU: 6
; NumVGPRsForWavesPerEU: 1
; AccumOffset: 4
; Occupancy: 8
; WaveLimiterHint : 0
; COMPUTE_PGM_RSRC2:SCRATCH_EN: 0
; COMPUTE_PGM_RSRC2:USER_SGPR: 2
; COMPUTE_PGM_RSRC2:TRAP_HANDLER: 0
; COMPUTE_PGM_RSRC2:TGID_X_EN: 1
; COMPUTE_PGM_RSRC2:TGID_Y_EN: 0
; COMPUTE_PGM_RSRC2:TGID_Z_EN: 0
; COMPUTE_PGM_RSRC2:TIDIG_COMP_CNT: 0
; COMPUTE_PGM_RSRC3_GFX90A:ACCUM_OFFSET: 0
; COMPUTE_PGM_RSRC3_GFX90A:TG_SPLIT: 0
	.section	.text._ZN7rocprim17ROCPRIM_400000_NS6detail17trampoline_kernelINS0_14default_configENS1_20scan_config_selectorIfEEZZNS1_9scan_implILNS1_25lookback_scan_determinismE0ELb0ELb0ES3_PKfPffZZZN2at6native31launch_logcumsumexp_cuda_kernelERKNSB_10TensorBaseESF_lENKUlvE_clEvENKUlvE0_clEvEUlffE_fEEDaPvRmT3_T4_T5_mT6_P12ihipStream_tbENKUlT_T0_E_clISt17integral_constantIbLb1EESV_IbLb0EEEEDaSR_SS_EUlSR_E0_NS1_11comp_targetILNS1_3genE3ELNS1_11target_archE908ELNS1_3gpuE7ELNS1_3repE0EEENS1_30default_config_static_selectorELNS0_4arch9wavefront6targetE1EEEvT1_,"axG",@progbits,_ZN7rocprim17ROCPRIM_400000_NS6detail17trampoline_kernelINS0_14default_configENS1_20scan_config_selectorIfEEZZNS1_9scan_implILNS1_25lookback_scan_determinismE0ELb0ELb0ES3_PKfPffZZZN2at6native31launch_logcumsumexp_cuda_kernelERKNSB_10TensorBaseESF_lENKUlvE_clEvENKUlvE0_clEvEUlffE_fEEDaPvRmT3_T4_T5_mT6_P12ihipStream_tbENKUlT_T0_E_clISt17integral_constantIbLb1EESV_IbLb0EEEEDaSR_SS_EUlSR_E0_NS1_11comp_targetILNS1_3genE3ELNS1_11target_archE908ELNS1_3gpuE7ELNS1_3repE0EEENS1_30default_config_static_selectorELNS0_4arch9wavefront6targetE1EEEvT1_,comdat
	.globl	_ZN7rocprim17ROCPRIM_400000_NS6detail17trampoline_kernelINS0_14default_configENS1_20scan_config_selectorIfEEZZNS1_9scan_implILNS1_25lookback_scan_determinismE0ELb0ELb0ES3_PKfPffZZZN2at6native31launch_logcumsumexp_cuda_kernelERKNSB_10TensorBaseESF_lENKUlvE_clEvENKUlvE0_clEvEUlffE_fEEDaPvRmT3_T4_T5_mT6_P12ihipStream_tbENKUlT_T0_E_clISt17integral_constantIbLb1EESV_IbLb0EEEEDaSR_SS_EUlSR_E0_NS1_11comp_targetILNS1_3genE3ELNS1_11target_archE908ELNS1_3gpuE7ELNS1_3repE0EEENS1_30default_config_static_selectorELNS0_4arch9wavefront6targetE1EEEvT1_ ; -- Begin function _ZN7rocprim17ROCPRIM_400000_NS6detail17trampoline_kernelINS0_14default_configENS1_20scan_config_selectorIfEEZZNS1_9scan_implILNS1_25lookback_scan_determinismE0ELb0ELb0ES3_PKfPffZZZN2at6native31launch_logcumsumexp_cuda_kernelERKNSB_10TensorBaseESF_lENKUlvE_clEvENKUlvE0_clEvEUlffE_fEEDaPvRmT3_T4_T5_mT6_P12ihipStream_tbENKUlT_T0_E_clISt17integral_constantIbLb1EESV_IbLb0EEEEDaSR_SS_EUlSR_E0_NS1_11comp_targetILNS1_3genE3ELNS1_11target_archE908ELNS1_3gpuE7ELNS1_3repE0EEENS1_30default_config_static_selectorELNS0_4arch9wavefront6targetE1EEEvT1_
	.p2align	8
	.type	_ZN7rocprim17ROCPRIM_400000_NS6detail17trampoline_kernelINS0_14default_configENS1_20scan_config_selectorIfEEZZNS1_9scan_implILNS1_25lookback_scan_determinismE0ELb0ELb0ES3_PKfPffZZZN2at6native31launch_logcumsumexp_cuda_kernelERKNSB_10TensorBaseESF_lENKUlvE_clEvENKUlvE0_clEvEUlffE_fEEDaPvRmT3_T4_T5_mT6_P12ihipStream_tbENKUlT_T0_E_clISt17integral_constantIbLb1EESV_IbLb0EEEEDaSR_SS_EUlSR_E0_NS1_11comp_targetILNS1_3genE3ELNS1_11target_archE908ELNS1_3gpuE7ELNS1_3repE0EEENS1_30default_config_static_selectorELNS0_4arch9wavefront6targetE1EEEvT1_,@function
_ZN7rocprim17ROCPRIM_400000_NS6detail17trampoline_kernelINS0_14default_configENS1_20scan_config_selectorIfEEZZNS1_9scan_implILNS1_25lookback_scan_determinismE0ELb0ELb0ES3_PKfPffZZZN2at6native31launch_logcumsumexp_cuda_kernelERKNSB_10TensorBaseESF_lENKUlvE_clEvENKUlvE0_clEvEUlffE_fEEDaPvRmT3_T4_T5_mT6_P12ihipStream_tbENKUlT_T0_E_clISt17integral_constantIbLb1EESV_IbLb0EEEEDaSR_SS_EUlSR_E0_NS1_11comp_targetILNS1_3genE3ELNS1_11target_archE908ELNS1_3gpuE7ELNS1_3repE0EEENS1_30default_config_static_selectorELNS0_4arch9wavefront6targetE1EEEvT1_: ; @_ZN7rocprim17ROCPRIM_400000_NS6detail17trampoline_kernelINS0_14default_configENS1_20scan_config_selectorIfEEZZNS1_9scan_implILNS1_25lookback_scan_determinismE0ELb0ELb0ES3_PKfPffZZZN2at6native31launch_logcumsumexp_cuda_kernelERKNSB_10TensorBaseESF_lENKUlvE_clEvENKUlvE0_clEvEUlffE_fEEDaPvRmT3_T4_T5_mT6_P12ihipStream_tbENKUlT_T0_E_clISt17integral_constantIbLb1EESV_IbLb0EEEEDaSR_SS_EUlSR_E0_NS1_11comp_targetILNS1_3genE3ELNS1_11target_archE908ELNS1_3gpuE7ELNS1_3repE0EEENS1_30default_config_static_selectorELNS0_4arch9wavefront6targetE1EEEvT1_
; %bb.0:
	.section	.rodata,"a",@progbits
	.p2align	6, 0x0
	.amdhsa_kernel _ZN7rocprim17ROCPRIM_400000_NS6detail17trampoline_kernelINS0_14default_configENS1_20scan_config_selectorIfEEZZNS1_9scan_implILNS1_25lookback_scan_determinismE0ELb0ELb0ES3_PKfPffZZZN2at6native31launch_logcumsumexp_cuda_kernelERKNSB_10TensorBaseESF_lENKUlvE_clEvENKUlvE0_clEvEUlffE_fEEDaPvRmT3_T4_T5_mT6_P12ihipStream_tbENKUlT_T0_E_clISt17integral_constantIbLb1EESV_IbLb0EEEEDaSR_SS_EUlSR_E0_NS1_11comp_targetILNS1_3genE3ELNS1_11target_archE908ELNS1_3gpuE7ELNS1_3repE0EEENS1_30default_config_static_selectorELNS0_4arch9wavefront6targetE1EEEvT1_
		.amdhsa_group_segment_fixed_size 0
		.amdhsa_private_segment_fixed_size 0
		.amdhsa_kernarg_size 32
		.amdhsa_user_sgpr_count 2
		.amdhsa_user_sgpr_dispatch_ptr 0
		.amdhsa_user_sgpr_queue_ptr 0
		.amdhsa_user_sgpr_kernarg_segment_ptr 1
		.amdhsa_user_sgpr_dispatch_id 0
		.amdhsa_user_sgpr_kernarg_preload_length 0
		.amdhsa_user_sgpr_kernarg_preload_offset 0
		.amdhsa_user_sgpr_private_segment_size 0
		.amdhsa_uses_dynamic_stack 0
		.amdhsa_enable_private_segment 0
		.amdhsa_system_sgpr_workgroup_id_x 1
		.amdhsa_system_sgpr_workgroup_id_y 0
		.amdhsa_system_sgpr_workgroup_id_z 0
		.amdhsa_system_sgpr_workgroup_info 0
		.amdhsa_system_vgpr_workitem_id 0
		.amdhsa_next_free_vgpr 1
		.amdhsa_next_free_sgpr 0
		.amdhsa_accum_offset 4
		.amdhsa_reserve_vcc 0
		.amdhsa_float_round_mode_32 0
		.amdhsa_float_round_mode_16_64 0
		.amdhsa_float_denorm_mode_32 3
		.amdhsa_float_denorm_mode_16_64 3
		.amdhsa_dx10_clamp 1
		.amdhsa_ieee_mode 1
		.amdhsa_fp16_overflow 0
		.amdhsa_tg_split 0
		.amdhsa_exception_fp_ieee_invalid_op 0
		.amdhsa_exception_fp_denorm_src 0
		.amdhsa_exception_fp_ieee_div_zero 0
		.amdhsa_exception_fp_ieee_overflow 0
		.amdhsa_exception_fp_ieee_underflow 0
		.amdhsa_exception_fp_ieee_inexact 0
		.amdhsa_exception_int_div_zero 0
	.end_amdhsa_kernel
	.section	.text._ZN7rocprim17ROCPRIM_400000_NS6detail17trampoline_kernelINS0_14default_configENS1_20scan_config_selectorIfEEZZNS1_9scan_implILNS1_25lookback_scan_determinismE0ELb0ELb0ES3_PKfPffZZZN2at6native31launch_logcumsumexp_cuda_kernelERKNSB_10TensorBaseESF_lENKUlvE_clEvENKUlvE0_clEvEUlffE_fEEDaPvRmT3_T4_T5_mT6_P12ihipStream_tbENKUlT_T0_E_clISt17integral_constantIbLb1EESV_IbLb0EEEEDaSR_SS_EUlSR_E0_NS1_11comp_targetILNS1_3genE3ELNS1_11target_archE908ELNS1_3gpuE7ELNS1_3repE0EEENS1_30default_config_static_selectorELNS0_4arch9wavefront6targetE1EEEvT1_,"axG",@progbits,_ZN7rocprim17ROCPRIM_400000_NS6detail17trampoline_kernelINS0_14default_configENS1_20scan_config_selectorIfEEZZNS1_9scan_implILNS1_25lookback_scan_determinismE0ELb0ELb0ES3_PKfPffZZZN2at6native31launch_logcumsumexp_cuda_kernelERKNSB_10TensorBaseESF_lENKUlvE_clEvENKUlvE0_clEvEUlffE_fEEDaPvRmT3_T4_T5_mT6_P12ihipStream_tbENKUlT_T0_E_clISt17integral_constantIbLb1EESV_IbLb0EEEEDaSR_SS_EUlSR_E0_NS1_11comp_targetILNS1_3genE3ELNS1_11target_archE908ELNS1_3gpuE7ELNS1_3repE0EEENS1_30default_config_static_selectorELNS0_4arch9wavefront6targetE1EEEvT1_,comdat
.Lfunc_end153:
	.size	_ZN7rocprim17ROCPRIM_400000_NS6detail17trampoline_kernelINS0_14default_configENS1_20scan_config_selectorIfEEZZNS1_9scan_implILNS1_25lookback_scan_determinismE0ELb0ELb0ES3_PKfPffZZZN2at6native31launch_logcumsumexp_cuda_kernelERKNSB_10TensorBaseESF_lENKUlvE_clEvENKUlvE0_clEvEUlffE_fEEDaPvRmT3_T4_T5_mT6_P12ihipStream_tbENKUlT_T0_E_clISt17integral_constantIbLb1EESV_IbLb0EEEEDaSR_SS_EUlSR_E0_NS1_11comp_targetILNS1_3genE3ELNS1_11target_archE908ELNS1_3gpuE7ELNS1_3repE0EEENS1_30default_config_static_selectorELNS0_4arch9wavefront6targetE1EEEvT1_, .Lfunc_end153-_ZN7rocprim17ROCPRIM_400000_NS6detail17trampoline_kernelINS0_14default_configENS1_20scan_config_selectorIfEEZZNS1_9scan_implILNS1_25lookback_scan_determinismE0ELb0ELb0ES3_PKfPffZZZN2at6native31launch_logcumsumexp_cuda_kernelERKNSB_10TensorBaseESF_lENKUlvE_clEvENKUlvE0_clEvEUlffE_fEEDaPvRmT3_T4_T5_mT6_P12ihipStream_tbENKUlT_T0_E_clISt17integral_constantIbLb1EESV_IbLb0EEEEDaSR_SS_EUlSR_E0_NS1_11comp_targetILNS1_3genE3ELNS1_11target_archE908ELNS1_3gpuE7ELNS1_3repE0EEENS1_30default_config_static_selectorELNS0_4arch9wavefront6targetE1EEEvT1_
                                        ; -- End function
	.section	.AMDGPU.csdata,"",@progbits
; Kernel info:
; codeLenInByte = 0
; NumSgprs: 6
; NumVgprs: 0
; NumAgprs: 0
; TotalNumVgprs: 0
; ScratchSize: 0
; MemoryBound: 0
; FloatMode: 240
; IeeeMode: 1
; LDSByteSize: 0 bytes/workgroup (compile time only)
; SGPRBlocks: 0
; VGPRBlocks: 0
; NumSGPRsForWavesPerEU: 6
; NumVGPRsForWavesPerEU: 1
; AccumOffset: 4
; Occupancy: 8
; WaveLimiterHint : 0
; COMPUTE_PGM_RSRC2:SCRATCH_EN: 0
; COMPUTE_PGM_RSRC2:USER_SGPR: 2
; COMPUTE_PGM_RSRC2:TRAP_HANDLER: 0
; COMPUTE_PGM_RSRC2:TGID_X_EN: 1
; COMPUTE_PGM_RSRC2:TGID_Y_EN: 0
; COMPUTE_PGM_RSRC2:TGID_Z_EN: 0
; COMPUTE_PGM_RSRC2:TIDIG_COMP_CNT: 0
; COMPUTE_PGM_RSRC3_GFX90A:ACCUM_OFFSET: 0
; COMPUTE_PGM_RSRC3_GFX90A:TG_SPLIT: 0
	.section	.text._ZN7rocprim17ROCPRIM_400000_NS6detail17trampoline_kernelINS0_14default_configENS1_20scan_config_selectorIfEEZZNS1_9scan_implILNS1_25lookback_scan_determinismE0ELb0ELb0ES3_PKfPffZZZN2at6native31launch_logcumsumexp_cuda_kernelERKNSB_10TensorBaseESF_lENKUlvE_clEvENKUlvE0_clEvEUlffE_fEEDaPvRmT3_T4_T5_mT6_P12ihipStream_tbENKUlT_T0_E_clISt17integral_constantIbLb1EESV_IbLb0EEEEDaSR_SS_EUlSR_E0_NS1_11comp_targetILNS1_3genE2ELNS1_11target_archE906ELNS1_3gpuE6ELNS1_3repE0EEENS1_30default_config_static_selectorELNS0_4arch9wavefront6targetE1EEEvT1_,"axG",@progbits,_ZN7rocprim17ROCPRIM_400000_NS6detail17trampoline_kernelINS0_14default_configENS1_20scan_config_selectorIfEEZZNS1_9scan_implILNS1_25lookback_scan_determinismE0ELb0ELb0ES3_PKfPffZZZN2at6native31launch_logcumsumexp_cuda_kernelERKNSB_10TensorBaseESF_lENKUlvE_clEvENKUlvE0_clEvEUlffE_fEEDaPvRmT3_T4_T5_mT6_P12ihipStream_tbENKUlT_T0_E_clISt17integral_constantIbLb1EESV_IbLb0EEEEDaSR_SS_EUlSR_E0_NS1_11comp_targetILNS1_3genE2ELNS1_11target_archE906ELNS1_3gpuE6ELNS1_3repE0EEENS1_30default_config_static_selectorELNS0_4arch9wavefront6targetE1EEEvT1_,comdat
	.globl	_ZN7rocprim17ROCPRIM_400000_NS6detail17trampoline_kernelINS0_14default_configENS1_20scan_config_selectorIfEEZZNS1_9scan_implILNS1_25lookback_scan_determinismE0ELb0ELb0ES3_PKfPffZZZN2at6native31launch_logcumsumexp_cuda_kernelERKNSB_10TensorBaseESF_lENKUlvE_clEvENKUlvE0_clEvEUlffE_fEEDaPvRmT3_T4_T5_mT6_P12ihipStream_tbENKUlT_T0_E_clISt17integral_constantIbLb1EESV_IbLb0EEEEDaSR_SS_EUlSR_E0_NS1_11comp_targetILNS1_3genE2ELNS1_11target_archE906ELNS1_3gpuE6ELNS1_3repE0EEENS1_30default_config_static_selectorELNS0_4arch9wavefront6targetE1EEEvT1_ ; -- Begin function _ZN7rocprim17ROCPRIM_400000_NS6detail17trampoline_kernelINS0_14default_configENS1_20scan_config_selectorIfEEZZNS1_9scan_implILNS1_25lookback_scan_determinismE0ELb0ELb0ES3_PKfPffZZZN2at6native31launch_logcumsumexp_cuda_kernelERKNSB_10TensorBaseESF_lENKUlvE_clEvENKUlvE0_clEvEUlffE_fEEDaPvRmT3_T4_T5_mT6_P12ihipStream_tbENKUlT_T0_E_clISt17integral_constantIbLb1EESV_IbLb0EEEEDaSR_SS_EUlSR_E0_NS1_11comp_targetILNS1_3genE2ELNS1_11target_archE906ELNS1_3gpuE6ELNS1_3repE0EEENS1_30default_config_static_selectorELNS0_4arch9wavefront6targetE1EEEvT1_
	.p2align	8
	.type	_ZN7rocprim17ROCPRIM_400000_NS6detail17trampoline_kernelINS0_14default_configENS1_20scan_config_selectorIfEEZZNS1_9scan_implILNS1_25lookback_scan_determinismE0ELb0ELb0ES3_PKfPffZZZN2at6native31launch_logcumsumexp_cuda_kernelERKNSB_10TensorBaseESF_lENKUlvE_clEvENKUlvE0_clEvEUlffE_fEEDaPvRmT3_T4_T5_mT6_P12ihipStream_tbENKUlT_T0_E_clISt17integral_constantIbLb1EESV_IbLb0EEEEDaSR_SS_EUlSR_E0_NS1_11comp_targetILNS1_3genE2ELNS1_11target_archE906ELNS1_3gpuE6ELNS1_3repE0EEENS1_30default_config_static_selectorELNS0_4arch9wavefront6targetE1EEEvT1_,@function
_ZN7rocprim17ROCPRIM_400000_NS6detail17trampoline_kernelINS0_14default_configENS1_20scan_config_selectorIfEEZZNS1_9scan_implILNS1_25lookback_scan_determinismE0ELb0ELb0ES3_PKfPffZZZN2at6native31launch_logcumsumexp_cuda_kernelERKNSB_10TensorBaseESF_lENKUlvE_clEvENKUlvE0_clEvEUlffE_fEEDaPvRmT3_T4_T5_mT6_P12ihipStream_tbENKUlT_T0_E_clISt17integral_constantIbLb1EESV_IbLb0EEEEDaSR_SS_EUlSR_E0_NS1_11comp_targetILNS1_3genE2ELNS1_11target_archE906ELNS1_3gpuE6ELNS1_3repE0EEENS1_30default_config_static_selectorELNS0_4arch9wavefront6targetE1EEEvT1_: ; @_ZN7rocprim17ROCPRIM_400000_NS6detail17trampoline_kernelINS0_14default_configENS1_20scan_config_selectorIfEEZZNS1_9scan_implILNS1_25lookback_scan_determinismE0ELb0ELb0ES3_PKfPffZZZN2at6native31launch_logcumsumexp_cuda_kernelERKNSB_10TensorBaseESF_lENKUlvE_clEvENKUlvE0_clEvEUlffE_fEEDaPvRmT3_T4_T5_mT6_P12ihipStream_tbENKUlT_T0_E_clISt17integral_constantIbLb1EESV_IbLb0EEEEDaSR_SS_EUlSR_E0_NS1_11comp_targetILNS1_3genE2ELNS1_11target_archE906ELNS1_3gpuE6ELNS1_3repE0EEENS1_30default_config_static_selectorELNS0_4arch9wavefront6targetE1EEEvT1_
; %bb.0:
	.section	.rodata,"a",@progbits
	.p2align	6, 0x0
	.amdhsa_kernel _ZN7rocprim17ROCPRIM_400000_NS6detail17trampoline_kernelINS0_14default_configENS1_20scan_config_selectorIfEEZZNS1_9scan_implILNS1_25lookback_scan_determinismE0ELb0ELb0ES3_PKfPffZZZN2at6native31launch_logcumsumexp_cuda_kernelERKNSB_10TensorBaseESF_lENKUlvE_clEvENKUlvE0_clEvEUlffE_fEEDaPvRmT3_T4_T5_mT6_P12ihipStream_tbENKUlT_T0_E_clISt17integral_constantIbLb1EESV_IbLb0EEEEDaSR_SS_EUlSR_E0_NS1_11comp_targetILNS1_3genE2ELNS1_11target_archE906ELNS1_3gpuE6ELNS1_3repE0EEENS1_30default_config_static_selectorELNS0_4arch9wavefront6targetE1EEEvT1_
		.amdhsa_group_segment_fixed_size 0
		.amdhsa_private_segment_fixed_size 0
		.amdhsa_kernarg_size 32
		.amdhsa_user_sgpr_count 2
		.amdhsa_user_sgpr_dispatch_ptr 0
		.amdhsa_user_sgpr_queue_ptr 0
		.amdhsa_user_sgpr_kernarg_segment_ptr 1
		.amdhsa_user_sgpr_dispatch_id 0
		.amdhsa_user_sgpr_kernarg_preload_length 0
		.amdhsa_user_sgpr_kernarg_preload_offset 0
		.amdhsa_user_sgpr_private_segment_size 0
		.amdhsa_uses_dynamic_stack 0
		.amdhsa_enable_private_segment 0
		.amdhsa_system_sgpr_workgroup_id_x 1
		.amdhsa_system_sgpr_workgroup_id_y 0
		.amdhsa_system_sgpr_workgroup_id_z 0
		.amdhsa_system_sgpr_workgroup_info 0
		.amdhsa_system_vgpr_workitem_id 0
		.amdhsa_next_free_vgpr 1
		.amdhsa_next_free_sgpr 0
		.amdhsa_accum_offset 4
		.amdhsa_reserve_vcc 0
		.amdhsa_float_round_mode_32 0
		.amdhsa_float_round_mode_16_64 0
		.amdhsa_float_denorm_mode_32 3
		.amdhsa_float_denorm_mode_16_64 3
		.amdhsa_dx10_clamp 1
		.amdhsa_ieee_mode 1
		.amdhsa_fp16_overflow 0
		.amdhsa_tg_split 0
		.amdhsa_exception_fp_ieee_invalid_op 0
		.amdhsa_exception_fp_denorm_src 0
		.amdhsa_exception_fp_ieee_div_zero 0
		.amdhsa_exception_fp_ieee_overflow 0
		.amdhsa_exception_fp_ieee_underflow 0
		.amdhsa_exception_fp_ieee_inexact 0
		.amdhsa_exception_int_div_zero 0
	.end_amdhsa_kernel
	.section	.text._ZN7rocprim17ROCPRIM_400000_NS6detail17trampoline_kernelINS0_14default_configENS1_20scan_config_selectorIfEEZZNS1_9scan_implILNS1_25lookback_scan_determinismE0ELb0ELb0ES3_PKfPffZZZN2at6native31launch_logcumsumexp_cuda_kernelERKNSB_10TensorBaseESF_lENKUlvE_clEvENKUlvE0_clEvEUlffE_fEEDaPvRmT3_T4_T5_mT6_P12ihipStream_tbENKUlT_T0_E_clISt17integral_constantIbLb1EESV_IbLb0EEEEDaSR_SS_EUlSR_E0_NS1_11comp_targetILNS1_3genE2ELNS1_11target_archE906ELNS1_3gpuE6ELNS1_3repE0EEENS1_30default_config_static_selectorELNS0_4arch9wavefront6targetE1EEEvT1_,"axG",@progbits,_ZN7rocprim17ROCPRIM_400000_NS6detail17trampoline_kernelINS0_14default_configENS1_20scan_config_selectorIfEEZZNS1_9scan_implILNS1_25lookback_scan_determinismE0ELb0ELb0ES3_PKfPffZZZN2at6native31launch_logcumsumexp_cuda_kernelERKNSB_10TensorBaseESF_lENKUlvE_clEvENKUlvE0_clEvEUlffE_fEEDaPvRmT3_T4_T5_mT6_P12ihipStream_tbENKUlT_T0_E_clISt17integral_constantIbLb1EESV_IbLb0EEEEDaSR_SS_EUlSR_E0_NS1_11comp_targetILNS1_3genE2ELNS1_11target_archE906ELNS1_3gpuE6ELNS1_3repE0EEENS1_30default_config_static_selectorELNS0_4arch9wavefront6targetE1EEEvT1_,comdat
.Lfunc_end154:
	.size	_ZN7rocprim17ROCPRIM_400000_NS6detail17trampoline_kernelINS0_14default_configENS1_20scan_config_selectorIfEEZZNS1_9scan_implILNS1_25lookback_scan_determinismE0ELb0ELb0ES3_PKfPffZZZN2at6native31launch_logcumsumexp_cuda_kernelERKNSB_10TensorBaseESF_lENKUlvE_clEvENKUlvE0_clEvEUlffE_fEEDaPvRmT3_T4_T5_mT6_P12ihipStream_tbENKUlT_T0_E_clISt17integral_constantIbLb1EESV_IbLb0EEEEDaSR_SS_EUlSR_E0_NS1_11comp_targetILNS1_3genE2ELNS1_11target_archE906ELNS1_3gpuE6ELNS1_3repE0EEENS1_30default_config_static_selectorELNS0_4arch9wavefront6targetE1EEEvT1_, .Lfunc_end154-_ZN7rocprim17ROCPRIM_400000_NS6detail17trampoline_kernelINS0_14default_configENS1_20scan_config_selectorIfEEZZNS1_9scan_implILNS1_25lookback_scan_determinismE0ELb0ELb0ES3_PKfPffZZZN2at6native31launch_logcumsumexp_cuda_kernelERKNSB_10TensorBaseESF_lENKUlvE_clEvENKUlvE0_clEvEUlffE_fEEDaPvRmT3_T4_T5_mT6_P12ihipStream_tbENKUlT_T0_E_clISt17integral_constantIbLb1EESV_IbLb0EEEEDaSR_SS_EUlSR_E0_NS1_11comp_targetILNS1_3genE2ELNS1_11target_archE906ELNS1_3gpuE6ELNS1_3repE0EEENS1_30default_config_static_selectorELNS0_4arch9wavefront6targetE1EEEvT1_
                                        ; -- End function
	.section	.AMDGPU.csdata,"",@progbits
; Kernel info:
; codeLenInByte = 0
; NumSgprs: 6
; NumVgprs: 0
; NumAgprs: 0
; TotalNumVgprs: 0
; ScratchSize: 0
; MemoryBound: 0
; FloatMode: 240
; IeeeMode: 1
; LDSByteSize: 0 bytes/workgroup (compile time only)
; SGPRBlocks: 0
; VGPRBlocks: 0
; NumSGPRsForWavesPerEU: 6
; NumVGPRsForWavesPerEU: 1
; AccumOffset: 4
; Occupancy: 8
; WaveLimiterHint : 0
; COMPUTE_PGM_RSRC2:SCRATCH_EN: 0
; COMPUTE_PGM_RSRC2:USER_SGPR: 2
; COMPUTE_PGM_RSRC2:TRAP_HANDLER: 0
; COMPUTE_PGM_RSRC2:TGID_X_EN: 1
; COMPUTE_PGM_RSRC2:TGID_Y_EN: 0
; COMPUTE_PGM_RSRC2:TGID_Z_EN: 0
; COMPUTE_PGM_RSRC2:TIDIG_COMP_CNT: 0
; COMPUTE_PGM_RSRC3_GFX90A:ACCUM_OFFSET: 0
; COMPUTE_PGM_RSRC3_GFX90A:TG_SPLIT: 0
	.section	.text._ZN7rocprim17ROCPRIM_400000_NS6detail17trampoline_kernelINS0_14default_configENS1_20scan_config_selectorIfEEZZNS1_9scan_implILNS1_25lookback_scan_determinismE0ELb0ELb0ES3_PKfPffZZZN2at6native31launch_logcumsumexp_cuda_kernelERKNSB_10TensorBaseESF_lENKUlvE_clEvENKUlvE0_clEvEUlffE_fEEDaPvRmT3_T4_T5_mT6_P12ihipStream_tbENKUlT_T0_E_clISt17integral_constantIbLb1EESV_IbLb0EEEEDaSR_SS_EUlSR_E0_NS1_11comp_targetILNS1_3genE10ELNS1_11target_archE1201ELNS1_3gpuE5ELNS1_3repE0EEENS1_30default_config_static_selectorELNS0_4arch9wavefront6targetE1EEEvT1_,"axG",@progbits,_ZN7rocprim17ROCPRIM_400000_NS6detail17trampoline_kernelINS0_14default_configENS1_20scan_config_selectorIfEEZZNS1_9scan_implILNS1_25lookback_scan_determinismE0ELb0ELb0ES3_PKfPffZZZN2at6native31launch_logcumsumexp_cuda_kernelERKNSB_10TensorBaseESF_lENKUlvE_clEvENKUlvE0_clEvEUlffE_fEEDaPvRmT3_T4_T5_mT6_P12ihipStream_tbENKUlT_T0_E_clISt17integral_constantIbLb1EESV_IbLb0EEEEDaSR_SS_EUlSR_E0_NS1_11comp_targetILNS1_3genE10ELNS1_11target_archE1201ELNS1_3gpuE5ELNS1_3repE0EEENS1_30default_config_static_selectorELNS0_4arch9wavefront6targetE1EEEvT1_,comdat
	.globl	_ZN7rocprim17ROCPRIM_400000_NS6detail17trampoline_kernelINS0_14default_configENS1_20scan_config_selectorIfEEZZNS1_9scan_implILNS1_25lookback_scan_determinismE0ELb0ELb0ES3_PKfPffZZZN2at6native31launch_logcumsumexp_cuda_kernelERKNSB_10TensorBaseESF_lENKUlvE_clEvENKUlvE0_clEvEUlffE_fEEDaPvRmT3_T4_T5_mT6_P12ihipStream_tbENKUlT_T0_E_clISt17integral_constantIbLb1EESV_IbLb0EEEEDaSR_SS_EUlSR_E0_NS1_11comp_targetILNS1_3genE10ELNS1_11target_archE1201ELNS1_3gpuE5ELNS1_3repE0EEENS1_30default_config_static_selectorELNS0_4arch9wavefront6targetE1EEEvT1_ ; -- Begin function _ZN7rocprim17ROCPRIM_400000_NS6detail17trampoline_kernelINS0_14default_configENS1_20scan_config_selectorIfEEZZNS1_9scan_implILNS1_25lookback_scan_determinismE0ELb0ELb0ES3_PKfPffZZZN2at6native31launch_logcumsumexp_cuda_kernelERKNSB_10TensorBaseESF_lENKUlvE_clEvENKUlvE0_clEvEUlffE_fEEDaPvRmT3_T4_T5_mT6_P12ihipStream_tbENKUlT_T0_E_clISt17integral_constantIbLb1EESV_IbLb0EEEEDaSR_SS_EUlSR_E0_NS1_11comp_targetILNS1_3genE10ELNS1_11target_archE1201ELNS1_3gpuE5ELNS1_3repE0EEENS1_30default_config_static_selectorELNS0_4arch9wavefront6targetE1EEEvT1_
	.p2align	8
	.type	_ZN7rocprim17ROCPRIM_400000_NS6detail17trampoline_kernelINS0_14default_configENS1_20scan_config_selectorIfEEZZNS1_9scan_implILNS1_25lookback_scan_determinismE0ELb0ELb0ES3_PKfPffZZZN2at6native31launch_logcumsumexp_cuda_kernelERKNSB_10TensorBaseESF_lENKUlvE_clEvENKUlvE0_clEvEUlffE_fEEDaPvRmT3_T4_T5_mT6_P12ihipStream_tbENKUlT_T0_E_clISt17integral_constantIbLb1EESV_IbLb0EEEEDaSR_SS_EUlSR_E0_NS1_11comp_targetILNS1_3genE10ELNS1_11target_archE1201ELNS1_3gpuE5ELNS1_3repE0EEENS1_30default_config_static_selectorELNS0_4arch9wavefront6targetE1EEEvT1_,@function
_ZN7rocprim17ROCPRIM_400000_NS6detail17trampoline_kernelINS0_14default_configENS1_20scan_config_selectorIfEEZZNS1_9scan_implILNS1_25lookback_scan_determinismE0ELb0ELb0ES3_PKfPffZZZN2at6native31launch_logcumsumexp_cuda_kernelERKNSB_10TensorBaseESF_lENKUlvE_clEvENKUlvE0_clEvEUlffE_fEEDaPvRmT3_T4_T5_mT6_P12ihipStream_tbENKUlT_T0_E_clISt17integral_constantIbLb1EESV_IbLb0EEEEDaSR_SS_EUlSR_E0_NS1_11comp_targetILNS1_3genE10ELNS1_11target_archE1201ELNS1_3gpuE5ELNS1_3repE0EEENS1_30default_config_static_selectorELNS0_4arch9wavefront6targetE1EEEvT1_: ; @_ZN7rocprim17ROCPRIM_400000_NS6detail17trampoline_kernelINS0_14default_configENS1_20scan_config_selectorIfEEZZNS1_9scan_implILNS1_25lookback_scan_determinismE0ELb0ELb0ES3_PKfPffZZZN2at6native31launch_logcumsumexp_cuda_kernelERKNSB_10TensorBaseESF_lENKUlvE_clEvENKUlvE0_clEvEUlffE_fEEDaPvRmT3_T4_T5_mT6_P12ihipStream_tbENKUlT_T0_E_clISt17integral_constantIbLb1EESV_IbLb0EEEEDaSR_SS_EUlSR_E0_NS1_11comp_targetILNS1_3genE10ELNS1_11target_archE1201ELNS1_3gpuE5ELNS1_3repE0EEENS1_30default_config_static_selectorELNS0_4arch9wavefront6targetE1EEEvT1_
; %bb.0:
	.section	.rodata,"a",@progbits
	.p2align	6, 0x0
	.amdhsa_kernel _ZN7rocprim17ROCPRIM_400000_NS6detail17trampoline_kernelINS0_14default_configENS1_20scan_config_selectorIfEEZZNS1_9scan_implILNS1_25lookback_scan_determinismE0ELb0ELb0ES3_PKfPffZZZN2at6native31launch_logcumsumexp_cuda_kernelERKNSB_10TensorBaseESF_lENKUlvE_clEvENKUlvE0_clEvEUlffE_fEEDaPvRmT3_T4_T5_mT6_P12ihipStream_tbENKUlT_T0_E_clISt17integral_constantIbLb1EESV_IbLb0EEEEDaSR_SS_EUlSR_E0_NS1_11comp_targetILNS1_3genE10ELNS1_11target_archE1201ELNS1_3gpuE5ELNS1_3repE0EEENS1_30default_config_static_selectorELNS0_4arch9wavefront6targetE1EEEvT1_
		.amdhsa_group_segment_fixed_size 0
		.amdhsa_private_segment_fixed_size 0
		.amdhsa_kernarg_size 32
		.amdhsa_user_sgpr_count 2
		.amdhsa_user_sgpr_dispatch_ptr 0
		.amdhsa_user_sgpr_queue_ptr 0
		.amdhsa_user_sgpr_kernarg_segment_ptr 1
		.amdhsa_user_sgpr_dispatch_id 0
		.amdhsa_user_sgpr_kernarg_preload_length 0
		.amdhsa_user_sgpr_kernarg_preload_offset 0
		.amdhsa_user_sgpr_private_segment_size 0
		.amdhsa_uses_dynamic_stack 0
		.amdhsa_enable_private_segment 0
		.amdhsa_system_sgpr_workgroup_id_x 1
		.amdhsa_system_sgpr_workgroup_id_y 0
		.amdhsa_system_sgpr_workgroup_id_z 0
		.amdhsa_system_sgpr_workgroup_info 0
		.amdhsa_system_vgpr_workitem_id 0
		.amdhsa_next_free_vgpr 1
		.amdhsa_next_free_sgpr 0
		.amdhsa_accum_offset 4
		.amdhsa_reserve_vcc 0
		.amdhsa_float_round_mode_32 0
		.amdhsa_float_round_mode_16_64 0
		.amdhsa_float_denorm_mode_32 3
		.amdhsa_float_denorm_mode_16_64 3
		.amdhsa_dx10_clamp 1
		.amdhsa_ieee_mode 1
		.amdhsa_fp16_overflow 0
		.amdhsa_tg_split 0
		.amdhsa_exception_fp_ieee_invalid_op 0
		.amdhsa_exception_fp_denorm_src 0
		.amdhsa_exception_fp_ieee_div_zero 0
		.amdhsa_exception_fp_ieee_overflow 0
		.amdhsa_exception_fp_ieee_underflow 0
		.amdhsa_exception_fp_ieee_inexact 0
		.amdhsa_exception_int_div_zero 0
	.end_amdhsa_kernel
	.section	.text._ZN7rocprim17ROCPRIM_400000_NS6detail17trampoline_kernelINS0_14default_configENS1_20scan_config_selectorIfEEZZNS1_9scan_implILNS1_25lookback_scan_determinismE0ELb0ELb0ES3_PKfPffZZZN2at6native31launch_logcumsumexp_cuda_kernelERKNSB_10TensorBaseESF_lENKUlvE_clEvENKUlvE0_clEvEUlffE_fEEDaPvRmT3_T4_T5_mT6_P12ihipStream_tbENKUlT_T0_E_clISt17integral_constantIbLb1EESV_IbLb0EEEEDaSR_SS_EUlSR_E0_NS1_11comp_targetILNS1_3genE10ELNS1_11target_archE1201ELNS1_3gpuE5ELNS1_3repE0EEENS1_30default_config_static_selectorELNS0_4arch9wavefront6targetE1EEEvT1_,"axG",@progbits,_ZN7rocprim17ROCPRIM_400000_NS6detail17trampoline_kernelINS0_14default_configENS1_20scan_config_selectorIfEEZZNS1_9scan_implILNS1_25lookback_scan_determinismE0ELb0ELb0ES3_PKfPffZZZN2at6native31launch_logcumsumexp_cuda_kernelERKNSB_10TensorBaseESF_lENKUlvE_clEvENKUlvE0_clEvEUlffE_fEEDaPvRmT3_T4_T5_mT6_P12ihipStream_tbENKUlT_T0_E_clISt17integral_constantIbLb1EESV_IbLb0EEEEDaSR_SS_EUlSR_E0_NS1_11comp_targetILNS1_3genE10ELNS1_11target_archE1201ELNS1_3gpuE5ELNS1_3repE0EEENS1_30default_config_static_selectorELNS0_4arch9wavefront6targetE1EEEvT1_,comdat
.Lfunc_end155:
	.size	_ZN7rocprim17ROCPRIM_400000_NS6detail17trampoline_kernelINS0_14default_configENS1_20scan_config_selectorIfEEZZNS1_9scan_implILNS1_25lookback_scan_determinismE0ELb0ELb0ES3_PKfPffZZZN2at6native31launch_logcumsumexp_cuda_kernelERKNSB_10TensorBaseESF_lENKUlvE_clEvENKUlvE0_clEvEUlffE_fEEDaPvRmT3_T4_T5_mT6_P12ihipStream_tbENKUlT_T0_E_clISt17integral_constantIbLb1EESV_IbLb0EEEEDaSR_SS_EUlSR_E0_NS1_11comp_targetILNS1_3genE10ELNS1_11target_archE1201ELNS1_3gpuE5ELNS1_3repE0EEENS1_30default_config_static_selectorELNS0_4arch9wavefront6targetE1EEEvT1_, .Lfunc_end155-_ZN7rocprim17ROCPRIM_400000_NS6detail17trampoline_kernelINS0_14default_configENS1_20scan_config_selectorIfEEZZNS1_9scan_implILNS1_25lookback_scan_determinismE0ELb0ELb0ES3_PKfPffZZZN2at6native31launch_logcumsumexp_cuda_kernelERKNSB_10TensorBaseESF_lENKUlvE_clEvENKUlvE0_clEvEUlffE_fEEDaPvRmT3_T4_T5_mT6_P12ihipStream_tbENKUlT_T0_E_clISt17integral_constantIbLb1EESV_IbLb0EEEEDaSR_SS_EUlSR_E0_NS1_11comp_targetILNS1_3genE10ELNS1_11target_archE1201ELNS1_3gpuE5ELNS1_3repE0EEENS1_30default_config_static_selectorELNS0_4arch9wavefront6targetE1EEEvT1_
                                        ; -- End function
	.section	.AMDGPU.csdata,"",@progbits
; Kernel info:
; codeLenInByte = 0
; NumSgprs: 6
; NumVgprs: 0
; NumAgprs: 0
; TotalNumVgprs: 0
; ScratchSize: 0
; MemoryBound: 0
; FloatMode: 240
; IeeeMode: 1
; LDSByteSize: 0 bytes/workgroup (compile time only)
; SGPRBlocks: 0
; VGPRBlocks: 0
; NumSGPRsForWavesPerEU: 6
; NumVGPRsForWavesPerEU: 1
; AccumOffset: 4
; Occupancy: 8
; WaveLimiterHint : 0
; COMPUTE_PGM_RSRC2:SCRATCH_EN: 0
; COMPUTE_PGM_RSRC2:USER_SGPR: 2
; COMPUTE_PGM_RSRC2:TRAP_HANDLER: 0
; COMPUTE_PGM_RSRC2:TGID_X_EN: 1
; COMPUTE_PGM_RSRC2:TGID_Y_EN: 0
; COMPUTE_PGM_RSRC2:TGID_Z_EN: 0
; COMPUTE_PGM_RSRC2:TIDIG_COMP_CNT: 0
; COMPUTE_PGM_RSRC3_GFX90A:ACCUM_OFFSET: 0
; COMPUTE_PGM_RSRC3_GFX90A:TG_SPLIT: 0
	.section	.text._ZN7rocprim17ROCPRIM_400000_NS6detail17trampoline_kernelINS0_14default_configENS1_20scan_config_selectorIfEEZZNS1_9scan_implILNS1_25lookback_scan_determinismE0ELb0ELb0ES3_PKfPffZZZN2at6native31launch_logcumsumexp_cuda_kernelERKNSB_10TensorBaseESF_lENKUlvE_clEvENKUlvE0_clEvEUlffE_fEEDaPvRmT3_T4_T5_mT6_P12ihipStream_tbENKUlT_T0_E_clISt17integral_constantIbLb1EESV_IbLb0EEEEDaSR_SS_EUlSR_E0_NS1_11comp_targetILNS1_3genE10ELNS1_11target_archE1200ELNS1_3gpuE4ELNS1_3repE0EEENS1_30default_config_static_selectorELNS0_4arch9wavefront6targetE1EEEvT1_,"axG",@progbits,_ZN7rocprim17ROCPRIM_400000_NS6detail17trampoline_kernelINS0_14default_configENS1_20scan_config_selectorIfEEZZNS1_9scan_implILNS1_25lookback_scan_determinismE0ELb0ELb0ES3_PKfPffZZZN2at6native31launch_logcumsumexp_cuda_kernelERKNSB_10TensorBaseESF_lENKUlvE_clEvENKUlvE0_clEvEUlffE_fEEDaPvRmT3_T4_T5_mT6_P12ihipStream_tbENKUlT_T0_E_clISt17integral_constantIbLb1EESV_IbLb0EEEEDaSR_SS_EUlSR_E0_NS1_11comp_targetILNS1_3genE10ELNS1_11target_archE1200ELNS1_3gpuE4ELNS1_3repE0EEENS1_30default_config_static_selectorELNS0_4arch9wavefront6targetE1EEEvT1_,comdat
	.globl	_ZN7rocprim17ROCPRIM_400000_NS6detail17trampoline_kernelINS0_14default_configENS1_20scan_config_selectorIfEEZZNS1_9scan_implILNS1_25lookback_scan_determinismE0ELb0ELb0ES3_PKfPffZZZN2at6native31launch_logcumsumexp_cuda_kernelERKNSB_10TensorBaseESF_lENKUlvE_clEvENKUlvE0_clEvEUlffE_fEEDaPvRmT3_T4_T5_mT6_P12ihipStream_tbENKUlT_T0_E_clISt17integral_constantIbLb1EESV_IbLb0EEEEDaSR_SS_EUlSR_E0_NS1_11comp_targetILNS1_3genE10ELNS1_11target_archE1200ELNS1_3gpuE4ELNS1_3repE0EEENS1_30default_config_static_selectorELNS0_4arch9wavefront6targetE1EEEvT1_ ; -- Begin function _ZN7rocprim17ROCPRIM_400000_NS6detail17trampoline_kernelINS0_14default_configENS1_20scan_config_selectorIfEEZZNS1_9scan_implILNS1_25lookback_scan_determinismE0ELb0ELb0ES3_PKfPffZZZN2at6native31launch_logcumsumexp_cuda_kernelERKNSB_10TensorBaseESF_lENKUlvE_clEvENKUlvE0_clEvEUlffE_fEEDaPvRmT3_T4_T5_mT6_P12ihipStream_tbENKUlT_T0_E_clISt17integral_constantIbLb1EESV_IbLb0EEEEDaSR_SS_EUlSR_E0_NS1_11comp_targetILNS1_3genE10ELNS1_11target_archE1200ELNS1_3gpuE4ELNS1_3repE0EEENS1_30default_config_static_selectorELNS0_4arch9wavefront6targetE1EEEvT1_
	.p2align	8
	.type	_ZN7rocprim17ROCPRIM_400000_NS6detail17trampoline_kernelINS0_14default_configENS1_20scan_config_selectorIfEEZZNS1_9scan_implILNS1_25lookback_scan_determinismE0ELb0ELb0ES3_PKfPffZZZN2at6native31launch_logcumsumexp_cuda_kernelERKNSB_10TensorBaseESF_lENKUlvE_clEvENKUlvE0_clEvEUlffE_fEEDaPvRmT3_T4_T5_mT6_P12ihipStream_tbENKUlT_T0_E_clISt17integral_constantIbLb1EESV_IbLb0EEEEDaSR_SS_EUlSR_E0_NS1_11comp_targetILNS1_3genE10ELNS1_11target_archE1200ELNS1_3gpuE4ELNS1_3repE0EEENS1_30default_config_static_selectorELNS0_4arch9wavefront6targetE1EEEvT1_,@function
_ZN7rocprim17ROCPRIM_400000_NS6detail17trampoline_kernelINS0_14default_configENS1_20scan_config_selectorIfEEZZNS1_9scan_implILNS1_25lookback_scan_determinismE0ELb0ELb0ES3_PKfPffZZZN2at6native31launch_logcumsumexp_cuda_kernelERKNSB_10TensorBaseESF_lENKUlvE_clEvENKUlvE0_clEvEUlffE_fEEDaPvRmT3_T4_T5_mT6_P12ihipStream_tbENKUlT_T0_E_clISt17integral_constantIbLb1EESV_IbLb0EEEEDaSR_SS_EUlSR_E0_NS1_11comp_targetILNS1_3genE10ELNS1_11target_archE1200ELNS1_3gpuE4ELNS1_3repE0EEENS1_30default_config_static_selectorELNS0_4arch9wavefront6targetE1EEEvT1_: ; @_ZN7rocprim17ROCPRIM_400000_NS6detail17trampoline_kernelINS0_14default_configENS1_20scan_config_selectorIfEEZZNS1_9scan_implILNS1_25lookback_scan_determinismE0ELb0ELb0ES3_PKfPffZZZN2at6native31launch_logcumsumexp_cuda_kernelERKNSB_10TensorBaseESF_lENKUlvE_clEvENKUlvE0_clEvEUlffE_fEEDaPvRmT3_T4_T5_mT6_P12ihipStream_tbENKUlT_T0_E_clISt17integral_constantIbLb1EESV_IbLb0EEEEDaSR_SS_EUlSR_E0_NS1_11comp_targetILNS1_3genE10ELNS1_11target_archE1200ELNS1_3gpuE4ELNS1_3repE0EEENS1_30default_config_static_selectorELNS0_4arch9wavefront6targetE1EEEvT1_
; %bb.0:
	.section	.rodata,"a",@progbits
	.p2align	6, 0x0
	.amdhsa_kernel _ZN7rocprim17ROCPRIM_400000_NS6detail17trampoline_kernelINS0_14default_configENS1_20scan_config_selectorIfEEZZNS1_9scan_implILNS1_25lookback_scan_determinismE0ELb0ELb0ES3_PKfPffZZZN2at6native31launch_logcumsumexp_cuda_kernelERKNSB_10TensorBaseESF_lENKUlvE_clEvENKUlvE0_clEvEUlffE_fEEDaPvRmT3_T4_T5_mT6_P12ihipStream_tbENKUlT_T0_E_clISt17integral_constantIbLb1EESV_IbLb0EEEEDaSR_SS_EUlSR_E0_NS1_11comp_targetILNS1_3genE10ELNS1_11target_archE1200ELNS1_3gpuE4ELNS1_3repE0EEENS1_30default_config_static_selectorELNS0_4arch9wavefront6targetE1EEEvT1_
		.amdhsa_group_segment_fixed_size 0
		.amdhsa_private_segment_fixed_size 0
		.amdhsa_kernarg_size 32
		.amdhsa_user_sgpr_count 2
		.amdhsa_user_sgpr_dispatch_ptr 0
		.amdhsa_user_sgpr_queue_ptr 0
		.amdhsa_user_sgpr_kernarg_segment_ptr 1
		.amdhsa_user_sgpr_dispatch_id 0
		.amdhsa_user_sgpr_kernarg_preload_length 0
		.amdhsa_user_sgpr_kernarg_preload_offset 0
		.amdhsa_user_sgpr_private_segment_size 0
		.amdhsa_uses_dynamic_stack 0
		.amdhsa_enable_private_segment 0
		.amdhsa_system_sgpr_workgroup_id_x 1
		.amdhsa_system_sgpr_workgroup_id_y 0
		.amdhsa_system_sgpr_workgroup_id_z 0
		.amdhsa_system_sgpr_workgroup_info 0
		.amdhsa_system_vgpr_workitem_id 0
		.amdhsa_next_free_vgpr 1
		.amdhsa_next_free_sgpr 0
		.amdhsa_accum_offset 4
		.amdhsa_reserve_vcc 0
		.amdhsa_float_round_mode_32 0
		.amdhsa_float_round_mode_16_64 0
		.amdhsa_float_denorm_mode_32 3
		.amdhsa_float_denorm_mode_16_64 3
		.amdhsa_dx10_clamp 1
		.amdhsa_ieee_mode 1
		.amdhsa_fp16_overflow 0
		.amdhsa_tg_split 0
		.amdhsa_exception_fp_ieee_invalid_op 0
		.amdhsa_exception_fp_denorm_src 0
		.amdhsa_exception_fp_ieee_div_zero 0
		.amdhsa_exception_fp_ieee_overflow 0
		.amdhsa_exception_fp_ieee_underflow 0
		.amdhsa_exception_fp_ieee_inexact 0
		.amdhsa_exception_int_div_zero 0
	.end_amdhsa_kernel
	.section	.text._ZN7rocprim17ROCPRIM_400000_NS6detail17trampoline_kernelINS0_14default_configENS1_20scan_config_selectorIfEEZZNS1_9scan_implILNS1_25lookback_scan_determinismE0ELb0ELb0ES3_PKfPffZZZN2at6native31launch_logcumsumexp_cuda_kernelERKNSB_10TensorBaseESF_lENKUlvE_clEvENKUlvE0_clEvEUlffE_fEEDaPvRmT3_T4_T5_mT6_P12ihipStream_tbENKUlT_T0_E_clISt17integral_constantIbLb1EESV_IbLb0EEEEDaSR_SS_EUlSR_E0_NS1_11comp_targetILNS1_3genE10ELNS1_11target_archE1200ELNS1_3gpuE4ELNS1_3repE0EEENS1_30default_config_static_selectorELNS0_4arch9wavefront6targetE1EEEvT1_,"axG",@progbits,_ZN7rocprim17ROCPRIM_400000_NS6detail17trampoline_kernelINS0_14default_configENS1_20scan_config_selectorIfEEZZNS1_9scan_implILNS1_25lookback_scan_determinismE0ELb0ELb0ES3_PKfPffZZZN2at6native31launch_logcumsumexp_cuda_kernelERKNSB_10TensorBaseESF_lENKUlvE_clEvENKUlvE0_clEvEUlffE_fEEDaPvRmT3_T4_T5_mT6_P12ihipStream_tbENKUlT_T0_E_clISt17integral_constantIbLb1EESV_IbLb0EEEEDaSR_SS_EUlSR_E0_NS1_11comp_targetILNS1_3genE10ELNS1_11target_archE1200ELNS1_3gpuE4ELNS1_3repE0EEENS1_30default_config_static_selectorELNS0_4arch9wavefront6targetE1EEEvT1_,comdat
.Lfunc_end156:
	.size	_ZN7rocprim17ROCPRIM_400000_NS6detail17trampoline_kernelINS0_14default_configENS1_20scan_config_selectorIfEEZZNS1_9scan_implILNS1_25lookback_scan_determinismE0ELb0ELb0ES3_PKfPffZZZN2at6native31launch_logcumsumexp_cuda_kernelERKNSB_10TensorBaseESF_lENKUlvE_clEvENKUlvE0_clEvEUlffE_fEEDaPvRmT3_T4_T5_mT6_P12ihipStream_tbENKUlT_T0_E_clISt17integral_constantIbLb1EESV_IbLb0EEEEDaSR_SS_EUlSR_E0_NS1_11comp_targetILNS1_3genE10ELNS1_11target_archE1200ELNS1_3gpuE4ELNS1_3repE0EEENS1_30default_config_static_selectorELNS0_4arch9wavefront6targetE1EEEvT1_, .Lfunc_end156-_ZN7rocprim17ROCPRIM_400000_NS6detail17trampoline_kernelINS0_14default_configENS1_20scan_config_selectorIfEEZZNS1_9scan_implILNS1_25lookback_scan_determinismE0ELb0ELb0ES3_PKfPffZZZN2at6native31launch_logcumsumexp_cuda_kernelERKNSB_10TensorBaseESF_lENKUlvE_clEvENKUlvE0_clEvEUlffE_fEEDaPvRmT3_T4_T5_mT6_P12ihipStream_tbENKUlT_T0_E_clISt17integral_constantIbLb1EESV_IbLb0EEEEDaSR_SS_EUlSR_E0_NS1_11comp_targetILNS1_3genE10ELNS1_11target_archE1200ELNS1_3gpuE4ELNS1_3repE0EEENS1_30default_config_static_selectorELNS0_4arch9wavefront6targetE1EEEvT1_
                                        ; -- End function
	.section	.AMDGPU.csdata,"",@progbits
; Kernel info:
; codeLenInByte = 0
; NumSgprs: 6
; NumVgprs: 0
; NumAgprs: 0
; TotalNumVgprs: 0
; ScratchSize: 0
; MemoryBound: 0
; FloatMode: 240
; IeeeMode: 1
; LDSByteSize: 0 bytes/workgroup (compile time only)
; SGPRBlocks: 0
; VGPRBlocks: 0
; NumSGPRsForWavesPerEU: 6
; NumVGPRsForWavesPerEU: 1
; AccumOffset: 4
; Occupancy: 8
; WaveLimiterHint : 0
; COMPUTE_PGM_RSRC2:SCRATCH_EN: 0
; COMPUTE_PGM_RSRC2:USER_SGPR: 2
; COMPUTE_PGM_RSRC2:TRAP_HANDLER: 0
; COMPUTE_PGM_RSRC2:TGID_X_EN: 1
; COMPUTE_PGM_RSRC2:TGID_Y_EN: 0
; COMPUTE_PGM_RSRC2:TGID_Z_EN: 0
; COMPUTE_PGM_RSRC2:TIDIG_COMP_CNT: 0
; COMPUTE_PGM_RSRC3_GFX90A:ACCUM_OFFSET: 0
; COMPUTE_PGM_RSRC3_GFX90A:TG_SPLIT: 0
	.section	.text._ZN7rocprim17ROCPRIM_400000_NS6detail17trampoline_kernelINS0_14default_configENS1_20scan_config_selectorIfEEZZNS1_9scan_implILNS1_25lookback_scan_determinismE0ELb0ELb0ES3_PKfPffZZZN2at6native31launch_logcumsumexp_cuda_kernelERKNSB_10TensorBaseESF_lENKUlvE_clEvENKUlvE0_clEvEUlffE_fEEDaPvRmT3_T4_T5_mT6_P12ihipStream_tbENKUlT_T0_E_clISt17integral_constantIbLb1EESV_IbLb0EEEEDaSR_SS_EUlSR_E0_NS1_11comp_targetILNS1_3genE9ELNS1_11target_archE1100ELNS1_3gpuE3ELNS1_3repE0EEENS1_30default_config_static_selectorELNS0_4arch9wavefront6targetE1EEEvT1_,"axG",@progbits,_ZN7rocprim17ROCPRIM_400000_NS6detail17trampoline_kernelINS0_14default_configENS1_20scan_config_selectorIfEEZZNS1_9scan_implILNS1_25lookback_scan_determinismE0ELb0ELb0ES3_PKfPffZZZN2at6native31launch_logcumsumexp_cuda_kernelERKNSB_10TensorBaseESF_lENKUlvE_clEvENKUlvE0_clEvEUlffE_fEEDaPvRmT3_T4_T5_mT6_P12ihipStream_tbENKUlT_T0_E_clISt17integral_constantIbLb1EESV_IbLb0EEEEDaSR_SS_EUlSR_E0_NS1_11comp_targetILNS1_3genE9ELNS1_11target_archE1100ELNS1_3gpuE3ELNS1_3repE0EEENS1_30default_config_static_selectorELNS0_4arch9wavefront6targetE1EEEvT1_,comdat
	.globl	_ZN7rocprim17ROCPRIM_400000_NS6detail17trampoline_kernelINS0_14default_configENS1_20scan_config_selectorIfEEZZNS1_9scan_implILNS1_25lookback_scan_determinismE0ELb0ELb0ES3_PKfPffZZZN2at6native31launch_logcumsumexp_cuda_kernelERKNSB_10TensorBaseESF_lENKUlvE_clEvENKUlvE0_clEvEUlffE_fEEDaPvRmT3_T4_T5_mT6_P12ihipStream_tbENKUlT_T0_E_clISt17integral_constantIbLb1EESV_IbLb0EEEEDaSR_SS_EUlSR_E0_NS1_11comp_targetILNS1_3genE9ELNS1_11target_archE1100ELNS1_3gpuE3ELNS1_3repE0EEENS1_30default_config_static_selectorELNS0_4arch9wavefront6targetE1EEEvT1_ ; -- Begin function _ZN7rocprim17ROCPRIM_400000_NS6detail17trampoline_kernelINS0_14default_configENS1_20scan_config_selectorIfEEZZNS1_9scan_implILNS1_25lookback_scan_determinismE0ELb0ELb0ES3_PKfPffZZZN2at6native31launch_logcumsumexp_cuda_kernelERKNSB_10TensorBaseESF_lENKUlvE_clEvENKUlvE0_clEvEUlffE_fEEDaPvRmT3_T4_T5_mT6_P12ihipStream_tbENKUlT_T0_E_clISt17integral_constantIbLb1EESV_IbLb0EEEEDaSR_SS_EUlSR_E0_NS1_11comp_targetILNS1_3genE9ELNS1_11target_archE1100ELNS1_3gpuE3ELNS1_3repE0EEENS1_30default_config_static_selectorELNS0_4arch9wavefront6targetE1EEEvT1_
	.p2align	8
	.type	_ZN7rocprim17ROCPRIM_400000_NS6detail17trampoline_kernelINS0_14default_configENS1_20scan_config_selectorIfEEZZNS1_9scan_implILNS1_25lookback_scan_determinismE0ELb0ELb0ES3_PKfPffZZZN2at6native31launch_logcumsumexp_cuda_kernelERKNSB_10TensorBaseESF_lENKUlvE_clEvENKUlvE0_clEvEUlffE_fEEDaPvRmT3_T4_T5_mT6_P12ihipStream_tbENKUlT_T0_E_clISt17integral_constantIbLb1EESV_IbLb0EEEEDaSR_SS_EUlSR_E0_NS1_11comp_targetILNS1_3genE9ELNS1_11target_archE1100ELNS1_3gpuE3ELNS1_3repE0EEENS1_30default_config_static_selectorELNS0_4arch9wavefront6targetE1EEEvT1_,@function
_ZN7rocprim17ROCPRIM_400000_NS6detail17trampoline_kernelINS0_14default_configENS1_20scan_config_selectorIfEEZZNS1_9scan_implILNS1_25lookback_scan_determinismE0ELb0ELb0ES3_PKfPffZZZN2at6native31launch_logcumsumexp_cuda_kernelERKNSB_10TensorBaseESF_lENKUlvE_clEvENKUlvE0_clEvEUlffE_fEEDaPvRmT3_T4_T5_mT6_P12ihipStream_tbENKUlT_T0_E_clISt17integral_constantIbLb1EESV_IbLb0EEEEDaSR_SS_EUlSR_E0_NS1_11comp_targetILNS1_3genE9ELNS1_11target_archE1100ELNS1_3gpuE3ELNS1_3repE0EEENS1_30default_config_static_selectorELNS0_4arch9wavefront6targetE1EEEvT1_: ; @_ZN7rocprim17ROCPRIM_400000_NS6detail17trampoline_kernelINS0_14default_configENS1_20scan_config_selectorIfEEZZNS1_9scan_implILNS1_25lookback_scan_determinismE0ELb0ELb0ES3_PKfPffZZZN2at6native31launch_logcumsumexp_cuda_kernelERKNSB_10TensorBaseESF_lENKUlvE_clEvENKUlvE0_clEvEUlffE_fEEDaPvRmT3_T4_T5_mT6_P12ihipStream_tbENKUlT_T0_E_clISt17integral_constantIbLb1EESV_IbLb0EEEEDaSR_SS_EUlSR_E0_NS1_11comp_targetILNS1_3genE9ELNS1_11target_archE1100ELNS1_3gpuE3ELNS1_3repE0EEENS1_30default_config_static_selectorELNS0_4arch9wavefront6targetE1EEEvT1_
; %bb.0:
	.section	.rodata,"a",@progbits
	.p2align	6, 0x0
	.amdhsa_kernel _ZN7rocprim17ROCPRIM_400000_NS6detail17trampoline_kernelINS0_14default_configENS1_20scan_config_selectorIfEEZZNS1_9scan_implILNS1_25lookback_scan_determinismE0ELb0ELb0ES3_PKfPffZZZN2at6native31launch_logcumsumexp_cuda_kernelERKNSB_10TensorBaseESF_lENKUlvE_clEvENKUlvE0_clEvEUlffE_fEEDaPvRmT3_T4_T5_mT6_P12ihipStream_tbENKUlT_T0_E_clISt17integral_constantIbLb1EESV_IbLb0EEEEDaSR_SS_EUlSR_E0_NS1_11comp_targetILNS1_3genE9ELNS1_11target_archE1100ELNS1_3gpuE3ELNS1_3repE0EEENS1_30default_config_static_selectorELNS0_4arch9wavefront6targetE1EEEvT1_
		.amdhsa_group_segment_fixed_size 0
		.amdhsa_private_segment_fixed_size 0
		.amdhsa_kernarg_size 32
		.amdhsa_user_sgpr_count 2
		.amdhsa_user_sgpr_dispatch_ptr 0
		.amdhsa_user_sgpr_queue_ptr 0
		.amdhsa_user_sgpr_kernarg_segment_ptr 1
		.amdhsa_user_sgpr_dispatch_id 0
		.amdhsa_user_sgpr_kernarg_preload_length 0
		.amdhsa_user_sgpr_kernarg_preload_offset 0
		.amdhsa_user_sgpr_private_segment_size 0
		.amdhsa_uses_dynamic_stack 0
		.amdhsa_enable_private_segment 0
		.amdhsa_system_sgpr_workgroup_id_x 1
		.amdhsa_system_sgpr_workgroup_id_y 0
		.amdhsa_system_sgpr_workgroup_id_z 0
		.amdhsa_system_sgpr_workgroup_info 0
		.amdhsa_system_vgpr_workitem_id 0
		.amdhsa_next_free_vgpr 1
		.amdhsa_next_free_sgpr 0
		.amdhsa_accum_offset 4
		.amdhsa_reserve_vcc 0
		.amdhsa_float_round_mode_32 0
		.amdhsa_float_round_mode_16_64 0
		.amdhsa_float_denorm_mode_32 3
		.amdhsa_float_denorm_mode_16_64 3
		.amdhsa_dx10_clamp 1
		.amdhsa_ieee_mode 1
		.amdhsa_fp16_overflow 0
		.amdhsa_tg_split 0
		.amdhsa_exception_fp_ieee_invalid_op 0
		.amdhsa_exception_fp_denorm_src 0
		.amdhsa_exception_fp_ieee_div_zero 0
		.amdhsa_exception_fp_ieee_overflow 0
		.amdhsa_exception_fp_ieee_underflow 0
		.amdhsa_exception_fp_ieee_inexact 0
		.amdhsa_exception_int_div_zero 0
	.end_amdhsa_kernel
	.section	.text._ZN7rocprim17ROCPRIM_400000_NS6detail17trampoline_kernelINS0_14default_configENS1_20scan_config_selectorIfEEZZNS1_9scan_implILNS1_25lookback_scan_determinismE0ELb0ELb0ES3_PKfPffZZZN2at6native31launch_logcumsumexp_cuda_kernelERKNSB_10TensorBaseESF_lENKUlvE_clEvENKUlvE0_clEvEUlffE_fEEDaPvRmT3_T4_T5_mT6_P12ihipStream_tbENKUlT_T0_E_clISt17integral_constantIbLb1EESV_IbLb0EEEEDaSR_SS_EUlSR_E0_NS1_11comp_targetILNS1_3genE9ELNS1_11target_archE1100ELNS1_3gpuE3ELNS1_3repE0EEENS1_30default_config_static_selectorELNS0_4arch9wavefront6targetE1EEEvT1_,"axG",@progbits,_ZN7rocprim17ROCPRIM_400000_NS6detail17trampoline_kernelINS0_14default_configENS1_20scan_config_selectorIfEEZZNS1_9scan_implILNS1_25lookback_scan_determinismE0ELb0ELb0ES3_PKfPffZZZN2at6native31launch_logcumsumexp_cuda_kernelERKNSB_10TensorBaseESF_lENKUlvE_clEvENKUlvE0_clEvEUlffE_fEEDaPvRmT3_T4_T5_mT6_P12ihipStream_tbENKUlT_T0_E_clISt17integral_constantIbLb1EESV_IbLb0EEEEDaSR_SS_EUlSR_E0_NS1_11comp_targetILNS1_3genE9ELNS1_11target_archE1100ELNS1_3gpuE3ELNS1_3repE0EEENS1_30default_config_static_selectorELNS0_4arch9wavefront6targetE1EEEvT1_,comdat
.Lfunc_end157:
	.size	_ZN7rocprim17ROCPRIM_400000_NS6detail17trampoline_kernelINS0_14default_configENS1_20scan_config_selectorIfEEZZNS1_9scan_implILNS1_25lookback_scan_determinismE0ELb0ELb0ES3_PKfPffZZZN2at6native31launch_logcumsumexp_cuda_kernelERKNSB_10TensorBaseESF_lENKUlvE_clEvENKUlvE0_clEvEUlffE_fEEDaPvRmT3_T4_T5_mT6_P12ihipStream_tbENKUlT_T0_E_clISt17integral_constantIbLb1EESV_IbLb0EEEEDaSR_SS_EUlSR_E0_NS1_11comp_targetILNS1_3genE9ELNS1_11target_archE1100ELNS1_3gpuE3ELNS1_3repE0EEENS1_30default_config_static_selectorELNS0_4arch9wavefront6targetE1EEEvT1_, .Lfunc_end157-_ZN7rocprim17ROCPRIM_400000_NS6detail17trampoline_kernelINS0_14default_configENS1_20scan_config_selectorIfEEZZNS1_9scan_implILNS1_25lookback_scan_determinismE0ELb0ELb0ES3_PKfPffZZZN2at6native31launch_logcumsumexp_cuda_kernelERKNSB_10TensorBaseESF_lENKUlvE_clEvENKUlvE0_clEvEUlffE_fEEDaPvRmT3_T4_T5_mT6_P12ihipStream_tbENKUlT_T0_E_clISt17integral_constantIbLb1EESV_IbLb0EEEEDaSR_SS_EUlSR_E0_NS1_11comp_targetILNS1_3genE9ELNS1_11target_archE1100ELNS1_3gpuE3ELNS1_3repE0EEENS1_30default_config_static_selectorELNS0_4arch9wavefront6targetE1EEEvT1_
                                        ; -- End function
	.section	.AMDGPU.csdata,"",@progbits
; Kernel info:
; codeLenInByte = 0
; NumSgprs: 6
; NumVgprs: 0
; NumAgprs: 0
; TotalNumVgprs: 0
; ScratchSize: 0
; MemoryBound: 0
; FloatMode: 240
; IeeeMode: 1
; LDSByteSize: 0 bytes/workgroup (compile time only)
; SGPRBlocks: 0
; VGPRBlocks: 0
; NumSGPRsForWavesPerEU: 6
; NumVGPRsForWavesPerEU: 1
; AccumOffset: 4
; Occupancy: 8
; WaveLimiterHint : 0
; COMPUTE_PGM_RSRC2:SCRATCH_EN: 0
; COMPUTE_PGM_RSRC2:USER_SGPR: 2
; COMPUTE_PGM_RSRC2:TRAP_HANDLER: 0
; COMPUTE_PGM_RSRC2:TGID_X_EN: 1
; COMPUTE_PGM_RSRC2:TGID_Y_EN: 0
; COMPUTE_PGM_RSRC2:TGID_Z_EN: 0
; COMPUTE_PGM_RSRC2:TIDIG_COMP_CNT: 0
; COMPUTE_PGM_RSRC3_GFX90A:ACCUM_OFFSET: 0
; COMPUTE_PGM_RSRC3_GFX90A:TG_SPLIT: 0
	.section	.text._ZN7rocprim17ROCPRIM_400000_NS6detail17trampoline_kernelINS0_14default_configENS1_20scan_config_selectorIfEEZZNS1_9scan_implILNS1_25lookback_scan_determinismE0ELb0ELb0ES3_PKfPffZZZN2at6native31launch_logcumsumexp_cuda_kernelERKNSB_10TensorBaseESF_lENKUlvE_clEvENKUlvE0_clEvEUlffE_fEEDaPvRmT3_T4_T5_mT6_P12ihipStream_tbENKUlT_T0_E_clISt17integral_constantIbLb1EESV_IbLb0EEEEDaSR_SS_EUlSR_E0_NS1_11comp_targetILNS1_3genE8ELNS1_11target_archE1030ELNS1_3gpuE2ELNS1_3repE0EEENS1_30default_config_static_selectorELNS0_4arch9wavefront6targetE1EEEvT1_,"axG",@progbits,_ZN7rocprim17ROCPRIM_400000_NS6detail17trampoline_kernelINS0_14default_configENS1_20scan_config_selectorIfEEZZNS1_9scan_implILNS1_25lookback_scan_determinismE0ELb0ELb0ES3_PKfPffZZZN2at6native31launch_logcumsumexp_cuda_kernelERKNSB_10TensorBaseESF_lENKUlvE_clEvENKUlvE0_clEvEUlffE_fEEDaPvRmT3_T4_T5_mT6_P12ihipStream_tbENKUlT_T0_E_clISt17integral_constantIbLb1EESV_IbLb0EEEEDaSR_SS_EUlSR_E0_NS1_11comp_targetILNS1_3genE8ELNS1_11target_archE1030ELNS1_3gpuE2ELNS1_3repE0EEENS1_30default_config_static_selectorELNS0_4arch9wavefront6targetE1EEEvT1_,comdat
	.globl	_ZN7rocprim17ROCPRIM_400000_NS6detail17trampoline_kernelINS0_14default_configENS1_20scan_config_selectorIfEEZZNS1_9scan_implILNS1_25lookback_scan_determinismE0ELb0ELb0ES3_PKfPffZZZN2at6native31launch_logcumsumexp_cuda_kernelERKNSB_10TensorBaseESF_lENKUlvE_clEvENKUlvE0_clEvEUlffE_fEEDaPvRmT3_T4_T5_mT6_P12ihipStream_tbENKUlT_T0_E_clISt17integral_constantIbLb1EESV_IbLb0EEEEDaSR_SS_EUlSR_E0_NS1_11comp_targetILNS1_3genE8ELNS1_11target_archE1030ELNS1_3gpuE2ELNS1_3repE0EEENS1_30default_config_static_selectorELNS0_4arch9wavefront6targetE1EEEvT1_ ; -- Begin function _ZN7rocprim17ROCPRIM_400000_NS6detail17trampoline_kernelINS0_14default_configENS1_20scan_config_selectorIfEEZZNS1_9scan_implILNS1_25lookback_scan_determinismE0ELb0ELb0ES3_PKfPffZZZN2at6native31launch_logcumsumexp_cuda_kernelERKNSB_10TensorBaseESF_lENKUlvE_clEvENKUlvE0_clEvEUlffE_fEEDaPvRmT3_T4_T5_mT6_P12ihipStream_tbENKUlT_T0_E_clISt17integral_constantIbLb1EESV_IbLb0EEEEDaSR_SS_EUlSR_E0_NS1_11comp_targetILNS1_3genE8ELNS1_11target_archE1030ELNS1_3gpuE2ELNS1_3repE0EEENS1_30default_config_static_selectorELNS0_4arch9wavefront6targetE1EEEvT1_
	.p2align	8
	.type	_ZN7rocprim17ROCPRIM_400000_NS6detail17trampoline_kernelINS0_14default_configENS1_20scan_config_selectorIfEEZZNS1_9scan_implILNS1_25lookback_scan_determinismE0ELb0ELb0ES3_PKfPffZZZN2at6native31launch_logcumsumexp_cuda_kernelERKNSB_10TensorBaseESF_lENKUlvE_clEvENKUlvE0_clEvEUlffE_fEEDaPvRmT3_T4_T5_mT6_P12ihipStream_tbENKUlT_T0_E_clISt17integral_constantIbLb1EESV_IbLb0EEEEDaSR_SS_EUlSR_E0_NS1_11comp_targetILNS1_3genE8ELNS1_11target_archE1030ELNS1_3gpuE2ELNS1_3repE0EEENS1_30default_config_static_selectorELNS0_4arch9wavefront6targetE1EEEvT1_,@function
_ZN7rocprim17ROCPRIM_400000_NS6detail17trampoline_kernelINS0_14default_configENS1_20scan_config_selectorIfEEZZNS1_9scan_implILNS1_25lookback_scan_determinismE0ELb0ELb0ES3_PKfPffZZZN2at6native31launch_logcumsumexp_cuda_kernelERKNSB_10TensorBaseESF_lENKUlvE_clEvENKUlvE0_clEvEUlffE_fEEDaPvRmT3_T4_T5_mT6_P12ihipStream_tbENKUlT_T0_E_clISt17integral_constantIbLb1EESV_IbLb0EEEEDaSR_SS_EUlSR_E0_NS1_11comp_targetILNS1_3genE8ELNS1_11target_archE1030ELNS1_3gpuE2ELNS1_3repE0EEENS1_30default_config_static_selectorELNS0_4arch9wavefront6targetE1EEEvT1_: ; @_ZN7rocprim17ROCPRIM_400000_NS6detail17trampoline_kernelINS0_14default_configENS1_20scan_config_selectorIfEEZZNS1_9scan_implILNS1_25lookback_scan_determinismE0ELb0ELb0ES3_PKfPffZZZN2at6native31launch_logcumsumexp_cuda_kernelERKNSB_10TensorBaseESF_lENKUlvE_clEvENKUlvE0_clEvEUlffE_fEEDaPvRmT3_T4_T5_mT6_P12ihipStream_tbENKUlT_T0_E_clISt17integral_constantIbLb1EESV_IbLb0EEEEDaSR_SS_EUlSR_E0_NS1_11comp_targetILNS1_3genE8ELNS1_11target_archE1030ELNS1_3gpuE2ELNS1_3repE0EEENS1_30default_config_static_selectorELNS0_4arch9wavefront6targetE1EEEvT1_
; %bb.0:
	.section	.rodata,"a",@progbits
	.p2align	6, 0x0
	.amdhsa_kernel _ZN7rocprim17ROCPRIM_400000_NS6detail17trampoline_kernelINS0_14default_configENS1_20scan_config_selectorIfEEZZNS1_9scan_implILNS1_25lookback_scan_determinismE0ELb0ELb0ES3_PKfPffZZZN2at6native31launch_logcumsumexp_cuda_kernelERKNSB_10TensorBaseESF_lENKUlvE_clEvENKUlvE0_clEvEUlffE_fEEDaPvRmT3_T4_T5_mT6_P12ihipStream_tbENKUlT_T0_E_clISt17integral_constantIbLb1EESV_IbLb0EEEEDaSR_SS_EUlSR_E0_NS1_11comp_targetILNS1_3genE8ELNS1_11target_archE1030ELNS1_3gpuE2ELNS1_3repE0EEENS1_30default_config_static_selectorELNS0_4arch9wavefront6targetE1EEEvT1_
		.amdhsa_group_segment_fixed_size 0
		.amdhsa_private_segment_fixed_size 0
		.amdhsa_kernarg_size 32
		.amdhsa_user_sgpr_count 2
		.amdhsa_user_sgpr_dispatch_ptr 0
		.amdhsa_user_sgpr_queue_ptr 0
		.amdhsa_user_sgpr_kernarg_segment_ptr 1
		.amdhsa_user_sgpr_dispatch_id 0
		.amdhsa_user_sgpr_kernarg_preload_length 0
		.amdhsa_user_sgpr_kernarg_preload_offset 0
		.amdhsa_user_sgpr_private_segment_size 0
		.amdhsa_uses_dynamic_stack 0
		.amdhsa_enable_private_segment 0
		.amdhsa_system_sgpr_workgroup_id_x 1
		.amdhsa_system_sgpr_workgroup_id_y 0
		.amdhsa_system_sgpr_workgroup_id_z 0
		.amdhsa_system_sgpr_workgroup_info 0
		.amdhsa_system_vgpr_workitem_id 0
		.amdhsa_next_free_vgpr 1
		.amdhsa_next_free_sgpr 0
		.amdhsa_accum_offset 4
		.amdhsa_reserve_vcc 0
		.amdhsa_float_round_mode_32 0
		.amdhsa_float_round_mode_16_64 0
		.amdhsa_float_denorm_mode_32 3
		.amdhsa_float_denorm_mode_16_64 3
		.amdhsa_dx10_clamp 1
		.amdhsa_ieee_mode 1
		.amdhsa_fp16_overflow 0
		.amdhsa_tg_split 0
		.amdhsa_exception_fp_ieee_invalid_op 0
		.amdhsa_exception_fp_denorm_src 0
		.amdhsa_exception_fp_ieee_div_zero 0
		.amdhsa_exception_fp_ieee_overflow 0
		.amdhsa_exception_fp_ieee_underflow 0
		.amdhsa_exception_fp_ieee_inexact 0
		.amdhsa_exception_int_div_zero 0
	.end_amdhsa_kernel
	.section	.text._ZN7rocprim17ROCPRIM_400000_NS6detail17trampoline_kernelINS0_14default_configENS1_20scan_config_selectorIfEEZZNS1_9scan_implILNS1_25lookback_scan_determinismE0ELb0ELb0ES3_PKfPffZZZN2at6native31launch_logcumsumexp_cuda_kernelERKNSB_10TensorBaseESF_lENKUlvE_clEvENKUlvE0_clEvEUlffE_fEEDaPvRmT3_T4_T5_mT6_P12ihipStream_tbENKUlT_T0_E_clISt17integral_constantIbLb1EESV_IbLb0EEEEDaSR_SS_EUlSR_E0_NS1_11comp_targetILNS1_3genE8ELNS1_11target_archE1030ELNS1_3gpuE2ELNS1_3repE0EEENS1_30default_config_static_selectorELNS0_4arch9wavefront6targetE1EEEvT1_,"axG",@progbits,_ZN7rocprim17ROCPRIM_400000_NS6detail17trampoline_kernelINS0_14default_configENS1_20scan_config_selectorIfEEZZNS1_9scan_implILNS1_25lookback_scan_determinismE0ELb0ELb0ES3_PKfPffZZZN2at6native31launch_logcumsumexp_cuda_kernelERKNSB_10TensorBaseESF_lENKUlvE_clEvENKUlvE0_clEvEUlffE_fEEDaPvRmT3_T4_T5_mT6_P12ihipStream_tbENKUlT_T0_E_clISt17integral_constantIbLb1EESV_IbLb0EEEEDaSR_SS_EUlSR_E0_NS1_11comp_targetILNS1_3genE8ELNS1_11target_archE1030ELNS1_3gpuE2ELNS1_3repE0EEENS1_30default_config_static_selectorELNS0_4arch9wavefront6targetE1EEEvT1_,comdat
.Lfunc_end158:
	.size	_ZN7rocprim17ROCPRIM_400000_NS6detail17trampoline_kernelINS0_14default_configENS1_20scan_config_selectorIfEEZZNS1_9scan_implILNS1_25lookback_scan_determinismE0ELb0ELb0ES3_PKfPffZZZN2at6native31launch_logcumsumexp_cuda_kernelERKNSB_10TensorBaseESF_lENKUlvE_clEvENKUlvE0_clEvEUlffE_fEEDaPvRmT3_T4_T5_mT6_P12ihipStream_tbENKUlT_T0_E_clISt17integral_constantIbLb1EESV_IbLb0EEEEDaSR_SS_EUlSR_E0_NS1_11comp_targetILNS1_3genE8ELNS1_11target_archE1030ELNS1_3gpuE2ELNS1_3repE0EEENS1_30default_config_static_selectorELNS0_4arch9wavefront6targetE1EEEvT1_, .Lfunc_end158-_ZN7rocprim17ROCPRIM_400000_NS6detail17trampoline_kernelINS0_14default_configENS1_20scan_config_selectorIfEEZZNS1_9scan_implILNS1_25lookback_scan_determinismE0ELb0ELb0ES3_PKfPffZZZN2at6native31launch_logcumsumexp_cuda_kernelERKNSB_10TensorBaseESF_lENKUlvE_clEvENKUlvE0_clEvEUlffE_fEEDaPvRmT3_T4_T5_mT6_P12ihipStream_tbENKUlT_T0_E_clISt17integral_constantIbLb1EESV_IbLb0EEEEDaSR_SS_EUlSR_E0_NS1_11comp_targetILNS1_3genE8ELNS1_11target_archE1030ELNS1_3gpuE2ELNS1_3repE0EEENS1_30default_config_static_selectorELNS0_4arch9wavefront6targetE1EEEvT1_
                                        ; -- End function
	.section	.AMDGPU.csdata,"",@progbits
; Kernel info:
; codeLenInByte = 0
; NumSgprs: 6
; NumVgprs: 0
; NumAgprs: 0
; TotalNumVgprs: 0
; ScratchSize: 0
; MemoryBound: 0
; FloatMode: 240
; IeeeMode: 1
; LDSByteSize: 0 bytes/workgroup (compile time only)
; SGPRBlocks: 0
; VGPRBlocks: 0
; NumSGPRsForWavesPerEU: 6
; NumVGPRsForWavesPerEU: 1
; AccumOffset: 4
; Occupancy: 8
; WaveLimiterHint : 0
; COMPUTE_PGM_RSRC2:SCRATCH_EN: 0
; COMPUTE_PGM_RSRC2:USER_SGPR: 2
; COMPUTE_PGM_RSRC2:TRAP_HANDLER: 0
; COMPUTE_PGM_RSRC2:TGID_X_EN: 1
; COMPUTE_PGM_RSRC2:TGID_Y_EN: 0
; COMPUTE_PGM_RSRC2:TGID_Z_EN: 0
; COMPUTE_PGM_RSRC2:TIDIG_COMP_CNT: 0
; COMPUTE_PGM_RSRC3_GFX90A:ACCUM_OFFSET: 0
; COMPUTE_PGM_RSRC3_GFX90A:TG_SPLIT: 0
	.section	.text._ZN7rocprim17ROCPRIM_400000_NS6detail31init_lookback_scan_state_kernelINS1_19lookback_scan_stateIfLb0ELb1EEENS1_16block_id_wrapperIjLb1EEEEEvT_jT0_jPNS7_10value_typeE,"axG",@progbits,_ZN7rocprim17ROCPRIM_400000_NS6detail31init_lookback_scan_state_kernelINS1_19lookback_scan_stateIfLb0ELb1EEENS1_16block_id_wrapperIjLb1EEEEEvT_jT0_jPNS7_10value_typeE,comdat
	.protected	_ZN7rocprim17ROCPRIM_400000_NS6detail31init_lookback_scan_state_kernelINS1_19lookback_scan_stateIfLb0ELb1EEENS1_16block_id_wrapperIjLb1EEEEEvT_jT0_jPNS7_10value_typeE ; -- Begin function _ZN7rocprim17ROCPRIM_400000_NS6detail31init_lookback_scan_state_kernelINS1_19lookback_scan_stateIfLb0ELb1EEENS1_16block_id_wrapperIjLb1EEEEEvT_jT0_jPNS7_10value_typeE
	.globl	_ZN7rocprim17ROCPRIM_400000_NS6detail31init_lookback_scan_state_kernelINS1_19lookback_scan_stateIfLb0ELb1EEENS1_16block_id_wrapperIjLb1EEEEEvT_jT0_jPNS7_10value_typeE
	.p2align	8
	.type	_ZN7rocprim17ROCPRIM_400000_NS6detail31init_lookback_scan_state_kernelINS1_19lookback_scan_stateIfLb0ELb1EEENS1_16block_id_wrapperIjLb1EEEEEvT_jT0_jPNS7_10value_typeE,@function
_ZN7rocprim17ROCPRIM_400000_NS6detail31init_lookback_scan_state_kernelINS1_19lookback_scan_stateIfLb0ELb1EEENS1_16block_id_wrapperIjLb1EEEEEvT_jT0_jPNS7_10value_typeE: ; @_ZN7rocprim17ROCPRIM_400000_NS6detail31init_lookback_scan_state_kernelINS1_19lookback_scan_stateIfLb0ELb1EEENS1_16block_id_wrapperIjLb1EEEEEvT_jT0_jPNS7_10value_typeE
; %bb.0:
	s_load_dword s3, s[0:1], 0x34
	s_load_dwordx2 s[6:7], s[0:1], 0x20
	s_load_dwordx2 s[4:5], s[0:1], 0x0
	s_load_dword s10, s[0:1], 0x8
	s_waitcnt lgkmcnt(0)
	s_and_b32 s3, s3, 0xffff
	s_mul_i32 s2, s2, s3
	s_cmp_eq_u64 s[6:7], 0
	v_add_u32_e32 v0, s2, v0
	s_cbranch_scc1 .LBB159_6
; %bb.1:
	s_load_dword s8, s[0:1], 0x18
	s_mov_b32 s9, 0
	s_waitcnt lgkmcnt(0)
	s_cmp_lt_u32 s8, s10
	s_cselect_b32 s2, s8, 0
	v_cmp_eq_u32_e32 vcc, s2, v0
	s_and_saveexec_b64 s[2:3], vcc
	s_cbranch_execz .LBB159_5
; %bb.2:
	s_add_i32 s8, s8, 64
	s_lshl_b64 s[8:9], s[8:9], 3
	s_add_u32 s8, s4, s8
	s_addc_u32 s9, s5, s9
	v_mov_b32_e32 v4, 0
	global_load_dwordx2 v[2:3], v4, s[8:9] sc1
	s_waitcnt vmcnt(0)
	v_and_b32_e32 v5, 0xff, v3
	v_cmp_ne_u64_e32 vcc, 0, v[4:5]
	s_cbranch_vccnz .LBB159_4
.LBB159_3:                              ; =>This Inner Loop Header: Depth=1
	global_load_dwordx2 v[2:3], v4, s[8:9] sc1
	s_waitcnt vmcnt(0)
	v_and_b32_e32 v5, 0xff, v3
	v_cmp_eq_u64_e32 vcc, 0, v[4:5]
	s_cbranch_vccnz .LBB159_3
.LBB159_4:
	v_mov_b32_e32 v1, 0
	global_store_dword v1, v2, s[6:7]
.LBB159_5:
	s_or_b64 exec, exec, s[2:3]
.LBB159_6:
	v_cmp_eq_u32_e32 vcc, 0, v0
	s_and_saveexec_b64 s[2:3], vcc
	s_cbranch_execnz .LBB159_10
; %bb.7:
	s_or_b64 exec, exec, s[2:3]
	v_cmp_gt_u32_e32 vcc, s10, v0
	s_and_saveexec_b64 s[0:1], vcc
	s_cbranch_execnz .LBB159_11
.LBB159_8:
	s_or_b64 exec, exec, s[0:1]
	v_cmp_gt_u32_e32 vcc, 64, v0
	s_and_saveexec_b64 s[0:1], vcc
	s_cbranch_execnz .LBB159_12
.LBB159_9:
	s_endpgm
.LBB159_10:
	s_load_dwordx2 s[0:1], s[0:1], 0x10
	v_mov_b32_e32 v1, 0
	s_waitcnt lgkmcnt(0)
	global_store_dword v1, v1, s[0:1]
	s_or_b64 exec, exec, s[2:3]
	v_cmp_gt_u32_e32 vcc, s10, v0
	s_and_saveexec_b64 s[0:1], vcc
	s_cbranch_execz .LBB159_8
.LBB159_11:
	v_add_u32_e32 v2, 64, v0
	v_mov_b32_e32 v3, 0
	v_lshl_add_u64 v[4:5], v[2:3], 3, s[4:5]
	v_mov_b32_e32 v2, v3
	global_store_dwordx2 v[4:5], v[2:3], off
	s_or_b64 exec, exec, s[0:1]
	v_cmp_gt_u32_e32 vcc, 64, v0
	s_and_saveexec_b64 s[0:1], vcc
	s_cbranch_execz .LBB159_9
.LBB159_12:
	v_mov_b32_e32 v1, 0
	v_lshl_add_u64 v[2:3], v[0:1], 3, s[4:5]
	v_mov_b32_e32 v5, 0xff
	v_mov_b32_e32 v4, v1
	global_store_dwordx2 v[2:3], v[4:5], off
	s_endpgm
	.section	.rodata,"a",@progbits
	.p2align	6, 0x0
	.amdhsa_kernel _ZN7rocprim17ROCPRIM_400000_NS6detail31init_lookback_scan_state_kernelINS1_19lookback_scan_stateIfLb0ELb1EEENS1_16block_id_wrapperIjLb1EEEEEvT_jT0_jPNS7_10value_typeE
		.amdhsa_group_segment_fixed_size 0
		.amdhsa_private_segment_fixed_size 0
		.amdhsa_kernarg_size 296
		.amdhsa_user_sgpr_count 2
		.amdhsa_user_sgpr_dispatch_ptr 0
		.amdhsa_user_sgpr_queue_ptr 0
		.amdhsa_user_sgpr_kernarg_segment_ptr 1
		.amdhsa_user_sgpr_dispatch_id 0
		.amdhsa_user_sgpr_kernarg_preload_length 0
		.amdhsa_user_sgpr_kernarg_preload_offset 0
		.amdhsa_user_sgpr_private_segment_size 0
		.amdhsa_uses_dynamic_stack 0
		.amdhsa_enable_private_segment 0
		.amdhsa_system_sgpr_workgroup_id_x 1
		.amdhsa_system_sgpr_workgroup_id_y 0
		.amdhsa_system_sgpr_workgroup_id_z 0
		.amdhsa_system_sgpr_workgroup_info 0
		.amdhsa_system_vgpr_workitem_id 0
		.amdhsa_next_free_vgpr 6
		.amdhsa_next_free_sgpr 11
		.amdhsa_accum_offset 8
		.amdhsa_reserve_vcc 1
		.amdhsa_float_round_mode_32 0
		.amdhsa_float_round_mode_16_64 0
		.amdhsa_float_denorm_mode_32 3
		.amdhsa_float_denorm_mode_16_64 3
		.amdhsa_dx10_clamp 1
		.amdhsa_ieee_mode 1
		.amdhsa_fp16_overflow 0
		.amdhsa_tg_split 0
		.amdhsa_exception_fp_ieee_invalid_op 0
		.amdhsa_exception_fp_denorm_src 0
		.amdhsa_exception_fp_ieee_div_zero 0
		.amdhsa_exception_fp_ieee_overflow 0
		.amdhsa_exception_fp_ieee_underflow 0
		.amdhsa_exception_fp_ieee_inexact 0
		.amdhsa_exception_int_div_zero 0
	.end_amdhsa_kernel
	.section	.text._ZN7rocprim17ROCPRIM_400000_NS6detail31init_lookback_scan_state_kernelINS1_19lookback_scan_stateIfLb0ELb1EEENS1_16block_id_wrapperIjLb1EEEEEvT_jT0_jPNS7_10value_typeE,"axG",@progbits,_ZN7rocprim17ROCPRIM_400000_NS6detail31init_lookback_scan_state_kernelINS1_19lookback_scan_stateIfLb0ELb1EEENS1_16block_id_wrapperIjLb1EEEEEvT_jT0_jPNS7_10value_typeE,comdat
.Lfunc_end159:
	.size	_ZN7rocprim17ROCPRIM_400000_NS6detail31init_lookback_scan_state_kernelINS1_19lookback_scan_stateIfLb0ELb1EEENS1_16block_id_wrapperIjLb1EEEEEvT_jT0_jPNS7_10value_typeE, .Lfunc_end159-_ZN7rocprim17ROCPRIM_400000_NS6detail31init_lookback_scan_state_kernelINS1_19lookback_scan_stateIfLb0ELb1EEENS1_16block_id_wrapperIjLb1EEEEEvT_jT0_jPNS7_10value_typeE
                                        ; -- End function
	.section	.AMDGPU.csdata,"",@progbits
; Kernel info:
; codeLenInByte = 356
; NumSgprs: 17
; NumVgprs: 6
; NumAgprs: 0
; TotalNumVgprs: 6
; ScratchSize: 0
; MemoryBound: 0
; FloatMode: 240
; IeeeMode: 1
; LDSByteSize: 0 bytes/workgroup (compile time only)
; SGPRBlocks: 2
; VGPRBlocks: 0
; NumSGPRsForWavesPerEU: 17
; NumVGPRsForWavesPerEU: 6
; AccumOffset: 8
; Occupancy: 8
; WaveLimiterHint : 0
; COMPUTE_PGM_RSRC2:SCRATCH_EN: 0
; COMPUTE_PGM_RSRC2:USER_SGPR: 2
; COMPUTE_PGM_RSRC2:TRAP_HANDLER: 0
; COMPUTE_PGM_RSRC2:TGID_X_EN: 1
; COMPUTE_PGM_RSRC2:TGID_Y_EN: 0
; COMPUTE_PGM_RSRC2:TGID_Z_EN: 0
; COMPUTE_PGM_RSRC2:TIDIG_COMP_CNT: 0
; COMPUTE_PGM_RSRC3_GFX90A:ACCUM_OFFSET: 1
; COMPUTE_PGM_RSRC3_GFX90A:TG_SPLIT: 0
	.section	.text._ZN7rocprim17ROCPRIM_400000_NS6detail17trampoline_kernelINS0_14default_configENS1_20scan_config_selectorIfEEZZNS1_9scan_implILNS1_25lookback_scan_determinismE0ELb0ELb0ES3_PKfPffZZZN2at6native31launch_logcumsumexp_cuda_kernelERKNSB_10TensorBaseESF_lENKUlvE_clEvENKUlvE0_clEvEUlffE_fEEDaPvRmT3_T4_T5_mT6_P12ihipStream_tbENKUlT_T0_E_clISt17integral_constantIbLb0EESV_IbLb1EEEEDaSR_SS_EUlSR_E_NS1_11comp_targetILNS1_3genE0ELNS1_11target_archE4294967295ELNS1_3gpuE0ELNS1_3repE0EEENS1_30default_config_static_selectorELNS0_4arch9wavefront6targetE1EEEvT1_,"axG",@progbits,_ZN7rocprim17ROCPRIM_400000_NS6detail17trampoline_kernelINS0_14default_configENS1_20scan_config_selectorIfEEZZNS1_9scan_implILNS1_25lookback_scan_determinismE0ELb0ELb0ES3_PKfPffZZZN2at6native31launch_logcumsumexp_cuda_kernelERKNSB_10TensorBaseESF_lENKUlvE_clEvENKUlvE0_clEvEUlffE_fEEDaPvRmT3_T4_T5_mT6_P12ihipStream_tbENKUlT_T0_E_clISt17integral_constantIbLb0EESV_IbLb1EEEEDaSR_SS_EUlSR_E_NS1_11comp_targetILNS1_3genE0ELNS1_11target_archE4294967295ELNS1_3gpuE0ELNS1_3repE0EEENS1_30default_config_static_selectorELNS0_4arch9wavefront6targetE1EEEvT1_,comdat
	.globl	_ZN7rocprim17ROCPRIM_400000_NS6detail17trampoline_kernelINS0_14default_configENS1_20scan_config_selectorIfEEZZNS1_9scan_implILNS1_25lookback_scan_determinismE0ELb0ELb0ES3_PKfPffZZZN2at6native31launch_logcumsumexp_cuda_kernelERKNSB_10TensorBaseESF_lENKUlvE_clEvENKUlvE0_clEvEUlffE_fEEDaPvRmT3_T4_T5_mT6_P12ihipStream_tbENKUlT_T0_E_clISt17integral_constantIbLb0EESV_IbLb1EEEEDaSR_SS_EUlSR_E_NS1_11comp_targetILNS1_3genE0ELNS1_11target_archE4294967295ELNS1_3gpuE0ELNS1_3repE0EEENS1_30default_config_static_selectorELNS0_4arch9wavefront6targetE1EEEvT1_ ; -- Begin function _ZN7rocprim17ROCPRIM_400000_NS6detail17trampoline_kernelINS0_14default_configENS1_20scan_config_selectorIfEEZZNS1_9scan_implILNS1_25lookback_scan_determinismE0ELb0ELb0ES3_PKfPffZZZN2at6native31launch_logcumsumexp_cuda_kernelERKNSB_10TensorBaseESF_lENKUlvE_clEvENKUlvE0_clEvEUlffE_fEEDaPvRmT3_T4_T5_mT6_P12ihipStream_tbENKUlT_T0_E_clISt17integral_constantIbLb0EESV_IbLb1EEEEDaSR_SS_EUlSR_E_NS1_11comp_targetILNS1_3genE0ELNS1_11target_archE4294967295ELNS1_3gpuE0ELNS1_3repE0EEENS1_30default_config_static_selectorELNS0_4arch9wavefront6targetE1EEEvT1_
	.p2align	8
	.type	_ZN7rocprim17ROCPRIM_400000_NS6detail17trampoline_kernelINS0_14default_configENS1_20scan_config_selectorIfEEZZNS1_9scan_implILNS1_25lookback_scan_determinismE0ELb0ELb0ES3_PKfPffZZZN2at6native31launch_logcumsumexp_cuda_kernelERKNSB_10TensorBaseESF_lENKUlvE_clEvENKUlvE0_clEvEUlffE_fEEDaPvRmT3_T4_T5_mT6_P12ihipStream_tbENKUlT_T0_E_clISt17integral_constantIbLb0EESV_IbLb1EEEEDaSR_SS_EUlSR_E_NS1_11comp_targetILNS1_3genE0ELNS1_11target_archE4294967295ELNS1_3gpuE0ELNS1_3repE0EEENS1_30default_config_static_selectorELNS0_4arch9wavefront6targetE1EEEvT1_,@function
_ZN7rocprim17ROCPRIM_400000_NS6detail17trampoline_kernelINS0_14default_configENS1_20scan_config_selectorIfEEZZNS1_9scan_implILNS1_25lookback_scan_determinismE0ELb0ELb0ES3_PKfPffZZZN2at6native31launch_logcumsumexp_cuda_kernelERKNSB_10TensorBaseESF_lENKUlvE_clEvENKUlvE0_clEvEUlffE_fEEDaPvRmT3_T4_T5_mT6_P12ihipStream_tbENKUlT_T0_E_clISt17integral_constantIbLb0EESV_IbLb1EEEEDaSR_SS_EUlSR_E_NS1_11comp_targetILNS1_3genE0ELNS1_11target_archE4294967295ELNS1_3gpuE0ELNS1_3repE0EEENS1_30default_config_static_selectorELNS0_4arch9wavefront6targetE1EEEvT1_: ; @_ZN7rocprim17ROCPRIM_400000_NS6detail17trampoline_kernelINS0_14default_configENS1_20scan_config_selectorIfEEZZNS1_9scan_implILNS1_25lookback_scan_determinismE0ELb0ELb0ES3_PKfPffZZZN2at6native31launch_logcumsumexp_cuda_kernelERKNSB_10TensorBaseESF_lENKUlvE_clEvENKUlvE0_clEvEUlffE_fEEDaPvRmT3_T4_T5_mT6_P12ihipStream_tbENKUlT_T0_E_clISt17integral_constantIbLb0EESV_IbLb1EEEEDaSR_SS_EUlSR_E_NS1_11comp_targetILNS1_3genE0ELNS1_11target_archE4294967295ELNS1_3gpuE0ELNS1_3repE0EEENS1_30default_config_static_selectorELNS0_4arch9wavefront6targetE1EEEvT1_
; %bb.0:
	.section	.rodata,"a",@progbits
	.p2align	6, 0x0
	.amdhsa_kernel _ZN7rocprim17ROCPRIM_400000_NS6detail17trampoline_kernelINS0_14default_configENS1_20scan_config_selectorIfEEZZNS1_9scan_implILNS1_25lookback_scan_determinismE0ELb0ELb0ES3_PKfPffZZZN2at6native31launch_logcumsumexp_cuda_kernelERKNSB_10TensorBaseESF_lENKUlvE_clEvENKUlvE0_clEvEUlffE_fEEDaPvRmT3_T4_T5_mT6_P12ihipStream_tbENKUlT_T0_E_clISt17integral_constantIbLb0EESV_IbLb1EEEEDaSR_SS_EUlSR_E_NS1_11comp_targetILNS1_3genE0ELNS1_11target_archE4294967295ELNS1_3gpuE0ELNS1_3repE0EEENS1_30default_config_static_selectorELNS0_4arch9wavefront6targetE1EEEvT1_
		.amdhsa_group_segment_fixed_size 0
		.amdhsa_private_segment_fixed_size 0
		.amdhsa_kernarg_size 96
		.amdhsa_user_sgpr_count 2
		.amdhsa_user_sgpr_dispatch_ptr 0
		.amdhsa_user_sgpr_queue_ptr 0
		.amdhsa_user_sgpr_kernarg_segment_ptr 1
		.amdhsa_user_sgpr_dispatch_id 0
		.amdhsa_user_sgpr_kernarg_preload_length 0
		.amdhsa_user_sgpr_kernarg_preload_offset 0
		.amdhsa_user_sgpr_private_segment_size 0
		.amdhsa_uses_dynamic_stack 0
		.amdhsa_enable_private_segment 0
		.amdhsa_system_sgpr_workgroup_id_x 1
		.amdhsa_system_sgpr_workgroup_id_y 0
		.amdhsa_system_sgpr_workgroup_id_z 0
		.amdhsa_system_sgpr_workgroup_info 0
		.amdhsa_system_vgpr_workitem_id 0
		.amdhsa_next_free_vgpr 1
		.amdhsa_next_free_sgpr 0
		.amdhsa_accum_offset 4
		.amdhsa_reserve_vcc 0
		.amdhsa_float_round_mode_32 0
		.amdhsa_float_round_mode_16_64 0
		.amdhsa_float_denorm_mode_32 3
		.amdhsa_float_denorm_mode_16_64 3
		.amdhsa_dx10_clamp 1
		.amdhsa_ieee_mode 1
		.amdhsa_fp16_overflow 0
		.amdhsa_tg_split 0
		.amdhsa_exception_fp_ieee_invalid_op 0
		.amdhsa_exception_fp_denorm_src 0
		.amdhsa_exception_fp_ieee_div_zero 0
		.amdhsa_exception_fp_ieee_overflow 0
		.amdhsa_exception_fp_ieee_underflow 0
		.amdhsa_exception_fp_ieee_inexact 0
		.amdhsa_exception_int_div_zero 0
	.end_amdhsa_kernel
	.section	.text._ZN7rocprim17ROCPRIM_400000_NS6detail17trampoline_kernelINS0_14default_configENS1_20scan_config_selectorIfEEZZNS1_9scan_implILNS1_25lookback_scan_determinismE0ELb0ELb0ES3_PKfPffZZZN2at6native31launch_logcumsumexp_cuda_kernelERKNSB_10TensorBaseESF_lENKUlvE_clEvENKUlvE0_clEvEUlffE_fEEDaPvRmT3_T4_T5_mT6_P12ihipStream_tbENKUlT_T0_E_clISt17integral_constantIbLb0EESV_IbLb1EEEEDaSR_SS_EUlSR_E_NS1_11comp_targetILNS1_3genE0ELNS1_11target_archE4294967295ELNS1_3gpuE0ELNS1_3repE0EEENS1_30default_config_static_selectorELNS0_4arch9wavefront6targetE1EEEvT1_,"axG",@progbits,_ZN7rocprim17ROCPRIM_400000_NS6detail17trampoline_kernelINS0_14default_configENS1_20scan_config_selectorIfEEZZNS1_9scan_implILNS1_25lookback_scan_determinismE0ELb0ELb0ES3_PKfPffZZZN2at6native31launch_logcumsumexp_cuda_kernelERKNSB_10TensorBaseESF_lENKUlvE_clEvENKUlvE0_clEvEUlffE_fEEDaPvRmT3_T4_T5_mT6_P12ihipStream_tbENKUlT_T0_E_clISt17integral_constantIbLb0EESV_IbLb1EEEEDaSR_SS_EUlSR_E_NS1_11comp_targetILNS1_3genE0ELNS1_11target_archE4294967295ELNS1_3gpuE0ELNS1_3repE0EEENS1_30default_config_static_selectorELNS0_4arch9wavefront6targetE1EEEvT1_,comdat
.Lfunc_end160:
	.size	_ZN7rocprim17ROCPRIM_400000_NS6detail17trampoline_kernelINS0_14default_configENS1_20scan_config_selectorIfEEZZNS1_9scan_implILNS1_25lookback_scan_determinismE0ELb0ELb0ES3_PKfPffZZZN2at6native31launch_logcumsumexp_cuda_kernelERKNSB_10TensorBaseESF_lENKUlvE_clEvENKUlvE0_clEvEUlffE_fEEDaPvRmT3_T4_T5_mT6_P12ihipStream_tbENKUlT_T0_E_clISt17integral_constantIbLb0EESV_IbLb1EEEEDaSR_SS_EUlSR_E_NS1_11comp_targetILNS1_3genE0ELNS1_11target_archE4294967295ELNS1_3gpuE0ELNS1_3repE0EEENS1_30default_config_static_selectorELNS0_4arch9wavefront6targetE1EEEvT1_, .Lfunc_end160-_ZN7rocprim17ROCPRIM_400000_NS6detail17trampoline_kernelINS0_14default_configENS1_20scan_config_selectorIfEEZZNS1_9scan_implILNS1_25lookback_scan_determinismE0ELb0ELb0ES3_PKfPffZZZN2at6native31launch_logcumsumexp_cuda_kernelERKNSB_10TensorBaseESF_lENKUlvE_clEvENKUlvE0_clEvEUlffE_fEEDaPvRmT3_T4_T5_mT6_P12ihipStream_tbENKUlT_T0_E_clISt17integral_constantIbLb0EESV_IbLb1EEEEDaSR_SS_EUlSR_E_NS1_11comp_targetILNS1_3genE0ELNS1_11target_archE4294967295ELNS1_3gpuE0ELNS1_3repE0EEENS1_30default_config_static_selectorELNS0_4arch9wavefront6targetE1EEEvT1_
                                        ; -- End function
	.section	.AMDGPU.csdata,"",@progbits
; Kernel info:
; codeLenInByte = 0
; NumSgprs: 6
; NumVgprs: 0
; NumAgprs: 0
; TotalNumVgprs: 0
; ScratchSize: 0
; MemoryBound: 0
; FloatMode: 240
; IeeeMode: 1
; LDSByteSize: 0 bytes/workgroup (compile time only)
; SGPRBlocks: 0
; VGPRBlocks: 0
; NumSGPRsForWavesPerEU: 6
; NumVGPRsForWavesPerEU: 1
; AccumOffset: 4
; Occupancy: 8
; WaveLimiterHint : 0
; COMPUTE_PGM_RSRC2:SCRATCH_EN: 0
; COMPUTE_PGM_RSRC2:USER_SGPR: 2
; COMPUTE_PGM_RSRC2:TRAP_HANDLER: 0
; COMPUTE_PGM_RSRC2:TGID_X_EN: 1
; COMPUTE_PGM_RSRC2:TGID_Y_EN: 0
; COMPUTE_PGM_RSRC2:TGID_Z_EN: 0
; COMPUTE_PGM_RSRC2:TIDIG_COMP_CNT: 0
; COMPUTE_PGM_RSRC3_GFX90A:ACCUM_OFFSET: 0
; COMPUTE_PGM_RSRC3_GFX90A:TG_SPLIT: 0
	.text
	.p2align	2                               ; -- Begin function _ZZZN7rocprim17ROCPRIM_400000_NS6detail9scan_implILNS1_25lookback_scan_determinismE0ELb0ELb0ENS0_14default_configEPKfPffZZZN2at6native31launch_logcumsumexp_cuda_kernelERKNS8_10TensorBaseESC_lENKUlvE_clEvENKUlvE0_clEvEUlffE_fEEDaPvRmT3_T4_T5_mT6_P12ihipStream_tbENKUlT_T0_E_clISt17integral_constantIbLb0EESS_IbLb1EEEEDaSO_SP_ENKUlSO_E_clINS1_13target_configIS4_NS1_20scan_config_selectorIfEENS1_11comp_targetILNS1_3genE5ELNS1_11target_archE942ELNS1_3gpuE9ELNS1_3repE0EEELNS0_4arch9wavefront6targetE1EEEEEDaSO_
	.type	_ZZZN7rocprim17ROCPRIM_400000_NS6detail9scan_implILNS1_25lookback_scan_determinismE0ELb0ELb0ENS0_14default_configEPKfPffZZZN2at6native31launch_logcumsumexp_cuda_kernelERKNS8_10TensorBaseESC_lENKUlvE_clEvENKUlvE0_clEvEUlffE_fEEDaPvRmT3_T4_T5_mT6_P12ihipStream_tbENKUlT_T0_E_clISt17integral_constantIbLb0EESS_IbLb1EEEEDaSO_SP_ENKUlSO_E_clINS1_13target_configIS4_NS1_20scan_config_selectorIfEENS1_11comp_targetILNS1_3genE5ELNS1_11target_archE942ELNS1_3gpuE9ELNS1_3repE0EEELNS0_4arch9wavefront6targetE1EEEEEDaSO_,@function
_ZZZN7rocprim17ROCPRIM_400000_NS6detail9scan_implILNS1_25lookback_scan_determinismE0ELb0ELb0ENS0_14default_configEPKfPffZZZN2at6native31launch_logcumsumexp_cuda_kernelERKNS8_10TensorBaseESC_lENKUlvE_clEvENKUlvE0_clEvEUlffE_fEEDaPvRmT3_T4_T5_mT6_P12ihipStream_tbENKUlT_T0_E_clISt17integral_constantIbLb0EESS_IbLb1EEEEDaSO_SP_ENKUlSO_E_clINS1_13target_configIS4_NS1_20scan_config_selectorIfEENS1_11comp_targetILNS1_3genE5ELNS1_11target_archE942ELNS1_3gpuE9ELNS1_3repE0EEELNS0_4arch9wavefront6targetE1EEEEEDaSO_: ; @_ZZZN7rocprim17ROCPRIM_400000_NS6detail9scan_implILNS1_25lookback_scan_determinismE0ELb0ELb0ENS0_14default_configEPKfPffZZZN2at6native31launch_logcumsumexp_cuda_kernelERKNS8_10TensorBaseESC_lENKUlvE_clEvENKUlvE0_clEvEUlffE_fEEDaPvRmT3_T4_T5_mT6_P12ihipStream_tbENKUlT_T0_E_clISt17integral_constantIbLb0EESS_IbLb1EEEEDaSO_SP_ENKUlSO_E_clINS1_13target_configIS4_NS1_20scan_config_selectorIfEENS1_11comp_targetILNS1_3genE5ELNS1_11target_archE942ELNS1_3gpuE9ELNS1_3repE0EEELNS0_4arch9wavefront6targetE1EEEEEDaSO_
; %bb.0:
	s_waitcnt vmcnt(0) expcnt(0) lgkmcnt(0)
	s_or_saveexec_b64 s[0:1], -1
	scratch_store_dword off, v40, s32       ; 4-byte Folded Spill
	s_mov_b64 exec, s[0:1]
	v_writelane_b32 v40, s30, 0
	s_nop 1
	v_writelane_b32 v40, s31, 1
	flat_load_dwordx4 v[10:13], v[0:1]
	flat_load_dwordx4 v[14:17], v[0:1] offset:16
	flat_load_dwordx3 v[96:98], v[0:1] offset:40
	flat_load_dwordx4 v[2:5], v[0:1] offset:56
	flat_load_dwordx4 v[6:9], v[0:1] offset:72
	v_and_b32_e32 v100, 0x3ff, v31
	v_cmp_ne_u32_e64 s[2:3], 0, v100
	v_cmp_eq_u32_e64 s[4:5], 0, v100
	s_and_saveexec_b64 s[0:1], s[4:5]
	s_cbranch_execz .LBB161_2
; %bb.1:
	flat_load_dwordx2 v[0:1], v[0:1] offset:88
	v_mov_b32_e32 v18, 1
	s_waitcnt vmcnt(0) lgkmcnt(0)
	flat_atomic_add v0, v[0:1], v18 sc0
	v_mov_b32_e32 v1, 0
	s_waitcnt vmcnt(0) lgkmcnt(0)
	ds_write_b32 v1, v0
.LBB161_2:
	s_or_b64 exec, exec, s[0:1]
	v_mov_b32_e32 v103, 0
	s_waitcnt lgkmcnt(0)
	s_barrier
	ds_read_b32 v52, v103
	s_movk_i32 s0, 0x1800
	s_waitcnt vmcnt(0)
	v_add_u32_e32 v18, -1, v98
	v_lshl_add_u64 v[0:1], v[12:13], 2, v[10:11]
	v_mul_lo_u32 v10, v18, s0
	s_waitcnt lgkmcnt(0)
	v_mul_lo_u32 v102, v52, s0
	v_sub_co_u32_e32 v10, vcc, v16, v10
	v_cmp_ne_u32_e64 s[0:1], v52, v18
	s_nop 0
	v_subbrev_co_u32_e32 v11, vcc, 0, v17, vcc
	v_lshl_add_u64 v[16:17], v[102:103], 2, v[0:1]
	v_lshlrev_b32_e32 v0, 2, v100
	s_barrier
	s_and_saveexec_b64 s[6:7], s[0:1]
	s_xor_b64 s[6:7], exec, s[6:7]
	s_cbranch_execz .LBB161_4
; %bb.3:
	v_mov_b32_e32 v1, v103
	v_lshl_add_u64 v[16:17], v[16:17], 0, v[0:1]
	v_add_co_u32_e32 v18, vcc, 0x1000, v16
	s_nop 1
	v_addc_co_u32_e32 v19, vcc, 0, v17, vcc
	flat_load_dword v1, v[16:17]
	flat_load_dword v22, v[16:17] offset:1024
	flat_load_dword v23, v[16:17] offset:2048
	flat_load_dword v24, v[16:17] offset:3072
	flat_load_dword v25, v[18:19]
	flat_load_dword v26, v[18:19] offset:1024
	flat_load_dword v27, v[18:19] offset:2048
	;; [unrolled: 1-line block ×3, first 2 shown]
	v_add_co_u32_e32 v18, vcc, 0x2000, v16
	s_nop 1
	v_addc_co_u32_e32 v19, vcc, 0, v17, vcc
	v_add_co_u32_e32 v20, vcc, 0x3000, v16
	s_nop 1
	v_addc_co_u32_e32 v21, vcc, 0, v17, vcc
	flat_load_dword v29, v[18:19]
	flat_load_dword v30, v[18:19] offset:1024
	flat_load_dword v31, v[18:19] offset:2048
	;; [unrolled: 1-line block ×3, first 2 shown]
	flat_load_dword v33, v[20:21]
	flat_load_dword v34, v[20:21] offset:1024
	flat_load_dword v35, v[20:21] offset:2048
	;; [unrolled: 1-line block ×3, first 2 shown]
	v_add_co_u32_e32 v18, vcc, 0x4000, v16
	s_nop 1
	v_addc_co_u32_e32 v19, vcc, 0, v17, vcc
	v_add_co_u32_e32 v16, vcc, 0x5000, v16
	s_nop 1
	v_addc_co_u32_e32 v17, vcc, 0, v17, vcc
	flat_load_dword v20, v[18:19]
	flat_load_dword v21, v[18:19] offset:1024
	flat_load_dword v37, v[18:19] offset:2048
	;; [unrolled: 1-line block ×3, first 2 shown]
	flat_load_dword v39, v[16:17]
	flat_load_dword v48, v[16:17] offset:1024
	flat_load_dword v49, v[16:17] offset:2048
	;; [unrolled: 1-line block ×3, first 2 shown]
                                        ; implicit-def: $vgpr16_vgpr17
	s_waitcnt vmcnt(0) lgkmcnt(0)
	ds_write2st64_b32 v0, v1, v22 offset1:4
	ds_write2st64_b32 v0, v23, v24 offset0:8 offset1:12
	ds_write2st64_b32 v0, v25, v26 offset0:16 offset1:20
	;; [unrolled: 1-line block ×11, first 2 shown]
	s_waitcnt lgkmcnt(0)
	s_barrier
.LBB161_4:
	s_andn2_saveexec_b64 s[6:7], s[6:7]
	s_cbranch_execz .LBB161_54
; %bb.5:
	flat_load_dword v18, v[16:17]
	v_cmp_lt_u32_e32 vcc, v100, v10
	s_waitcnt vmcnt(0) lgkmcnt(0)
	v_mov_b32_e32 v19, v18
	s_and_saveexec_b64 s[8:9], vcc
	s_cbranch_execz .LBB161_7
; %bb.6:
	v_mov_b32_e32 v1, 0
	v_lshl_add_u64 v[20:21], v[16:17], 0, v[0:1]
	flat_load_dword v19, v[20:21]
.LBB161_7:
	s_or_b64 exec, exec, s[8:9]
	v_add_u32_e32 v1, 0x100, v100
	v_cmp_lt_u32_e32 vcc, v1, v10
	v_mov_b32_e32 v20, v18
	s_and_saveexec_b64 s[8:9], vcc
	s_cbranch_execz .LBB161_9
; %bb.8:
	v_mov_b32_e32 v1, 0
	v_lshl_add_u64 v[20:21], v[16:17], 0, v[0:1]
	flat_load_dword v20, v[20:21] offset:1024
.LBB161_9:
	s_or_b64 exec, exec, s[8:9]
	v_add_u32_e32 v1, 0x200, v100
	v_cmp_lt_u32_e32 vcc, v1, v10
	v_mov_b32_e32 v21, v18
	s_and_saveexec_b64 s[8:9], vcc
	s_cbranch_execz .LBB161_11
; %bb.10:
	v_mov_b32_e32 v1, 0
	v_lshl_add_u64 v[22:23], v[16:17], 0, v[0:1]
	flat_load_dword v21, v[22:23] offset:2048
.LBB161_11:
	;; [unrolled: 11-line block ×3, first 2 shown]
	s_or_b64 exec, exec, s[8:9]
	v_or_b32_e32 v23, 0x400, v100
	v_cmp_lt_u32_e32 vcc, v23, v10
	v_mov_b32_e32 v22, v18
	s_and_saveexec_b64 s[8:9], vcc
	s_cbranch_execz .LBB161_15
; %bb.14:
	v_lshlrev_b32_e32 v22, 2, v23
	v_mov_b32_e32 v23, 0
	v_lshl_add_u64 v[22:23], v[16:17], 0, v[22:23]
	flat_load_dword v22, v[22:23]
.LBB161_15:
	s_or_b64 exec, exec, s[8:9]
	v_add_u32_e32 v24, 0x500, v100
	v_cmp_lt_u32_e32 vcc, v24, v10
	v_mov_b32_e32 v23, v18
	s_and_saveexec_b64 s[8:9], vcc
	s_cbranch_execz .LBB161_17
; %bb.16:
	v_lshlrev_b32_e32 v24, 2, v24
	v_mov_b32_e32 v25, 0
	v_lshl_add_u64 v[24:25], v[16:17], 0, v[24:25]
	flat_load_dword v23, v[24:25]
.LBB161_17:
	s_or_b64 exec, exec, s[8:9]
	v_add_u32_e32 v25, 0x600, v100
	v_cmp_lt_u32_e32 vcc, v25, v10
	v_mov_b32_e32 v24, v18
	s_and_saveexec_b64 s[8:9], vcc
	s_cbranch_execz .LBB161_19
; %bb.18:
	v_lshlrev_b32_e32 v24, 2, v25
	v_mov_b32_e32 v25, 0
	v_lshl_add_u64 v[24:25], v[16:17], 0, v[24:25]
	flat_load_dword v24, v[24:25]
.LBB161_19:
	s_or_b64 exec, exec, s[8:9]
	v_add_u32_e32 v26, 0x700, v100
	v_cmp_lt_u32_e32 vcc, v26, v10
	v_mov_b32_e32 v25, v18
	s_and_saveexec_b64 s[8:9], vcc
	s_cbranch_execz .LBB161_21
; %bb.20:
	v_lshlrev_b32_e32 v26, 2, v26
	v_mov_b32_e32 v27, 0
	v_lshl_add_u64 v[26:27], v[16:17], 0, v[26:27]
	flat_load_dword v25, v[26:27]
.LBB161_21:
	s_or_b64 exec, exec, s[8:9]
	v_or_b32_e32 v27, 0x800, v100
	v_cmp_lt_u32_e32 vcc, v27, v10
	v_mov_b32_e32 v26, v18
	s_and_saveexec_b64 s[8:9], vcc
	s_cbranch_execz .LBB161_23
; %bb.22:
	v_lshlrev_b32_e32 v26, 2, v27
	v_mov_b32_e32 v27, 0
	v_lshl_add_u64 v[26:27], v[16:17], 0, v[26:27]
	flat_load_dword v26, v[26:27]
.LBB161_23:
	s_or_b64 exec, exec, s[8:9]
	v_add_u32_e32 v28, 0x900, v100
	v_cmp_lt_u32_e32 vcc, v28, v10
	v_mov_b32_e32 v27, v18
	s_and_saveexec_b64 s[8:9], vcc
	s_cbranch_execz .LBB161_25
; %bb.24:
	v_lshlrev_b32_e32 v28, 2, v28
	v_mov_b32_e32 v29, 0
	v_lshl_add_u64 v[28:29], v[16:17], 0, v[28:29]
	flat_load_dword v27, v[28:29]
.LBB161_25:
	s_or_b64 exec, exec, s[8:9]
	v_add_u32_e32 v29, 0xa00, v100
	v_cmp_lt_u32_e32 vcc, v29, v10
	v_mov_b32_e32 v28, v18
	s_and_saveexec_b64 s[8:9], vcc
	s_cbranch_execz .LBB161_27
; %bb.26:
	v_lshlrev_b32_e32 v28, 2, v29
	v_mov_b32_e32 v29, 0
	v_lshl_add_u64 v[28:29], v[16:17], 0, v[28:29]
	flat_load_dword v28, v[28:29]
.LBB161_27:
	s_or_b64 exec, exec, s[8:9]
	v_add_u32_e32 v30, 0xb00, v100
	v_cmp_lt_u32_e32 vcc, v30, v10
	v_mov_b32_e32 v29, v18
	s_and_saveexec_b64 s[8:9], vcc
	s_cbranch_execz .LBB161_29
; %bb.28:
	v_lshlrev_b32_e32 v30, 2, v30
	v_mov_b32_e32 v31, 0
	v_lshl_add_u64 v[30:31], v[16:17], 0, v[30:31]
	flat_load_dword v29, v[30:31]
.LBB161_29:
	;; [unrolled: 48-line block ×4, first 2 shown]
	s_or_b64 exec, exec, s[8:9]
	v_or_b32_e32 v39, 0x1400, v100
	v_cmp_lt_u32_e32 vcc, v39, v10
	v_mov_b32_e32 v38, v18
	s_and_saveexec_b64 s[8:9], vcc
	s_cbranch_execz .LBB161_47
; %bb.46:
	v_lshlrev_b32_e32 v38, 2, v39
	v_mov_b32_e32 v39, 0
	v_lshl_add_u64 v[38:39], v[16:17], 0, v[38:39]
	flat_load_dword v38, v[38:39]
.LBB161_47:
	s_or_b64 exec, exec, s[8:9]
	v_add_u32_e32 v48, 0x1500, v100
	v_cmp_lt_u32_e32 vcc, v48, v10
	v_mov_b32_e32 v39, v18
	s_and_saveexec_b64 s[8:9], vcc
	s_cbranch_execz .LBB161_49
; %bb.48:
	v_lshlrev_b32_e32 v48, 2, v48
	v_mov_b32_e32 v49, 0
	v_lshl_add_u64 v[48:49], v[16:17], 0, v[48:49]
	flat_load_dword v39, v[48:49]
.LBB161_49:
	s_or_b64 exec, exec, s[8:9]
	v_add_u32_e32 v49, 0x1600, v100
	v_cmp_lt_u32_e32 vcc, v49, v10
	v_mov_b32_e32 v48, v18
	s_and_saveexec_b64 s[8:9], vcc
	s_cbranch_execz .LBB161_51
; %bb.50:
	v_lshlrev_b32_e32 v48, 2, v49
	v_mov_b32_e32 v49, 0
	v_lshl_add_u64 v[48:49], v[16:17], 0, v[48:49]
	flat_load_dword v48, v[48:49]
.LBB161_51:
	s_or_b64 exec, exec, s[8:9]
	v_add_u32_e32 v49, 0x1700, v100
	v_cmp_lt_u32_e32 vcc, v49, v10
	s_and_saveexec_b64 s[8:9], vcc
	s_cbranch_execz .LBB161_53
; %bb.52:
	v_lshlrev_b32_e32 v50, 2, v49
	v_mov_b32_e32 v51, 0
	v_lshl_add_u64 v[16:17], v[16:17], 0, v[50:51]
	flat_load_dword v18, v[16:17]
.LBB161_53:
	s_or_b64 exec, exec, s[8:9]
	s_waitcnt vmcnt(0) lgkmcnt(0)
	ds_write2st64_b32 v0, v19, v20 offset1:4
	ds_write2st64_b32 v0, v21, v1 offset0:8 offset1:12
	ds_write2st64_b32 v0, v22, v23 offset0:16 offset1:20
	;; [unrolled: 1-line block ×11, first 2 shown]
	s_waitcnt lgkmcnt(0)
	s_barrier
.LBB161_54:
	s_or_b64 exec, exec, s[6:7]
	v_mul_u32_u24_e32 v98, 24, v100
	v_lshlrev_b32_e32 v1, 2, v98
	v_cmp_ne_u32_e32 vcc, 0, v52
	ds_read_b128 v[16:19], v1
	ds_read_b128 v[36:39], v1 offset:16
	ds_read_b128 v[32:35], v1 offset:32
	;; [unrolled: 1-line block ×5, first 2 shown]
	s_and_b64 vcc, exec, vcc
	s_waitcnt lgkmcnt(5)
	v_cmp_u_f32_e64 s[6:7], v17, v17
	v_max_f32_e32 v99, v17, v17
	s_waitcnt lgkmcnt(0)
	s_barrier
	s_cbranch_vccz .LBB161_267
; %bb.55:
	v_max_f32_e32 v131, v16, v16
	v_min_f32_e32 v48, v131, v99
	v_cmp_u_f32_e64 s[54:55], v16, v16
	s_movk_i32 s10, 0x1f8
	v_mov_b32_e32 v132, v16
	v_cndmask_b32_e64 v48, v48, v16, s[54:55]
	v_cndmask_b32_e64 v49, v48, v17, s[6:7]
	v_max_f32_e32 v48, v131, v99
	v_cndmask_b32_e64 v48, v48, v16, s[54:55]
	v_cndmask_b32_e64 v48, v48, v17, s[6:7]
	v_cmp_neq_f32_e32 vcc, v49, v48
	v_cmp_class_f32_e64 s[8:9], v49, s10
	s_or_b64 s[12:13], vcc, s[8:9]
	s_and_saveexec_b64 s[8:9], s[12:13]
	s_cbranch_execz .LBB161_57
; %bb.56:
	v_sub_f32_e32 v49, v49, v48
	s_mov_b32 s11, 0x3fb8aa3b
	v_mul_f32_e32 v50, 0x3fb8aa3b, v49
	v_fma_f32 v51, v49, s11, -v50
	v_rndne_f32_e32 v53, v50
	v_fmamk_f32 v51, v49, 0x32a5705f, v51
	v_sub_f32_e32 v50, v50, v53
	v_add_f32_e32 v50, v50, v51
	v_exp_f32_e32 v50, v50
	v_cvt_i32_f32_e32 v51, v53
	s_mov_b32 s11, 0xc2ce8ed0
	v_cmp_ngt_f32_e32 vcc, s11, v49
	s_mov_b32 s11, 0x42b17218
	v_ldexp_f32 v50, v50, v51
	v_cndmask_b32_e32 v50, 0, v50, vcc
	v_mov_b32_e32 v51, 0x7f800000
	v_cmp_nlt_f32_e32 vcc, s11, v49
	s_mov_b32 s11, 0x3f2aaaab
	s_mov_b32 s12, 0x7f800000
	v_cndmask_b32_e32 v53, v51, v50, vcc
	v_add_f32_e32 v49, 1.0, v53
	v_add_f32_e32 v50, -1.0, v49
	v_sub_f32_e32 v51, v50, v49
	v_add_f32_e32 v51, 1.0, v51
	v_sub_f32_e32 v50, v53, v50
	v_add_f32_e32 v54, v50, v51
	v_frexp_mant_f32_e32 v55, v49
	v_cvt_f64_f32_e32 v[50:51], v49
	v_frexp_exp_i32_f64_e32 v50, v[50:51]
	v_cmp_gt_f32_e32 vcc, s11, v55
	s_mov_b32 s11, 0x3f317218
	s_nop 0
	v_subbrev_co_u32_e32 v68, vcc, 0, v50, vcc
	v_sub_u32_e32 v50, 0, v68
	v_ldexp_f32 v49, v49, v50
	v_ldexp_f32 v50, v54, v50
	v_add_f32_e32 v54, -1.0, v49
	v_add_f32_e32 v51, 1.0, v54
	v_sub_f32_e32 v51, v49, v51
	v_add_f32_e32 v55, v50, v51
	v_add_f32_e32 v51, 1.0, v49
	v_add_f32_e32 v64, -1.0, v51
	v_sub_f32_e32 v49, v49, v64
	v_add_f32_e32 v49, v50, v49
	v_add_f32_e32 v69, v51, v49
	v_rcp_f32_e32 v70, v69
	v_sub_f32_e32 v50, v51, v69
	v_add_f32_e32 v51, v54, v55
	v_add_f32_e32 v49, v49, v50
	v_mul_f32_e32 v80, v51, v70
	v_sub_f32_e32 v50, v54, v51
	v_mul_f32_e32 v54, v69, v80
	v_fma_f32 v64, v80, v69, -v54
	v_fmac_f32_e32 v64, v80, v49
	v_add_f32_e32 v71, v55, v50
	v_add_f32_e32 v50, v54, v64
	v_sub_f32_e32 v55, v51, v50
	v_pk_add_f32 v[66:67], v[50:51], v[54:55] neg_lo:[0,1] neg_hi:[0,1]
	v_mov_b32_e32 v65, v50
	v_pk_add_f32 v[50:51], v[66:67], v[64:65] neg_lo:[0,1] neg_hi:[0,1]
	v_cmp_eq_f32_e32 vcc, s12, v53
	v_add_f32_e32 v51, v71, v51
	v_add_f32_e32 v50, v50, v51
	;; [unrolled: 1-line block ×3, first 2 shown]
	v_mul_f32_e32 v71, v70, v51
	v_mul_f32_e32 v54, v69, v71
	v_fma_f32 v64, v71, v69, -v54
	v_fmac_f32_e32 v64, v71, v49
	v_sub_f32_e32 v49, v55, v51
	v_add_f32_e32 v49, v50, v49
	v_add_f32_e32 v50, v54, v64
	v_sub_f32_e32 v55, v51, v50
	v_pk_add_f32 v[66:67], v[50:51], v[54:55] neg_lo:[0,1] neg_hi:[0,1]
	v_mov_b32_e32 v65, v50
	v_pk_add_f32 v[50:51], v[66:67], v[64:65] neg_lo:[0,1] neg_hi:[0,1]
	v_cvt_f32_i32_e32 v54, v68
	v_add_f32_e32 v49, v49, v51
	v_add_f32_e32 v49, v50, v49
	;; [unrolled: 1-line block ×4, first 2 shown]
	v_sub_f32_e32 v51, v50, v80
	v_mul_f32_e32 v49, v70, v49
	v_sub_f32_e32 v51, v71, v51
	v_add_f32_e32 v49, v51, v49
	v_add_f32_e32 v55, v50, v49
	v_mul_f32_e32 v64, v55, v55
	v_mov_b32_e32 v51, 0x3ecc95a3
	v_fmac_f32_e32 v51, 0x3e9b6dac, v64
	v_sub_f32_e32 v50, v55, v50
	v_fmaak_f32 v51, v64, v51, 0x3f2aaada
	v_sub_f32_e32 v49, v49, v50
	v_ldexp_f32 v65, v55, 1
	v_mul_f32_e32 v55, v55, v64
	v_mov_b32_e32 v50, 0x3f317218
	v_pk_mul_f32 v[50:51], v[54:55], v[50:51]
	v_ldexp_f32 v49, v49, 1
	v_fma_f32 v55, v54, s11, -v50
	v_fmamk_f32 v64, v54, 0xb102e308, v55
	v_pk_add_f32 v[54:55], v[50:51], v[64:65]
	v_mov_b32_e32 v66, v50
	v_sub_f32_e32 v65, v55, v65
	v_sub_f32_e32 v65, v51, v65
	v_add_f32_e32 v67, v49, v65
	v_pk_add_f32 v[50:51], v[54:55], v[50:51] neg_lo:[0,1] neg_hi:[0,1]
	v_pk_add_f32 v[68:69], v[54:55], v[66:67]
	v_mov_b32_e32 v65, v54
	v_mov_b32_e32 v51, v69
	v_pk_add_f32 v[70:71], v[64:65], v[50:51] neg_lo:[0,1] neg_hi:[0,1]
	v_pk_add_f32 v[50:51], v[64:65], v[50:51]
	v_mov_b32_e32 v66, v67
	v_mov_b32_e32 v64, v51
	v_pk_add_f32 v[80:81], v[64:65], v[54:55] neg_lo:[0,1] neg_hi:[0,1]
	v_mov_b32_e32 v50, v69
	v_mov_b32_e32 v49, v80
	v_pk_add_f32 v[82:83], v[68:69], v[48:49] neg_lo:[0,1] neg_hi:[0,1]
	v_mov_b32_e32 v68, v55
	v_mov_b32_e32 v69, v80
	;; [unrolled: 1-line block ×3, first 2 shown]
	v_pk_add_f32 v[50:51], v[50:51], v[68:69] neg_lo:[0,1] neg_hi:[0,1]
	v_mov_b32_e32 v67, v54
	v_pk_add_f32 v[50:51], v[66:67], v[50:51] neg_lo:[0,1] neg_hi:[0,1]
	v_mov_b32_e32 v82, v70
	v_pk_add_f32 v[54:55], v[82:83], v[50:51]
	s_mov_b32 s11, 0x33800000
	v_mov_b32_e32 v66, v55
	v_pk_add_f32 v[66:67], v[54:55], v[66:67]
	v_cmp_lt_f32_e64 s[12:13], |v53|, s11
	v_pk_add_f32 v[64:65], v[64:65], v[66:67]
	v_mov_b32_e32 v51, v66
	v_mov_b32_e32 v55, v64
	v_pk_add_f32 v[68:69], v[54:55], v[70:71] neg_lo:[0,1] neg_hi:[0,1]
	s_or_b64 vcc, vcc, s[12:13]
	v_sub_f32_e32 v49, v54, v68
	v_pk_add_f32 v[50:51], v[50:51], v[68:69] neg_lo:[0,1] neg_hi:[0,1]
	v_sub_f32_e32 v49, v70, v49
	v_add_f32_e32 v49, v50, v49
	v_add_f32_e32 v49, v49, v51
	;; [unrolled: 1-line block ×3, first 2 shown]
	v_cndmask_b32_e32 v49, v49, v53, vcc
	v_add_f32_e32 v132, v48, v49
.LBB161_57:
	s_or_b64 exec, exec, s[8:9]
	v_max_f32_e32 v70, v18, v18
	v_max_f32_e32 v48, v132, v132
	v_min_f32_e32 v49, v48, v70
	v_cmp_u_f32_e32 vcc, v132, v132
	v_max_f32_e32 v48, v48, v70
	v_cmp_u_f32_e64 s[8:9], v18, v18
	v_cndmask_b32_e32 v49, v49, v132, vcc
	v_cndmask_b32_e32 v48, v48, v132, vcc
	v_cndmask_b32_e64 v49, v49, v18, s[8:9]
	v_cndmask_b32_e64 v48, v48, v18, s[8:9]
	v_cmp_neq_f32_e32 vcc, v49, v48
	v_cmp_class_f32_e64 s[10:11], v49, s10
	s_or_b64 s[12:13], vcc, s[10:11]
	s_and_saveexec_b64 s[10:11], s[12:13]
	s_cbranch_execz .LBB161_59
; %bb.58:
	v_sub_f32_e32 v49, v49, v48
	s_mov_b32 s12, 0x3fb8aa3b
	v_mul_f32_e32 v50, 0x3fb8aa3b, v49
	v_fma_f32 v51, v49, s12, -v50
	v_rndne_f32_e32 v53, v50
	v_fmamk_f32 v51, v49, 0x32a5705f, v51
	v_sub_f32_e32 v50, v50, v53
	v_add_f32_e32 v50, v50, v51
	v_exp_f32_e32 v50, v50
	v_cvt_i32_f32_e32 v51, v53
	s_mov_b32 s12, 0xc2ce8ed0
	v_cmp_ngt_f32_e32 vcc, s12, v49
	s_mov_b32 s12, 0x42b17218
	v_ldexp_f32 v50, v50, v51
	v_cndmask_b32_e32 v50, 0, v50, vcc
	v_mov_b32_e32 v51, 0x7f800000
	v_cmp_nlt_f32_e32 vcc, s12, v49
	s_mov_b32 s12, 0x3f2aaaab
	s_mov_b32 s13, 0x7f800000
	v_cndmask_b32_e32 v53, v51, v50, vcc
	v_add_f32_e32 v49, 1.0, v53
	v_add_f32_e32 v50, -1.0, v49
	v_sub_f32_e32 v51, v50, v49
	v_add_f32_e32 v51, 1.0, v51
	v_sub_f32_e32 v50, v53, v50
	v_add_f32_e32 v54, v50, v51
	v_frexp_mant_f32_e32 v55, v49
	v_cvt_f64_f32_e32 v[50:51], v49
	v_frexp_exp_i32_f64_e32 v50, v[50:51]
	v_cmp_gt_f32_e32 vcc, s12, v55
	s_mov_b32 s12, 0x3f317218
	s_nop 0
	v_subbrev_co_u32_e32 v68, vcc, 0, v50, vcc
	v_sub_u32_e32 v50, 0, v68
	v_ldexp_f32 v49, v49, v50
	v_ldexp_f32 v50, v54, v50
	v_add_f32_e32 v54, -1.0, v49
	v_add_f32_e32 v51, 1.0, v54
	v_sub_f32_e32 v51, v49, v51
	v_add_f32_e32 v55, v50, v51
	v_add_f32_e32 v51, 1.0, v49
	v_add_f32_e32 v64, -1.0, v51
	v_sub_f32_e32 v49, v49, v64
	v_add_f32_e32 v49, v50, v49
	v_add_f32_e32 v69, v51, v49
	v_rcp_f32_e32 v71, v69
	v_sub_f32_e32 v50, v51, v69
	v_add_f32_e32 v51, v54, v55
	v_add_f32_e32 v49, v49, v50
	v_mul_f32_e32 v81, v51, v71
	v_sub_f32_e32 v50, v54, v51
	v_mul_f32_e32 v54, v69, v81
	v_fma_f32 v64, v81, v69, -v54
	v_fmac_f32_e32 v64, v81, v49
	v_add_f32_e32 v80, v55, v50
	v_add_f32_e32 v50, v54, v64
	v_sub_f32_e32 v55, v51, v50
	v_pk_add_f32 v[66:67], v[50:51], v[54:55] neg_lo:[0,1] neg_hi:[0,1]
	v_mov_b32_e32 v65, v50
	v_pk_add_f32 v[50:51], v[66:67], v[64:65] neg_lo:[0,1] neg_hi:[0,1]
	v_cmp_eq_f32_e32 vcc, s13, v53
	v_add_f32_e32 v51, v80, v51
	v_add_f32_e32 v50, v50, v51
	;; [unrolled: 1-line block ×3, first 2 shown]
	v_mul_f32_e32 v80, v71, v51
	v_mul_f32_e32 v54, v69, v80
	v_fma_f32 v64, v80, v69, -v54
	v_fmac_f32_e32 v64, v80, v49
	v_sub_f32_e32 v49, v55, v51
	v_add_f32_e32 v49, v50, v49
	v_add_f32_e32 v50, v54, v64
	v_sub_f32_e32 v55, v51, v50
	v_pk_add_f32 v[66:67], v[50:51], v[54:55] neg_lo:[0,1] neg_hi:[0,1]
	v_mov_b32_e32 v65, v50
	v_pk_add_f32 v[50:51], v[66:67], v[64:65] neg_lo:[0,1] neg_hi:[0,1]
	v_cvt_f32_i32_e32 v54, v68
	v_add_f32_e32 v49, v49, v51
	v_add_f32_e32 v49, v50, v49
	;; [unrolled: 1-line block ×4, first 2 shown]
	v_sub_f32_e32 v51, v50, v81
	v_mul_f32_e32 v49, v71, v49
	v_sub_f32_e32 v51, v80, v51
	v_add_f32_e32 v49, v51, v49
	v_add_f32_e32 v55, v50, v49
	v_mul_f32_e32 v64, v55, v55
	v_mov_b32_e32 v51, 0x3ecc95a3
	v_fmac_f32_e32 v51, 0x3e9b6dac, v64
	v_sub_f32_e32 v50, v55, v50
	v_fmaak_f32 v51, v64, v51, 0x3f2aaada
	v_sub_f32_e32 v49, v49, v50
	v_ldexp_f32 v65, v55, 1
	v_mul_f32_e32 v55, v55, v64
	v_mov_b32_e32 v50, 0x3f317218
	v_pk_mul_f32 v[50:51], v[54:55], v[50:51]
	v_ldexp_f32 v49, v49, 1
	v_fma_f32 v55, v54, s12, -v50
	v_fmamk_f32 v64, v54, 0xb102e308, v55
	v_pk_add_f32 v[54:55], v[50:51], v[64:65]
	v_mov_b32_e32 v66, v50
	v_sub_f32_e32 v65, v55, v65
	v_sub_f32_e32 v65, v51, v65
	v_add_f32_e32 v67, v49, v65
	v_pk_add_f32 v[50:51], v[54:55], v[50:51] neg_lo:[0,1] neg_hi:[0,1]
	v_pk_add_f32 v[68:69], v[54:55], v[66:67]
	v_mov_b32_e32 v65, v54
	v_mov_b32_e32 v51, v69
	v_pk_add_f32 v[80:81], v[64:65], v[50:51] neg_lo:[0,1] neg_hi:[0,1]
	v_pk_add_f32 v[50:51], v[64:65], v[50:51]
	v_mov_b32_e32 v66, v67
	v_mov_b32_e32 v64, v51
	v_pk_add_f32 v[82:83], v[64:65], v[54:55] neg_lo:[0,1] neg_hi:[0,1]
	v_mov_b32_e32 v50, v69
	v_mov_b32_e32 v49, v82
	v_pk_add_f32 v[84:85], v[68:69], v[48:49] neg_lo:[0,1] neg_hi:[0,1]
	v_mov_b32_e32 v68, v55
	v_mov_b32_e32 v69, v82
	;; [unrolled: 1-line block ×3, first 2 shown]
	v_pk_add_f32 v[50:51], v[50:51], v[68:69] neg_lo:[0,1] neg_hi:[0,1]
	v_mov_b32_e32 v67, v54
	v_pk_add_f32 v[50:51], v[66:67], v[50:51] neg_lo:[0,1] neg_hi:[0,1]
	v_mov_b32_e32 v84, v80
	v_pk_add_f32 v[54:55], v[84:85], v[50:51]
	s_mov_b32 s12, 0x33800000
	v_mov_b32_e32 v66, v55
	v_pk_add_f32 v[66:67], v[54:55], v[66:67]
	v_cmp_lt_f32_e64 s[12:13], |v53|, s12
	v_pk_add_f32 v[64:65], v[64:65], v[66:67]
	v_mov_b32_e32 v51, v66
	v_mov_b32_e32 v55, v64
	v_pk_add_f32 v[68:69], v[54:55], v[80:81] neg_lo:[0,1] neg_hi:[0,1]
	s_or_b64 vcc, vcc, s[12:13]
	v_sub_f32_e32 v49, v54, v68
	v_pk_add_f32 v[50:51], v[50:51], v[68:69] neg_lo:[0,1] neg_hi:[0,1]
	v_sub_f32_e32 v49, v80, v49
	v_add_f32_e32 v49, v50, v49
	v_add_f32_e32 v49, v49, v51
	v_add_f32_e32 v49, v64, v49
	v_cndmask_b32_e32 v49, v49, v53, vcc
	v_add_f32_e32 v132, v48, v49
.LBB161_59:
	s_or_b64 exec, exec, s[10:11]
	v_max_f32_e32 v71, v19, v19
	v_max_f32_e32 v48, v132, v132
	v_min_f32_e32 v49, v48, v71
	v_cmp_u_f32_e32 vcc, v132, v132
	v_max_f32_e32 v48, v48, v71
	v_cmp_u_f32_e64 s[10:11], v19, v19
	v_cndmask_b32_e32 v49, v49, v132, vcc
	v_cndmask_b32_e32 v48, v48, v132, vcc
	v_cndmask_b32_e64 v49, v49, v19, s[10:11]
	v_cndmask_b32_e64 v48, v48, v19, s[10:11]
	s_movk_i32 s14, 0x1f8
	v_cmp_neq_f32_e32 vcc, v49, v48
	v_cmp_class_f32_e64 s[12:13], v49, s14
	s_or_b64 s[16:17], vcc, s[12:13]
	s_and_saveexec_b64 s[12:13], s[16:17]
	s_cbranch_execz .LBB161_61
; %bb.60:
	v_sub_f32_e32 v49, v49, v48
	s_mov_b32 s15, 0x3fb8aa3b
	v_mul_f32_e32 v50, 0x3fb8aa3b, v49
	v_fma_f32 v51, v49, s15, -v50
	v_rndne_f32_e32 v53, v50
	v_fmamk_f32 v51, v49, 0x32a5705f, v51
	v_sub_f32_e32 v50, v50, v53
	v_add_f32_e32 v50, v50, v51
	v_exp_f32_e32 v50, v50
	v_cvt_i32_f32_e32 v51, v53
	s_mov_b32 s15, 0xc2ce8ed0
	v_cmp_ngt_f32_e32 vcc, s15, v49
	s_mov_b32 s15, 0x42b17218
	v_ldexp_f32 v50, v50, v51
	v_cndmask_b32_e32 v50, 0, v50, vcc
	v_mov_b32_e32 v51, 0x7f800000
	v_cmp_nlt_f32_e32 vcc, s15, v49
	s_mov_b32 s15, 0x3f2aaaab
	s_mov_b32 s16, 0x7f800000
	v_cndmask_b32_e32 v53, v51, v50, vcc
	v_add_f32_e32 v49, 1.0, v53
	v_add_f32_e32 v50, -1.0, v49
	v_sub_f32_e32 v51, v50, v49
	v_add_f32_e32 v51, 1.0, v51
	v_sub_f32_e32 v50, v53, v50
	v_add_f32_e32 v54, v50, v51
	v_frexp_mant_f32_e32 v55, v49
	v_cvt_f64_f32_e32 v[50:51], v49
	v_frexp_exp_i32_f64_e32 v50, v[50:51]
	v_cmp_gt_f32_e32 vcc, s15, v55
	s_mov_b32 s15, 0x3f317218
	s_nop 0
	v_subbrev_co_u32_e32 v68, vcc, 0, v50, vcc
	v_sub_u32_e32 v50, 0, v68
	v_ldexp_f32 v49, v49, v50
	v_ldexp_f32 v50, v54, v50
	v_add_f32_e32 v54, -1.0, v49
	v_add_f32_e32 v51, 1.0, v54
	v_sub_f32_e32 v51, v49, v51
	v_add_f32_e32 v55, v50, v51
	v_add_f32_e32 v51, 1.0, v49
	v_add_f32_e32 v64, -1.0, v51
	v_sub_f32_e32 v49, v49, v64
	v_add_f32_e32 v49, v50, v49
	v_add_f32_e32 v69, v51, v49
	v_rcp_f32_e32 v80, v69
	v_sub_f32_e32 v50, v51, v69
	v_add_f32_e32 v51, v54, v55
	v_add_f32_e32 v49, v49, v50
	v_mul_f32_e32 v82, v51, v80
	v_sub_f32_e32 v50, v54, v51
	v_mul_f32_e32 v54, v69, v82
	v_fma_f32 v64, v82, v69, -v54
	v_fmac_f32_e32 v64, v82, v49
	v_add_f32_e32 v81, v55, v50
	v_add_f32_e32 v50, v54, v64
	v_sub_f32_e32 v55, v51, v50
	v_pk_add_f32 v[66:67], v[50:51], v[54:55] neg_lo:[0,1] neg_hi:[0,1]
	v_mov_b32_e32 v65, v50
	v_pk_add_f32 v[50:51], v[66:67], v[64:65] neg_lo:[0,1] neg_hi:[0,1]
	v_cmp_eq_f32_e32 vcc, s16, v53
	v_add_f32_e32 v51, v81, v51
	v_add_f32_e32 v50, v50, v51
	;; [unrolled: 1-line block ×3, first 2 shown]
	v_mul_f32_e32 v81, v80, v51
	v_mul_f32_e32 v54, v69, v81
	v_fma_f32 v64, v81, v69, -v54
	v_fmac_f32_e32 v64, v81, v49
	v_sub_f32_e32 v49, v55, v51
	v_add_f32_e32 v49, v50, v49
	v_add_f32_e32 v50, v54, v64
	v_sub_f32_e32 v55, v51, v50
	v_pk_add_f32 v[66:67], v[50:51], v[54:55] neg_lo:[0,1] neg_hi:[0,1]
	v_mov_b32_e32 v65, v50
	v_pk_add_f32 v[50:51], v[66:67], v[64:65] neg_lo:[0,1] neg_hi:[0,1]
	v_cvt_f32_i32_e32 v54, v68
	v_add_f32_e32 v49, v49, v51
	v_add_f32_e32 v49, v50, v49
	;; [unrolled: 1-line block ×4, first 2 shown]
	v_sub_f32_e32 v51, v50, v82
	v_mul_f32_e32 v49, v80, v49
	v_sub_f32_e32 v51, v81, v51
	v_add_f32_e32 v49, v51, v49
	v_add_f32_e32 v55, v50, v49
	v_mul_f32_e32 v64, v55, v55
	v_mov_b32_e32 v51, 0x3ecc95a3
	v_fmac_f32_e32 v51, 0x3e9b6dac, v64
	v_sub_f32_e32 v50, v55, v50
	v_fmaak_f32 v51, v64, v51, 0x3f2aaada
	v_sub_f32_e32 v49, v49, v50
	v_ldexp_f32 v65, v55, 1
	v_mul_f32_e32 v55, v55, v64
	v_mov_b32_e32 v50, 0x3f317218
	v_pk_mul_f32 v[50:51], v[54:55], v[50:51]
	v_ldexp_f32 v49, v49, 1
	v_fma_f32 v55, v54, s15, -v50
	v_fmamk_f32 v64, v54, 0xb102e308, v55
	v_pk_add_f32 v[54:55], v[50:51], v[64:65]
	v_mov_b32_e32 v66, v50
	v_sub_f32_e32 v65, v55, v65
	v_sub_f32_e32 v65, v51, v65
	v_add_f32_e32 v67, v49, v65
	v_pk_add_f32 v[50:51], v[54:55], v[50:51] neg_lo:[0,1] neg_hi:[0,1]
	v_pk_add_f32 v[68:69], v[54:55], v[66:67]
	v_mov_b32_e32 v65, v54
	v_mov_b32_e32 v51, v69
	v_pk_add_f32 v[80:81], v[64:65], v[50:51] neg_lo:[0,1] neg_hi:[0,1]
	v_pk_add_f32 v[50:51], v[64:65], v[50:51]
	v_mov_b32_e32 v66, v67
	v_mov_b32_e32 v64, v51
	v_pk_add_f32 v[82:83], v[64:65], v[54:55] neg_lo:[0,1] neg_hi:[0,1]
	v_mov_b32_e32 v50, v69
	v_mov_b32_e32 v49, v82
	v_pk_add_f32 v[84:85], v[68:69], v[48:49] neg_lo:[0,1] neg_hi:[0,1]
	v_mov_b32_e32 v68, v55
	v_mov_b32_e32 v69, v82
	;; [unrolled: 1-line block ×3, first 2 shown]
	v_pk_add_f32 v[50:51], v[50:51], v[68:69] neg_lo:[0,1] neg_hi:[0,1]
	v_mov_b32_e32 v67, v54
	v_pk_add_f32 v[50:51], v[66:67], v[50:51] neg_lo:[0,1] neg_hi:[0,1]
	v_mov_b32_e32 v84, v80
	v_pk_add_f32 v[54:55], v[84:85], v[50:51]
	s_mov_b32 s15, 0x33800000
	v_mov_b32_e32 v66, v55
	v_pk_add_f32 v[66:67], v[54:55], v[66:67]
	v_cmp_lt_f32_e64 s[16:17], |v53|, s15
	v_pk_add_f32 v[64:65], v[64:65], v[66:67]
	v_mov_b32_e32 v51, v66
	v_mov_b32_e32 v55, v64
	v_pk_add_f32 v[68:69], v[54:55], v[80:81] neg_lo:[0,1] neg_hi:[0,1]
	s_or_b64 vcc, vcc, s[16:17]
	v_sub_f32_e32 v49, v54, v68
	v_pk_add_f32 v[50:51], v[50:51], v[68:69] neg_lo:[0,1] neg_hi:[0,1]
	v_sub_f32_e32 v49, v80, v49
	v_add_f32_e32 v49, v50, v49
	v_add_f32_e32 v49, v49, v51
	;; [unrolled: 1-line block ×3, first 2 shown]
	v_cndmask_b32_e32 v49, v49, v53, vcc
	v_add_f32_e32 v132, v48, v49
.LBB161_61:
	s_or_b64 exec, exec, s[12:13]
	v_max_f32_e32 v80, v36, v36
	v_max_f32_e32 v48, v132, v132
	v_min_f32_e32 v49, v48, v80
	v_cmp_u_f32_e32 vcc, v132, v132
	v_max_f32_e32 v48, v48, v80
	v_cmp_u_f32_e64 s[12:13], v36, v36
	v_cndmask_b32_e32 v49, v49, v132, vcc
	v_cndmask_b32_e32 v48, v48, v132, vcc
	v_cndmask_b32_e64 v49, v49, v36, s[12:13]
	v_cndmask_b32_e64 v48, v48, v36, s[12:13]
	v_cmp_neq_f32_e32 vcc, v49, v48
	v_cmp_class_f32_e64 s[14:15], v49, s14
	s_or_b64 s[16:17], vcc, s[14:15]
	s_and_saveexec_b64 s[14:15], s[16:17]
	s_cbranch_execz .LBB161_63
; %bb.62:
	v_sub_f32_e32 v49, v49, v48
	s_mov_b32 s16, 0x3fb8aa3b
	v_mul_f32_e32 v50, 0x3fb8aa3b, v49
	v_fma_f32 v51, v49, s16, -v50
	v_rndne_f32_e32 v53, v50
	v_fmamk_f32 v51, v49, 0x32a5705f, v51
	v_sub_f32_e32 v50, v50, v53
	v_add_f32_e32 v50, v50, v51
	v_exp_f32_e32 v50, v50
	v_cvt_i32_f32_e32 v51, v53
	s_mov_b32 s16, 0xc2ce8ed0
	v_cmp_ngt_f32_e32 vcc, s16, v49
	s_mov_b32 s16, 0x42b17218
	v_ldexp_f32 v50, v50, v51
	v_cndmask_b32_e32 v50, 0, v50, vcc
	v_mov_b32_e32 v51, 0x7f800000
	v_cmp_nlt_f32_e32 vcc, s16, v49
	s_mov_b32 s16, 0x3f2aaaab
	s_mov_b32 s17, 0x7f800000
	v_cndmask_b32_e32 v53, v51, v50, vcc
	v_add_f32_e32 v49, 1.0, v53
	v_add_f32_e32 v50, -1.0, v49
	v_sub_f32_e32 v51, v50, v49
	v_add_f32_e32 v51, 1.0, v51
	v_sub_f32_e32 v50, v53, v50
	v_add_f32_e32 v54, v50, v51
	v_frexp_mant_f32_e32 v55, v49
	v_cvt_f64_f32_e32 v[50:51], v49
	v_frexp_exp_i32_f64_e32 v50, v[50:51]
	v_cmp_gt_f32_e32 vcc, s16, v55
	s_mov_b32 s16, 0x3f317218
	s_nop 0
	v_subbrev_co_u32_e32 v68, vcc, 0, v50, vcc
	v_sub_u32_e32 v50, 0, v68
	v_ldexp_f32 v49, v49, v50
	v_ldexp_f32 v50, v54, v50
	v_add_f32_e32 v54, -1.0, v49
	v_add_f32_e32 v51, 1.0, v54
	v_sub_f32_e32 v51, v49, v51
	v_add_f32_e32 v55, v50, v51
	v_add_f32_e32 v51, 1.0, v49
	v_add_f32_e32 v64, -1.0, v51
	v_sub_f32_e32 v49, v49, v64
	v_add_f32_e32 v49, v50, v49
	v_add_f32_e32 v69, v51, v49
	v_rcp_f32_e32 v81, v69
	v_sub_f32_e32 v50, v51, v69
	v_add_f32_e32 v51, v54, v55
	v_add_f32_e32 v49, v49, v50
	v_mul_f32_e32 v83, v51, v81
	v_sub_f32_e32 v50, v54, v51
	v_mul_f32_e32 v54, v69, v83
	v_fma_f32 v64, v83, v69, -v54
	v_fmac_f32_e32 v64, v83, v49
	v_add_f32_e32 v82, v55, v50
	v_add_f32_e32 v50, v54, v64
	v_sub_f32_e32 v55, v51, v50
	v_pk_add_f32 v[66:67], v[50:51], v[54:55] neg_lo:[0,1] neg_hi:[0,1]
	v_mov_b32_e32 v65, v50
	v_pk_add_f32 v[50:51], v[66:67], v[64:65] neg_lo:[0,1] neg_hi:[0,1]
	v_cmp_eq_f32_e32 vcc, s17, v53
	v_add_f32_e32 v51, v82, v51
	v_add_f32_e32 v50, v50, v51
	;; [unrolled: 1-line block ×3, first 2 shown]
	v_mul_f32_e32 v82, v81, v51
	v_mul_f32_e32 v54, v69, v82
	v_fma_f32 v64, v82, v69, -v54
	v_fmac_f32_e32 v64, v82, v49
	v_sub_f32_e32 v49, v55, v51
	v_add_f32_e32 v49, v50, v49
	v_add_f32_e32 v50, v54, v64
	v_sub_f32_e32 v55, v51, v50
	v_pk_add_f32 v[66:67], v[50:51], v[54:55] neg_lo:[0,1] neg_hi:[0,1]
	v_mov_b32_e32 v65, v50
	v_pk_add_f32 v[50:51], v[66:67], v[64:65] neg_lo:[0,1] neg_hi:[0,1]
	v_cvt_f32_i32_e32 v54, v68
	v_add_f32_e32 v49, v49, v51
	v_add_f32_e32 v49, v50, v49
	;; [unrolled: 1-line block ×4, first 2 shown]
	v_sub_f32_e32 v51, v50, v83
	v_mul_f32_e32 v49, v81, v49
	v_sub_f32_e32 v51, v82, v51
	v_add_f32_e32 v49, v51, v49
	v_add_f32_e32 v55, v50, v49
	v_mul_f32_e32 v64, v55, v55
	v_mov_b32_e32 v51, 0x3ecc95a3
	v_fmac_f32_e32 v51, 0x3e9b6dac, v64
	v_sub_f32_e32 v50, v55, v50
	v_fmaak_f32 v51, v64, v51, 0x3f2aaada
	v_sub_f32_e32 v49, v49, v50
	v_ldexp_f32 v65, v55, 1
	v_mul_f32_e32 v55, v55, v64
	v_mov_b32_e32 v50, 0x3f317218
	v_pk_mul_f32 v[50:51], v[54:55], v[50:51]
	v_ldexp_f32 v49, v49, 1
	v_fma_f32 v55, v54, s16, -v50
	v_fmamk_f32 v64, v54, 0xb102e308, v55
	v_pk_add_f32 v[54:55], v[50:51], v[64:65]
	v_mov_b32_e32 v66, v50
	v_sub_f32_e32 v65, v55, v65
	v_sub_f32_e32 v65, v51, v65
	v_add_f32_e32 v67, v49, v65
	v_pk_add_f32 v[50:51], v[54:55], v[50:51] neg_lo:[0,1] neg_hi:[0,1]
	v_pk_add_f32 v[68:69], v[54:55], v[66:67]
	v_mov_b32_e32 v65, v54
	v_mov_b32_e32 v51, v69
	v_pk_add_f32 v[82:83], v[64:65], v[50:51] neg_lo:[0,1] neg_hi:[0,1]
	v_pk_add_f32 v[50:51], v[64:65], v[50:51]
	v_mov_b32_e32 v66, v67
	v_mov_b32_e32 v64, v51
	v_pk_add_f32 v[84:85], v[64:65], v[54:55] neg_lo:[0,1] neg_hi:[0,1]
	v_mov_b32_e32 v50, v69
	v_mov_b32_e32 v49, v84
	v_pk_add_f32 v[86:87], v[68:69], v[48:49] neg_lo:[0,1] neg_hi:[0,1]
	v_mov_b32_e32 v68, v55
	v_mov_b32_e32 v69, v84
	;; [unrolled: 1-line block ×3, first 2 shown]
	v_pk_add_f32 v[50:51], v[50:51], v[68:69] neg_lo:[0,1] neg_hi:[0,1]
	v_mov_b32_e32 v67, v54
	v_pk_add_f32 v[50:51], v[66:67], v[50:51] neg_lo:[0,1] neg_hi:[0,1]
	v_mov_b32_e32 v86, v82
	v_pk_add_f32 v[54:55], v[86:87], v[50:51]
	s_mov_b32 s16, 0x33800000
	v_mov_b32_e32 v66, v55
	v_pk_add_f32 v[66:67], v[54:55], v[66:67]
	v_cmp_lt_f32_e64 s[16:17], |v53|, s16
	v_pk_add_f32 v[64:65], v[64:65], v[66:67]
	v_mov_b32_e32 v51, v66
	v_mov_b32_e32 v55, v64
	v_pk_add_f32 v[68:69], v[54:55], v[82:83] neg_lo:[0,1] neg_hi:[0,1]
	s_or_b64 vcc, vcc, s[16:17]
	v_sub_f32_e32 v49, v54, v68
	v_pk_add_f32 v[50:51], v[50:51], v[68:69] neg_lo:[0,1] neg_hi:[0,1]
	v_sub_f32_e32 v49, v82, v49
	v_add_f32_e32 v49, v50, v49
	v_add_f32_e32 v49, v49, v51
	;; [unrolled: 1-line block ×3, first 2 shown]
	v_cndmask_b32_e32 v49, v49, v53, vcc
	v_add_f32_e32 v132, v48, v49
.LBB161_63:
	s_or_b64 exec, exec, s[14:15]
	v_max_f32_e32 v81, v37, v37
	v_max_f32_e32 v48, v132, v132
	v_min_f32_e32 v49, v48, v81
	v_cmp_u_f32_e32 vcc, v132, v132
	v_max_f32_e32 v48, v48, v81
	v_cmp_u_f32_e64 s[14:15], v37, v37
	v_cndmask_b32_e32 v49, v49, v132, vcc
	v_cndmask_b32_e32 v48, v48, v132, vcc
	v_cndmask_b32_e64 v49, v49, v37, s[14:15]
	v_cndmask_b32_e64 v48, v48, v37, s[14:15]
	s_movk_i32 s18, 0x1f8
	v_cmp_neq_f32_e32 vcc, v49, v48
	v_cmp_class_f32_e64 s[16:17], v49, s18
	s_or_b64 s[20:21], vcc, s[16:17]
	s_and_saveexec_b64 s[16:17], s[20:21]
	s_cbranch_execz .LBB161_65
; %bb.64:
	v_sub_f32_e32 v49, v49, v48
	s_mov_b32 s19, 0x3fb8aa3b
	v_mul_f32_e32 v50, 0x3fb8aa3b, v49
	v_fma_f32 v51, v49, s19, -v50
	v_rndne_f32_e32 v53, v50
	v_fmamk_f32 v51, v49, 0x32a5705f, v51
	v_sub_f32_e32 v50, v50, v53
	v_add_f32_e32 v50, v50, v51
	v_exp_f32_e32 v50, v50
	v_cvt_i32_f32_e32 v51, v53
	s_mov_b32 s19, 0xc2ce8ed0
	v_cmp_ngt_f32_e32 vcc, s19, v49
	s_mov_b32 s19, 0x42b17218
	v_ldexp_f32 v50, v50, v51
	v_cndmask_b32_e32 v50, 0, v50, vcc
	v_mov_b32_e32 v51, 0x7f800000
	v_cmp_nlt_f32_e32 vcc, s19, v49
	s_mov_b32 s19, 0x3f2aaaab
	s_mov_b32 s20, 0x7f800000
	v_cndmask_b32_e32 v53, v51, v50, vcc
	v_add_f32_e32 v49, 1.0, v53
	v_add_f32_e32 v50, -1.0, v49
	v_sub_f32_e32 v51, v50, v49
	v_add_f32_e32 v51, 1.0, v51
	v_sub_f32_e32 v50, v53, v50
	v_add_f32_e32 v54, v50, v51
	v_frexp_mant_f32_e32 v55, v49
	v_cvt_f64_f32_e32 v[50:51], v49
	v_frexp_exp_i32_f64_e32 v50, v[50:51]
	v_cmp_gt_f32_e32 vcc, s19, v55
	s_mov_b32 s19, 0x3f317218
	s_nop 0
	v_subbrev_co_u32_e32 v68, vcc, 0, v50, vcc
	v_sub_u32_e32 v50, 0, v68
	v_ldexp_f32 v49, v49, v50
	v_ldexp_f32 v50, v54, v50
	v_add_f32_e32 v54, -1.0, v49
	v_add_f32_e32 v51, 1.0, v54
	v_sub_f32_e32 v51, v49, v51
	v_add_f32_e32 v55, v50, v51
	v_add_f32_e32 v51, 1.0, v49
	v_add_f32_e32 v64, -1.0, v51
	v_sub_f32_e32 v49, v49, v64
	v_add_f32_e32 v49, v50, v49
	v_add_f32_e32 v69, v51, v49
	v_rcp_f32_e32 v82, v69
	v_sub_f32_e32 v50, v51, v69
	v_add_f32_e32 v51, v54, v55
	v_add_f32_e32 v49, v49, v50
	v_mul_f32_e32 v84, v51, v82
	v_sub_f32_e32 v50, v54, v51
	v_mul_f32_e32 v54, v69, v84
	v_fma_f32 v64, v84, v69, -v54
	v_fmac_f32_e32 v64, v84, v49
	v_add_f32_e32 v83, v55, v50
	v_add_f32_e32 v50, v54, v64
	v_sub_f32_e32 v55, v51, v50
	v_pk_add_f32 v[66:67], v[50:51], v[54:55] neg_lo:[0,1] neg_hi:[0,1]
	v_mov_b32_e32 v65, v50
	v_pk_add_f32 v[50:51], v[66:67], v[64:65] neg_lo:[0,1] neg_hi:[0,1]
	v_cmp_eq_f32_e32 vcc, s20, v53
	v_add_f32_e32 v51, v83, v51
	v_add_f32_e32 v50, v50, v51
	;; [unrolled: 1-line block ×3, first 2 shown]
	v_mul_f32_e32 v83, v82, v51
	v_mul_f32_e32 v54, v69, v83
	v_fma_f32 v64, v83, v69, -v54
	v_fmac_f32_e32 v64, v83, v49
	v_sub_f32_e32 v49, v55, v51
	v_add_f32_e32 v49, v50, v49
	v_add_f32_e32 v50, v54, v64
	v_sub_f32_e32 v55, v51, v50
	v_pk_add_f32 v[66:67], v[50:51], v[54:55] neg_lo:[0,1] neg_hi:[0,1]
	v_mov_b32_e32 v65, v50
	v_pk_add_f32 v[50:51], v[66:67], v[64:65] neg_lo:[0,1] neg_hi:[0,1]
	v_cvt_f32_i32_e32 v54, v68
	v_add_f32_e32 v49, v49, v51
	v_add_f32_e32 v49, v50, v49
	v_add_f32_e32 v50, v84, v83
	v_add_f32_e32 v49, v55, v49
	v_sub_f32_e32 v51, v50, v84
	v_mul_f32_e32 v49, v82, v49
	v_sub_f32_e32 v51, v83, v51
	v_add_f32_e32 v49, v51, v49
	v_add_f32_e32 v55, v50, v49
	v_mul_f32_e32 v64, v55, v55
	v_mov_b32_e32 v51, 0x3ecc95a3
	v_fmac_f32_e32 v51, 0x3e9b6dac, v64
	v_sub_f32_e32 v50, v55, v50
	v_fmaak_f32 v51, v64, v51, 0x3f2aaada
	v_sub_f32_e32 v49, v49, v50
	v_ldexp_f32 v65, v55, 1
	v_mul_f32_e32 v55, v55, v64
	v_mov_b32_e32 v50, 0x3f317218
	v_pk_mul_f32 v[50:51], v[54:55], v[50:51]
	v_ldexp_f32 v49, v49, 1
	v_fma_f32 v55, v54, s19, -v50
	v_fmamk_f32 v64, v54, 0xb102e308, v55
	v_pk_add_f32 v[54:55], v[50:51], v[64:65]
	v_mov_b32_e32 v66, v50
	v_sub_f32_e32 v65, v55, v65
	v_sub_f32_e32 v65, v51, v65
	v_add_f32_e32 v67, v49, v65
	v_pk_add_f32 v[50:51], v[54:55], v[50:51] neg_lo:[0,1] neg_hi:[0,1]
	v_pk_add_f32 v[68:69], v[54:55], v[66:67]
	v_mov_b32_e32 v65, v54
	v_mov_b32_e32 v51, v69
	v_pk_add_f32 v[82:83], v[64:65], v[50:51] neg_lo:[0,1] neg_hi:[0,1]
	v_pk_add_f32 v[50:51], v[64:65], v[50:51]
	v_mov_b32_e32 v66, v67
	v_mov_b32_e32 v64, v51
	v_pk_add_f32 v[84:85], v[64:65], v[54:55] neg_lo:[0,1] neg_hi:[0,1]
	v_mov_b32_e32 v50, v69
	v_mov_b32_e32 v49, v84
	v_pk_add_f32 v[86:87], v[68:69], v[48:49] neg_lo:[0,1] neg_hi:[0,1]
	v_mov_b32_e32 v68, v55
	v_mov_b32_e32 v69, v84
	;; [unrolled: 1-line block ×3, first 2 shown]
	v_pk_add_f32 v[50:51], v[50:51], v[68:69] neg_lo:[0,1] neg_hi:[0,1]
	v_mov_b32_e32 v67, v54
	v_pk_add_f32 v[50:51], v[66:67], v[50:51] neg_lo:[0,1] neg_hi:[0,1]
	v_mov_b32_e32 v86, v82
	v_pk_add_f32 v[54:55], v[86:87], v[50:51]
	s_mov_b32 s19, 0x33800000
	v_mov_b32_e32 v66, v55
	v_pk_add_f32 v[66:67], v[54:55], v[66:67]
	v_cmp_lt_f32_e64 s[20:21], |v53|, s19
	v_pk_add_f32 v[64:65], v[64:65], v[66:67]
	v_mov_b32_e32 v51, v66
	v_mov_b32_e32 v55, v64
	v_pk_add_f32 v[68:69], v[54:55], v[82:83] neg_lo:[0,1] neg_hi:[0,1]
	s_or_b64 vcc, vcc, s[20:21]
	v_sub_f32_e32 v49, v54, v68
	v_pk_add_f32 v[50:51], v[50:51], v[68:69] neg_lo:[0,1] neg_hi:[0,1]
	v_sub_f32_e32 v49, v82, v49
	v_add_f32_e32 v49, v50, v49
	v_add_f32_e32 v49, v49, v51
	;; [unrolled: 1-line block ×3, first 2 shown]
	v_cndmask_b32_e32 v49, v49, v53, vcc
	v_add_f32_e32 v132, v48, v49
.LBB161_65:
	s_or_b64 exec, exec, s[16:17]
	v_max_f32_e32 v82, v38, v38
	v_max_f32_e32 v48, v132, v132
	v_min_f32_e32 v49, v48, v82
	v_cmp_u_f32_e32 vcc, v132, v132
	v_max_f32_e32 v48, v48, v82
	v_cmp_u_f32_e64 s[16:17], v38, v38
	v_cndmask_b32_e32 v49, v49, v132, vcc
	v_cndmask_b32_e32 v48, v48, v132, vcc
	v_cndmask_b32_e64 v49, v49, v38, s[16:17]
	v_cndmask_b32_e64 v48, v48, v38, s[16:17]
	v_cmp_neq_f32_e32 vcc, v49, v48
	v_cmp_class_f32_e64 s[18:19], v49, s18
	s_or_b64 s[20:21], vcc, s[18:19]
	s_and_saveexec_b64 s[18:19], s[20:21]
	s_cbranch_execz .LBB161_67
; %bb.66:
	v_sub_f32_e32 v49, v49, v48
	s_mov_b32 s20, 0x3fb8aa3b
	v_mul_f32_e32 v50, 0x3fb8aa3b, v49
	v_fma_f32 v51, v49, s20, -v50
	v_rndne_f32_e32 v53, v50
	v_fmamk_f32 v51, v49, 0x32a5705f, v51
	v_sub_f32_e32 v50, v50, v53
	v_add_f32_e32 v50, v50, v51
	v_exp_f32_e32 v50, v50
	v_cvt_i32_f32_e32 v51, v53
	s_mov_b32 s20, 0xc2ce8ed0
	v_cmp_ngt_f32_e32 vcc, s20, v49
	s_mov_b32 s20, 0x42b17218
	v_ldexp_f32 v50, v50, v51
	v_cndmask_b32_e32 v50, 0, v50, vcc
	v_mov_b32_e32 v51, 0x7f800000
	v_cmp_nlt_f32_e32 vcc, s20, v49
	s_mov_b32 s20, 0x3f2aaaab
	s_mov_b32 s21, 0x7f800000
	v_cndmask_b32_e32 v53, v51, v50, vcc
	v_add_f32_e32 v49, 1.0, v53
	v_add_f32_e32 v50, -1.0, v49
	v_sub_f32_e32 v51, v50, v49
	v_add_f32_e32 v51, 1.0, v51
	v_sub_f32_e32 v50, v53, v50
	v_add_f32_e32 v54, v50, v51
	v_frexp_mant_f32_e32 v55, v49
	v_cvt_f64_f32_e32 v[50:51], v49
	v_frexp_exp_i32_f64_e32 v50, v[50:51]
	v_cmp_gt_f32_e32 vcc, s20, v55
	s_mov_b32 s20, 0x3f317218
	s_nop 0
	v_subbrev_co_u32_e32 v68, vcc, 0, v50, vcc
	v_sub_u32_e32 v50, 0, v68
	v_ldexp_f32 v49, v49, v50
	v_ldexp_f32 v50, v54, v50
	v_add_f32_e32 v54, -1.0, v49
	v_add_f32_e32 v51, 1.0, v54
	v_sub_f32_e32 v51, v49, v51
	v_add_f32_e32 v55, v50, v51
	v_add_f32_e32 v51, 1.0, v49
	v_add_f32_e32 v64, -1.0, v51
	v_sub_f32_e32 v49, v49, v64
	v_add_f32_e32 v49, v50, v49
	v_add_f32_e32 v69, v51, v49
	v_rcp_f32_e32 v83, v69
	v_sub_f32_e32 v50, v51, v69
	v_add_f32_e32 v51, v54, v55
	v_add_f32_e32 v49, v49, v50
	v_mul_f32_e32 v85, v51, v83
	v_sub_f32_e32 v50, v54, v51
	v_mul_f32_e32 v54, v69, v85
	v_fma_f32 v64, v85, v69, -v54
	v_fmac_f32_e32 v64, v85, v49
	v_add_f32_e32 v84, v55, v50
	v_add_f32_e32 v50, v54, v64
	v_sub_f32_e32 v55, v51, v50
	v_pk_add_f32 v[66:67], v[50:51], v[54:55] neg_lo:[0,1] neg_hi:[0,1]
	v_mov_b32_e32 v65, v50
	v_pk_add_f32 v[50:51], v[66:67], v[64:65] neg_lo:[0,1] neg_hi:[0,1]
	v_cmp_eq_f32_e32 vcc, s21, v53
	v_add_f32_e32 v51, v84, v51
	v_add_f32_e32 v50, v50, v51
	;; [unrolled: 1-line block ×3, first 2 shown]
	v_mul_f32_e32 v84, v83, v51
	v_mul_f32_e32 v54, v69, v84
	v_fma_f32 v64, v84, v69, -v54
	v_fmac_f32_e32 v64, v84, v49
	v_sub_f32_e32 v49, v55, v51
	v_add_f32_e32 v49, v50, v49
	v_add_f32_e32 v50, v54, v64
	v_sub_f32_e32 v55, v51, v50
	v_pk_add_f32 v[66:67], v[50:51], v[54:55] neg_lo:[0,1] neg_hi:[0,1]
	v_mov_b32_e32 v65, v50
	v_pk_add_f32 v[50:51], v[66:67], v[64:65] neg_lo:[0,1] neg_hi:[0,1]
	v_cvt_f32_i32_e32 v54, v68
	v_add_f32_e32 v49, v49, v51
	v_add_f32_e32 v49, v50, v49
	;; [unrolled: 1-line block ×4, first 2 shown]
	v_sub_f32_e32 v51, v50, v85
	v_mul_f32_e32 v49, v83, v49
	v_sub_f32_e32 v51, v84, v51
	v_add_f32_e32 v49, v51, v49
	v_add_f32_e32 v55, v50, v49
	v_mul_f32_e32 v64, v55, v55
	v_mov_b32_e32 v51, 0x3ecc95a3
	v_fmac_f32_e32 v51, 0x3e9b6dac, v64
	v_sub_f32_e32 v50, v55, v50
	v_fmaak_f32 v51, v64, v51, 0x3f2aaada
	v_sub_f32_e32 v49, v49, v50
	v_ldexp_f32 v65, v55, 1
	v_mul_f32_e32 v55, v55, v64
	v_mov_b32_e32 v50, 0x3f317218
	v_pk_mul_f32 v[50:51], v[54:55], v[50:51]
	v_ldexp_f32 v49, v49, 1
	v_fma_f32 v55, v54, s20, -v50
	v_fmamk_f32 v64, v54, 0xb102e308, v55
	v_pk_add_f32 v[54:55], v[50:51], v[64:65]
	v_mov_b32_e32 v66, v50
	v_sub_f32_e32 v65, v55, v65
	v_sub_f32_e32 v65, v51, v65
	v_add_f32_e32 v67, v49, v65
	v_pk_add_f32 v[50:51], v[54:55], v[50:51] neg_lo:[0,1] neg_hi:[0,1]
	v_pk_add_f32 v[68:69], v[54:55], v[66:67]
	v_mov_b32_e32 v65, v54
	v_mov_b32_e32 v51, v69
	v_pk_add_f32 v[84:85], v[64:65], v[50:51] neg_lo:[0,1] neg_hi:[0,1]
	v_pk_add_f32 v[50:51], v[64:65], v[50:51]
	v_mov_b32_e32 v66, v67
	v_mov_b32_e32 v64, v51
	v_pk_add_f32 v[86:87], v[64:65], v[54:55] neg_lo:[0,1] neg_hi:[0,1]
	v_mov_b32_e32 v50, v69
	v_mov_b32_e32 v49, v86
	v_pk_add_f32 v[112:113], v[68:69], v[48:49] neg_lo:[0,1] neg_hi:[0,1]
	v_mov_b32_e32 v68, v55
	v_mov_b32_e32 v69, v86
	;; [unrolled: 1-line block ×3, first 2 shown]
	v_pk_add_f32 v[50:51], v[50:51], v[68:69] neg_lo:[0,1] neg_hi:[0,1]
	v_mov_b32_e32 v67, v54
	v_pk_add_f32 v[50:51], v[66:67], v[50:51] neg_lo:[0,1] neg_hi:[0,1]
	v_mov_b32_e32 v112, v84
	v_pk_add_f32 v[54:55], v[112:113], v[50:51]
	s_mov_b32 s20, 0x33800000
	v_mov_b32_e32 v66, v55
	v_pk_add_f32 v[66:67], v[54:55], v[66:67]
	v_cmp_lt_f32_e64 s[20:21], |v53|, s20
	v_pk_add_f32 v[64:65], v[64:65], v[66:67]
	v_mov_b32_e32 v51, v66
	v_mov_b32_e32 v55, v64
	v_pk_add_f32 v[68:69], v[54:55], v[84:85] neg_lo:[0,1] neg_hi:[0,1]
	s_or_b64 vcc, vcc, s[20:21]
	v_sub_f32_e32 v49, v54, v68
	v_pk_add_f32 v[50:51], v[50:51], v[68:69] neg_lo:[0,1] neg_hi:[0,1]
	v_sub_f32_e32 v49, v84, v49
	v_add_f32_e32 v49, v50, v49
	v_add_f32_e32 v49, v49, v51
	;; [unrolled: 1-line block ×3, first 2 shown]
	v_cndmask_b32_e32 v49, v49, v53, vcc
	v_add_f32_e32 v132, v48, v49
.LBB161_67:
	s_or_b64 exec, exec, s[18:19]
	v_max_f32_e32 v83, v39, v39
	v_max_f32_e32 v48, v132, v132
	v_min_f32_e32 v49, v48, v83
	v_cmp_u_f32_e32 vcc, v132, v132
	v_max_f32_e32 v48, v48, v83
	v_cmp_u_f32_e64 s[18:19], v39, v39
	v_cndmask_b32_e32 v49, v49, v132, vcc
	v_cndmask_b32_e32 v48, v48, v132, vcc
	v_cndmask_b32_e64 v49, v49, v39, s[18:19]
	v_cndmask_b32_e64 v48, v48, v39, s[18:19]
	s_movk_i32 s22, 0x1f8
	v_cmp_neq_f32_e32 vcc, v49, v48
	v_cmp_class_f32_e64 s[20:21], v49, s22
	s_or_b64 s[24:25], vcc, s[20:21]
	s_and_saveexec_b64 s[20:21], s[24:25]
	s_cbranch_execz .LBB161_69
; %bb.68:
	v_sub_f32_e32 v49, v49, v48
	s_mov_b32 s23, 0x3fb8aa3b
	v_mul_f32_e32 v50, 0x3fb8aa3b, v49
	v_fma_f32 v51, v49, s23, -v50
	v_rndne_f32_e32 v53, v50
	v_fmamk_f32 v51, v49, 0x32a5705f, v51
	v_sub_f32_e32 v50, v50, v53
	v_add_f32_e32 v50, v50, v51
	v_exp_f32_e32 v50, v50
	v_cvt_i32_f32_e32 v51, v53
	s_mov_b32 s23, 0xc2ce8ed0
	v_cmp_ngt_f32_e32 vcc, s23, v49
	s_mov_b32 s23, 0x42b17218
	v_ldexp_f32 v50, v50, v51
	v_cndmask_b32_e32 v50, 0, v50, vcc
	v_mov_b32_e32 v51, 0x7f800000
	v_cmp_nlt_f32_e32 vcc, s23, v49
	s_mov_b32 s23, 0x3f2aaaab
	s_mov_b32 s24, 0x7f800000
	v_cndmask_b32_e32 v53, v51, v50, vcc
	v_add_f32_e32 v49, 1.0, v53
	v_add_f32_e32 v50, -1.0, v49
	v_sub_f32_e32 v51, v50, v49
	v_add_f32_e32 v51, 1.0, v51
	v_sub_f32_e32 v50, v53, v50
	v_add_f32_e32 v54, v50, v51
	v_frexp_mant_f32_e32 v55, v49
	v_cvt_f64_f32_e32 v[50:51], v49
	v_frexp_exp_i32_f64_e32 v50, v[50:51]
	v_cmp_gt_f32_e32 vcc, s23, v55
	s_mov_b32 s23, 0x3f317218
	s_nop 0
	v_subbrev_co_u32_e32 v68, vcc, 0, v50, vcc
	v_sub_u32_e32 v50, 0, v68
	v_ldexp_f32 v49, v49, v50
	v_ldexp_f32 v50, v54, v50
	v_add_f32_e32 v54, -1.0, v49
	v_add_f32_e32 v51, 1.0, v54
	v_sub_f32_e32 v51, v49, v51
	v_add_f32_e32 v55, v50, v51
	v_add_f32_e32 v51, 1.0, v49
	v_add_f32_e32 v64, -1.0, v51
	v_sub_f32_e32 v49, v49, v64
	v_add_f32_e32 v49, v50, v49
	v_add_f32_e32 v69, v51, v49
	v_rcp_f32_e32 v84, v69
	v_sub_f32_e32 v50, v51, v69
	v_add_f32_e32 v51, v54, v55
	v_add_f32_e32 v49, v49, v50
	v_mul_f32_e32 v86, v51, v84
	v_sub_f32_e32 v50, v54, v51
	v_mul_f32_e32 v54, v69, v86
	v_fma_f32 v64, v86, v69, -v54
	v_fmac_f32_e32 v64, v86, v49
	v_add_f32_e32 v85, v55, v50
	v_add_f32_e32 v50, v54, v64
	v_sub_f32_e32 v55, v51, v50
	v_pk_add_f32 v[66:67], v[50:51], v[54:55] neg_lo:[0,1] neg_hi:[0,1]
	v_mov_b32_e32 v65, v50
	v_pk_add_f32 v[50:51], v[66:67], v[64:65] neg_lo:[0,1] neg_hi:[0,1]
	v_cmp_eq_f32_e32 vcc, s24, v53
	v_add_f32_e32 v51, v85, v51
	v_add_f32_e32 v50, v50, v51
	;; [unrolled: 1-line block ×3, first 2 shown]
	v_mul_f32_e32 v85, v84, v51
	v_mul_f32_e32 v54, v69, v85
	v_fma_f32 v64, v85, v69, -v54
	v_fmac_f32_e32 v64, v85, v49
	v_sub_f32_e32 v49, v55, v51
	v_add_f32_e32 v49, v50, v49
	v_add_f32_e32 v50, v54, v64
	v_sub_f32_e32 v55, v51, v50
	v_pk_add_f32 v[66:67], v[50:51], v[54:55] neg_lo:[0,1] neg_hi:[0,1]
	v_mov_b32_e32 v65, v50
	v_pk_add_f32 v[50:51], v[66:67], v[64:65] neg_lo:[0,1] neg_hi:[0,1]
	v_cvt_f32_i32_e32 v54, v68
	v_add_f32_e32 v49, v49, v51
	v_add_f32_e32 v49, v50, v49
	;; [unrolled: 1-line block ×4, first 2 shown]
	v_sub_f32_e32 v51, v50, v86
	v_mul_f32_e32 v49, v84, v49
	v_sub_f32_e32 v51, v85, v51
	v_add_f32_e32 v49, v51, v49
	v_add_f32_e32 v55, v50, v49
	v_mul_f32_e32 v64, v55, v55
	v_mov_b32_e32 v51, 0x3ecc95a3
	v_fmac_f32_e32 v51, 0x3e9b6dac, v64
	v_sub_f32_e32 v50, v55, v50
	v_fmaak_f32 v51, v64, v51, 0x3f2aaada
	v_sub_f32_e32 v49, v49, v50
	v_ldexp_f32 v65, v55, 1
	v_mul_f32_e32 v55, v55, v64
	v_mov_b32_e32 v50, 0x3f317218
	v_pk_mul_f32 v[50:51], v[54:55], v[50:51]
	v_ldexp_f32 v49, v49, 1
	v_fma_f32 v55, v54, s23, -v50
	v_fmamk_f32 v64, v54, 0xb102e308, v55
	v_pk_add_f32 v[54:55], v[50:51], v[64:65]
	v_mov_b32_e32 v66, v50
	v_sub_f32_e32 v65, v55, v65
	v_sub_f32_e32 v65, v51, v65
	v_add_f32_e32 v67, v49, v65
	v_pk_add_f32 v[50:51], v[54:55], v[50:51] neg_lo:[0,1] neg_hi:[0,1]
	v_pk_add_f32 v[68:69], v[54:55], v[66:67]
	v_mov_b32_e32 v65, v54
	v_mov_b32_e32 v51, v69
	v_pk_add_f32 v[84:85], v[64:65], v[50:51] neg_lo:[0,1] neg_hi:[0,1]
	v_pk_add_f32 v[50:51], v[64:65], v[50:51]
	v_mov_b32_e32 v66, v67
	v_mov_b32_e32 v64, v51
	v_pk_add_f32 v[86:87], v[64:65], v[54:55] neg_lo:[0,1] neg_hi:[0,1]
	v_mov_b32_e32 v50, v69
	v_mov_b32_e32 v49, v86
	v_pk_add_f32 v[112:113], v[68:69], v[48:49] neg_lo:[0,1] neg_hi:[0,1]
	v_mov_b32_e32 v68, v55
	v_mov_b32_e32 v69, v86
	;; [unrolled: 1-line block ×3, first 2 shown]
	v_pk_add_f32 v[50:51], v[50:51], v[68:69] neg_lo:[0,1] neg_hi:[0,1]
	v_mov_b32_e32 v67, v54
	v_pk_add_f32 v[50:51], v[66:67], v[50:51] neg_lo:[0,1] neg_hi:[0,1]
	v_mov_b32_e32 v112, v84
	v_pk_add_f32 v[54:55], v[112:113], v[50:51]
	s_mov_b32 s23, 0x33800000
	v_mov_b32_e32 v66, v55
	v_pk_add_f32 v[66:67], v[54:55], v[66:67]
	v_cmp_lt_f32_e64 s[24:25], |v53|, s23
	v_pk_add_f32 v[64:65], v[64:65], v[66:67]
	v_mov_b32_e32 v51, v66
	v_mov_b32_e32 v55, v64
	v_pk_add_f32 v[68:69], v[54:55], v[84:85] neg_lo:[0,1] neg_hi:[0,1]
	s_or_b64 vcc, vcc, s[24:25]
	v_sub_f32_e32 v49, v54, v68
	v_pk_add_f32 v[50:51], v[50:51], v[68:69] neg_lo:[0,1] neg_hi:[0,1]
	v_sub_f32_e32 v49, v84, v49
	v_add_f32_e32 v49, v50, v49
	v_add_f32_e32 v49, v49, v51
	;; [unrolled: 1-line block ×3, first 2 shown]
	v_cndmask_b32_e32 v49, v49, v53, vcc
	v_add_f32_e32 v132, v48, v49
.LBB161_69:
	s_or_b64 exec, exec, s[20:21]
	v_max_f32_e32 v84, v32, v32
	v_max_f32_e32 v48, v132, v132
	v_min_f32_e32 v49, v48, v84
	v_cmp_u_f32_e32 vcc, v132, v132
	v_max_f32_e32 v48, v48, v84
	v_cmp_u_f32_e64 s[20:21], v32, v32
	v_cndmask_b32_e32 v49, v49, v132, vcc
	v_cndmask_b32_e32 v48, v48, v132, vcc
	v_cndmask_b32_e64 v49, v49, v32, s[20:21]
	v_cndmask_b32_e64 v48, v48, v32, s[20:21]
	v_cmp_neq_f32_e32 vcc, v49, v48
	v_cmp_class_f32_e64 s[22:23], v49, s22
	s_or_b64 s[24:25], vcc, s[22:23]
	s_and_saveexec_b64 s[22:23], s[24:25]
	s_cbranch_execz .LBB161_71
; %bb.70:
	v_sub_f32_e32 v49, v49, v48
	s_mov_b32 s24, 0x3fb8aa3b
	v_mul_f32_e32 v50, 0x3fb8aa3b, v49
	v_fma_f32 v51, v49, s24, -v50
	v_rndne_f32_e32 v53, v50
	v_fmamk_f32 v51, v49, 0x32a5705f, v51
	v_sub_f32_e32 v50, v50, v53
	v_add_f32_e32 v50, v50, v51
	v_exp_f32_e32 v50, v50
	v_cvt_i32_f32_e32 v51, v53
	s_mov_b32 s24, 0xc2ce8ed0
	v_cmp_ngt_f32_e32 vcc, s24, v49
	s_mov_b32 s24, 0x42b17218
	v_ldexp_f32 v50, v50, v51
	v_cndmask_b32_e32 v50, 0, v50, vcc
	v_mov_b32_e32 v51, 0x7f800000
	v_cmp_nlt_f32_e32 vcc, s24, v49
	s_mov_b32 s24, 0x3f2aaaab
	s_mov_b32 s25, 0x7f800000
	v_cndmask_b32_e32 v53, v51, v50, vcc
	v_add_f32_e32 v49, 1.0, v53
	v_add_f32_e32 v50, -1.0, v49
	v_sub_f32_e32 v51, v50, v49
	v_add_f32_e32 v51, 1.0, v51
	v_sub_f32_e32 v50, v53, v50
	v_add_f32_e32 v54, v50, v51
	v_frexp_mant_f32_e32 v55, v49
	v_cvt_f64_f32_e32 v[50:51], v49
	v_frexp_exp_i32_f64_e32 v50, v[50:51]
	v_cmp_gt_f32_e32 vcc, s24, v55
	s_mov_b32 s24, 0x3f317218
	s_nop 0
	v_subbrev_co_u32_e32 v68, vcc, 0, v50, vcc
	v_sub_u32_e32 v50, 0, v68
	v_ldexp_f32 v49, v49, v50
	v_ldexp_f32 v50, v54, v50
	v_add_f32_e32 v54, -1.0, v49
	v_add_f32_e32 v51, 1.0, v54
	v_sub_f32_e32 v51, v49, v51
	v_add_f32_e32 v55, v50, v51
	v_add_f32_e32 v51, 1.0, v49
	v_add_f32_e32 v64, -1.0, v51
	v_sub_f32_e32 v49, v49, v64
	v_add_f32_e32 v49, v50, v49
	v_add_f32_e32 v69, v51, v49
	v_rcp_f32_e32 v85, v69
	v_sub_f32_e32 v50, v51, v69
	v_add_f32_e32 v51, v54, v55
	v_add_f32_e32 v49, v49, v50
	v_mul_f32_e32 v87, v51, v85
	v_sub_f32_e32 v50, v54, v51
	v_mul_f32_e32 v54, v69, v87
	v_fma_f32 v64, v87, v69, -v54
	v_fmac_f32_e32 v64, v87, v49
	v_add_f32_e32 v86, v55, v50
	v_add_f32_e32 v50, v54, v64
	v_sub_f32_e32 v55, v51, v50
	v_pk_add_f32 v[66:67], v[50:51], v[54:55] neg_lo:[0,1] neg_hi:[0,1]
	v_mov_b32_e32 v65, v50
	v_pk_add_f32 v[50:51], v[66:67], v[64:65] neg_lo:[0,1] neg_hi:[0,1]
	v_cmp_eq_f32_e32 vcc, s25, v53
	v_add_f32_e32 v51, v86, v51
	v_add_f32_e32 v50, v50, v51
	;; [unrolled: 1-line block ×3, first 2 shown]
	v_mul_f32_e32 v86, v85, v51
	v_mul_f32_e32 v54, v69, v86
	v_fma_f32 v64, v86, v69, -v54
	v_fmac_f32_e32 v64, v86, v49
	v_sub_f32_e32 v49, v55, v51
	v_add_f32_e32 v49, v50, v49
	v_add_f32_e32 v50, v54, v64
	v_sub_f32_e32 v55, v51, v50
	v_pk_add_f32 v[66:67], v[50:51], v[54:55] neg_lo:[0,1] neg_hi:[0,1]
	v_mov_b32_e32 v65, v50
	v_pk_add_f32 v[50:51], v[66:67], v[64:65] neg_lo:[0,1] neg_hi:[0,1]
	v_cvt_f32_i32_e32 v54, v68
	v_add_f32_e32 v49, v49, v51
	v_add_f32_e32 v49, v50, v49
	;; [unrolled: 1-line block ×4, first 2 shown]
	v_sub_f32_e32 v51, v50, v87
	v_mul_f32_e32 v49, v85, v49
	v_sub_f32_e32 v51, v86, v51
	v_add_f32_e32 v49, v51, v49
	v_add_f32_e32 v55, v50, v49
	v_mul_f32_e32 v64, v55, v55
	v_mov_b32_e32 v51, 0x3ecc95a3
	v_fmac_f32_e32 v51, 0x3e9b6dac, v64
	v_sub_f32_e32 v50, v55, v50
	v_fmaak_f32 v51, v64, v51, 0x3f2aaada
	v_sub_f32_e32 v49, v49, v50
	v_ldexp_f32 v65, v55, 1
	v_mul_f32_e32 v55, v55, v64
	v_mov_b32_e32 v50, 0x3f317218
	v_pk_mul_f32 v[50:51], v[54:55], v[50:51]
	v_ldexp_f32 v49, v49, 1
	v_fma_f32 v55, v54, s24, -v50
	v_fmamk_f32 v64, v54, 0xb102e308, v55
	v_pk_add_f32 v[54:55], v[50:51], v[64:65]
	v_mov_b32_e32 v66, v50
	v_sub_f32_e32 v65, v55, v65
	v_sub_f32_e32 v65, v51, v65
	v_add_f32_e32 v67, v49, v65
	v_pk_add_f32 v[50:51], v[54:55], v[50:51] neg_lo:[0,1] neg_hi:[0,1]
	v_pk_add_f32 v[68:69], v[54:55], v[66:67]
	v_mov_b32_e32 v65, v54
	v_mov_b32_e32 v51, v69
	v_pk_add_f32 v[86:87], v[64:65], v[50:51] neg_lo:[0,1] neg_hi:[0,1]
	v_pk_add_f32 v[50:51], v[64:65], v[50:51]
	v_mov_b32_e32 v66, v67
	v_mov_b32_e32 v64, v51
	v_pk_add_f32 v[112:113], v[64:65], v[54:55] neg_lo:[0,1] neg_hi:[0,1]
	v_mov_b32_e32 v50, v69
	v_mov_b32_e32 v49, v112
	v_pk_add_f32 v[114:115], v[68:69], v[48:49] neg_lo:[0,1] neg_hi:[0,1]
	v_mov_b32_e32 v68, v55
	v_mov_b32_e32 v69, v112
	;; [unrolled: 1-line block ×3, first 2 shown]
	v_pk_add_f32 v[50:51], v[50:51], v[68:69] neg_lo:[0,1] neg_hi:[0,1]
	v_mov_b32_e32 v67, v54
	v_pk_add_f32 v[50:51], v[66:67], v[50:51] neg_lo:[0,1] neg_hi:[0,1]
	v_mov_b32_e32 v114, v86
	v_pk_add_f32 v[54:55], v[114:115], v[50:51]
	s_mov_b32 s24, 0x33800000
	v_mov_b32_e32 v66, v55
	v_pk_add_f32 v[66:67], v[54:55], v[66:67]
	v_cmp_lt_f32_e64 s[24:25], |v53|, s24
	v_pk_add_f32 v[64:65], v[64:65], v[66:67]
	v_mov_b32_e32 v51, v66
	v_mov_b32_e32 v55, v64
	v_pk_add_f32 v[68:69], v[54:55], v[86:87] neg_lo:[0,1] neg_hi:[0,1]
	s_or_b64 vcc, vcc, s[24:25]
	v_sub_f32_e32 v49, v54, v68
	v_pk_add_f32 v[50:51], v[50:51], v[68:69] neg_lo:[0,1] neg_hi:[0,1]
	v_sub_f32_e32 v49, v86, v49
	v_add_f32_e32 v49, v50, v49
	v_add_f32_e32 v49, v49, v51
	;; [unrolled: 1-line block ×3, first 2 shown]
	v_cndmask_b32_e32 v49, v49, v53, vcc
	v_add_f32_e32 v132, v48, v49
.LBB161_71:
	s_or_b64 exec, exec, s[22:23]
	v_max_f32_e32 v85, v33, v33
	v_max_f32_e32 v48, v132, v132
	v_min_f32_e32 v49, v48, v85
	v_cmp_u_f32_e32 vcc, v132, v132
	v_max_f32_e32 v48, v48, v85
	v_cmp_u_f32_e64 s[22:23], v33, v33
	v_cndmask_b32_e32 v49, v49, v132, vcc
	v_cndmask_b32_e32 v48, v48, v132, vcc
	v_cndmask_b32_e64 v49, v49, v33, s[22:23]
	v_cndmask_b32_e64 v48, v48, v33, s[22:23]
	s_movk_i32 s26, 0x1f8
	v_cmp_neq_f32_e32 vcc, v49, v48
	v_cmp_class_f32_e64 s[24:25], v49, s26
	s_or_b64 s[28:29], vcc, s[24:25]
	s_and_saveexec_b64 s[24:25], s[28:29]
	s_cbranch_execz .LBB161_73
; %bb.72:
	v_sub_f32_e32 v49, v49, v48
	s_mov_b32 s27, 0x3fb8aa3b
	v_mul_f32_e32 v50, 0x3fb8aa3b, v49
	v_fma_f32 v51, v49, s27, -v50
	v_rndne_f32_e32 v53, v50
	v_fmamk_f32 v51, v49, 0x32a5705f, v51
	v_sub_f32_e32 v50, v50, v53
	v_add_f32_e32 v50, v50, v51
	v_exp_f32_e32 v50, v50
	v_cvt_i32_f32_e32 v51, v53
	s_mov_b32 s27, 0xc2ce8ed0
	v_cmp_ngt_f32_e32 vcc, s27, v49
	s_mov_b32 s27, 0x42b17218
	v_ldexp_f32 v50, v50, v51
	v_cndmask_b32_e32 v50, 0, v50, vcc
	v_mov_b32_e32 v51, 0x7f800000
	v_cmp_nlt_f32_e32 vcc, s27, v49
	s_mov_b32 s27, 0x3f2aaaab
	s_mov_b32 s28, 0x7f800000
	v_cndmask_b32_e32 v53, v51, v50, vcc
	v_add_f32_e32 v49, 1.0, v53
	v_add_f32_e32 v50, -1.0, v49
	v_sub_f32_e32 v51, v50, v49
	v_add_f32_e32 v51, 1.0, v51
	v_sub_f32_e32 v50, v53, v50
	v_add_f32_e32 v54, v50, v51
	v_frexp_mant_f32_e32 v55, v49
	v_cvt_f64_f32_e32 v[50:51], v49
	v_frexp_exp_i32_f64_e32 v50, v[50:51]
	v_cmp_gt_f32_e32 vcc, s27, v55
	s_mov_b32 s27, 0x3f317218
	s_nop 0
	v_subbrev_co_u32_e32 v68, vcc, 0, v50, vcc
	v_sub_u32_e32 v50, 0, v68
	v_ldexp_f32 v49, v49, v50
	v_ldexp_f32 v50, v54, v50
	v_add_f32_e32 v54, -1.0, v49
	v_add_f32_e32 v51, 1.0, v54
	v_sub_f32_e32 v51, v49, v51
	v_add_f32_e32 v55, v50, v51
	v_add_f32_e32 v51, 1.0, v49
	v_add_f32_e32 v64, -1.0, v51
	v_sub_f32_e32 v49, v49, v64
	v_add_f32_e32 v49, v50, v49
	v_add_f32_e32 v69, v51, v49
	v_rcp_f32_e32 v86, v69
	v_sub_f32_e32 v50, v51, v69
	v_add_f32_e32 v51, v54, v55
	v_add_f32_e32 v49, v49, v50
	v_mul_f32_e32 v101, v51, v86
	v_sub_f32_e32 v50, v54, v51
	v_mul_f32_e32 v54, v69, v101
	v_fma_f32 v64, v101, v69, -v54
	v_fmac_f32_e32 v64, v101, v49
	v_add_f32_e32 v87, v55, v50
	v_add_f32_e32 v50, v54, v64
	v_sub_f32_e32 v55, v51, v50
	v_pk_add_f32 v[66:67], v[50:51], v[54:55] neg_lo:[0,1] neg_hi:[0,1]
	v_mov_b32_e32 v65, v50
	v_pk_add_f32 v[50:51], v[66:67], v[64:65] neg_lo:[0,1] neg_hi:[0,1]
	v_cmp_eq_f32_e32 vcc, s28, v53
	v_add_f32_e32 v51, v87, v51
	v_add_f32_e32 v50, v50, v51
	;; [unrolled: 1-line block ×3, first 2 shown]
	v_mul_f32_e32 v87, v86, v51
	v_mul_f32_e32 v54, v69, v87
	v_fma_f32 v64, v87, v69, -v54
	v_fmac_f32_e32 v64, v87, v49
	v_sub_f32_e32 v49, v55, v51
	v_add_f32_e32 v49, v50, v49
	v_add_f32_e32 v50, v54, v64
	v_sub_f32_e32 v55, v51, v50
	v_pk_add_f32 v[66:67], v[50:51], v[54:55] neg_lo:[0,1] neg_hi:[0,1]
	v_mov_b32_e32 v65, v50
	v_pk_add_f32 v[50:51], v[66:67], v[64:65] neg_lo:[0,1] neg_hi:[0,1]
	v_cvt_f32_i32_e32 v54, v68
	v_add_f32_e32 v49, v49, v51
	v_add_f32_e32 v49, v50, v49
	v_add_f32_e32 v50, v101, v87
	v_add_f32_e32 v49, v55, v49
	v_sub_f32_e32 v51, v50, v101
	v_mul_f32_e32 v49, v86, v49
	v_sub_f32_e32 v51, v87, v51
	v_add_f32_e32 v49, v51, v49
	v_add_f32_e32 v55, v50, v49
	v_mul_f32_e32 v64, v55, v55
	v_mov_b32_e32 v51, 0x3ecc95a3
	v_fmac_f32_e32 v51, 0x3e9b6dac, v64
	v_sub_f32_e32 v50, v55, v50
	v_fmaak_f32 v51, v64, v51, 0x3f2aaada
	v_sub_f32_e32 v49, v49, v50
	v_ldexp_f32 v65, v55, 1
	v_mul_f32_e32 v55, v55, v64
	v_mov_b32_e32 v50, 0x3f317218
	v_pk_mul_f32 v[50:51], v[54:55], v[50:51]
	v_ldexp_f32 v49, v49, 1
	v_fma_f32 v55, v54, s27, -v50
	v_fmamk_f32 v64, v54, 0xb102e308, v55
	v_pk_add_f32 v[54:55], v[50:51], v[64:65]
	v_mov_b32_e32 v66, v50
	v_sub_f32_e32 v65, v55, v65
	v_sub_f32_e32 v65, v51, v65
	v_add_f32_e32 v67, v49, v65
	v_pk_add_f32 v[50:51], v[54:55], v[50:51] neg_lo:[0,1] neg_hi:[0,1]
	v_pk_add_f32 v[68:69], v[54:55], v[66:67]
	v_mov_b32_e32 v65, v54
	v_mov_b32_e32 v51, v69
	v_pk_add_f32 v[86:87], v[64:65], v[50:51] neg_lo:[0,1] neg_hi:[0,1]
	v_pk_add_f32 v[50:51], v[64:65], v[50:51]
	v_mov_b32_e32 v66, v67
	v_mov_b32_e32 v64, v51
	v_pk_add_f32 v[112:113], v[64:65], v[54:55] neg_lo:[0,1] neg_hi:[0,1]
	v_mov_b32_e32 v50, v69
	v_mov_b32_e32 v49, v112
	v_pk_add_f32 v[114:115], v[68:69], v[48:49] neg_lo:[0,1] neg_hi:[0,1]
	v_mov_b32_e32 v68, v55
	v_mov_b32_e32 v69, v112
	;; [unrolled: 1-line block ×3, first 2 shown]
	v_pk_add_f32 v[50:51], v[50:51], v[68:69] neg_lo:[0,1] neg_hi:[0,1]
	v_mov_b32_e32 v67, v54
	v_pk_add_f32 v[50:51], v[66:67], v[50:51] neg_lo:[0,1] neg_hi:[0,1]
	v_mov_b32_e32 v114, v86
	v_pk_add_f32 v[54:55], v[114:115], v[50:51]
	s_mov_b32 s27, 0x33800000
	v_mov_b32_e32 v66, v55
	v_pk_add_f32 v[66:67], v[54:55], v[66:67]
	v_cmp_lt_f32_e64 s[28:29], |v53|, s27
	v_pk_add_f32 v[64:65], v[64:65], v[66:67]
	v_mov_b32_e32 v51, v66
	v_mov_b32_e32 v55, v64
	v_pk_add_f32 v[68:69], v[54:55], v[86:87] neg_lo:[0,1] neg_hi:[0,1]
	s_or_b64 vcc, vcc, s[28:29]
	v_sub_f32_e32 v49, v54, v68
	v_pk_add_f32 v[50:51], v[50:51], v[68:69] neg_lo:[0,1] neg_hi:[0,1]
	v_sub_f32_e32 v49, v86, v49
	v_add_f32_e32 v49, v50, v49
	v_add_f32_e32 v49, v49, v51
	;; [unrolled: 1-line block ×3, first 2 shown]
	v_cndmask_b32_e32 v49, v49, v53, vcc
	v_add_f32_e32 v132, v48, v49
.LBB161_73:
	s_or_b64 exec, exec, s[24:25]
	v_max_f32_e32 v86, v34, v34
	v_max_f32_e32 v48, v132, v132
	v_min_f32_e32 v49, v48, v86
	v_cmp_u_f32_e32 vcc, v132, v132
	v_max_f32_e32 v48, v48, v86
	v_cmp_u_f32_e64 s[24:25], v34, v34
	v_cndmask_b32_e32 v49, v49, v132, vcc
	v_cndmask_b32_e32 v48, v48, v132, vcc
	v_cndmask_b32_e64 v49, v49, v34, s[24:25]
	v_cndmask_b32_e64 v48, v48, v34, s[24:25]
	v_cmp_neq_f32_e32 vcc, v49, v48
	v_cmp_class_f32_e64 s[26:27], v49, s26
	s_or_b64 s[28:29], vcc, s[26:27]
	s_and_saveexec_b64 s[26:27], s[28:29]
	s_cbranch_execz .LBB161_75
; %bb.74:
	v_sub_f32_e32 v49, v49, v48
	s_mov_b32 s28, 0x3fb8aa3b
	v_mul_f32_e32 v50, 0x3fb8aa3b, v49
	v_fma_f32 v51, v49, s28, -v50
	v_rndne_f32_e32 v53, v50
	v_fmamk_f32 v51, v49, 0x32a5705f, v51
	v_sub_f32_e32 v50, v50, v53
	v_add_f32_e32 v50, v50, v51
	v_exp_f32_e32 v50, v50
	v_cvt_i32_f32_e32 v51, v53
	s_mov_b32 s28, 0xc2ce8ed0
	v_cmp_ngt_f32_e32 vcc, s28, v49
	s_mov_b32 s28, 0x42b17218
	v_ldexp_f32 v50, v50, v51
	v_cndmask_b32_e32 v50, 0, v50, vcc
	v_mov_b32_e32 v51, 0x7f800000
	v_cmp_nlt_f32_e32 vcc, s28, v49
	s_mov_b32 s28, 0x3f2aaaab
	s_mov_b32 s29, 0x7f800000
	v_cndmask_b32_e32 v53, v51, v50, vcc
	v_add_f32_e32 v49, 1.0, v53
	v_add_f32_e32 v50, -1.0, v49
	v_sub_f32_e32 v51, v50, v49
	v_add_f32_e32 v51, 1.0, v51
	v_sub_f32_e32 v50, v53, v50
	v_add_f32_e32 v54, v50, v51
	v_frexp_mant_f32_e32 v55, v49
	v_cvt_f64_f32_e32 v[50:51], v49
	v_frexp_exp_i32_f64_e32 v50, v[50:51]
	v_cmp_gt_f32_e32 vcc, s28, v55
	s_mov_b32 s28, 0x3f317218
	s_nop 0
	v_subbrev_co_u32_e32 v68, vcc, 0, v50, vcc
	v_sub_u32_e32 v50, 0, v68
	v_ldexp_f32 v49, v49, v50
	v_ldexp_f32 v50, v54, v50
	v_add_f32_e32 v54, -1.0, v49
	v_add_f32_e32 v51, 1.0, v54
	v_sub_f32_e32 v51, v49, v51
	v_add_f32_e32 v55, v50, v51
	v_add_f32_e32 v51, 1.0, v49
	v_add_f32_e32 v64, -1.0, v51
	v_sub_f32_e32 v49, v49, v64
	v_add_f32_e32 v49, v50, v49
	v_add_f32_e32 v69, v51, v49
	v_rcp_f32_e32 v87, v69
	v_sub_f32_e32 v50, v51, v69
	v_add_f32_e32 v51, v54, v55
	v_add_f32_e32 v49, v49, v50
	v_mul_f32_e32 v112, v51, v87
	v_sub_f32_e32 v50, v54, v51
	v_mul_f32_e32 v54, v69, v112
	v_fma_f32 v64, v112, v69, -v54
	v_fmac_f32_e32 v64, v112, v49
	v_add_f32_e32 v101, v55, v50
	v_add_f32_e32 v50, v54, v64
	v_sub_f32_e32 v55, v51, v50
	v_pk_add_f32 v[66:67], v[50:51], v[54:55] neg_lo:[0,1] neg_hi:[0,1]
	v_mov_b32_e32 v65, v50
	v_pk_add_f32 v[50:51], v[66:67], v[64:65] neg_lo:[0,1] neg_hi:[0,1]
	v_cmp_eq_f32_e32 vcc, s29, v53
	v_add_f32_e32 v51, v101, v51
	v_add_f32_e32 v50, v50, v51
	;; [unrolled: 1-line block ×3, first 2 shown]
	v_mul_f32_e32 v101, v87, v51
	v_mul_f32_e32 v54, v69, v101
	v_fma_f32 v64, v101, v69, -v54
	v_fmac_f32_e32 v64, v101, v49
	v_sub_f32_e32 v49, v55, v51
	v_add_f32_e32 v49, v50, v49
	v_add_f32_e32 v50, v54, v64
	v_sub_f32_e32 v55, v51, v50
	v_pk_add_f32 v[66:67], v[50:51], v[54:55] neg_lo:[0,1] neg_hi:[0,1]
	v_mov_b32_e32 v65, v50
	v_pk_add_f32 v[50:51], v[66:67], v[64:65] neg_lo:[0,1] neg_hi:[0,1]
	v_cvt_f32_i32_e32 v54, v68
	v_add_f32_e32 v49, v49, v51
	v_add_f32_e32 v49, v50, v49
	v_add_f32_e32 v50, v112, v101
	v_add_f32_e32 v49, v55, v49
	v_sub_f32_e32 v51, v50, v112
	v_mul_f32_e32 v49, v87, v49
	v_sub_f32_e32 v51, v101, v51
	v_add_f32_e32 v49, v51, v49
	v_add_f32_e32 v55, v50, v49
	v_mul_f32_e32 v64, v55, v55
	v_mov_b32_e32 v51, 0x3ecc95a3
	v_fmac_f32_e32 v51, 0x3e9b6dac, v64
	v_sub_f32_e32 v50, v55, v50
	v_fmaak_f32 v51, v64, v51, 0x3f2aaada
	v_sub_f32_e32 v49, v49, v50
	v_ldexp_f32 v65, v55, 1
	v_mul_f32_e32 v55, v55, v64
	v_mov_b32_e32 v50, 0x3f317218
	v_pk_mul_f32 v[50:51], v[54:55], v[50:51]
	v_ldexp_f32 v49, v49, 1
	v_fma_f32 v55, v54, s28, -v50
	v_fmamk_f32 v64, v54, 0xb102e308, v55
	v_pk_add_f32 v[54:55], v[50:51], v[64:65]
	v_mov_b32_e32 v66, v50
	v_sub_f32_e32 v65, v55, v65
	v_sub_f32_e32 v65, v51, v65
	v_add_f32_e32 v67, v49, v65
	v_pk_add_f32 v[50:51], v[54:55], v[50:51] neg_lo:[0,1] neg_hi:[0,1]
	v_pk_add_f32 v[68:69], v[54:55], v[66:67]
	v_mov_b32_e32 v65, v54
	v_mov_b32_e32 v51, v69
	v_pk_add_f32 v[112:113], v[64:65], v[50:51] neg_lo:[0,1] neg_hi:[0,1]
	v_pk_add_f32 v[50:51], v[64:65], v[50:51]
	v_mov_b32_e32 v66, v67
	v_mov_b32_e32 v64, v51
	v_pk_add_f32 v[114:115], v[64:65], v[54:55] neg_lo:[0,1] neg_hi:[0,1]
	v_mov_b32_e32 v50, v69
	v_mov_b32_e32 v49, v114
	v_pk_add_f32 v[116:117], v[68:69], v[48:49] neg_lo:[0,1] neg_hi:[0,1]
	v_mov_b32_e32 v68, v55
	v_mov_b32_e32 v69, v114
	;; [unrolled: 1-line block ×3, first 2 shown]
	v_pk_add_f32 v[50:51], v[50:51], v[68:69] neg_lo:[0,1] neg_hi:[0,1]
	v_mov_b32_e32 v67, v54
	v_pk_add_f32 v[50:51], v[66:67], v[50:51] neg_lo:[0,1] neg_hi:[0,1]
	v_mov_b32_e32 v116, v112
	v_pk_add_f32 v[54:55], v[116:117], v[50:51]
	s_mov_b32 s28, 0x33800000
	v_mov_b32_e32 v66, v55
	v_pk_add_f32 v[66:67], v[54:55], v[66:67]
	v_cmp_lt_f32_e64 s[28:29], |v53|, s28
	v_pk_add_f32 v[64:65], v[64:65], v[66:67]
	v_mov_b32_e32 v51, v66
	v_mov_b32_e32 v55, v64
	v_pk_add_f32 v[68:69], v[54:55], v[112:113] neg_lo:[0,1] neg_hi:[0,1]
	s_or_b64 vcc, vcc, s[28:29]
	v_sub_f32_e32 v49, v54, v68
	v_pk_add_f32 v[50:51], v[50:51], v[68:69] neg_lo:[0,1] neg_hi:[0,1]
	v_sub_f32_e32 v49, v112, v49
	v_add_f32_e32 v49, v50, v49
	v_add_f32_e32 v49, v49, v51
	;; [unrolled: 1-line block ×3, first 2 shown]
	v_cndmask_b32_e32 v49, v49, v53, vcc
	v_add_f32_e32 v132, v48, v49
.LBB161_75:
	s_or_b64 exec, exec, s[26:27]
	v_max_f32_e32 v87, v35, v35
	v_max_f32_e32 v48, v132, v132
	v_min_f32_e32 v49, v48, v87
	v_cmp_u_f32_e32 vcc, v132, v132
	v_max_f32_e32 v48, v48, v87
	v_cmp_u_f32_e64 s[26:27], v35, v35
	v_cndmask_b32_e32 v49, v49, v132, vcc
	v_cndmask_b32_e32 v48, v48, v132, vcc
	v_cndmask_b32_e64 v49, v49, v35, s[26:27]
	v_cndmask_b32_e64 v48, v48, v35, s[26:27]
	s_movk_i32 s30, 0x1f8
	v_cmp_neq_f32_e32 vcc, v49, v48
	v_cmp_class_f32_e64 s[28:29], v49, s30
	s_or_b64 vcc, vcc, s[28:29]
	s_and_saveexec_b64 s[28:29], vcc
	s_cbranch_execz .LBB161_77
; %bb.76:
	v_sub_f32_e32 v49, v49, v48
	s_mov_b32 s31, 0x3fb8aa3b
	v_mul_f32_e32 v50, 0x3fb8aa3b, v49
	v_fma_f32 v51, v49, s31, -v50
	v_rndne_f32_e32 v53, v50
	v_fmamk_f32 v51, v49, 0x32a5705f, v51
	v_sub_f32_e32 v50, v50, v53
	v_add_f32_e32 v50, v50, v51
	v_exp_f32_e32 v50, v50
	v_cvt_i32_f32_e32 v51, v53
	s_mov_b32 s31, 0xc2ce8ed0
	v_cmp_ngt_f32_e32 vcc, s31, v49
	s_mov_b32 s31, 0x42b17218
	v_ldexp_f32 v50, v50, v51
	v_cndmask_b32_e32 v50, 0, v50, vcc
	v_mov_b32_e32 v51, 0x7f800000
	v_cmp_nlt_f32_e32 vcc, s31, v49
	s_mov_b32 s31, 0x3f2aaaab
	s_mov_b32 s34, 0x7f800000
	v_cndmask_b32_e32 v53, v51, v50, vcc
	v_add_f32_e32 v49, 1.0, v53
	v_add_f32_e32 v50, -1.0, v49
	v_sub_f32_e32 v51, v50, v49
	v_add_f32_e32 v51, 1.0, v51
	v_sub_f32_e32 v50, v53, v50
	v_add_f32_e32 v54, v50, v51
	v_frexp_mant_f32_e32 v55, v49
	v_cvt_f64_f32_e32 v[50:51], v49
	v_frexp_exp_i32_f64_e32 v50, v[50:51]
	v_cmp_gt_f32_e32 vcc, s31, v55
	s_mov_b32 s31, 0x3f317218
	s_nop 0
	v_subbrev_co_u32_e32 v68, vcc, 0, v50, vcc
	v_sub_u32_e32 v50, 0, v68
	v_ldexp_f32 v49, v49, v50
	v_ldexp_f32 v50, v54, v50
	v_add_f32_e32 v54, -1.0, v49
	v_add_f32_e32 v51, 1.0, v54
	v_sub_f32_e32 v51, v49, v51
	v_add_f32_e32 v55, v50, v51
	v_add_f32_e32 v51, 1.0, v49
	v_add_f32_e32 v64, -1.0, v51
	v_sub_f32_e32 v49, v49, v64
	v_add_f32_e32 v49, v50, v49
	v_add_f32_e32 v69, v51, v49
	v_rcp_f32_e32 v101, v69
	v_sub_f32_e32 v50, v51, v69
	v_add_f32_e32 v51, v54, v55
	v_add_f32_e32 v49, v49, v50
	v_mul_f32_e32 v113, v51, v101
	v_sub_f32_e32 v50, v54, v51
	v_mul_f32_e32 v54, v69, v113
	v_fma_f32 v64, v113, v69, -v54
	v_fmac_f32_e32 v64, v113, v49
	v_add_f32_e32 v112, v55, v50
	v_add_f32_e32 v50, v54, v64
	v_sub_f32_e32 v55, v51, v50
	v_pk_add_f32 v[66:67], v[50:51], v[54:55] neg_lo:[0,1] neg_hi:[0,1]
	v_mov_b32_e32 v65, v50
	v_pk_add_f32 v[50:51], v[66:67], v[64:65] neg_lo:[0,1] neg_hi:[0,1]
	v_cmp_eq_f32_e32 vcc, s34, v53
	v_add_f32_e32 v51, v112, v51
	v_add_f32_e32 v50, v50, v51
	;; [unrolled: 1-line block ×3, first 2 shown]
	v_mul_f32_e32 v112, v101, v51
	v_mul_f32_e32 v54, v69, v112
	v_fma_f32 v64, v112, v69, -v54
	v_fmac_f32_e32 v64, v112, v49
	v_sub_f32_e32 v49, v55, v51
	v_add_f32_e32 v49, v50, v49
	v_add_f32_e32 v50, v54, v64
	v_sub_f32_e32 v55, v51, v50
	v_pk_add_f32 v[66:67], v[50:51], v[54:55] neg_lo:[0,1] neg_hi:[0,1]
	v_mov_b32_e32 v65, v50
	v_pk_add_f32 v[50:51], v[66:67], v[64:65] neg_lo:[0,1] neg_hi:[0,1]
	v_cvt_f32_i32_e32 v54, v68
	v_add_f32_e32 v49, v49, v51
	v_add_f32_e32 v49, v50, v49
	;; [unrolled: 1-line block ×4, first 2 shown]
	v_sub_f32_e32 v51, v50, v113
	v_mul_f32_e32 v49, v101, v49
	v_sub_f32_e32 v51, v112, v51
	v_add_f32_e32 v49, v51, v49
	v_add_f32_e32 v55, v50, v49
	v_mul_f32_e32 v64, v55, v55
	v_mov_b32_e32 v51, 0x3ecc95a3
	v_fmac_f32_e32 v51, 0x3e9b6dac, v64
	v_sub_f32_e32 v50, v55, v50
	v_fmaak_f32 v51, v64, v51, 0x3f2aaada
	v_sub_f32_e32 v49, v49, v50
	v_ldexp_f32 v65, v55, 1
	v_mul_f32_e32 v55, v55, v64
	v_mov_b32_e32 v50, 0x3f317218
	v_pk_mul_f32 v[50:51], v[54:55], v[50:51]
	v_ldexp_f32 v49, v49, 1
	v_fma_f32 v55, v54, s31, -v50
	v_fmamk_f32 v64, v54, 0xb102e308, v55
	v_pk_add_f32 v[54:55], v[50:51], v[64:65]
	v_mov_b32_e32 v66, v50
	v_sub_f32_e32 v65, v55, v65
	v_sub_f32_e32 v65, v51, v65
	v_add_f32_e32 v67, v49, v65
	v_pk_add_f32 v[50:51], v[54:55], v[50:51] neg_lo:[0,1] neg_hi:[0,1]
	v_pk_add_f32 v[68:69], v[54:55], v[66:67]
	v_mov_b32_e32 v65, v54
	v_mov_b32_e32 v51, v69
	v_pk_add_f32 v[112:113], v[64:65], v[50:51] neg_lo:[0,1] neg_hi:[0,1]
	v_pk_add_f32 v[50:51], v[64:65], v[50:51]
	v_mov_b32_e32 v66, v67
	v_mov_b32_e32 v64, v51
	v_pk_add_f32 v[114:115], v[64:65], v[54:55] neg_lo:[0,1] neg_hi:[0,1]
	v_mov_b32_e32 v50, v69
	v_mov_b32_e32 v49, v114
	v_pk_add_f32 v[116:117], v[68:69], v[48:49] neg_lo:[0,1] neg_hi:[0,1]
	v_mov_b32_e32 v68, v55
	v_mov_b32_e32 v69, v114
	;; [unrolled: 1-line block ×3, first 2 shown]
	v_pk_add_f32 v[50:51], v[50:51], v[68:69] neg_lo:[0,1] neg_hi:[0,1]
	v_mov_b32_e32 v67, v54
	v_pk_add_f32 v[50:51], v[66:67], v[50:51] neg_lo:[0,1] neg_hi:[0,1]
	v_mov_b32_e32 v116, v112
	v_pk_add_f32 v[54:55], v[116:117], v[50:51]
	s_mov_b32 s31, 0x33800000
	v_mov_b32_e32 v66, v55
	v_pk_add_f32 v[66:67], v[54:55], v[66:67]
	v_cmp_lt_f32_e64 s[34:35], |v53|, s31
	v_pk_add_f32 v[64:65], v[64:65], v[66:67]
	v_mov_b32_e32 v51, v66
	v_mov_b32_e32 v55, v64
	v_pk_add_f32 v[68:69], v[54:55], v[112:113] neg_lo:[0,1] neg_hi:[0,1]
	s_or_b64 vcc, vcc, s[34:35]
	v_sub_f32_e32 v49, v54, v68
	v_pk_add_f32 v[50:51], v[50:51], v[68:69] neg_lo:[0,1] neg_hi:[0,1]
	v_sub_f32_e32 v49, v112, v49
	v_add_f32_e32 v49, v50, v49
	v_add_f32_e32 v49, v49, v51
	;; [unrolled: 1-line block ×3, first 2 shown]
	v_cndmask_b32_e32 v49, v49, v53, vcc
	v_add_f32_e32 v132, v48, v49
.LBB161_77:
	s_or_b64 exec, exec, s[28:29]
	v_max_f32_e32 v101, v28, v28
	v_max_f32_e32 v48, v132, v132
	v_min_f32_e32 v49, v48, v101
	v_cmp_u_f32_e32 vcc, v132, v132
	v_max_f32_e32 v48, v48, v101
	v_cmp_u_f32_e64 s[28:29], v28, v28
	v_cndmask_b32_e32 v49, v49, v132, vcc
	v_cndmask_b32_e32 v48, v48, v132, vcc
	v_cndmask_b32_e64 v49, v49, v28, s[28:29]
	v_cndmask_b32_e64 v48, v48, v28, s[28:29]
	v_cmp_neq_f32_e32 vcc, v49, v48
	v_cmp_class_f32_e64 s[30:31], v49, s30
	s_or_b64 vcc, vcc, s[30:31]
	s_and_saveexec_b64 s[30:31], vcc
	s_cbranch_execz .LBB161_79
; %bb.78:
	v_sub_f32_e32 v49, v49, v48
	s_mov_b32 s34, 0x3fb8aa3b
	v_mul_f32_e32 v50, 0x3fb8aa3b, v49
	v_fma_f32 v51, v49, s34, -v50
	v_rndne_f32_e32 v53, v50
	v_fmamk_f32 v51, v49, 0x32a5705f, v51
	v_sub_f32_e32 v50, v50, v53
	v_add_f32_e32 v50, v50, v51
	v_exp_f32_e32 v50, v50
	v_cvt_i32_f32_e32 v51, v53
	s_mov_b32 s34, 0xc2ce8ed0
	v_cmp_ngt_f32_e32 vcc, s34, v49
	s_mov_b32 s34, 0x42b17218
	v_ldexp_f32 v50, v50, v51
	v_cndmask_b32_e32 v50, 0, v50, vcc
	v_mov_b32_e32 v51, 0x7f800000
	v_cmp_nlt_f32_e32 vcc, s34, v49
	s_mov_b32 s34, 0x3f2aaaab
	s_mov_b32 s35, 0x7f800000
	v_cndmask_b32_e32 v53, v51, v50, vcc
	v_add_f32_e32 v49, 1.0, v53
	v_add_f32_e32 v50, -1.0, v49
	v_sub_f32_e32 v51, v50, v49
	v_add_f32_e32 v51, 1.0, v51
	v_sub_f32_e32 v50, v53, v50
	v_add_f32_e32 v54, v50, v51
	v_frexp_mant_f32_e32 v55, v49
	v_cvt_f64_f32_e32 v[50:51], v49
	v_frexp_exp_i32_f64_e32 v50, v[50:51]
	v_cmp_gt_f32_e32 vcc, s34, v55
	s_mov_b32 s34, 0x3f317218
	s_nop 0
	v_subbrev_co_u32_e32 v68, vcc, 0, v50, vcc
	v_sub_u32_e32 v50, 0, v68
	v_ldexp_f32 v49, v49, v50
	v_ldexp_f32 v50, v54, v50
	v_add_f32_e32 v54, -1.0, v49
	v_add_f32_e32 v51, 1.0, v54
	v_sub_f32_e32 v51, v49, v51
	v_add_f32_e32 v55, v50, v51
	v_add_f32_e32 v51, 1.0, v49
	v_add_f32_e32 v64, -1.0, v51
	v_sub_f32_e32 v49, v49, v64
	v_add_f32_e32 v49, v50, v49
	v_add_f32_e32 v69, v51, v49
	v_rcp_f32_e32 v112, v69
	v_sub_f32_e32 v50, v51, v69
	v_add_f32_e32 v51, v54, v55
	v_add_f32_e32 v49, v49, v50
	v_mul_f32_e32 v114, v51, v112
	v_sub_f32_e32 v50, v54, v51
	v_mul_f32_e32 v54, v69, v114
	v_fma_f32 v64, v114, v69, -v54
	v_fmac_f32_e32 v64, v114, v49
	v_add_f32_e32 v113, v55, v50
	v_add_f32_e32 v50, v54, v64
	v_sub_f32_e32 v55, v51, v50
	v_pk_add_f32 v[66:67], v[50:51], v[54:55] neg_lo:[0,1] neg_hi:[0,1]
	v_mov_b32_e32 v65, v50
	v_pk_add_f32 v[50:51], v[66:67], v[64:65] neg_lo:[0,1] neg_hi:[0,1]
	v_cmp_eq_f32_e32 vcc, s35, v53
	v_add_f32_e32 v51, v113, v51
	v_add_f32_e32 v50, v50, v51
	v_add_f32_e32 v51, v55, v50
	v_mul_f32_e32 v113, v112, v51
	v_mul_f32_e32 v54, v69, v113
	v_fma_f32 v64, v113, v69, -v54
	v_fmac_f32_e32 v64, v113, v49
	v_sub_f32_e32 v49, v55, v51
	v_add_f32_e32 v49, v50, v49
	v_add_f32_e32 v50, v54, v64
	v_sub_f32_e32 v55, v51, v50
	v_pk_add_f32 v[66:67], v[50:51], v[54:55] neg_lo:[0,1] neg_hi:[0,1]
	v_mov_b32_e32 v65, v50
	v_pk_add_f32 v[50:51], v[66:67], v[64:65] neg_lo:[0,1] neg_hi:[0,1]
	v_cvt_f32_i32_e32 v54, v68
	v_add_f32_e32 v49, v49, v51
	v_add_f32_e32 v49, v50, v49
	;; [unrolled: 1-line block ×4, first 2 shown]
	v_sub_f32_e32 v51, v50, v114
	v_mul_f32_e32 v49, v112, v49
	v_sub_f32_e32 v51, v113, v51
	v_add_f32_e32 v49, v51, v49
	v_add_f32_e32 v55, v50, v49
	v_mul_f32_e32 v64, v55, v55
	v_mov_b32_e32 v51, 0x3ecc95a3
	v_fmac_f32_e32 v51, 0x3e9b6dac, v64
	v_sub_f32_e32 v50, v55, v50
	v_fmaak_f32 v51, v64, v51, 0x3f2aaada
	v_sub_f32_e32 v49, v49, v50
	v_ldexp_f32 v65, v55, 1
	v_mul_f32_e32 v55, v55, v64
	v_mov_b32_e32 v50, 0x3f317218
	v_pk_mul_f32 v[50:51], v[54:55], v[50:51]
	v_ldexp_f32 v49, v49, 1
	v_fma_f32 v55, v54, s34, -v50
	v_fmamk_f32 v64, v54, 0xb102e308, v55
	v_pk_add_f32 v[54:55], v[50:51], v[64:65]
	v_mov_b32_e32 v66, v50
	v_sub_f32_e32 v65, v55, v65
	v_sub_f32_e32 v65, v51, v65
	v_add_f32_e32 v67, v49, v65
	v_pk_add_f32 v[50:51], v[54:55], v[50:51] neg_lo:[0,1] neg_hi:[0,1]
	v_pk_add_f32 v[68:69], v[54:55], v[66:67]
	v_mov_b32_e32 v65, v54
	v_mov_b32_e32 v51, v69
	v_pk_add_f32 v[112:113], v[64:65], v[50:51] neg_lo:[0,1] neg_hi:[0,1]
	v_pk_add_f32 v[50:51], v[64:65], v[50:51]
	v_mov_b32_e32 v66, v67
	v_mov_b32_e32 v64, v51
	v_pk_add_f32 v[114:115], v[64:65], v[54:55] neg_lo:[0,1] neg_hi:[0,1]
	v_mov_b32_e32 v50, v69
	v_mov_b32_e32 v49, v114
	v_pk_add_f32 v[116:117], v[68:69], v[48:49] neg_lo:[0,1] neg_hi:[0,1]
	v_mov_b32_e32 v68, v55
	v_mov_b32_e32 v69, v114
	;; [unrolled: 1-line block ×3, first 2 shown]
	v_pk_add_f32 v[50:51], v[50:51], v[68:69] neg_lo:[0,1] neg_hi:[0,1]
	v_mov_b32_e32 v67, v54
	v_pk_add_f32 v[50:51], v[66:67], v[50:51] neg_lo:[0,1] neg_hi:[0,1]
	v_mov_b32_e32 v116, v112
	v_pk_add_f32 v[54:55], v[116:117], v[50:51]
	s_mov_b32 s34, 0x33800000
	v_mov_b32_e32 v66, v55
	v_pk_add_f32 v[66:67], v[54:55], v[66:67]
	v_cmp_lt_f32_e64 s[34:35], |v53|, s34
	v_pk_add_f32 v[64:65], v[64:65], v[66:67]
	v_mov_b32_e32 v51, v66
	v_mov_b32_e32 v55, v64
	v_pk_add_f32 v[68:69], v[54:55], v[112:113] neg_lo:[0,1] neg_hi:[0,1]
	s_or_b64 vcc, vcc, s[34:35]
	v_sub_f32_e32 v49, v54, v68
	v_pk_add_f32 v[50:51], v[50:51], v[68:69] neg_lo:[0,1] neg_hi:[0,1]
	v_sub_f32_e32 v49, v112, v49
	v_add_f32_e32 v49, v50, v49
	v_add_f32_e32 v49, v49, v51
	;; [unrolled: 1-line block ×3, first 2 shown]
	v_cndmask_b32_e32 v49, v49, v53, vcc
	v_add_f32_e32 v132, v48, v49
.LBB161_79:
	s_or_b64 exec, exec, s[30:31]
	v_max_f32_e32 v112, v29, v29
	v_max_f32_e32 v48, v132, v132
	v_min_f32_e32 v49, v48, v112
	v_cmp_u_f32_e32 vcc, v132, v132
	v_max_f32_e32 v48, v48, v112
	v_cmp_u_f32_e64 s[30:31], v29, v29
	v_cndmask_b32_e32 v49, v49, v132, vcc
	v_cndmask_b32_e32 v48, v48, v132, vcc
	v_cndmask_b32_e64 v49, v49, v29, s[30:31]
	v_cndmask_b32_e64 v48, v48, v29, s[30:31]
	s_movk_i32 s36, 0x1f8
	v_cmp_neq_f32_e32 vcc, v49, v48
	v_cmp_class_f32_e64 s[34:35], v49, s36
	s_or_b64 vcc, vcc, s[34:35]
	s_and_saveexec_b64 s[34:35], vcc
	s_cbranch_execz .LBB161_81
; %bb.80:
	v_sub_f32_e32 v49, v49, v48
	s_mov_b32 s37, 0x3fb8aa3b
	v_mul_f32_e32 v50, 0x3fb8aa3b, v49
	v_fma_f32 v51, v49, s37, -v50
	v_rndne_f32_e32 v53, v50
	v_fmamk_f32 v51, v49, 0x32a5705f, v51
	v_sub_f32_e32 v50, v50, v53
	v_add_f32_e32 v50, v50, v51
	v_exp_f32_e32 v50, v50
	v_cvt_i32_f32_e32 v51, v53
	s_mov_b32 s37, 0xc2ce8ed0
	v_cmp_ngt_f32_e32 vcc, s37, v49
	s_mov_b32 s37, 0x42b17218
	v_ldexp_f32 v50, v50, v51
	v_cndmask_b32_e32 v50, 0, v50, vcc
	v_mov_b32_e32 v51, 0x7f800000
	v_cmp_nlt_f32_e32 vcc, s37, v49
	s_mov_b32 s37, 0x3f2aaaab
	s_mov_b32 s38, 0x7f800000
	v_cndmask_b32_e32 v53, v51, v50, vcc
	v_add_f32_e32 v49, 1.0, v53
	v_add_f32_e32 v50, -1.0, v49
	v_sub_f32_e32 v51, v50, v49
	v_add_f32_e32 v51, 1.0, v51
	v_sub_f32_e32 v50, v53, v50
	v_add_f32_e32 v54, v50, v51
	v_frexp_mant_f32_e32 v55, v49
	v_cvt_f64_f32_e32 v[50:51], v49
	v_frexp_exp_i32_f64_e32 v50, v[50:51]
	v_cmp_gt_f32_e32 vcc, s37, v55
	s_mov_b32 s37, 0x3f317218
	s_nop 0
	v_subbrev_co_u32_e32 v68, vcc, 0, v50, vcc
	v_sub_u32_e32 v50, 0, v68
	v_ldexp_f32 v49, v49, v50
	v_ldexp_f32 v50, v54, v50
	v_add_f32_e32 v54, -1.0, v49
	v_add_f32_e32 v51, 1.0, v54
	v_sub_f32_e32 v51, v49, v51
	v_add_f32_e32 v55, v50, v51
	v_add_f32_e32 v51, 1.0, v49
	v_add_f32_e32 v64, -1.0, v51
	v_sub_f32_e32 v49, v49, v64
	v_add_f32_e32 v49, v50, v49
	v_add_f32_e32 v69, v51, v49
	v_rcp_f32_e32 v113, v69
	v_sub_f32_e32 v50, v51, v69
	v_add_f32_e32 v51, v54, v55
	v_add_f32_e32 v49, v49, v50
	v_mul_f32_e32 v115, v51, v113
	v_sub_f32_e32 v50, v54, v51
	v_mul_f32_e32 v54, v69, v115
	v_fma_f32 v64, v115, v69, -v54
	v_fmac_f32_e32 v64, v115, v49
	v_add_f32_e32 v114, v55, v50
	v_add_f32_e32 v50, v54, v64
	v_sub_f32_e32 v55, v51, v50
	v_pk_add_f32 v[66:67], v[50:51], v[54:55] neg_lo:[0,1] neg_hi:[0,1]
	v_mov_b32_e32 v65, v50
	v_pk_add_f32 v[50:51], v[66:67], v[64:65] neg_lo:[0,1] neg_hi:[0,1]
	v_cmp_eq_f32_e32 vcc, s38, v53
	v_add_f32_e32 v51, v114, v51
	v_add_f32_e32 v50, v50, v51
	;; [unrolled: 1-line block ×3, first 2 shown]
	v_mul_f32_e32 v114, v113, v51
	v_mul_f32_e32 v54, v69, v114
	v_fma_f32 v64, v114, v69, -v54
	v_fmac_f32_e32 v64, v114, v49
	v_sub_f32_e32 v49, v55, v51
	v_add_f32_e32 v49, v50, v49
	v_add_f32_e32 v50, v54, v64
	v_sub_f32_e32 v55, v51, v50
	v_pk_add_f32 v[66:67], v[50:51], v[54:55] neg_lo:[0,1] neg_hi:[0,1]
	v_mov_b32_e32 v65, v50
	v_pk_add_f32 v[50:51], v[66:67], v[64:65] neg_lo:[0,1] neg_hi:[0,1]
	v_cvt_f32_i32_e32 v54, v68
	v_add_f32_e32 v49, v49, v51
	v_add_f32_e32 v49, v50, v49
	;; [unrolled: 1-line block ×4, first 2 shown]
	v_sub_f32_e32 v51, v50, v115
	v_mul_f32_e32 v49, v113, v49
	v_sub_f32_e32 v51, v114, v51
	v_add_f32_e32 v49, v51, v49
	v_add_f32_e32 v55, v50, v49
	v_mul_f32_e32 v64, v55, v55
	v_mov_b32_e32 v51, 0x3ecc95a3
	v_fmac_f32_e32 v51, 0x3e9b6dac, v64
	v_sub_f32_e32 v50, v55, v50
	v_fmaak_f32 v51, v64, v51, 0x3f2aaada
	v_sub_f32_e32 v49, v49, v50
	v_ldexp_f32 v65, v55, 1
	v_mul_f32_e32 v55, v55, v64
	v_mov_b32_e32 v50, 0x3f317218
	v_pk_mul_f32 v[50:51], v[54:55], v[50:51]
	v_ldexp_f32 v49, v49, 1
	v_fma_f32 v55, v54, s37, -v50
	v_fmamk_f32 v64, v54, 0xb102e308, v55
	v_pk_add_f32 v[54:55], v[50:51], v[64:65]
	v_mov_b32_e32 v66, v50
	v_sub_f32_e32 v65, v55, v65
	v_sub_f32_e32 v65, v51, v65
	v_add_f32_e32 v67, v49, v65
	v_pk_add_f32 v[50:51], v[54:55], v[50:51] neg_lo:[0,1] neg_hi:[0,1]
	v_pk_add_f32 v[68:69], v[54:55], v[66:67]
	v_mov_b32_e32 v65, v54
	v_mov_b32_e32 v51, v69
	v_pk_add_f32 v[114:115], v[64:65], v[50:51] neg_lo:[0,1] neg_hi:[0,1]
	v_pk_add_f32 v[50:51], v[64:65], v[50:51]
	v_mov_b32_e32 v66, v67
	v_mov_b32_e32 v64, v51
	v_pk_add_f32 v[116:117], v[64:65], v[54:55] neg_lo:[0,1] neg_hi:[0,1]
	v_mov_b32_e32 v50, v69
	v_mov_b32_e32 v49, v116
	v_pk_add_f32 v[118:119], v[68:69], v[48:49] neg_lo:[0,1] neg_hi:[0,1]
	v_mov_b32_e32 v68, v55
	v_mov_b32_e32 v69, v116
	v_mov_b32_e32 v115, v51
	v_pk_add_f32 v[50:51], v[50:51], v[68:69] neg_lo:[0,1] neg_hi:[0,1]
	v_mov_b32_e32 v67, v54
	v_pk_add_f32 v[50:51], v[66:67], v[50:51] neg_lo:[0,1] neg_hi:[0,1]
	v_mov_b32_e32 v118, v114
	v_pk_add_f32 v[54:55], v[118:119], v[50:51]
	s_mov_b32 s37, 0x33800000
	v_mov_b32_e32 v66, v55
	v_pk_add_f32 v[66:67], v[54:55], v[66:67]
	v_cmp_lt_f32_e64 s[38:39], |v53|, s37
	v_pk_add_f32 v[64:65], v[64:65], v[66:67]
	v_mov_b32_e32 v51, v66
	v_mov_b32_e32 v55, v64
	v_pk_add_f32 v[68:69], v[54:55], v[114:115] neg_lo:[0,1] neg_hi:[0,1]
	s_or_b64 vcc, vcc, s[38:39]
	v_sub_f32_e32 v49, v54, v68
	v_pk_add_f32 v[50:51], v[50:51], v[68:69] neg_lo:[0,1] neg_hi:[0,1]
	v_sub_f32_e32 v49, v114, v49
	v_add_f32_e32 v49, v50, v49
	v_add_f32_e32 v49, v49, v51
	v_add_f32_e32 v49, v64, v49
	v_cndmask_b32_e32 v49, v49, v53, vcc
	v_add_f32_e32 v132, v48, v49
.LBB161_81:
	s_or_b64 exec, exec, s[34:35]
	v_max_f32_e32 v113, v30, v30
	v_max_f32_e32 v48, v132, v132
	v_min_f32_e32 v49, v48, v113
	v_cmp_u_f32_e32 vcc, v132, v132
	v_max_f32_e32 v48, v48, v113
	v_cmp_u_f32_e64 s[34:35], v30, v30
	v_cndmask_b32_e32 v49, v49, v132, vcc
	v_cndmask_b32_e32 v48, v48, v132, vcc
	v_cndmask_b32_e64 v49, v49, v30, s[34:35]
	v_cndmask_b32_e64 v48, v48, v30, s[34:35]
	v_cmp_neq_f32_e32 vcc, v49, v48
	v_cmp_class_f32_e64 s[36:37], v49, s36
	s_or_b64 vcc, vcc, s[36:37]
	s_and_saveexec_b64 s[36:37], vcc
	s_cbranch_execz .LBB161_83
; %bb.82:
	v_sub_f32_e32 v49, v49, v48
	s_mov_b32 s38, 0x3fb8aa3b
	v_mul_f32_e32 v50, 0x3fb8aa3b, v49
	v_fma_f32 v51, v49, s38, -v50
	v_rndne_f32_e32 v53, v50
	v_fmamk_f32 v51, v49, 0x32a5705f, v51
	v_sub_f32_e32 v50, v50, v53
	v_add_f32_e32 v50, v50, v51
	v_exp_f32_e32 v50, v50
	v_cvt_i32_f32_e32 v51, v53
	s_mov_b32 s38, 0xc2ce8ed0
	v_cmp_ngt_f32_e32 vcc, s38, v49
	s_mov_b32 s38, 0x42b17218
	v_ldexp_f32 v50, v50, v51
	v_cndmask_b32_e32 v50, 0, v50, vcc
	v_mov_b32_e32 v51, 0x7f800000
	v_cmp_nlt_f32_e32 vcc, s38, v49
	s_mov_b32 s38, 0x3f2aaaab
	s_mov_b32 s39, 0x7f800000
	v_cndmask_b32_e32 v53, v51, v50, vcc
	v_add_f32_e32 v49, 1.0, v53
	v_add_f32_e32 v50, -1.0, v49
	v_sub_f32_e32 v51, v50, v49
	v_add_f32_e32 v51, 1.0, v51
	v_sub_f32_e32 v50, v53, v50
	v_add_f32_e32 v54, v50, v51
	v_frexp_mant_f32_e32 v55, v49
	v_cvt_f64_f32_e32 v[50:51], v49
	v_frexp_exp_i32_f64_e32 v50, v[50:51]
	v_cmp_gt_f32_e32 vcc, s38, v55
	s_mov_b32 s38, 0x3f317218
	s_nop 0
	v_subbrev_co_u32_e32 v68, vcc, 0, v50, vcc
	v_sub_u32_e32 v50, 0, v68
	v_ldexp_f32 v49, v49, v50
	v_ldexp_f32 v50, v54, v50
	v_add_f32_e32 v54, -1.0, v49
	v_add_f32_e32 v51, 1.0, v54
	v_sub_f32_e32 v51, v49, v51
	v_add_f32_e32 v55, v50, v51
	v_add_f32_e32 v51, 1.0, v49
	v_add_f32_e32 v64, -1.0, v51
	v_sub_f32_e32 v49, v49, v64
	v_add_f32_e32 v49, v50, v49
	v_add_f32_e32 v69, v51, v49
	v_rcp_f32_e32 v114, v69
	v_sub_f32_e32 v50, v51, v69
	v_add_f32_e32 v51, v54, v55
	v_add_f32_e32 v49, v49, v50
	v_mul_f32_e32 v116, v51, v114
	v_sub_f32_e32 v50, v54, v51
	v_mul_f32_e32 v54, v69, v116
	v_fma_f32 v64, v116, v69, -v54
	v_fmac_f32_e32 v64, v116, v49
	v_add_f32_e32 v115, v55, v50
	v_add_f32_e32 v50, v54, v64
	v_sub_f32_e32 v55, v51, v50
	v_pk_add_f32 v[66:67], v[50:51], v[54:55] neg_lo:[0,1] neg_hi:[0,1]
	v_mov_b32_e32 v65, v50
	v_pk_add_f32 v[50:51], v[66:67], v[64:65] neg_lo:[0,1] neg_hi:[0,1]
	v_cmp_eq_f32_e32 vcc, s39, v53
	v_add_f32_e32 v51, v115, v51
	v_add_f32_e32 v50, v50, v51
	;; [unrolled: 1-line block ×3, first 2 shown]
	v_mul_f32_e32 v115, v114, v51
	v_mul_f32_e32 v54, v69, v115
	v_fma_f32 v64, v115, v69, -v54
	v_fmac_f32_e32 v64, v115, v49
	v_sub_f32_e32 v49, v55, v51
	v_add_f32_e32 v49, v50, v49
	v_add_f32_e32 v50, v54, v64
	v_sub_f32_e32 v55, v51, v50
	v_pk_add_f32 v[66:67], v[50:51], v[54:55] neg_lo:[0,1] neg_hi:[0,1]
	v_mov_b32_e32 v65, v50
	v_pk_add_f32 v[50:51], v[66:67], v[64:65] neg_lo:[0,1] neg_hi:[0,1]
	v_cvt_f32_i32_e32 v54, v68
	v_add_f32_e32 v49, v49, v51
	v_add_f32_e32 v49, v50, v49
	;; [unrolled: 1-line block ×4, first 2 shown]
	v_sub_f32_e32 v51, v50, v116
	v_mul_f32_e32 v49, v114, v49
	v_sub_f32_e32 v51, v115, v51
	v_add_f32_e32 v49, v51, v49
	v_add_f32_e32 v55, v50, v49
	v_mul_f32_e32 v64, v55, v55
	v_mov_b32_e32 v51, 0x3ecc95a3
	v_fmac_f32_e32 v51, 0x3e9b6dac, v64
	v_sub_f32_e32 v50, v55, v50
	v_fmaak_f32 v51, v64, v51, 0x3f2aaada
	v_sub_f32_e32 v49, v49, v50
	v_ldexp_f32 v65, v55, 1
	v_mul_f32_e32 v55, v55, v64
	v_mov_b32_e32 v50, 0x3f317218
	v_pk_mul_f32 v[50:51], v[54:55], v[50:51]
	v_ldexp_f32 v49, v49, 1
	v_fma_f32 v55, v54, s38, -v50
	v_fmamk_f32 v64, v54, 0xb102e308, v55
	v_pk_add_f32 v[54:55], v[50:51], v[64:65]
	v_mov_b32_e32 v66, v50
	v_sub_f32_e32 v65, v55, v65
	v_sub_f32_e32 v65, v51, v65
	v_add_f32_e32 v67, v49, v65
	v_pk_add_f32 v[50:51], v[54:55], v[50:51] neg_lo:[0,1] neg_hi:[0,1]
	v_pk_add_f32 v[68:69], v[54:55], v[66:67]
	v_mov_b32_e32 v65, v54
	v_mov_b32_e32 v51, v69
	v_pk_add_f32 v[114:115], v[64:65], v[50:51] neg_lo:[0,1] neg_hi:[0,1]
	v_pk_add_f32 v[50:51], v[64:65], v[50:51]
	v_mov_b32_e32 v66, v67
	v_mov_b32_e32 v64, v51
	v_pk_add_f32 v[116:117], v[64:65], v[54:55] neg_lo:[0,1] neg_hi:[0,1]
	v_mov_b32_e32 v50, v69
	v_mov_b32_e32 v49, v116
	v_pk_add_f32 v[118:119], v[68:69], v[48:49] neg_lo:[0,1] neg_hi:[0,1]
	v_mov_b32_e32 v68, v55
	v_mov_b32_e32 v69, v116
	;; [unrolled: 1-line block ×3, first 2 shown]
	v_pk_add_f32 v[50:51], v[50:51], v[68:69] neg_lo:[0,1] neg_hi:[0,1]
	v_mov_b32_e32 v67, v54
	v_pk_add_f32 v[50:51], v[66:67], v[50:51] neg_lo:[0,1] neg_hi:[0,1]
	v_mov_b32_e32 v118, v114
	v_pk_add_f32 v[54:55], v[118:119], v[50:51]
	s_mov_b32 s38, 0x33800000
	v_mov_b32_e32 v66, v55
	v_pk_add_f32 v[66:67], v[54:55], v[66:67]
	v_cmp_lt_f32_e64 s[38:39], |v53|, s38
	v_pk_add_f32 v[64:65], v[64:65], v[66:67]
	v_mov_b32_e32 v51, v66
	v_mov_b32_e32 v55, v64
	v_pk_add_f32 v[68:69], v[54:55], v[114:115] neg_lo:[0,1] neg_hi:[0,1]
	s_or_b64 vcc, vcc, s[38:39]
	v_sub_f32_e32 v49, v54, v68
	v_pk_add_f32 v[50:51], v[50:51], v[68:69] neg_lo:[0,1] neg_hi:[0,1]
	v_sub_f32_e32 v49, v114, v49
	v_add_f32_e32 v49, v50, v49
	v_add_f32_e32 v49, v49, v51
	;; [unrolled: 1-line block ×3, first 2 shown]
	v_cndmask_b32_e32 v49, v49, v53, vcc
	v_add_f32_e32 v132, v48, v49
.LBB161_83:
	s_or_b64 exec, exec, s[36:37]
	v_max_f32_e32 v114, v31, v31
	v_max_f32_e32 v48, v132, v132
	v_min_f32_e32 v49, v48, v114
	v_cmp_u_f32_e32 vcc, v132, v132
	v_max_f32_e32 v48, v48, v114
	v_cmp_u_f32_e64 s[36:37], v31, v31
	v_cndmask_b32_e32 v49, v49, v132, vcc
	v_cndmask_b32_e32 v48, v48, v132, vcc
	v_cndmask_b32_e64 v49, v49, v31, s[36:37]
	v_cndmask_b32_e64 v48, v48, v31, s[36:37]
	s_movk_i32 s40, 0x1f8
	v_cmp_neq_f32_e32 vcc, v49, v48
	v_cmp_class_f32_e64 s[38:39], v49, s40
	s_or_b64 vcc, vcc, s[38:39]
	s_and_saveexec_b64 s[38:39], vcc
	s_cbranch_execz .LBB161_85
; %bb.84:
	v_sub_f32_e32 v49, v49, v48
	s_mov_b32 s41, 0x3fb8aa3b
	v_mul_f32_e32 v50, 0x3fb8aa3b, v49
	v_fma_f32 v51, v49, s41, -v50
	v_rndne_f32_e32 v53, v50
	v_fmamk_f32 v51, v49, 0x32a5705f, v51
	v_sub_f32_e32 v50, v50, v53
	v_add_f32_e32 v50, v50, v51
	v_exp_f32_e32 v50, v50
	v_cvt_i32_f32_e32 v51, v53
	s_mov_b32 s41, 0xc2ce8ed0
	v_cmp_ngt_f32_e32 vcc, s41, v49
	s_mov_b32 s41, 0x42b17218
	v_ldexp_f32 v50, v50, v51
	v_cndmask_b32_e32 v50, 0, v50, vcc
	v_mov_b32_e32 v51, 0x7f800000
	v_cmp_nlt_f32_e32 vcc, s41, v49
	s_mov_b32 s41, 0x3f2aaaab
	s_mov_b32 s42, 0x7f800000
	v_cndmask_b32_e32 v53, v51, v50, vcc
	v_add_f32_e32 v49, 1.0, v53
	v_add_f32_e32 v50, -1.0, v49
	v_sub_f32_e32 v51, v50, v49
	v_add_f32_e32 v51, 1.0, v51
	v_sub_f32_e32 v50, v53, v50
	v_add_f32_e32 v54, v50, v51
	v_frexp_mant_f32_e32 v55, v49
	v_cvt_f64_f32_e32 v[50:51], v49
	v_frexp_exp_i32_f64_e32 v50, v[50:51]
	v_cmp_gt_f32_e32 vcc, s41, v55
	s_mov_b32 s41, 0x3f317218
	s_nop 0
	v_subbrev_co_u32_e32 v68, vcc, 0, v50, vcc
	v_sub_u32_e32 v50, 0, v68
	v_ldexp_f32 v49, v49, v50
	v_ldexp_f32 v50, v54, v50
	v_add_f32_e32 v54, -1.0, v49
	v_add_f32_e32 v51, 1.0, v54
	v_sub_f32_e32 v51, v49, v51
	v_add_f32_e32 v55, v50, v51
	v_add_f32_e32 v51, 1.0, v49
	v_add_f32_e32 v64, -1.0, v51
	v_sub_f32_e32 v49, v49, v64
	v_add_f32_e32 v49, v50, v49
	v_add_f32_e32 v69, v51, v49
	v_rcp_f32_e32 v115, v69
	v_sub_f32_e32 v50, v51, v69
	v_add_f32_e32 v51, v54, v55
	v_add_f32_e32 v49, v49, v50
	v_mul_f32_e32 v117, v51, v115
	v_sub_f32_e32 v50, v54, v51
	v_mul_f32_e32 v54, v69, v117
	v_fma_f32 v64, v117, v69, -v54
	v_fmac_f32_e32 v64, v117, v49
	v_add_f32_e32 v116, v55, v50
	v_add_f32_e32 v50, v54, v64
	v_sub_f32_e32 v55, v51, v50
	v_pk_add_f32 v[66:67], v[50:51], v[54:55] neg_lo:[0,1] neg_hi:[0,1]
	v_mov_b32_e32 v65, v50
	v_pk_add_f32 v[50:51], v[66:67], v[64:65] neg_lo:[0,1] neg_hi:[0,1]
	v_cmp_eq_f32_e32 vcc, s42, v53
	v_add_f32_e32 v51, v116, v51
	v_add_f32_e32 v50, v50, v51
	;; [unrolled: 1-line block ×3, first 2 shown]
	v_mul_f32_e32 v116, v115, v51
	v_mul_f32_e32 v54, v69, v116
	v_fma_f32 v64, v116, v69, -v54
	v_fmac_f32_e32 v64, v116, v49
	v_sub_f32_e32 v49, v55, v51
	v_add_f32_e32 v49, v50, v49
	v_add_f32_e32 v50, v54, v64
	v_sub_f32_e32 v55, v51, v50
	v_pk_add_f32 v[66:67], v[50:51], v[54:55] neg_lo:[0,1] neg_hi:[0,1]
	v_mov_b32_e32 v65, v50
	v_pk_add_f32 v[50:51], v[66:67], v[64:65] neg_lo:[0,1] neg_hi:[0,1]
	v_cvt_f32_i32_e32 v54, v68
	v_add_f32_e32 v49, v49, v51
	v_add_f32_e32 v49, v50, v49
	;; [unrolled: 1-line block ×4, first 2 shown]
	v_sub_f32_e32 v51, v50, v117
	v_mul_f32_e32 v49, v115, v49
	v_sub_f32_e32 v51, v116, v51
	v_add_f32_e32 v49, v51, v49
	v_add_f32_e32 v55, v50, v49
	v_mul_f32_e32 v64, v55, v55
	v_mov_b32_e32 v51, 0x3ecc95a3
	v_fmac_f32_e32 v51, 0x3e9b6dac, v64
	v_sub_f32_e32 v50, v55, v50
	v_fmaak_f32 v51, v64, v51, 0x3f2aaada
	v_sub_f32_e32 v49, v49, v50
	v_ldexp_f32 v65, v55, 1
	v_mul_f32_e32 v55, v55, v64
	v_mov_b32_e32 v50, 0x3f317218
	v_pk_mul_f32 v[50:51], v[54:55], v[50:51]
	v_ldexp_f32 v49, v49, 1
	v_fma_f32 v55, v54, s41, -v50
	v_fmamk_f32 v64, v54, 0xb102e308, v55
	v_pk_add_f32 v[54:55], v[50:51], v[64:65]
	v_mov_b32_e32 v66, v50
	v_sub_f32_e32 v65, v55, v65
	v_sub_f32_e32 v65, v51, v65
	v_add_f32_e32 v67, v49, v65
	v_pk_add_f32 v[50:51], v[54:55], v[50:51] neg_lo:[0,1] neg_hi:[0,1]
	v_pk_add_f32 v[68:69], v[54:55], v[66:67]
	v_mov_b32_e32 v65, v54
	v_mov_b32_e32 v51, v69
	v_pk_add_f32 v[116:117], v[64:65], v[50:51] neg_lo:[0,1] neg_hi:[0,1]
	v_pk_add_f32 v[50:51], v[64:65], v[50:51]
	v_mov_b32_e32 v66, v67
	v_mov_b32_e32 v64, v51
	v_pk_add_f32 v[118:119], v[64:65], v[54:55] neg_lo:[0,1] neg_hi:[0,1]
	v_mov_b32_e32 v50, v69
	v_mov_b32_e32 v49, v118
	v_pk_add_f32 v[128:129], v[68:69], v[48:49] neg_lo:[0,1] neg_hi:[0,1]
	v_mov_b32_e32 v68, v55
	v_mov_b32_e32 v69, v118
	;; [unrolled: 1-line block ×3, first 2 shown]
	v_pk_add_f32 v[50:51], v[50:51], v[68:69] neg_lo:[0,1] neg_hi:[0,1]
	v_mov_b32_e32 v67, v54
	v_pk_add_f32 v[50:51], v[66:67], v[50:51] neg_lo:[0,1] neg_hi:[0,1]
	v_mov_b32_e32 v128, v116
	v_pk_add_f32 v[54:55], v[128:129], v[50:51]
	s_mov_b32 s41, 0x33800000
	v_mov_b32_e32 v66, v55
	v_pk_add_f32 v[66:67], v[54:55], v[66:67]
	v_cmp_lt_f32_e64 s[42:43], |v53|, s41
	v_pk_add_f32 v[64:65], v[64:65], v[66:67]
	v_mov_b32_e32 v51, v66
	v_mov_b32_e32 v55, v64
	v_pk_add_f32 v[68:69], v[54:55], v[116:117] neg_lo:[0,1] neg_hi:[0,1]
	s_or_b64 vcc, vcc, s[42:43]
	v_sub_f32_e32 v49, v54, v68
	v_pk_add_f32 v[50:51], v[50:51], v[68:69] neg_lo:[0,1] neg_hi:[0,1]
	v_sub_f32_e32 v49, v116, v49
	v_add_f32_e32 v49, v50, v49
	v_add_f32_e32 v49, v49, v51
	;; [unrolled: 1-line block ×3, first 2 shown]
	v_cndmask_b32_e32 v49, v49, v53, vcc
	v_add_f32_e32 v132, v48, v49
.LBB161_85:
	s_or_b64 exec, exec, s[38:39]
	v_max_f32_e32 v115, v24, v24
	v_max_f32_e32 v48, v132, v132
	v_min_f32_e32 v49, v48, v115
	v_cmp_u_f32_e32 vcc, v132, v132
	v_max_f32_e32 v48, v48, v115
	v_cmp_u_f32_e64 s[38:39], v24, v24
	v_cndmask_b32_e32 v49, v49, v132, vcc
	v_cndmask_b32_e32 v48, v48, v132, vcc
	v_cndmask_b32_e64 v49, v49, v24, s[38:39]
	v_cndmask_b32_e64 v48, v48, v24, s[38:39]
	v_cmp_neq_f32_e32 vcc, v49, v48
	v_cmp_class_f32_e64 s[40:41], v49, s40
	s_or_b64 vcc, vcc, s[40:41]
	s_and_saveexec_b64 s[40:41], vcc
	s_cbranch_execz .LBB161_87
; %bb.86:
	v_sub_f32_e32 v49, v49, v48
	s_mov_b32 s42, 0x3fb8aa3b
	v_mul_f32_e32 v50, 0x3fb8aa3b, v49
	v_fma_f32 v51, v49, s42, -v50
	v_rndne_f32_e32 v53, v50
	v_fmamk_f32 v51, v49, 0x32a5705f, v51
	v_sub_f32_e32 v50, v50, v53
	v_add_f32_e32 v50, v50, v51
	v_exp_f32_e32 v50, v50
	v_cvt_i32_f32_e32 v51, v53
	s_mov_b32 s42, 0xc2ce8ed0
	v_cmp_ngt_f32_e32 vcc, s42, v49
	s_mov_b32 s42, 0x42b17218
	v_ldexp_f32 v50, v50, v51
	v_cndmask_b32_e32 v50, 0, v50, vcc
	v_mov_b32_e32 v51, 0x7f800000
	v_cmp_nlt_f32_e32 vcc, s42, v49
	s_mov_b32 s42, 0x3f2aaaab
	s_mov_b32 s43, 0x7f800000
	v_cndmask_b32_e32 v53, v51, v50, vcc
	v_add_f32_e32 v49, 1.0, v53
	v_add_f32_e32 v50, -1.0, v49
	v_sub_f32_e32 v51, v50, v49
	v_add_f32_e32 v51, 1.0, v51
	v_sub_f32_e32 v50, v53, v50
	v_add_f32_e32 v54, v50, v51
	v_frexp_mant_f32_e32 v55, v49
	v_cvt_f64_f32_e32 v[50:51], v49
	v_frexp_exp_i32_f64_e32 v50, v[50:51]
	v_cmp_gt_f32_e32 vcc, s42, v55
	s_mov_b32 s42, 0x3f317218
	s_nop 0
	v_subbrev_co_u32_e32 v68, vcc, 0, v50, vcc
	v_sub_u32_e32 v50, 0, v68
	v_ldexp_f32 v49, v49, v50
	v_ldexp_f32 v50, v54, v50
	v_add_f32_e32 v54, -1.0, v49
	v_add_f32_e32 v51, 1.0, v54
	v_sub_f32_e32 v51, v49, v51
	v_add_f32_e32 v55, v50, v51
	v_add_f32_e32 v51, 1.0, v49
	v_add_f32_e32 v64, -1.0, v51
	v_sub_f32_e32 v49, v49, v64
	v_add_f32_e32 v49, v50, v49
	v_add_f32_e32 v69, v51, v49
	v_rcp_f32_e32 v116, v69
	v_sub_f32_e32 v50, v51, v69
	v_add_f32_e32 v51, v54, v55
	v_add_f32_e32 v49, v49, v50
	v_mul_f32_e32 v118, v51, v116
	v_sub_f32_e32 v50, v54, v51
	v_mul_f32_e32 v54, v69, v118
	v_fma_f32 v64, v118, v69, -v54
	v_fmac_f32_e32 v64, v118, v49
	v_add_f32_e32 v117, v55, v50
	v_add_f32_e32 v50, v54, v64
	v_sub_f32_e32 v55, v51, v50
	v_pk_add_f32 v[66:67], v[50:51], v[54:55] neg_lo:[0,1] neg_hi:[0,1]
	v_mov_b32_e32 v65, v50
	v_pk_add_f32 v[50:51], v[66:67], v[64:65] neg_lo:[0,1] neg_hi:[0,1]
	v_cmp_eq_f32_e32 vcc, s43, v53
	v_add_f32_e32 v51, v117, v51
	v_add_f32_e32 v50, v50, v51
	;; [unrolled: 1-line block ×3, first 2 shown]
	v_mul_f32_e32 v117, v116, v51
	v_mul_f32_e32 v54, v69, v117
	v_fma_f32 v64, v117, v69, -v54
	v_fmac_f32_e32 v64, v117, v49
	v_sub_f32_e32 v49, v55, v51
	v_add_f32_e32 v49, v50, v49
	v_add_f32_e32 v50, v54, v64
	v_sub_f32_e32 v55, v51, v50
	v_pk_add_f32 v[66:67], v[50:51], v[54:55] neg_lo:[0,1] neg_hi:[0,1]
	v_mov_b32_e32 v65, v50
	v_pk_add_f32 v[50:51], v[66:67], v[64:65] neg_lo:[0,1] neg_hi:[0,1]
	v_cvt_f32_i32_e32 v54, v68
	v_add_f32_e32 v49, v49, v51
	v_add_f32_e32 v49, v50, v49
	v_add_f32_e32 v50, v118, v117
	v_add_f32_e32 v49, v55, v49
	v_sub_f32_e32 v51, v50, v118
	v_mul_f32_e32 v49, v116, v49
	v_sub_f32_e32 v51, v117, v51
	v_add_f32_e32 v49, v51, v49
	v_add_f32_e32 v55, v50, v49
	v_mul_f32_e32 v64, v55, v55
	v_mov_b32_e32 v51, 0x3ecc95a3
	v_fmac_f32_e32 v51, 0x3e9b6dac, v64
	v_sub_f32_e32 v50, v55, v50
	v_fmaak_f32 v51, v64, v51, 0x3f2aaada
	v_sub_f32_e32 v49, v49, v50
	v_ldexp_f32 v65, v55, 1
	v_mul_f32_e32 v55, v55, v64
	v_mov_b32_e32 v50, 0x3f317218
	v_pk_mul_f32 v[50:51], v[54:55], v[50:51]
	v_ldexp_f32 v49, v49, 1
	v_fma_f32 v55, v54, s42, -v50
	v_fmamk_f32 v64, v54, 0xb102e308, v55
	v_pk_add_f32 v[54:55], v[50:51], v[64:65]
	v_mov_b32_e32 v66, v50
	v_sub_f32_e32 v65, v55, v65
	v_sub_f32_e32 v65, v51, v65
	v_add_f32_e32 v67, v49, v65
	v_pk_add_f32 v[50:51], v[54:55], v[50:51] neg_lo:[0,1] neg_hi:[0,1]
	v_pk_add_f32 v[68:69], v[54:55], v[66:67]
	v_mov_b32_e32 v65, v54
	v_mov_b32_e32 v51, v69
	v_pk_add_f32 v[116:117], v[64:65], v[50:51] neg_lo:[0,1] neg_hi:[0,1]
	v_pk_add_f32 v[50:51], v[64:65], v[50:51]
	v_mov_b32_e32 v66, v67
	v_mov_b32_e32 v64, v51
	v_pk_add_f32 v[118:119], v[64:65], v[54:55] neg_lo:[0,1] neg_hi:[0,1]
	v_mov_b32_e32 v50, v69
	v_mov_b32_e32 v49, v118
	v_pk_add_f32 v[128:129], v[68:69], v[48:49] neg_lo:[0,1] neg_hi:[0,1]
	v_mov_b32_e32 v68, v55
	v_mov_b32_e32 v69, v118
	;; [unrolled: 1-line block ×3, first 2 shown]
	v_pk_add_f32 v[50:51], v[50:51], v[68:69] neg_lo:[0,1] neg_hi:[0,1]
	v_mov_b32_e32 v67, v54
	v_pk_add_f32 v[50:51], v[66:67], v[50:51] neg_lo:[0,1] neg_hi:[0,1]
	v_mov_b32_e32 v128, v116
	v_pk_add_f32 v[54:55], v[128:129], v[50:51]
	s_mov_b32 s42, 0x33800000
	v_mov_b32_e32 v66, v55
	v_pk_add_f32 v[66:67], v[54:55], v[66:67]
	v_cmp_lt_f32_e64 s[42:43], |v53|, s42
	v_pk_add_f32 v[64:65], v[64:65], v[66:67]
	v_mov_b32_e32 v51, v66
	v_mov_b32_e32 v55, v64
	v_pk_add_f32 v[68:69], v[54:55], v[116:117] neg_lo:[0,1] neg_hi:[0,1]
	s_or_b64 vcc, vcc, s[42:43]
	v_sub_f32_e32 v49, v54, v68
	v_pk_add_f32 v[50:51], v[50:51], v[68:69] neg_lo:[0,1] neg_hi:[0,1]
	v_sub_f32_e32 v49, v116, v49
	v_add_f32_e32 v49, v50, v49
	v_add_f32_e32 v49, v49, v51
	;; [unrolled: 1-line block ×3, first 2 shown]
	v_cndmask_b32_e32 v49, v49, v53, vcc
	v_add_f32_e32 v132, v48, v49
.LBB161_87:
	s_or_b64 exec, exec, s[40:41]
	v_max_f32_e32 v116, v25, v25
	v_max_f32_e32 v48, v132, v132
	v_min_f32_e32 v49, v48, v116
	v_cmp_u_f32_e32 vcc, v132, v132
	v_max_f32_e32 v48, v48, v116
	v_cmp_u_f32_e64 s[40:41], v25, v25
	v_cndmask_b32_e32 v49, v49, v132, vcc
	v_cndmask_b32_e32 v48, v48, v132, vcc
	v_cndmask_b32_e64 v49, v49, v25, s[40:41]
	v_cndmask_b32_e64 v48, v48, v25, s[40:41]
	s_movk_i32 s44, 0x1f8
	v_cmp_neq_f32_e32 vcc, v49, v48
	v_cmp_class_f32_e64 s[42:43], v49, s44
	s_or_b64 vcc, vcc, s[42:43]
	s_and_saveexec_b64 s[42:43], vcc
	s_cbranch_execz .LBB161_89
; %bb.88:
	v_sub_f32_e32 v49, v49, v48
	s_mov_b32 s45, 0x3fb8aa3b
	v_mul_f32_e32 v50, 0x3fb8aa3b, v49
	v_fma_f32 v51, v49, s45, -v50
	v_rndne_f32_e32 v53, v50
	v_fmamk_f32 v51, v49, 0x32a5705f, v51
	v_sub_f32_e32 v50, v50, v53
	v_add_f32_e32 v50, v50, v51
	v_exp_f32_e32 v50, v50
	v_cvt_i32_f32_e32 v51, v53
	s_mov_b32 s45, 0xc2ce8ed0
	v_cmp_ngt_f32_e32 vcc, s45, v49
	s_mov_b32 s45, 0x42b17218
	v_ldexp_f32 v50, v50, v51
	v_cndmask_b32_e32 v50, 0, v50, vcc
	v_mov_b32_e32 v51, 0x7f800000
	v_cmp_nlt_f32_e32 vcc, s45, v49
	s_mov_b32 s45, 0x3f2aaaab
	s_mov_b32 s46, 0x7f800000
	v_cndmask_b32_e32 v53, v51, v50, vcc
	v_add_f32_e32 v49, 1.0, v53
	v_add_f32_e32 v50, -1.0, v49
	v_sub_f32_e32 v51, v50, v49
	v_add_f32_e32 v51, 1.0, v51
	v_sub_f32_e32 v50, v53, v50
	v_add_f32_e32 v54, v50, v51
	v_frexp_mant_f32_e32 v55, v49
	v_cvt_f64_f32_e32 v[50:51], v49
	v_frexp_exp_i32_f64_e32 v50, v[50:51]
	v_cmp_gt_f32_e32 vcc, s45, v55
	s_mov_b32 s45, 0x3f317218
	s_nop 0
	v_subbrev_co_u32_e32 v68, vcc, 0, v50, vcc
	v_sub_u32_e32 v50, 0, v68
	v_ldexp_f32 v49, v49, v50
	v_ldexp_f32 v50, v54, v50
	v_add_f32_e32 v54, -1.0, v49
	v_add_f32_e32 v51, 1.0, v54
	v_sub_f32_e32 v51, v49, v51
	v_add_f32_e32 v55, v50, v51
	v_add_f32_e32 v51, 1.0, v49
	v_add_f32_e32 v64, -1.0, v51
	v_sub_f32_e32 v49, v49, v64
	v_add_f32_e32 v49, v50, v49
	v_add_f32_e32 v69, v51, v49
	v_rcp_f32_e32 v117, v69
	v_sub_f32_e32 v50, v51, v69
	v_add_f32_e32 v51, v54, v55
	v_add_f32_e32 v49, v49, v50
	v_mul_f32_e32 v119, v51, v117
	v_sub_f32_e32 v50, v54, v51
	v_mul_f32_e32 v54, v69, v119
	v_fma_f32 v64, v119, v69, -v54
	v_fmac_f32_e32 v64, v119, v49
	v_add_f32_e32 v118, v55, v50
	v_add_f32_e32 v50, v54, v64
	v_sub_f32_e32 v55, v51, v50
	v_pk_add_f32 v[66:67], v[50:51], v[54:55] neg_lo:[0,1] neg_hi:[0,1]
	v_mov_b32_e32 v65, v50
	v_pk_add_f32 v[50:51], v[66:67], v[64:65] neg_lo:[0,1] neg_hi:[0,1]
	v_cmp_eq_f32_e32 vcc, s46, v53
	v_add_f32_e32 v51, v118, v51
	v_add_f32_e32 v50, v50, v51
	;; [unrolled: 1-line block ×3, first 2 shown]
	v_mul_f32_e32 v118, v117, v51
	v_mul_f32_e32 v54, v69, v118
	v_fma_f32 v64, v118, v69, -v54
	v_fmac_f32_e32 v64, v118, v49
	v_sub_f32_e32 v49, v55, v51
	v_add_f32_e32 v49, v50, v49
	v_add_f32_e32 v50, v54, v64
	v_sub_f32_e32 v55, v51, v50
	v_pk_add_f32 v[66:67], v[50:51], v[54:55] neg_lo:[0,1] neg_hi:[0,1]
	v_mov_b32_e32 v65, v50
	v_pk_add_f32 v[50:51], v[66:67], v[64:65] neg_lo:[0,1] neg_hi:[0,1]
	v_cvt_f32_i32_e32 v54, v68
	v_add_f32_e32 v49, v49, v51
	v_add_f32_e32 v49, v50, v49
	;; [unrolled: 1-line block ×4, first 2 shown]
	v_sub_f32_e32 v51, v50, v119
	v_mul_f32_e32 v49, v117, v49
	v_sub_f32_e32 v51, v118, v51
	v_add_f32_e32 v49, v51, v49
	v_add_f32_e32 v55, v50, v49
	v_mul_f32_e32 v64, v55, v55
	v_mov_b32_e32 v51, 0x3ecc95a3
	v_fmac_f32_e32 v51, 0x3e9b6dac, v64
	v_sub_f32_e32 v50, v55, v50
	v_fmaak_f32 v51, v64, v51, 0x3f2aaada
	v_sub_f32_e32 v49, v49, v50
	v_ldexp_f32 v65, v55, 1
	v_mul_f32_e32 v55, v55, v64
	v_mov_b32_e32 v50, 0x3f317218
	v_pk_mul_f32 v[50:51], v[54:55], v[50:51]
	v_ldexp_f32 v49, v49, 1
	v_fma_f32 v55, v54, s45, -v50
	v_fmamk_f32 v64, v54, 0xb102e308, v55
	v_pk_add_f32 v[54:55], v[50:51], v[64:65]
	v_mov_b32_e32 v66, v50
	v_sub_f32_e32 v65, v55, v65
	v_sub_f32_e32 v65, v51, v65
	v_add_f32_e32 v67, v49, v65
	v_pk_add_f32 v[50:51], v[54:55], v[50:51] neg_lo:[0,1] neg_hi:[0,1]
	v_pk_add_f32 v[68:69], v[54:55], v[66:67]
	v_mov_b32_e32 v65, v54
	v_mov_b32_e32 v51, v69
	v_pk_add_f32 v[118:119], v[64:65], v[50:51] neg_lo:[0,1] neg_hi:[0,1]
	v_pk_add_f32 v[50:51], v[64:65], v[50:51]
	v_mov_b32_e32 v66, v67
	v_mov_b32_e32 v64, v51
	v_pk_add_f32 v[128:129], v[64:65], v[54:55] neg_lo:[0,1] neg_hi:[0,1]
	v_mov_b32_e32 v50, v69
	v_mov_b32_e32 v49, v128
	v_pk_add_f32 v[132:133], v[68:69], v[48:49] neg_lo:[0,1] neg_hi:[0,1]
	v_mov_b32_e32 v68, v55
	v_mov_b32_e32 v69, v128
	;; [unrolled: 1-line block ×3, first 2 shown]
	v_pk_add_f32 v[50:51], v[50:51], v[68:69] neg_lo:[0,1] neg_hi:[0,1]
	v_mov_b32_e32 v67, v54
	v_pk_add_f32 v[50:51], v[66:67], v[50:51] neg_lo:[0,1] neg_hi:[0,1]
	v_mov_b32_e32 v132, v118
	v_pk_add_f32 v[54:55], v[132:133], v[50:51]
	s_mov_b32 s45, 0x33800000
	v_mov_b32_e32 v66, v55
	v_pk_add_f32 v[66:67], v[54:55], v[66:67]
	v_cmp_lt_f32_e64 s[46:47], |v53|, s45
	v_pk_add_f32 v[64:65], v[64:65], v[66:67]
	v_mov_b32_e32 v51, v66
	v_mov_b32_e32 v55, v64
	v_pk_add_f32 v[68:69], v[54:55], v[118:119] neg_lo:[0,1] neg_hi:[0,1]
	s_or_b64 vcc, vcc, s[46:47]
	v_sub_f32_e32 v49, v54, v68
	v_pk_add_f32 v[50:51], v[50:51], v[68:69] neg_lo:[0,1] neg_hi:[0,1]
	v_sub_f32_e32 v49, v118, v49
	v_add_f32_e32 v49, v50, v49
	v_add_f32_e32 v49, v49, v51
	;; [unrolled: 1-line block ×3, first 2 shown]
	v_cndmask_b32_e32 v49, v49, v53, vcc
	v_add_f32_e32 v132, v48, v49
.LBB161_89:
	s_or_b64 exec, exec, s[42:43]
	v_max_f32_e32 v117, v26, v26
	v_max_f32_e32 v48, v132, v132
	v_min_f32_e32 v49, v48, v117
	v_cmp_u_f32_e32 vcc, v132, v132
	v_max_f32_e32 v48, v48, v117
	v_cmp_u_f32_e64 s[42:43], v26, v26
	v_cndmask_b32_e32 v49, v49, v132, vcc
	v_cndmask_b32_e32 v48, v48, v132, vcc
	v_cndmask_b32_e64 v49, v49, v26, s[42:43]
	v_cndmask_b32_e64 v48, v48, v26, s[42:43]
	v_cmp_neq_f32_e32 vcc, v49, v48
	v_cmp_class_f32_e64 s[44:45], v49, s44
	s_or_b64 vcc, vcc, s[44:45]
	s_and_saveexec_b64 s[44:45], vcc
	s_cbranch_execz .LBB161_91
; %bb.90:
	v_sub_f32_e32 v49, v49, v48
	s_mov_b32 s46, 0x3fb8aa3b
	v_mul_f32_e32 v50, 0x3fb8aa3b, v49
	v_fma_f32 v51, v49, s46, -v50
	v_rndne_f32_e32 v53, v50
	v_fmamk_f32 v51, v49, 0x32a5705f, v51
	v_sub_f32_e32 v50, v50, v53
	v_add_f32_e32 v50, v50, v51
	v_exp_f32_e32 v50, v50
	v_cvt_i32_f32_e32 v51, v53
	s_mov_b32 s46, 0xc2ce8ed0
	v_cmp_ngt_f32_e32 vcc, s46, v49
	s_mov_b32 s46, 0x42b17218
	v_ldexp_f32 v50, v50, v51
	v_cndmask_b32_e32 v50, 0, v50, vcc
	v_mov_b32_e32 v51, 0x7f800000
	v_cmp_nlt_f32_e32 vcc, s46, v49
	s_mov_b32 s46, 0x3f2aaaab
	s_mov_b32 s47, 0x7f800000
	v_cndmask_b32_e32 v53, v51, v50, vcc
	v_add_f32_e32 v49, 1.0, v53
	v_add_f32_e32 v50, -1.0, v49
	v_sub_f32_e32 v51, v50, v49
	v_add_f32_e32 v51, 1.0, v51
	v_sub_f32_e32 v50, v53, v50
	v_add_f32_e32 v54, v50, v51
	v_frexp_mant_f32_e32 v55, v49
	v_cvt_f64_f32_e32 v[50:51], v49
	v_frexp_exp_i32_f64_e32 v50, v[50:51]
	v_cmp_gt_f32_e32 vcc, s46, v55
	s_mov_b32 s46, 0x3f317218
	s_nop 0
	v_subbrev_co_u32_e32 v68, vcc, 0, v50, vcc
	v_sub_u32_e32 v50, 0, v68
	v_ldexp_f32 v49, v49, v50
	v_ldexp_f32 v50, v54, v50
	v_add_f32_e32 v54, -1.0, v49
	v_add_f32_e32 v51, 1.0, v54
	v_sub_f32_e32 v51, v49, v51
	v_add_f32_e32 v55, v50, v51
	v_add_f32_e32 v51, 1.0, v49
	v_add_f32_e32 v64, -1.0, v51
	v_sub_f32_e32 v49, v49, v64
	v_add_f32_e32 v49, v50, v49
	v_add_f32_e32 v69, v51, v49
	v_rcp_f32_e32 v118, v69
	v_sub_f32_e32 v50, v51, v69
	v_add_f32_e32 v51, v54, v55
	v_add_f32_e32 v49, v49, v50
	v_mul_f32_e32 v128, v51, v118
	v_sub_f32_e32 v50, v54, v51
	v_mul_f32_e32 v54, v69, v128
	v_fma_f32 v64, v128, v69, -v54
	v_fmac_f32_e32 v64, v128, v49
	v_add_f32_e32 v119, v55, v50
	v_add_f32_e32 v50, v54, v64
	v_sub_f32_e32 v55, v51, v50
	v_pk_add_f32 v[66:67], v[50:51], v[54:55] neg_lo:[0,1] neg_hi:[0,1]
	v_mov_b32_e32 v65, v50
	v_pk_add_f32 v[50:51], v[66:67], v[64:65] neg_lo:[0,1] neg_hi:[0,1]
	v_cmp_eq_f32_e32 vcc, s47, v53
	v_add_f32_e32 v51, v119, v51
	v_add_f32_e32 v50, v50, v51
	v_add_f32_e32 v51, v55, v50
	v_mul_f32_e32 v119, v118, v51
	v_mul_f32_e32 v54, v69, v119
	v_fma_f32 v64, v119, v69, -v54
	v_fmac_f32_e32 v64, v119, v49
	v_sub_f32_e32 v49, v55, v51
	v_add_f32_e32 v49, v50, v49
	v_add_f32_e32 v50, v54, v64
	v_sub_f32_e32 v55, v51, v50
	v_pk_add_f32 v[66:67], v[50:51], v[54:55] neg_lo:[0,1] neg_hi:[0,1]
	v_mov_b32_e32 v65, v50
	v_pk_add_f32 v[50:51], v[66:67], v[64:65] neg_lo:[0,1] neg_hi:[0,1]
	v_cvt_f32_i32_e32 v54, v68
	v_add_f32_e32 v49, v49, v51
	v_add_f32_e32 v49, v50, v49
	;; [unrolled: 1-line block ×4, first 2 shown]
	v_sub_f32_e32 v51, v50, v128
	v_mul_f32_e32 v49, v118, v49
	v_sub_f32_e32 v51, v119, v51
	v_add_f32_e32 v49, v51, v49
	v_add_f32_e32 v55, v50, v49
	v_mul_f32_e32 v64, v55, v55
	v_mov_b32_e32 v51, 0x3ecc95a3
	v_fmac_f32_e32 v51, 0x3e9b6dac, v64
	v_sub_f32_e32 v50, v55, v50
	v_fmaak_f32 v51, v64, v51, 0x3f2aaada
	v_sub_f32_e32 v49, v49, v50
	v_ldexp_f32 v65, v55, 1
	v_mul_f32_e32 v55, v55, v64
	v_mov_b32_e32 v50, 0x3f317218
	v_pk_mul_f32 v[50:51], v[54:55], v[50:51]
	v_ldexp_f32 v49, v49, 1
	v_fma_f32 v55, v54, s46, -v50
	v_fmamk_f32 v64, v54, 0xb102e308, v55
	v_pk_add_f32 v[54:55], v[50:51], v[64:65]
	v_mov_b32_e32 v66, v50
	v_sub_f32_e32 v65, v55, v65
	v_sub_f32_e32 v65, v51, v65
	v_add_f32_e32 v67, v49, v65
	v_pk_add_f32 v[50:51], v[54:55], v[50:51] neg_lo:[0,1] neg_hi:[0,1]
	v_pk_add_f32 v[68:69], v[54:55], v[66:67]
	v_mov_b32_e32 v65, v54
	v_mov_b32_e32 v51, v69
	v_pk_add_f32 v[118:119], v[64:65], v[50:51] neg_lo:[0,1] neg_hi:[0,1]
	v_pk_add_f32 v[50:51], v[64:65], v[50:51]
	v_mov_b32_e32 v66, v67
	v_mov_b32_e32 v64, v51
	v_pk_add_f32 v[128:129], v[64:65], v[54:55] neg_lo:[0,1] neg_hi:[0,1]
	v_mov_b32_e32 v50, v69
	v_mov_b32_e32 v49, v128
	v_pk_add_f32 v[132:133], v[68:69], v[48:49] neg_lo:[0,1] neg_hi:[0,1]
	v_mov_b32_e32 v68, v55
	v_mov_b32_e32 v69, v128
	;; [unrolled: 1-line block ×3, first 2 shown]
	v_pk_add_f32 v[50:51], v[50:51], v[68:69] neg_lo:[0,1] neg_hi:[0,1]
	v_mov_b32_e32 v67, v54
	v_pk_add_f32 v[50:51], v[66:67], v[50:51] neg_lo:[0,1] neg_hi:[0,1]
	v_mov_b32_e32 v132, v118
	v_pk_add_f32 v[54:55], v[132:133], v[50:51]
	s_mov_b32 s46, 0x33800000
	v_mov_b32_e32 v66, v55
	v_pk_add_f32 v[66:67], v[54:55], v[66:67]
	v_cmp_lt_f32_e64 s[46:47], |v53|, s46
	v_pk_add_f32 v[64:65], v[64:65], v[66:67]
	v_mov_b32_e32 v51, v66
	v_mov_b32_e32 v55, v64
	v_pk_add_f32 v[68:69], v[54:55], v[118:119] neg_lo:[0,1] neg_hi:[0,1]
	s_or_b64 vcc, vcc, s[46:47]
	v_sub_f32_e32 v49, v54, v68
	v_pk_add_f32 v[50:51], v[50:51], v[68:69] neg_lo:[0,1] neg_hi:[0,1]
	v_sub_f32_e32 v49, v118, v49
	v_add_f32_e32 v49, v50, v49
	v_add_f32_e32 v49, v49, v51
	;; [unrolled: 1-line block ×3, first 2 shown]
	v_cndmask_b32_e32 v49, v49, v53, vcc
	v_add_f32_e32 v132, v48, v49
.LBB161_91:
	s_or_b64 exec, exec, s[44:45]
	v_max_f32_e32 v118, v27, v27
	v_max_f32_e32 v48, v132, v132
	v_min_f32_e32 v49, v48, v118
	v_cmp_u_f32_e32 vcc, v132, v132
	v_max_f32_e32 v48, v48, v118
	v_cmp_u_f32_e64 s[44:45], v27, v27
	v_cndmask_b32_e32 v49, v49, v132, vcc
	v_cndmask_b32_e32 v48, v48, v132, vcc
	v_cndmask_b32_e64 v49, v49, v27, s[44:45]
	v_cndmask_b32_e64 v48, v48, v27, s[44:45]
	s_movk_i32 s48, 0x1f8
	v_cmp_neq_f32_e32 vcc, v49, v48
	v_cmp_class_f32_e64 s[46:47], v49, s48
	s_or_b64 vcc, vcc, s[46:47]
	s_and_saveexec_b64 s[46:47], vcc
	s_cbranch_execz .LBB161_93
; %bb.92:
	v_sub_f32_e32 v49, v49, v48
	s_mov_b32 s49, 0x3fb8aa3b
	v_mul_f32_e32 v50, 0x3fb8aa3b, v49
	v_fma_f32 v51, v49, s49, -v50
	v_rndne_f32_e32 v53, v50
	v_fmamk_f32 v51, v49, 0x32a5705f, v51
	v_sub_f32_e32 v50, v50, v53
	v_add_f32_e32 v50, v50, v51
	v_exp_f32_e32 v50, v50
	v_cvt_i32_f32_e32 v51, v53
	s_mov_b32 s49, 0xc2ce8ed0
	v_cmp_ngt_f32_e32 vcc, s49, v49
	s_mov_b32 s49, 0x42b17218
	v_ldexp_f32 v50, v50, v51
	v_cndmask_b32_e32 v50, 0, v50, vcc
	v_mov_b32_e32 v51, 0x7f800000
	v_cmp_nlt_f32_e32 vcc, s49, v49
	s_mov_b32 s49, 0x3f2aaaab
	s_mov_b32 s50, 0x7f800000
	v_cndmask_b32_e32 v53, v51, v50, vcc
	v_add_f32_e32 v49, 1.0, v53
	v_add_f32_e32 v50, -1.0, v49
	v_sub_f32_e32 v51, v50, v49
	v_add_f32_e32 v51, 1.0, v51
	v_sub_f32_e32 v50, v53, v50
	v_add_f32_e32 v54, v50, v51
	v_frexp_mant_f32_e32 v55, v49
	v_cvt_f64_f32_e32 v[50:51], v49
	v_frexp_exp_i32_f64_e32 v50, v[50:51]
	v_cmp_gt_f32_e32 vcc, s49, v55
	s_mov_b32 s49, 0x3f317218
	s_nop 0
	v_subbrev_co_u32_e32 v68, vcc, 0, v50, vcc
	v_sub_u32_e32 v50, 0, v68
	v_ldexp_f32 v49, v49, v50
	v_ldexp_f32 v50, v54, v50
	v_add_f32_e32 v54, -1.0, v49
	v_add_f32_e32 v51, 1.0, v54
	v_sub_f32_e32 v51, v49, v51
	v_add_f32_e32 v55, v50, v51
	v_add_f32_e32 v51, 1.0, v49
	v_add_f32_e32 v64, -1.0, v51
	v_sub_f32_e32 v49, v49, v64
	v_add_f32_e32 v49, v50, v49
	v_add_f32_e32 v69, v51, v49
	v_rcp_f32_e32 v119, v69
	v_sub_f32_e32 v50, v51, v69
	v_add_f32_e32 v51, v54, v55
	v_add_f32_e32 v49, v49, v50
	v_mul_f32_e32 v129, v51, v119
	v_sub_f32_e32 v50, v54, v51
	v_mul_f32_e32 v54, v69, v129
	v_fma_f32 v64, v129, v69, -v54
	v_fmac_f32_e32 v64, v129, v49
	v_add_f32_e32 v128, v55, v50
	v_add_f32_e32 v50, v54, v64
	v_sub_f32_e32 v55, v51, v50
	v_pk_add_f32 v[66:67], v[50:51], v[54:55] neg_lo:[0,1] neg_hi:[0,1]
	v_mov_b32_e32 v65, v50
	v_pk_add_f32 v[50:51], v[66:67], v[64:65] neg_lo:[0,1] neg_hi:[0,1]
	v_cmp_eq_f32_e32 vcc, s50, v53
	v_add_f32_e32 v51, v128, v51
	v_add_f32_e32 v50, v50, v51
	;; [unrolled: 1-line block ×3, first 2 shown]
	v_mul_f32_e32 v128, v119, v51
	v_mul_f32_e32 v54, v69, v128
	v_fma_f32 v64, v128, v69, -v54
	v_fmac_f32_e32 v64, v128, v49
	v_sub_f32_e32 v49, v55, v51
	v_add_f32_e32 v49, v50, v49
	v_add_f32_e32 v50, v54, v64
	v_sub_f32_e32 v55, v51, v50
	v_pk_add_f32 v[66:67], v[50:51], v[54:55] neg_lo:[0,1] neg_hi:[0,1]
	v_mov_b32_e32 v65, v50
	v_pk_add_f32 v[50:51], v[66:67], v[64:65] neg_lo:[0,1] neg_hi:[0,1]
	v_cvt_f32_i32_e32 v54, v68
	v_add_f32_e32 v49, v49, v51
	v_add_f32_e32 v49, v50, v49
	;; [unrolled: 1-line block ×4, first 2 shown]
	v_sub_f32_e32 v51, v50, v129
	v_mul_f32_e32 v49, v119, v49
	v_sub_f32_e32 v51, v128, v51
	v_add_f32_e32 v49, v51, v49
	v_add_f32_e32 v55, v50, v49
	v_mul_f32_e32 v64, v55, v55
	v_mov_b32_e32 v51, 0x3ecc95a3
	v_fmac_f32_e32 v51, 0x3e9b6dac, v64
	v_sub_f32_e32 v50, v55, v50
	v_fmaak_f32 v51, v64, v51, 0x3f2aaada
	v_sub_f32_e32 v49, v49, v50
	v_ldexp_f32 v65, v55, 1
	v_mul_f32_e32 v55, v55, v64
	v_mov_b32_e32 v50, 0x3f317218
	v_pk_mul_f32 v[50:51], v[54:55], v[50:51]
	v_ldexp_f32 v49, v49, 1
	v_fma_f32 v55, v54, s49, -v50
	v_fmamk_f32 v64, v54, 0xb102e308, v55
	v_pk_add_f32 v[54:55], v[50:51], v[64:65]
	v_mov_b32_e32 v66, v50
	v_sub_f32_e32 v65, v55, v65
	v_sub_f32_e32 v65, v51, v65
	v_add_f32_e32 v67, v49, v65
	v_pk_add_f32 v[50:51], v[54:55], v[50:51] neg_lo:[0,1] neg_hi:[0,1]
	v_pk_add_f32 v[68:69], v[54:55], v[66:67]
	v_mov_b32_e32 v65, v54
	v_mov_b32_e32 v51, v69
	v_pk_add_f32 v[128:129], v[64:65], v[50:51] neg_lo:[0,1] neg_hi:[0,1]
	v_pk_add_f32 v[50:51], v[64:65], v[50:51]
	v_mov_b32_e32 v66, v67
	v_mov_b32_e32 v64, v51
	v_pk_add_f32 v[132:133], v[64:65], v[54:55] neg_lo:[0,1] neg_hi:[0,1]
	v_mov_b32_e32 v50, v69
	v_mov_b32_e32 v49, v132
	v_pk_add_f32 v[134:135], v[68:69], v[48:49] neg_lo:[0,1] neg_hi:[0,1]
	v_mov_b32_e32 v68, v55
	v_mov_b32_e32 v69, v132
	;; [unrolled: 1-line block ×3, first 2 shown]
	v_pk_add_f32 v[50:51], v[50:51], v[68:69] neg_lo:[0,1] neg_hi:[0,1]
	v_mov_b32_e32 v67, v54
	v_pk_add_f32 v[50:51], v[66:67], v[50:51] neg_lo:[0,1] neg_hi:[0,1]
	v_mov_b32_e32 v134, v128
	v_pk_add_f32 v[54:55], v[134:135], v[50:51]
	s_mov_b32 s49, 0x33800000
	v_mov_b32_e32 v66, v55
	v_pk_add_f32 v[66:67], v[54:55], v[66:67]
	v_cmp_lt_f32_e64 s[50:51], |v53|, s49
	v_pk_add_f32 v[64:65], v[64:65], v[66:67]
	v_mov_b32_e32 v51, v66
	v_mov_b32_e32 v55, v64
	v_pk_add_f32 v[68:69], v[54:55], v[128:129] neg_lo:[0,1] neg_hi:[0,1]
	s_or_b64 vcc, vcc, s[50:51]
	v_sub_f32_e32 v49, v54, v68
	v_pk_add_f32 v[50:51], v[50:51], v[68:69] neg_lo:[0,1] neg_hi:[0,1]
	v_sub_f32_e32 v49, v128, v49
	v_add_f32_e32 v49, v50, v49
	v_add_f32_e32 v49, v49, v51
	;; [unrolled: 1-line block ×3, first 2 shown]
	v_cndmask_b32_e32 v49, v49, v53, vcc
	v_add_f32_e32 v132, v48, v49
.LBB161_93:
	s_or_b64 exec, exec, s[46:47]
	v_max_f32_e32 v119, v20, v20
	v_max_f32_e32 v48, v132, v132
	v_min_f32_e32 v49, v48, v119
	v_cmp_u_f32_e32 vcc, v132, v132
	v_max_f32_e32 v48, v48, v119
	v_cmp_u_f32_e64 s[46:47], v20, v20
	v_cndmask_b32_e32 v49, v49, v132, vcc
	v_cndmask_b32_e32 v48, v48, v132, vcc
	v_cndmask_b32_e64 v49, v49, v20, s[46:47]
	v_cndmask_b32_e64 v48, v48, v20, s[46:47]
	v_cmp_neq_f32_e32 vcc, v49, v48
	v_cmp_class_f32_e64 s[48:49], v49, s48
	s_or_b64 vcc, vcc, s[48:49]
	s_and_saveexec_b64 s[48:49], vcc
	s_cbranch_execz .LBB161_95
; %bb.94:
	v_sub_f32_e32 v49, v49, v48
	s_mov_b32 s50, 0x3fb8aa3b
	v_mul_f32_e32 v50, 0x3fb8aa3b, v49
	v_fma_f32 v51, v49, s50, -v50
	v_rndne_f32_e32 v53, v50
	v_fmamk_f32 v51, v49, 0x32a5705f, v51
	v_sub_f32_e32 v50, v50, v53
	v_add_f32_e32 v50, v50, v51
	v_exp_f32_e32 v50, v50
	v_cvt_i32_f32_e32 v51, v53
	s_mov_b32 s50, 0xc2ce8ed0
	v_cmp_ngt_f32_e32 vcc, s50, v49
	s_mov_b32 s50, 0x42b17218
	v_ldexp_f32 v50, v50, v51
	v_cndmask_b32_e32 v50, 0, v50, vcc
	v_mov_b32_e32 v51, 0x7f800000
	v_cmp_nlt_f32_e32 vcc, s50, v49
	s_mov_b32 s50, 0x3f2aaaab
	s_mov_b32 s51, 0x7f800000
	v_cndmask_b32_e32 v53, v51, v50, vcc
	v_add_f32_e32 v49, 1.0, v53
	v_add_f32_e32 v50, -1.0, v49
	v_sub_f32_e32 v51, v50, v49
	v_add_f32_e32 v51, 1.0, v51
	v_sub_f32_e32 v50, v53, v50
	v_add_f32_e32 v54, v50, v51
	v_frexp_mant_f32_e32 v55, v49
	v_cvt_f64_f32_e32 v[50:51], v49
	v_frexp_exp_i32_f64_e32 v50, v[50:51]
	v_cmp_gt_f32_e32 vcc, s50, v55
	s_mov_b32 s50, 0x3f317218
	s_nop 0
	v_subbrev_co_u32_e32 v68, vcc, 0, v50, vcc
	v_sub_u32_e32 v50, 0, v68
	v_ldexp_f32 v49, v49, v50
	v_ldexp_f32 v50, v54, v50
	v_add_f32_e32 v54, -1.0, v49
	v_add_f32_e32 v51, 1.0, v54
	v_sub_f32_e32 v51, v49, v51
	v_add_f32_e32 v55, v50, v51
	v_add_f32_e32 v51, 1.0, v49
	v_add_f32_e32 v64, -1.0, v51
	v_sub_f32_e32 v49, v49, v64
	v_add_f32_e32 v49, v50, v49
	v_add_f32_e32 v69, v51, v49
	v_rcp_f32_e32 v128, v69
	v_sub_f32_e32 v50, v51, v69
	v_add_f32_e32 v51, v54, v55
	v_add_f32_e32 v49, v49, v50
	v_mul_f32_e32 v130, v51, v128
	v_sub_f32_e32 v50, v54, v51
	v_mul_f32_e32 v54, v69, v130
	v_fma_f32 v64, v130, v69, -v54
	v_fmac_f32_e32 v64, v130, v49
	v_add_f32_e32 v129, v55, v50
	v_add_f32_e32 v50, v54, v64
	v_sub_f32_e32 v55, v51, v50
	v_pk_add_f32 v[66:67], v[50:51], v[54:55] neg_lo:[0,1] neg_hi:[0,1]
	v_mov_b32_e32 v65, v50
	v_pk_add_f32 v[50:51], v[66:67], v[64:65] neg_lo:[0,1] neg_hi:[0,1]
	v_cmp_eq_f32_e32 vcc, s51, v53
	v_add_f32_e32 v51, v129, v51
	v_add_f32_e32 v50, v50, v51
	v_add_f32_e32 v51, v55, v50
	v_mul_f32_e32 v129, v128, v51
	v_mul_f32_e32 v54, v69, v129
	v_fma_f32 v64, v129, v69, -v54
	v_fmac_f32_e32 v64, v129, v49
	v_sub_f32_e32 v49, v55, v51
	v_add_f32_e32 v49, v50, v49
	v_add_f32_e32 v50, v54, v64
	v_sub_f32_e32 v55, v51, v50
	v_pk_add_f32 v[66:67], v[50:51], v[54:55] neg_lo:[0,1] neg_hi:[0,1]
	v_mov_b32_e32 v65, v50
	v_pk_add_f32 v[50:51], v[66:67], v[64:65] neg_lo:[0,1] neg_hi:[0,1]
	v_cvt_f32_i32_e32 v54, v68
	v_add_f32_e32 v49, v49, v51
	v_add_f32_e32 v49, v50, v49
	;; [unrolled: 1-line block ×4, first 2 shown]
	v_sub_f32_e32 v51, v50, v130
	v_mul_f32_e32 v49, v128, v49
	v_sub_f32_e32 v51, v129, v51
	v_add_f32_e32 v49, v51, v49
	v_add_f32_e32 v55, v50, v49
	v_mul_f32_e32 v64, v55, v55
	v_mov_b32_e32 v51, 0x3ecc95a3
	v_fmac_f32_e32 v51, 0x3e9b6dac, v64
	v_sub_f32_e32 v50, v55, v50
	v_fmaak_f32 v51, v64, v51, 0x3f2aaada
	v_sub_f32_e32 v49, v49, v50
	v_ldexp_f32 v65, v55, 1
	v_mul_f32_e32 v55, v55, v64
	v_mov_b32_e32 v50, 0x3f317218
	v_pk_mul_f32 v[50:51], v[54:55], v[50:51]
	v_ldexp_f32 v49, v49, 1
	v_fma_f32 v55, v54, s50, -v50
	v_fmamk_f32 v64, v54, 0xb102e308, v55
	v_pk_add_f32 v[54:55], v[50:51], v[64:65]
	v_mov_b32_e32 v66, v50
	v_sub_f32_e32 v65, v55, v65
	v_sub_f32_e32 v65, v51, v65
	v_add_f32_e32 v67, v49, v65
	v_pk_add_f32 v[50:51], v[54:55], v[50:51] neg_lo:[0,1] neg_hi:[0,1]
	v_pk_add_f32 v[68:69], v[54:55], v[66:67]
	v_mov_b32_e32 v65, v54
	v_mov_b32_e32 v51, v69
	v_pk_add_f32 v[128:129], v[64:65], v[50:51] neg_lo:[0,1] neg_hi:[0,1]
	v_pk_add_f32 v[50:51], v[64:65], v[50:51]
	v_mov_b32_e32 v66, v67
	v_mov_b32_e32 v64, v51
	v_pk_add_f32 v[132:133], v[64:65], v[54:55] neg_lo:[0,1] neg_hi:[0,1]
	v_mov_b32_e32 v50, v69
	v_mov_b32_e32 v49, v132
	v_pk_add_f32 v[134:135], v[68:69], v[48:49] neg_lo:[0,1] neg_hi:[0,1]
	v_mov_b32_e32 v68, v55
	v_mov_b32_e32 v69, v132
	;; [unrolled: 1-line block ×3, first 2 shown]
	v_pk_add_f32 v[50:51], v[50:51], v[68:69] neg_lo:[0,1] neg_hi:[0,1]
	v_mov_b32_e32 v67, v54
	v_pk_add_f32 v[50:51], v[66:67], v[50:51] neg_lo:[0,1] neg_hi:[0,1]
	v_mov_b32_e32 v134, v128
	v_pk_add_f32 v[54:55], v[134:135], v[50:51]
	s_mov_b32 s50, 0x33800000
	v_mov_b32_e32 v66, v55
	v_pk_add_f32 v[66:67], v[54:55], v[66:67]
	v_cmp_lt_f32_e64 s[50:51], |v53|, s50
	v_pk_add_f32 v[64:65], v[64:65], v[66:67]
	v_mov_b32_e32 v51, v66
	v_mov_b32_e32 v55, v64
	v_pk_add_f32 v[68:69], v[54:55], v[128:129] neg_lo:[0,1] neg_hi:[0,1]
	s_or_b64 vcc, vcc, s[50:51]
	v_sub_f32_e32 v49, v54, v68
	v_pk_add_f32 v[50:51], v[50:51], v[68:69] neg_lo:[0,1] neg_hi:[0,1]
	v_sub_f32_e32 v49, v128, v49
	v_add_f32_e32 v49, v50, v49
	v_add_f32_e32 v49, v49, v51
	;; [unrolled: 1-line block ×3, first 2 shown]
	v_cndmask_b32_e32 v49, v49, v53, vcc
	v_add_f32_e32 v132, v48, v49
.LBB161_95:
	s_or_b64 exec, exec, s[48:49]
	v_max_f32_e32 v128, v21, v21
	v_max_f32_e32 v48, v132, v132
	v_min_f32_e32 v49, v48, v128
	v_cmp_u_f32_e32 vcc, v132, v132
	v_max_f32_e32 v48, v48, v128
	v_cmp_u_f32_e64 s[48:49], v21, v21
	v_cndmask_b32_e32 v49, v49, v132, vcc
	v_cndmask_b32_e32 v48, v48, v132, vcc
	v_cndmask_b32_e64 v49, v49, v21, s[48:49]
	v_cndmask_b32_e64 v48, v48, v21, s[48:49]
	s_movk_i32 s52, 0x1f8
	v_cmp_neq_f32_e32 vcc, v49, v48
	v_cmp_class_f32_e64 s[50:51], v49, s52
	s_or_b64 vcc, vcc, s[50:51]
	s_and_saveexec_b64 s[50:51], vcc
	s_cbranch_execz .LBB161_97
; %bb.96:
	v_sub_f32_e32 v49, v49, v48
	s_mov_b32 s53, 0x3fb8aa3b
	v_mul_f32_e32 v50, 0x3fb8aa3b, v49
	v_fma_f32 v51, v49, s53, -v50
	v_rndne_f32_e32 v53, v50
	v_fmamk_f32 v51, v49, 0x32a5705f, v51
	v_sub_f32_e32 v50, v50, v53
	v_add_f32_e32 v50, v50, v51
	v_exp_f32_e32 v50, v50
	v_cvt_i32_f32_e32 v51, v53
	s_mov_b32 s53, 0xc2ce8ed0
	v_cmp_ngt_f32_e32 vcc, s53, v49
	s_mov_b32 s53, 0x42b17218
	v_ldexp_f32 v50, v50, v51
	v_cndmask_b32_e32 v50, 0, v50, vcc
	v_mov_b32_e32 v51, 0x7f800000
	v_cmp_nlt_f32_e32 vcc, s53, v49
	s_mov_b32 s53, 0x3f2aaaab
	s_mov_b32 s56, 0x7f800000
	v_cndmask_b32_e32 v53, v51, v50, vcc
	v_add_f32_e32 v49, 1.0, v53
	v_add_f32_e32 v50, -1.0, v49
	v_sub_f32_e32 v51, v50, v49
	v_add_f32_e32 v51, 1.0, v51
	v_sub_f32_e32 v50, v53, v50
	v_add_f32_e32 v54, v50, v51
	v_frexp_mant_f32_e32 v55, v49
	v_cvt_f64_f32_e32 v[50:51], v49
	v_frexp_exp_i32_f64_e32 v50, v[50:51]
	v_cmp_gt_f32_e32 vcc, s53, v55
	s_mov_b32 s53, 0x3f317218
	s_nop 0
	v_subbrev_co_u32_e32 v68, vcc, 0, v50, vcc
	v_sub_u32_e32 v50, 0, v68
	v_ldexp_f32 v49, v49, v50
	v_ldexp_f32 v50, v54, v50
	v_add_f32_e32 v54, -1.0, v49
	v_add_f32_e32 v51, 1.0, v54
	v_sub_f32_e32 v51, v49, v51
	v_add_f32_e32 v55, v50, v51
	v_add_f32_e32 v51, 1.0, v49
	v_add_f32_e32 v64, -1.0, v51
	v_sub_f32_e32 v49, v49, v64
	v_add_f32_e32 v49, v50, v49
	v_add_f32_e32 v69, v51, v49
	v_rcp_f32_e32 v129, v69
	v_sub_f32_e32 v50, v51, v69
	v_add_f32_e32 v51, v54, v55
	v_add_f32_e32 v49, v49, v50
	v_mul_f32_e32 v132, v51, v129
	v_sub_f32_e32 v50, v54, v51
	v_mul_f32_e32 v54, v69, v132
	v_fma_f32 v64, v132, v69, -v54
	v_fmac_f32_e32 v64, v132, v49
	v_add_f32_e32 v130, v55, v50
	v_add_f32_e32 v50, v54, v64
	v_sub_f32_e32 v55, v51, v50
	v_pk_add_f32 v[66:67], v[50:51], v[54:55] neg_lo:[0,1] neg_hi:[0,1]
	v_mov_b32_e32 v65, v50
	v_pk_add_f32 v[50:51], v[66:67], v[64:65] neg_lo:[0,1] neg_hi:[0,1]
	v_cmp_eq_f32_e32 vcc, s56, v53
	v_add_f32_e32 v51, v130, v51
	v_add_f32_e32 v50, v50, v51
	;; [unrolled: 1-line block ×3, first 2 shown]
	v_mul_f32_e32 v130, v129, v51
	v_mul_f32_e32 v54, v69, v130
	v_fma_f32 v64, v130, v69, -v54
	v_fmac_f32_e32 v64, v130, v49
	v_sub_f32_e32 v49, v55, v51
	v_add_f32_e32 v49, v50, v49
	v_add_f32_e32 v50, v54, v64
	v_sub_f32_e32 v55, v51, v50
	v_pk_add_f32 v[66:67], v[50:51], v[54:55] neg_lo:[0,1] neg_hi:[0,1]
	v_mov_b32_e32 v65, v50
	v_pk_add_f32 v[50:51], v[66:67], v[64:65] neg_lo:[0,1] neg_hi:[0,1]
	v_cvt_f32_i32_e32 v54, v68
	v_add_f32_e32 v49, v49, v51
	v_add_f32_e32 v49, v50, v49
	;; [unrolled: 1-line block ×4, first 2 shown]
	v_sub_f32_e32 v51, v50, v132
	v_mul_f32_e32 v49, v129, v49
	v_sub_f32_e32 v51, v130, v51
	v_add_f32_e32 v49, v51, v49
	v_add_f32_e32 v55, v50, v49
	v_mul_f32_e32 v64, v55, v55
	v_mov_b32_e32 v51, 0x3ecc95a3
	v_fmac_f32_e32 v51, 0x3e9b6dac, v64
	v_sub_f32_e32 v50, v55, v50
	v_fmaak_f32 v51, v64, v51, 0x3f2aaada
	v_sub_f32_e32 v49, v49, v50
	v_ldexp_f32 v65, v55, 1
	v_mul_f32_e32 v55, v55, v64
	v_mov_b32_e32 v50, 0x3f317218
	v_pk_mul_f32 v[50:51], v[54:55], v[50:51]
	v_ldexp_f32 v49, v49, 1
	v_fma_f32 v55, v54, s53, -v50
	v_fmamk_f32 v64, v54, 0xb102e308, v55
	v_pk_add_f32 v[54:55], v[50:51], v[64:65]
	v_mov_b32_e32 v66, v50
	v_sub_f32_e32 v65, v55, v65
	v_sub_f32_e32 v65, v51, v65
	v_add_f32_e32 v67, v49, v65
	v_pk_add_f32 v[50:51], v[54:55], v[50:51] neg_lo:[0,1] neg_hi:[0,1]
	v_pk_add_f32 v[68:69], v[54:55], v[66:67]
	v_mov_b32_e32 v65, v54
	v_mov_b32_e32 v51, v69
	v_pk_add_f32 v[132:133], v[64:65], v[50:51] neg_lo:[0,1] neg_hi:[0,1]
	v_pk_add_f32 v[50:51], v[64:65], v[50:51]
	v_mov_b32_e32 v66, v67
	v_mov_b32_e32 v64, v51
	v_pk_add_f32 v[134:135], v[64:65], v[54:55] neg_lo:[0,1] neg_hi:[0,1]
	v_mov_b32_e32 v50, v69
	v_mov_b32_e32 v49, v134
	v_pk_add_f32 v[144:145], v[68:69], v[48:49] neg_lo:[0,1] neg_hi:[0,1]
	v_mov_b32_e32 v68, v55
	v_mov_b32_e32 v69, v134
	;; [unrolled: 1-line block ×3, first 2 shown]
	v_pk_add_f32 v[50:51], v[50:51], v[68:69] neg_lo:[0,1] neg_hi:[0,1]
	v_mov_b32_e32 v67, v54
	v_pk_add_f32 v[50:51], v[66:67], v[50:51] neg_lo:[0,1] neg_hi:[0,1]
	v_mov_b32_e32 v144, v132
	v_pk_add_f32 v[54:55], v[144:145], v[50:51]
	s_mov_b32 s53, 0x33800000
	v_mov_b32_e32 v66, v55
	v_pk_add_f32 v[66:67], v[54:55], v[66:67]
	v_cmp_lt_f32_e64 s[56:57], |v53|, s53
	v_pk_add_f32 v[64:65], v[64:65], v[66:67]
	v_mov_b32_e32 v51, v66
	v_mov_b32_e32 v55, v64
	v_pk_add_f32 v[68:69], v[54:55], v[132:133] neg_lo:[0,1] neg_hi:[0,1]
	s_or_b64 vcc, vcc, s[56:57]
	v_sub_f32_e32 v49, v54, v68
	v_pk_add_f32 v[50:51], v[50:51], v[68:69] neg_lo:[0,1] neg_hi:[0,1]
	v_sub_f32_e32 v49, v132, v49
	v_add_f32_e32 v49, v50, v49
	v_add_f32_e32 v49, v49, v51
	;; [unrolled: 1-line block ×3, first 2 shown]
	v_cndmask_b32_e32 v49, v49, v53, vcc
	v_add_f32_e32 v132, v48, v49
.LBB161_97:
	s_or_b64 exec, exec, s[50:51]
	v_max_f32_e32 v129, v22, v22
	v_max_f32_e32 v48, v132, v132
	v_min_f32_e32 v49, v48, v129
	v_cmp_u_f32_e32 vcc, v132, v132
	v_max_f32_e32 v48, v48, v129
	v_cmp_u_f32_e64 s[50:51], v22, v22
	v_cndmask_b32_e32 v49, v49, v132, vcc
	v_cndmask_b32_e32 v48, v48, v132, vcc
	v_cndmask_b32_e64 v49, v49, v22, s[50:51]
	v_cndmask_b32_e64 v48, v48, v22, s[50:51]
	v_cmp_neq_f32_e32 vcc, v49, v48
	v_cmp_class_f32_e64 s[52:53], v49, s52
	s_or_b64 vcc, vcc, s[52:53]
	s_and_saveexec_b64 s[52:53], vcc
	s_cbranch_execz .LBB161_99
; %bb.98:
	v_sub_f32_e32 v49, v49, v48
	s_mov_b32 s56, 0x3fb8aa3b
	v_mul_f32_e32 v50, 0x3fb8aa3b, v49
	v_fma_f32 v51, v49, s56, -v50
	v_rndne_f32_e32 v53, v50
	v_fmamk_f32 v51, v49, 0x32a5705f, v51
	v_sub_f32_e32 v50, v50, v53
	v_add_f32_e32 v50, v50, v51
	v_exp_f32_e32 v50, v50
	v_cvt_i32_f32_e32 v51, v53
	s_mov_b32 s56, 0xc2ce8ed0
	v_cmp_ngt_f32_e32 vcc, s56, v49
	s_mov_b32 s56, 0x42b17218
	v_ldexp_f32 v50, v50, v51
	v_cndmask_b32_e32 v50, 0, v50, vcc
	v_mov_b32_e32 v51, 0x7f800000
	v_cmp_nlt_f32_e32 vcc, s56, v49
	s_mov_b32 s56, 0x3f2aaaab
	s_mov_b32 s57, 0x7f800000
	v_cndmask_b32_e32 v53, v51, v50, vcc
	v_add_f32_e32 v49, 1.0, v53
	v_add_f32_e32 v50, -1.0, v49
	v_sub_f32_e32 v51, v50, v49
	v_add_f32_e32 v51, 1.0, v51
	v_sub_f32_e32 v50, v53, v50
	v_add_f32_e32 v54, v50, v51
	v_frexp_mant_f32_e32 v55, v49
	v_cvt_f64_f32_e32 v[50:51], v49
	v_frexp_exp_i32_f64_e32 v50, v[50:51]
	v_cmp_gt_f32_e32 vcc, s56, v55
	s_mov_b32 s56, 0x3f317218
	s_nop 0
	v_subbrev_co_u32_e32 v68, vcc, 0, v50, vcc
	v_sub_u32_e32 v50, 0, v68
	v_ldexp_f32 v49, v49, v50
	v_ldexp_f32 v50, v54, v50
	v_add_f32_e32 v54, -1.0, v49
	v_add_f32_e32 v51, 1.0, v54
	v_sub_f32_e32 v51, v49, v51
	v_add_f32_e32 v55, v50, v51
	v_add_f32_e32 v51, 1.0, v49
	v_add_f32_e32 v64, -1.0, v51
	v_sub_f32_e32 v49, v49, v64
	v_add_f32_e32 v49, v50, v49
	v_add_f32_e32 v69, v51, v49
	v_rcp_f32_e32 v130, v69
	v_sub_f32_e32 v50, v51, v69
	v_add_f32_e32 v51, v54, v55
	v_add_f32_e32 v49, v49, v50
	v_mul_f32_e32 v133, v51, v130
	v_sub_f32_e32 v50, v54, v51
	v_mul_f32_e32 v54, v69, v133
	v_fma_f32 v64, v133, v69, -v54
	v_fmac_f32_e32 v64, v133, v49
	v_add_f32_e32 v132, v55, v50
	v_add_f32_e32 v50, v54, v64
	v_sub_f32_e32 v55, v51, v50
	v_pk_add_f32 v[66:67], v[50:51], v[54:55] neg_lo:[0,1] neg_hi:[0,1]
	v_mov_b32_e32 v65, v50
	v_pk_add_f32 v[50:51], v[66:67], v[64:65] neg_lo:[0,1] neg_hi:[0,1]
	v_cmp_eq_f32_e32 vcc, s57, v53
	v_add_f32_e32 v51, v132, v51
	v_add_f32_e32 v50, v50, v51
	;; [unrolled: 1-line block ×3, first 2 shown]
	v_mul_f32_e32 v132, v130, v51
	v_mul_f32_e32 v54, v69, v132
	v_fma_f32 v64, v132, v69, -v54
	v_fmac_f32_e32 v64, v132, v49
	v_sub_f32_e32 v49, v55, v51
	v_add_f32_e32 v49, v50, v49
	v_add_f32_e32 v50, v54, v64
	v_sub_f32_e32 v55, v51, v50
	v_pk_add_f32 v[66:67], v[50:51], v[54:55] neg_lo:[0,1] neg_hi:[0,1]
	v_mov_b32_e32 v65, v50
	v_pk_add_f32 v[50:51], v[66:67], v[64:65] neg_lo:[0,1] neg_hi:[0,1]
	v_cvt_f32_i32_e32 v54, v68
	v_add_f32_e32 v49, v49, v51
	v_add_f32_e32 v49, v50, v49
	;; [unrolled: 1-line block ×4, first 2 shown]
	v_sub_f32_e32 v51, v50, v133
	v_mul_f32_e32 v49, v130, v49
	v_sub_f32_e32 v51, v132, v51
	v_add_f32_e32 v49, v51, v49
	v_add_f32_e32 v55, v50, v49
	v_mul_f32_e32 v64, v55, v55
	v_mov_b32_e32 v51, 0x3ecc95a3
	v_fmac_f32_e32 v51, 0x3e9b6dac, v64
	v_sub_f32_e32 v50, v55, v50
	v_fmaak_f32 v51, v64, v51, 0x3f2aaada
	v_sub_f32_e32 v49, v49, v50
	v_ldexp_f32 v65, v55, 1
	v_mul_f32_e32 v55, v55, v64
	v_mov_b32_e32 v50, 0x3f317218
	v_pk_mul_f32 v[50:51], v[54:55], v[50:51]
	v_ldexp_f32 v49, v49, 1
	v_fma_f32 v55, v54, s56, -v50
	v_fmamk_f32 v64, v54, 0xb102e308, v55
	v_pk_add_f32 v[54:55], v[50:51], v[64:65]
	v_mov_b32_e32 v66, v50
	v_sub_f32_e32 v65, v55, v65
	v_sub_f32_e32 v65, v51, v65
	v_add_f32_e32 v67, v49, v65
	v_pk_add_f32 v[50:51], v[54:55], v[50:51] neg_lo:[0,1] neg_hi:[0,1]
	v_pk_add_f32 v[68:69], v[54:55], v[66:67]
	v_mov_b32_e32 v65, v54
	v_mov_b32_e32 v51, v69
	v_pk_add_f32 v[132:133], v[64:65], v[50:51] neg_lo:[0,1] neg_hi:[0,1]
	v_pk_add_f32 v[50:51], v[64:65], v[50:51]
	v_mov_b32_e32 v66, v67
	v_mov_b32_e32 v64, v51
	v_pk_add_f32 v[134:135], v[64:65], v[54:55] neg_lo:[0,1] neg_hi:[0,1]
	v_mov_b32_e32 v50, v69
	v_mov_b32_e32 v49, v134
	v_pk_add_f32 v[144:145], v[68:69], v[48:49] neg_lo:[0,1] neg_hi:[0,1]
	v_mov_b32_e32 v68, v55
	v_mov_b32_e32 v69, v134
	;; [unrolled: 1-line block ×3, first 2 shown]
	v_pk_add_f32 v[50:51], v[50:51], v[68:69] neg_lo:[0,1] neg_hi:[0,1]
	v_mov_b32_e32 v67, v54
	v_pk_add_f32 v[50:51], v[66:67], v[50:51] neg_lo:[0,1] neg_hi:[0,1]
	v_mov_b32_e32 v144, v132
	v_pk_add_f32 v[54:55], v[144:145], v[50:51]
	s_mov_b32 s56, 0x33800000
	v_mov_b32_e32 v66, v55
	v_pk_add_f32 v[66:67], v[54:55], v[66:67]
	v_cmp_lt_f32_e64 s[56:57], |v53|, s56
	v_pk_add_f32 v[64:65], v[64:65], v[66:67]
	v_mov_b32_e32 v51, v66
	v_mov_b32_e32 v55, v64
	v_pk_add_f32 v[68:69], v[54:55], v[132:133] neg_lo:[0,1] neg_hi:[0,1]
	s_or_b64 vcc, vcc, s[56:57]
	v_sub_f32_e32 v49, v54, v68
	v_pk_add_f32 v[50:51], v[50:51], v[68:69] neg_lo:[0,1] neg_hi:[0,1]
	v_sub_f32_e32 v49, v132, v49
	v_add_f32_e32 v49, v50, v49
	v_add_f32_e32 v49, v49, v51
	;; [unrolled: 1-line block ×3, first 2 shown]
	v_cndmask_b32_e32 v49, v49, v53, vcc
	v_add_f32_e32 v132, v48, v49
.LBB161_99:
	s_or_b64 exec, exec, s[52:53]
	v_max_f32_e32 v130, v23, v23
	v_max_f32_e32 v48, v132, v132
	v_min_f32_e32 v49, v48, v130
	v_cmp_u_f32_e32 vcc, v132, v132
	v_max_f32_e32 v48, v48, v130
	v_cmp_u_f32_e64 s[52:53], v23, v23
	v_cndmask_b32_e32 v49, v49, v132, vcc
	v_cndmask_b32_e32 v48, v48, v132, vcc
	v_cndmask_b32_e64 v49, v49, v23, s[52:53]
	v_cndmask_b32_e64 v48, v48, v23, s[52:53]
	s_movk_i32 s56, 0x1f8
	v_cmp_neq_f32_e32 vcc, v49, v48
	v_cmp_class_f32_e64 s[56:57], v49, s56
	s_or_b64 vcc, vcc, s[56:57]
	s_and_saveexec_b64 s[56:57], vcc
	s_cbranch_execz .LBB161_101
; %bb.100:
	v_sub_f32_e32 v49, v49, v48
	s_mov_b32 s58, 0x3fb8aa3b
	v_mul_f32_e32 v50, 0x3fb8aa3b, v49
	v_fma_f32 v51, v49, s58, -v50
	v_rndne_f32_e32 v53, v50
	v_fmamk_f32 v51, v49, 0x32a5705f, v51
	v_sub_f32_e32 v50, v50, v53
	v_add_f32_e32 v50, v50, v51
	v_exp_f32_e32 v50, v50
	v_cvt_i32_f32_e32 v51, v53
	s_mov_b32 s58, 0xc2ce8ed0
	v_cmp_ngt_f32_e32 vcc, s58, v49
	s_mov_b32 s58, 0x42b17218
	v_ldexp_f32 v50, v50, v51
	v_cndmask_b32_e32 v50, 0, v50, vcc
	v_mov_b32_e32 v51, 0x7f800000
	v_cmp_nlt_f32_e32 vcc, s58, v49
	s_mov_b32 s58, 0x3f2aaaab
	s_mov_b32 s59, 0x7f800000
	v_cndmask_b32_e32 v53, v51, v50, vcc
	v_add_f32_e32 v49, 1.0, v53
	v_add_f32_e32 v50, -1.0, v49
	v_sub_f32_e32 v51, v50, v49
	v_add_f32_e32 v51, 1.0, v51
	v_sub_f32_e32 v50, v53, v50
	v_add_f32_e32 v54, v50, v51
	v_frexp_mant_f32_e32 v55, v49
	v_cvt_f64_f32_e32 v[50:51], v49
	v_frexp_exp_i32_f64_e32 v50, v[50:51]
	v_cmp_gt_f32_e32 vcc, s58, v55
	s_mov_b32 s58, 0x3f317218
	s_nop 0
	v_subbrev_co_u32_e32 v68, vcc, 0, v50, vcc
	v_sub_u32_e32 v50, 0, v68
	v_ldexp_f32 v49, v49, v50
	v_ldexp_f32 v50, v54, v50
	v_add_f32_e32 v54, -1.0, v49
	v_add_f32_e32 v51, 1.0, v54
	v_sub_f32_e32 v51, v49, v51
	v_add_f32_e32 v55, v50, v51
	v_add_f32_e32 v51, 1.0, v49
	v_add_f32_e32 v64, -1.0, v51
	v_sub_f32_e32 v49, v49, v64
	v_add_f32_e32 v49, v50, v49
	v_add_f32_e32 v69, v51, v49
	v_rcp_f32_e32 v132, v69
	v_sub_f32_e32 v50, v51, v69
	v_add_f32_e32 v51, v54, v55
	v_add_f32_e32 v49, v49, v50
	v_mul_f32_e32 v134, v51, v132
	v_sub_f32_e32 v50, v54, v51
	v_mul_f32_e32 v54, v69, v134
	v_fma_f32 v64, v134, v69, -v54
	v_fmac_f32_e32 v64, v134, v49
	v_add_f32_e32 v133, v55, v50
	v_add_f32_e32 v50, v54, v64
	v_sub_f32_e32 v55, v51, v50
	v_pk_add_f32 v[66:67], v[50:51], v[54:55] neg_lo:[0,1] neg_hi:[0,1]
	v_mov_b32_e32 v65, v50
	v_pk_add_f32 v[50:51], v[66:67], v[64:65] neg_lo:[0,1] neg_hi:[0,1]
	v_cmp_eq_f32_e32 vcc, s59, v53
	v_add_f32_e32 v51, v133, v51
	v_add_f32_e32 v50, v50, v51
	;; [unrolled: 1-line block ×3, first 2 shown]
	v_mul_f32_e32 v133, v132, v51
	v_mul_f32_e32 v54, v69, v133
	v_fma_f32 v64, v133, v69, -v54
	v_fmac_f32_e32 v64, v133, v49
	v_sub_f32_e32 v49, v55, v51
	v_add_f32_e32 v49, v50, v49
	v_add_f32_e32 v50, v54, v64
	v_sub_f32_e32 v55, v51, v50
	v_pk_add_f32 v[66:67], v[50:51], v[54:55] neg_lo:[0,1] neg_hi:[0,1]
	v_mov_b32_e32 v65, v50
	v_pk_add_f32 v[50:51], v[66:67], v[64:65] neg_lo:[0,1] neg_hi:[0,1]
	v_cvt_f32_i32_e32 v54, v68
	v_add_f32_e32 v49, v49, v51
	v_add_f32_e32 v49, v50, v49
	v_add_f32_e32 v50, v134, v133
	v_add_f32_e32 v49, v55, v49
	v_sub_f32_e32 v51, v50, v134
	v_mul_f32_e32 v49, v132, v49
	v_sub_f32_e32 v51, v133, v51
	v_add_f32_e32 v49, v51, v49
	v_add_f32_e32 v55, v50, v49
	v_mul_f32_e32 v64, v55, v55
	v_mov_b32_e32 v51, 0x3ecc95a3
	v_fmac_f32_e32 v51, 0x3e9b6dac, v64
	v_sub_f32_e32 v50, v55, v50
	v_fmaak_f32 v51, v64, v51, 0x3f2aaada
	v_sub_f32_e32 v49, v49, v50
	v_ldexp_f32 v65, v55, 1
	v_mul_f32_e32 v55, v55, v64
	v_mov_b32_e32 v50, 0x3f317218
	v_pk_mul_f32 v[50:51], v[54:55], v[50:51]
	v_ldexp_f32 v49, v49, 1
	v_fma_f32 v55, v54, s58, -v50
	v_fmamk_f32 v64, v54, 0xb102e308, v55
	v_pk_add_f32 v[54:55], v[50:51], v[64:65]
	v_mov_b32_e32 v66, v50
	v_sub_f32_e32 v65, v55, v65
	v_sub_f32_e32 v65, v51, v65
	v_add_f32_e32 v67, v49, v65
	v_pk_add_f32 v[50:51], v[54:55], v[50:51] neg_lo:[0,1] neg_hi:[0,1]
	v_pk_add_f32 v[68:69], v[54:55], v[66:67]
	v_mov_b32_e32 v65, v54
	v_mov_b32_e32 v51, v69
	v_pk_add_f32 v[132:133], v[64:65], v[50:51] neg_lo:[0,1] neg_hi:[0,1]
	v_pk_add_f32 v[50:51], v[64:65], v[50:51]
	v_mov_b32_e32 v66, v67
	v_mov_b32_e32 v64, v51
	v_pk_add_f32 v[134:135], v[64:65], v[54:55] neg_lo:[0,1] neg_hi:[0,1]
	v_mov_b32_e32 v50, v69
	v_mov_b32_e32 v49, v134
	v_pk_add_f32 v[144:145], v[68:69], v[48:49] neg_lo:[0,1] neg_hi:[0,1]
	v_mov_b32_e32 v68, v55
	v_mov_b32_e32 v69, v134
	;; [unrolled: 1-line block ×3, first 2 shown]
	v_pk_add_f32 v[50:51], v[50:51], v[68:69] neg_lo:[0,1] neg_hi:[0,1]
	v_mov_b32_e32 v67, v54
	v_pk_add_f32 v[50:51], v[66:67], v[50:51] neg_lo:[0,1] neg_hi:[0,1]
	v_mov_b32_e32 v144, v132
	v_pk_add_f32 v[54:55], v[144:145], v[50:51]
	s_mov_b32 s58, 0x33800000
	v_mov_b32_e32 v66, v55
	v_pk_add_f32 v[66:67], v[54:55], v[66:67]
	v_cmp_lt_f32_e64 s[58:59], |v53|, s58
	v_pk_add_f32 v[64:65], v[64:65], v[66:67]
	v_mov_b32_e32 v51, v66
	v_mov_b32_e32 v55, v64
	v_pk_add_f32 v[68:69], v[54:55], v[132:133] neg_lo:[0,1] neg_hi:[0,1]
	s_or_b64 vcc, vcc, s[58:59]
	v_sub_f32_e32 v49, v54, v68
	v_pk_add_f32 v[50:51], v[50:51], v[68:69] neg_lo:[0,1] neg_hi:[0,1]
	v_sub_f32_e32 v49, v132, v49
	v_add_f32_e32 v49, v50, v49
	v_add_f32_e32 v49, v49, v51
	;; [unrolled: 1-line block ×3, first 2 shown]
	v_cndmask_b32_e32 v49, v49, v53, vcc
	v_add_f32_e32 v132, v48, v49
.LBB161_101:
	s_or_b64 exec, exec, s[56:57]
	v_lshrrev_b32_e32 v48, 5, v100
	v_add_lshl_u32 v48, v48, v100, 2
	v_cmp_gt_u32_e32 vcc, 64, v100
	ds_write_b32 v48, v132
	s_waitcnt lgkmcnt(0)
	s_barrier
	s_and_saveexec_b64 s[62:63], vcc
	s_cbranch_execz .LBB161_141
; %bb.102:
	v_lshrrev_b32_e32 v48, 3, v100
	v_add_lshl_u32 v50, v48, v0, 2
	ds_read2_b32 v[48:49], v50 offset1:1
	s_movk_i32 s64, 0x1f8
	s_waitcnt lgkmcnt(0)
	v_max_f32_e32 v53, v49, v49
	v_max_f32_e32 v51, v48, v48
	v_min_f32_e32 v54, v51, v53
	v_max_f32_e32 v55, v51, v53
	v_cmp_u_f32_e64 s[56:57], v48, v48
	v_cmp_u_f32_e64 s[58:59], v49, v49
	s_nop 0
	v_cndmask_b32_e64 v53, v54, v48, s[56:57]
	v_cndmask_b32_e64 v54, v55, v48, s[56:57]
	;; [unrolled: 1-line block ×4, first 2 shown]
	v_cmp_neq_f32_e64 s[58:59], v53, v49
	v_cmp_class_f32_e64 s[60:61], v53, s64
	s_or_b64 s[58:59], s[58:59], s[60:61]
	v_mov_b32_e32 v54, v48
	s_and_saveexec_b64 s[60:61], s[58:59]
	s_cbranch_execz .LBB161_104
; %bb.103:
	v_sub_f32_e32 v53, v53, v49
	s_mov_b32 s58, 0x3fb8aa3b
	v_mul_f32_e32 v54, 0x3fb8aa3b, v53
	v_fma_f32 v55, v53, s58, -v54
	v_rndne_f32_e32 v64, v54
	v_fmamk_f32 v55, v53, 0x32a5705f, v55
	v_sub_f32_e32 v54, v54, v64
	v_add_f32_e32 v54, v54, v55
	v_exp_f32_e32 v54, v54
	v_cvt_i32_f32_e32 v55, v64
	s_mov_b32 s58, 0xc2ce8ed0
	v_cmp_ngt_f32_e64 s[58:59], s58, v53
	s_mov_b32 s65, 0x7f800000
	v_ldexp_f32 v54, v54, v55
	v_cndmask_b32_e64 v54, 0, v54, s[58:59]
	s_mov_b32 s58, 0x42b17218
	v_mov_b32_e32 v55, 0x7f800000
	v_cmp_nlt_f32_e64 s[58:59], s58, v53
	s_nop 1
	v_cndmask_b32_e64 v133, v55, v54, s[58:59]
	v_add_f32_e32 v53, 1.0, v133
	v_add_f32_e32 v54, -1.0, v53
	v_sub_f32_e32 v55, v54, v53
	v_add_f32_e32 v55, 1.0, v55
	v_sub_f32_e32 v54, v133, v54
	v_add_f32_e32 v64, v54, v55
	v_frexp_mant_f32_e32 v65, v53
	s_mov_b32 s58, 0x3f2aaaab
	v_cvt_f64_f32_e32 v[54:55], v53
	v_frexp_exp_i32_f64_e32 v54, v[54:55]
	v_cmp_gt_f32_e64 s[58:59], s58, v65
	s_nop 1
	v_subbrev_co_u32_e64 v134, s[58:59], 0, v54, s[58:59]
	v_sub_u32_e32 v54, 0, v134
	v_ldexp_f32 v53, v53, v54
	v_ldexp_f32 v54, v64, v54
	v_add_f32_e32 v64, -1.0, v53
	v_add_f32_e32 v55, 1.0, v64
	v_sub_f32_e32 v55, v53, v55
	v_add_f32_e32 v65, v54, v55
	v_add_f32_e32 v55, 1.0, v53
	v_add_f32_e32 v66, -1.0, v55
	v_sub_f32_e32 v53, v53, v66
	v_add_f32_e32 v53, v54, v53
	v_add_f32_e32 v135, v55, v53
	v_rcp_f32_e32 v144, v135
	v_sub_f32_e32 v54, v55, v135
	v_add_f32_e32 v55, v64, v65
	v_add_f32_e32 v53, v53, v54
	v_mul_f32_e32 v146, v55, v144
	v_sub_f32_e32 v54, v64, v55
	v_mul_f32_e32 v64, v135, v146
	v_fma_f32 v66, v146, v135, -v64
	v_fmac_f32_e32 v66, v146, v53
	v_add_f32_e32 v145, v65, v54
	v_add_f32_e32 v54, v64, v66
	v_sub_f32_e32 v65, v55, v54
	v_pk_add_f32 v[68:69], v[54:55], v[64:65] neg_lo:[0,1] neg_hi:[0,1]
	v_mov_b32_e32 v67, v54
	v_pk_add_f32 v[54:55], v[68:69], v[66:67] neg_lo:[0,1] neg_hi:[0,1]
	s_mov_b32 s58, 0x3f317218
	v_add_f32_e32 v55, v145, v55
	v_add_f32_e32 v54, v54, v55
	;; [unrolled: 1-line block ×3, first 2 shown]
	v_mul_f32_e32 v145, v144, v55
	v_mul_f32_e32 v64, v135, v145
	v_fma_f32 v66, v145, v135, -v64
	v_fmac_f32_e32 v66, v145, v53
	v_sub_f32_e32 v53, v65, v55
	v_add_f32_e32 v53, v54, v53
	v_add_f32_e32 v54, v64, v66
	v_sub_f32_e32 v65, v55, v54
	v_pk_add_f32 v[68:69], v[54:55], v[64:65] neg_lo:[0,1] neg_hi:[0,1]
	v_mov_b32_e32 v67, v54
	v_pk_add_f32 v[54:55], v[68:69], v[66:67] neg_lo:[0,1] neg_hi:[0,1]
	v_cvt_f32_i32_e32 v64, v134
	v_add_f32_e32 v53, v53, v55
	v_add_f32_e32 v53, v54, v53
	;; [unrolled: 1-line block ×4, first 2 shown]
	v_sub_f32_e32 v55, v54, v146
	v_mul_f32_e32 v53, v144, v53
	v_sub_f32_e32 v55, v145, v55
	v_add_f32_e32 v53, v55, v53
	v_add_f32_e32 v65, v54, v53
	v_mul_f32_e32 v66, v65, v65
	v_mov_b32_e32 v55, 0x3ecc95a3
	v_fmac_f32_e32 v55, 0x3e9b6dac, v66
	v_sub_f32_e32 v54, v65, v54
	v_fmaak_f32 v55, v66, v55, 0x3f2aaada
	v_sub_f32_e32 v53, v53, v54
	v_ldexp_f32 v67, v65, 1
	v_mul_f32_e32 v65, v65, v66
	v_mov_b32_e32 v54, 0x3f317218
	v_pk_mul_f32 v[54:55], v[64:65], v[54:55]
	v_ldexp_f32 v53, v53, 1
	v_fma_f32 v65, v64, s58, -v54
	v_fmamk_f32 v66, v64, 0xb102e308, v65
	v_pk_add_f32 v[64:65], v[54:55], v[66:67]
	v_mov_b32_e32 v68, v54
	v_sub_f32_e32 v67, v65, v67
	v_sub_f32_e32 v67, v55, v67
	v_add_f32_e32 v69, v53, v67
	v_pk_add_f32 v[54:55], v[64:65], v[54:55] neg_lo:[0,1] neg_hi:[0,1]
	v_pk_add_f32 v[134:135], v[64:65], v[68:69]
	v_mov_b32_e32 v67, v64
	v_mov_b32_e32 v55, v135
	v_pk_add_f32 v[144:145], v[66:67], v[54:55] neg_lo:[0,1] neg_hi:[0,1]
	v_pk_add_f32 v[54:55], v[66:67], v[54:55]
	v_mov_b32_e32 v68, v69
	v_mov_b32_e32 v66, v55
	v_pk_add_f32 v[146:147], v[66:67], v[64:65] neg_lo:[0,1] neg_hi:[0,1]
	v_mov_b32_e32 v54, v135
	v_mov_b32_e32 v53, v146
	v_pk_add_f32 v[148:149], v[134:135], v[52:53] neg_lo:[0,1] neg_hi:[0,1]
	v_mov_b32_e32 v134, v65
	v_mov_b32_e32 v135, v146
	;; [unrolled: 1-line block ×3, first 2 shown]
	v_pk_add_f32 v[54:55], v[54:55], v[134:135] neg_lo:[0,1] neg_hi:[0,1]
	v_mov_b32_e32 v69, v64
	v_pk_add_f32 v[54:55], v[68:69], v[54:55] neg_lo:[0,1] neg_hi:[0,1]
	v_mov_b32_e32 v148, v144
	v_pk_add_f32 v[64:65], v[148:149], v[54:55]
	v_cmp_eq_f32_e64 s[58:59], s65, v133
	v_mov_b32_e32 v68, v65
	v_pk_add_f32 v[68:69], v[64:65], v[68:69]
	s_mov_b32 s65, 0x33800000
	v_pk_add_f32 v[66:67], v[66:67], v[68:69]
	v_mov_b32_e32 v55, v68
	v_mov_b32_e32 v65, v66
	v_pk_add_f32 v[134:135], v[64:65], v[144:145] neg_lo:[0,1] neg_hi:[0,1]
	v_cmp_lt_f32_e64 s[66:67], |v133|, s65
	v_sub_f32_e32 v53, v64, v134
	v_pk_add_f32 v[54:55], v[54:55], v[134:135] neg_lo:[0,1] neg_hi:[0,1]
	v_sub_f32_e32 v53, v144, v53
	v_add_f32_e32 v53, v54, v53
	v_add_f32_e32 v53, v53, v55
	;; [unrolled: 1-line block ×3, first 2 shown]
	s_or_b64 s[58:59], s[58:59], s[66:67]
	v_cndmask_b32_e64 v53, v53, v133, s[58:59]
	v_add_f32_e32 v54, v49, v53
.LBB161_104:
	s_or_b64 exec, exec, s[60:61]
	ds_read_b32 v49, v50 offset:8
	v_max_f32_e32 v53, v54, v54
	v_cmp_u_f32_e64 s[58:59], v54, v54
	s_waitcnt lgkmcnt(0)
	v_max_f32_e32 v55, v49, v49
	v_min_f32_e32 v64, v53, v55
	v_max_f32_e32 v55, v53, v55
	v_cndmask_b32_e64 v53, v64, v54, s[58:59]
	v_cmp_u_f32_e64 s[60:61], v49, v49
	v_cndmask_b32_e64 v55, v55, v54, s[58:59]
	s_nop 0
	v_cndmask_b32_e64 v53, v53, v49, s[60:61]
	v_cndmask_b32_e64 v49, v55, v49, s[60:61]
	v_cmp_neq_f32_e64 s[58:59], v53, v49
	v_cmp_class_f32_e64 s[60:61], v53, s64
	s_or_b64 s[58:59], s[58:59], s[60:61]
	s_and_saveexec_b64 s[60:61], s[58:59]
	s_cbranch_execz .LBB161_106
; %bb.105:
	v_sub_f32_e32 v53, v53, v49
	s_mov_b32 s58, 0x3fb8aa3b
	v_mul_f32_e32 v54, 0x3fb8aa3b, v53
	v_fma_f32 v55, v53, s58, -v54
	v_rndne_f32_e32 v64, v54
	v_fmamk_f32 v55, v53, 0x32a5705f, v55
	v_sub_f32_e32 v54, v54, v64
	v_add_f32_e32 v54, v54, v55
	v_exp_f32_e32 v54, v54
	v_cvt_i32_f32_e32 v55, v64
	s_mov_b32 s58, 0xc2ce8ed0
	v_cmp_ngt_f32_e64 s[58:59], s58, v53
	s_mov_b32 s64, 0x7f800000
	v_ldexp_f32 v54, v54, v55
	v_cndmask_b32_e64 v54, 0, v54, s[58:59]
	s_mov_b32 s58, 0x42b17218
	v_mov_b32_e32 v55, 0x7f800000
	v_cmp_nlt_f32_e64 s[58:59], s58, v53
	s_nop 1
	v_cndmask_b32_e64 v133, v55, v54, s[58:59]
	v_add_f32_e32 v53, 1.0, v133
	v_add_f32_e32 v54, -1.0, v53
	v_sub_f32_e32 v55, v54, v53
	v_add_f32_e32 v55, 1.0, v55
	v_sub_f32_e32 v54, v133, v54
	v_add_f32_e32 v64, v54, v55
	v_frexp_mant_f32_e32 v65, v53
	s_mov_b32 s58, 0x3f2aaaab
	v_cvt_f64_f32_e32 v[54:55], v53
	v_frexp_exp_i32_f64_e32 v54, v[54:55]
	v_cmp_gt_f32_e64 s[58:59], s58, v65
	s_nop 1
	v_subbrev_co_u32_e64 v134, s[58:59], 0, v54, s[58:59]
	v_sub_u32_e32 v54, 0, v134
	v_ldexp_f32 v53, v53, v54
	v_ldexp_f32 v54, v64, v54
	v_add_f32_e32 v64, -1.0, v53
	v_add_f32_e32 v55, 1.0, v64
	v_sub_f32_e32 v55, v53, v55
	v_add_f32_e32 v65, v54, v55
	v_add_f32_e32 v55, 1.0, v53
	v_add_f32_e32 v66, -1.0, v55
	v_sub_f32_e32 v53, v53, v66
	v_add_f32_e32 v53, v54, v53
	v_add_f32_e32 v135, v55, v53
	v_rcp_f32_e32 v144, v135
	v_sub_f32_e32 v54, v55, v135
	v_add_f32_e32 v55, v64, v65
	v_add_f32_e32 v53, v53, v54
	v_mul_f32_e32 v146, v55, v144
	v_sub_f32_e32 v54, v64, v55
	v_mul_f32_e32 v64, v135, v146
	v_fma_f32 v66, v146, v135, -v64
	v_fmac_f32_e32 v66, v146, v53
	v_add_f32_e32 v145, v65, v54
	v_add_f32_e32 v54, v64, v66
	v_sub_f32_e32 v65, v55, v54
	v_pk_add_f32 v[68:69], v[54:55], v[64:65] neg_lo:[0,1] neg_hi:[0,1]
	v_mov_b32_e32 v67, v54
	v_pk_add_f32 v[54:55], v[68:69], v[66:67] neg_lo:[0,1] neg_hi:[0,1]
	s_mov_b32 s58, 0x3f317218
	v_add_f32_e32 v55, v145, v55
	v_add_f32_e32 v54, v54, v55
	;; [unrolled: 1-line block ×3, first 2 shown]
	v_mul_f32_e32 v145, v144, v55
	v_mul_f32_e32 v64, v135, v145
	v_fma_f32 v66, v145, v135, -v64
	v_fmac_f32_e32 v66, v145, v53
	v_sub_f32_e32 v53, v65, v55
	v_add_f32_e32 v53, v54, v53
	v_add_f32_e32 v54, v64, v66
	v_sub_f32_e32 v65, v55, v54
	v_pk_add_f32 v[68:69], v[54:55], v[64:65] neg_lo:[0,1] neg_hi:[0,1]
	v_mov_b32_e32 v67, v54
	v_pk_add_f32 v[54:55], v[68:69], v[66:67] neg_lo:[0,1] neg_hi:[0,1]
	v_cvt_f32_i32_e32 v64, v134
	v_add_f32_e32 v53, v53, v55
	v_add_f32_e32 v53, v54, v53
	;; [unrolled: 1-line block ×4, first 2 shown]
	v_sub_f32_e32 v55, v54, v146
	v_mul_f32_e32 v53, v144, v53
	v_sub_f32_e32 v55, v145, v55
	v_add_f32_e32 v53, v55, v53
	v_add_f32_e32 v65, v54, v53
	v_mul_f32_e32 v66, v65, v65
	v_mov_b32_e32 v55, 0x3ecc95a3
	v_fmac_f32_e32 v55, 0x3e9b6dac, v66
	v_sub_f32_e32 v54, v65, v54
	v_fmaak_f32 v55, v66, v55, 0x3f2aaada
	v_sub_f32_e32 v53, v53, v54
	v_ldexp_f32 v67, v65, 1
	v_mul_f32_e32 v65, v65, v66
	v_mov_b32_e32 v54, 0x3f317218
	v_pk_mul_f32 v[54:55], v[64:65], v[54:55]
	v_ldexp_f32 v53, v53, 1
	v_fma_f32 v65, v64, s58, -v54
	v_fmamk_f32 v66, v64, 0xb102e308, v65
	v_pk_add_f32 v[64:65], v[54:55], v[66:67]
	v_mov_b32_e32 v68, v54
	v_sub_f32_e32 v67, v65, v67
	v_sub_f32_e32 v67, v55, v67
	v_add_f32_e32 v69, v53, v67
	v_pk_add_f32 v[54:55], v[64:65], v[54:55] neg_lo:[0,1] neg_hi:[0,1]
	v_pk_add_f32 v[134:135], v[64:65], v[68:69]
	v_mov_b32_e32 v67, v64
	v_mov_b32_e32 v55, v135
	v_pk_add_f32 v[144:145], v[66:67], v[54:55] neg_lo:[0,1] neg_hi:[0,1]
	v_pk_add_f32 v[54:55], v[66:67], v[54:55]
	v_mov_b32_e32 v68, v69
	v_mov_b32_e32 v66, v55
	v_pk_add_f32 v[146:147], v[66:67], v[64:65] neg_lo:[0,1] neg_hi:[0,1]
	v_mov_b32_e32 v54, v135
	v_mov_b32_e32 v53, v146
	v_pk_add_f32 v[148:149], v[134:135], v[52:53] neg_lo:[0,1] neg_hi:[0,1]
	v_mov_b32_e32 v134, v65
	v_mov_b32_e32 v135, v146
	;; [unrolled: 1-line block ×3, first 2 shown]
	v_pk_add_f32 v[54:55], v[54:55], v[134:135] neg_lo:[0,1] neg_hi:[0,1]
	v_mov_b32_e32 v69, v64
	v_pk_add_f32 v[54:55], v[68:69], v[54:55] neg_lo:[0,1] neg_hi:[0,1]
	v_mov_b32_e32 v148, v144
	v_pk_add_f32 v[64:65], v[148:149], v[54:55]
	v_cmp_eq_f32_e64 s[58:59], s64, v133
	v_mov_b32_e32 v68, v65
	v_pk_add_f32 v[68:69], v[64:65], v[68:69]
	s_mov_b32 s64, 0x33800000
	v_pk_add_f32 v[66:67], v[66:67], v[68:69]
	v_mov_b32_e32 v55, v68
	v_mov_b32_e32 v65, v66
	v_pk_add_f32 v[134:135], v[64:65], v[144:145] neg_lo:[0,1] neg_hi:[0,1]
	v_cmp_lt_f32_e64 s[64:65], |v133|, s64
	v_sub_f32_e32 v53, v64, v134
	v_pk_add_f32 v[54:55], v[54:55], v[134:135] neg_lo:[0,1] neg_hi:[0,1]
	v_sub_f32_e32 v53, v144, v53
	v_add_f32_e32 v53, v54, v53
	v_add_f32_e32 v53, v53, v55
	;; [unrolled: 1-line block ×3, first 2 shown]
	s_or_b64 s[58:59], s[58:59], s[64:65]
	v_cndmask_b32_e64 v53, v53, v133, s[58:59]
	v_add_f32_e32 v54, v49, v53
.LBB161_106:
	s_or_b64 exec, exec, s[60:61]
	ds_read_b32 v49, v50 offset:12
	v_max_f32_e32 v53, v54, v54
	v_cmp_u_f32_e64 s[58:59], v54, v54
	s_waitcnt lgkmcnt(0)
	v_max_f32_e32 v55, v49, v49
	v_min_f32_e32 v64, v53, v55
	v_max_f32_e32 v55, v53, v55
	v_cndmask_b32_e64 v53, v64, v54, s[58:59]
	v_cmp_u_f32_e64 s[60:61], v49, v49
	v_cndmask_b32_e64 v55, v55, v54, s[58:59]
	s_nop 0
	v_cndmask_b32_e64 v53, v53, v49, s[60:61]
	v_cndmask_b32_e64 v49, v55, v49, s[60:61]
	s_movk_i32 s60, 0x1f8
	v_cmp_neq_f32_e64 s[58:59], v53, v49
	v_cmp_class_f32_e64 s[60:61], v53, s60
	s_or_b64 s[58:59], s[58:59], s[60:61]
	s_and_saveexec_b64 s[60:61], s[58:59]
	s_cbranch_execz .LBB161_108
; %bb.107:
	v_sub_f32_e32 v53, v53, v49
	s_mov_b32 s58, 0x3fb8aa3b
	v_mul_f32_e32 v54, 0x3fb8aa3b, v53
	v_fma_f32 v55, v53, s58, -v54
	v_rndne_f32_e32 v64, v54
	v_fmamk_f32 v55, v53, 0x32a5705f, v55
	v_sub_f32_e32 v54, v54, v64
	v_add_f32_e32 v54, v54, v55
	v_exp_f32_e32 v54, v54
	v_cvt_i32_f32_e32 v55, v64
	s_mov_b32 s58, 0xc2ce8ed0
	v_cmp_ngt_f32_e64 s[58:59], s58, v53
	s_mov_b32 s64, 0x7f800000
	v_ldexp_f32 v54, v54, v55
	v_cndmask_b32_e64 v54, 0, v54, s[58:59]
	s_mov_b32 s58, 0x42b17218
	v_mov_b32_e32 v55, 0x7f800000
	v_cmp_nlt_f32_e64 s[58:59], s58, v53
	s_nop 1
	v_cndmask_b32_e64 v133, v55, v54, s[58:59]
	v_add_f32_e32 v53, 1.0, v133
	v_add_f32_e32 v54, -1.0, v53
	v_sub_f32_e32 v55, v54, v53
	v_add_f32_e32 v55, 1.0, v55
	v_sub_f32_e32 v54, v133, v54
	v_add_f32_e32 v64, v54, v55
	v_frexp_mant_f32_e32 v65, v53
	s_mov_b32 s58, 0x3f2aaaab
	v_cvt_f64_f32_e32 v[54:55], v53
	v_frexp_exp_i32_f64_e32 v54, v[54:55]
	v_cmp_gt_f32_e64 s[58:59], s58, v65
	s_nop 1
	v_subbrev_co_u32_e64 v134, s[58:59], 0, v54, s[58:59]
	v_sub_u32_e32 v54, 0, v134
	v_ldexp_f32 v53, v53, v54
	v_ldexp_f32 v54, v64, v54
	v_add_f32_e32 v64, -1.0, v53
	v_add_f32_e32 v55, 1.0, v64
	v_sub_f32_e32 v55, v53, v55
	v_add_f32_e32 v65, v54, v55
	v_add_f32_e32 v55, 1.0, v53
	v_add_f32_e32 v66, -1.0, v55
	v_sub_f32_e32 v53, v53, v66
	v_add_f32_e32 v53, v54, v53
	v_add_f32_e32 v135, v55, v53
	v_rcp_f32_e32 v144, v135
	v_sub_f32_e32 v54, v55, v135
	v_add_f32_e32 v55, v64, v65
	v_add_f32_e32 v53, v53, v54
	v_mul_f32_e32 v146, v55, v144
	v_sub_f32_e32 v54, v64, v55
	v_mul_f32_e32 v64, v135, v146
	v_fma_f32 v66, v146, v135, -v64
	v_fmac_f32_e32 v66, v146, v53
	v_add_f32_e32 v145, v65, v54
	v_add_f32_e32 v54, v64, v66
	v_sub_f32_e32 v65, v55, v54
	v_pk_add_f32 v[68:69], v[54:55], v[64:65] neg_lo:[0,1] neg_hi:[0,1]
	v_mov_b32_e32 v67, v54
	v_pk_add_f32 v[54:55], v[68:69], v[66:67] neg_lo:[0,1] neg_hi:[0,1]
	s_mov_b32 s58, 0x3f317218
	v_add_f32_e32 v55, v145, v55
	v_add_f32_e32 v54, v54, v55
	v_add_f32_e32 v55, v65, v54
	v_mul_f32_e32 v145, v144, v55
	v_mul_f32_e32 v64, v135, v145
	v_fma_f32 v66, v145, v135, -v64
	v_fmac_f32_e32 v66, v145, v53
	v_sub_f32_e32 v53, v65, v55
	v_add_f32_e32 v53, v54, v53
	v_add_f32_e32 v54, v64, v66
	v_sub_f32_e32 v65, v55, v54
	v_pk_add_f32 v[68:69], v[54:55], v[64:65] neg_lo:[0,1] neg_hi:[0,1]
	v_mov_b32_e32 v67, v54
	v_pk_add_f32 v[54:55], v[68:69], v[66:67] neg_lo:[0,1] neg_hi:[0,1]
	v_cvt_f32_i32_e32 v64, v134
	v_add_f32_e32 v53, v53, v55
	v_add_f32_e32 v53, v54, v53
	;; [unrolled: 1-line block ×4, first 2 shown]
	v_sub_f32_e32 v55, v54, v146
	v_mul_f32_e32 v53, v144, v53
	v_sub_f32_e32 v55, v145, v55
	v_add_f32_e32 v53, v55, v53
	v_add_f32_e32 v65, v54, v53
	v_mul_f32_e32 v66, v65, v65
	v_mov_b32_e32 v55, 0x3ecc95a3
	v_fmac_f32_e32 v55, 0x3e9b6dac, v66
	v_sub_f32_e32 v54, v65, v54
	v_fmaak_f32 v55, v66, v55, 0x3f2aaada
	v_sub_f32_e32 v53, v53, v54
	v_ldexp_f32 v67, v65, 1
	v_mul_f32_e32 v65, v65, v66
	v_mov_b32_e32 v54, 0x3f317218
	v_pk_mul_f32 v[54:55], v[64:65], v[54:55]
	v_ldexp_f32 v53, v53, 1
	v_fma_f32 v65, v64, s58, -v54
	v_fmamk_f32 v66, v64, 0xb102e308, v65
	v_pk_add_f32 v[64:65], v[54:55], v[66:67]
	v_mov_b32_e32 v68, v54
	v_sub_f32_e32 v67, v65, v67
	v_sub_f32_e32 v67, v55, v67
	v_add_f32_e32 v69, v53, v67
	v_pk_add_f32 v[54:55], v[64:65], v[54:55] neg_lo:[0,1] neg_hi:[0,1]
	v_pk_add_f32 v[134:135], v[64:65], v[68:69]
	v_mov_b32_e32 v67, v64
	v_mov_b32_e32 v55, v135
	v_pk_add_f32 v[144:145], v[66:67], v[54:55] neg_lo:[0,1] neg_hi:[0,1]
	v_pk_add_f32 v[54:55], v[66:67], v[54:55]
	v_mov_b32_e32 v68, v69
	v_mov_b32_e32 v66, v55
	v_pk_add_f32 v[146:147], v[66:67], v[64:65] neg_lo:[0,1] neg_hi:[0,1]
	v_mov_b32_e32 v54, v135
	v_mov_b32_e32 v53, v146
	v_pk_add_f32 v[148:149], v[134:135], v[52:53] neg_lo:[0,1] neg_hi:[0,1]
	v_mov_b32_e32 v134, v65
	v_mov_b32_e32 v135, v146
	v_mov_b32_e32 v145, v55
	v_pk_add_f32 v[54:55], v[54:55], v[134:135] neg_lo:[0,1] neg_hi:[0,1]
	v_mov_b32_e32 v69, v64
	v_pk_add_f32 v[54:55], v[68:69], v[54:55] neg_lo:[0,1] neg_hi:[0,1]
	v_mov_b32_e32 v148, v144
	v_pk_add_f32 v[64:65], v[148:149], v[54:55]
	v_cmp_eq_f32_e64 s[58:59], s64, v133
	v_mov_b32_e32 v68, v65
	v_pk_add_f32 v[68:69], v[64:65], v[68:69]
	s_mov_b32 s64, 0x33800000
	v_pk_add_f32 v[66:67], v[66:67], v[68:69]
	v_mov_b32_e32 v55, v68
	v_mov_b32_e32 v65, v66
	v_pk_add_f32 v[134:135], v[64:65], v[144:145] neg_lo:[0,1] neg_hi:[0,1]
	v_cmp_lt_f32_e64 s[64:65], |v133|, s64
	v_sub_f32_e32 v53, v64, v134
	v_pk_add_f32 v[54:55], v[54:55], v[134:135] neg_lo:[0,1] neg_hi:[0,1]
	v_sub_f32_e32 v53, v144, v53
	v_add_f32_e32 v53, v54, v53
	v_add_f32_e32 v53, v53, v55
	;; [unrolled: 1-line block ×3, first 2 shown]
	s_or_b64 s[58:59], s[58:59], s[64:65]
	v_cndmask_b32_e64 v53, v53, v133, s[58:59]
	v_add_f32_e32 v54, v49, v53
.LBB161_108:
	s_or_b64 exec, exec, s[60:61]
	v_mbcnt_lo_u32_b32 v49, -1, 0
	v_mbcnt_hi_u32_b32 v49, -1, v49
	v_and_b32_e32 v53, 15, v49
	v_mov_b32_dpp v55, v54 row_shr:1 row_mask:0xf bank_mask:0xf
	v_cmp_ne_u32_e64 s[58:59], 0, v53
	s_and_saveexec_b64 s[60:61], s[58:59]
	s_xor_b64 s[64:65], exec, s[60:61]
	s_cbranch_execz .LBB161_112
; %bb.109:
	v_max_f32_e32 v65, v54, v54
	v_max_f32_e32 v66, v55, v55
	v_min_f32_e32 v64, v66, v65
	v_cmp_u_f32_e64 s[58:59], v55, v55
	v_max_f32_e32 v65, v66, v65
	v_cmp_u_f32_e64 s[60:61], v54, v54
	v_cndmask_b32_e64 v64, v64, v55, s[58:59]
	v_cndmask_b32_e64 v65, v65, v55, s[58:59]
	;; [unrolled: 1-line block ×4, first 2 shown]
	s_movk_i32 s60, 0x1f8
	v_cmp_neq_f32_e64 s[58:59], v64, v54
	v_cmp_class_f32_e64 s[60:61], v64, s60
	s_or_b64 s[58:59], s[58:59], s[60:61]
	s_and_saveexec_b64 s[60:61], s[58:59]
	s_cbranch_execz .LBB161_111
; %bb.110:
	v_sub_f32_e32 v55, v64, v54
	s_mov_b32 s58, 0x3fb8aa3b
	v_mul_f32_e32 v64, 0x3fb8aa3b, v55
	v_fma_f32 v65, v55, s58, -v64
	v_rndne_f32_e32 v66, v64
	v_fmamk_f32 v65, v55, 0x32a5705f, v65
	v_sub_f32_e32 v64, v64, v66
	v_add_f32_e32 v64, v64, v65
	v_exp_f32_e32 v64, v64
	v_cvt_i32_f32_e32 v65, v66
	s_mov_b32 s58, 0xc2ce8ed0
	v_cmp_ngt_f32_e64 s[58:59], s58, v55
	s_mov_b32 s66, 0x7f800000
	v_ldexp_f32 v64, v64, v65
	v_cndmask_b32_e64 v64, 0, v64, s[58:59]
	s_mov_b32 s58, 0x42b17218
	v_mov_b32_e32 v65, 0x7f800000
	v_cmp_nlt_f32_e64 s[58:59], s58, v55
	s_nop 1
	v_cndmask_b32_e64 v133, v65, v64, s[58:59]
	v_add_f32_e32 v55, 1.0, v133
	v_add_f32_e32 v64, -1.0, v55
	v_sub_f32_e32 v65, v64, v55
	v_add_f32_e32 v65, 1.0, v65
	v_sub_f32_e32 v64, v133, v64
	v_add_f32_e32 v66, v64, v65
	v_frexp_mant_f32_e32 v67, v55
	s_mov_b32 s58, 0x3f2aaaab
	v_cvt_f64_f32_e32 v[64:65], v55
	v_frexp_exp_i32_f64_e32 v64, v[64:65]
	v_cmp_gt_f32_e64 s[58:59], s58, v67
	s_nop 1
	v_subbrev_co_u32_e64 v144, s[58:59], 0, v64, s[58:59]
	v_sub_u32_e32 v64, 0, v144
	v_ldexp_f32 v55, v55, v64
	v_ldexp_f32 v64, v66, v64
	v_add_f32_e32 v66, -1.0, v55
	v_add_f32_e32 v65, 1.0, v66
	v_sub_f32_e32 v65, v55, v65
	v_add_f32_e32 v67, v64, v65
	v_add_f32_e32 v65, 1.0, v55
	v_add_f32_e32 v68, -1.0, v65
	v_sub_f32_e32 v55, v55, v68
	v_add_f32_e32 v55, v64, v55
	v_add_f32_e32 v145, v65, v55
	v_rcp_f32_e32 v146, v145
	v_sub_f32_e32 v64, v65, v145
	v_add_f32_e32 v65, v66, v67
	v_add_f32_e32 v55, v55, v64
	v_mul_f32_e32 v148, v65, v146
	v_sub_f32_e32 v64, v66, v65
	v_mul_f32_e32 v66, v145, v148
	v_fma_f32 v68, v148, v145, -v66
	v_fmac_f32_e32 v68, v148, v55
	v_add_f32_e32 v147, v67, v64
	v_add_f32_e32 v64, v66, v68
	v_sub_f32_e32 v67, v65, v64
	v_pk_add_f32 v[134:135], v[64:65], v[66:67] neg_lo:[0,1] neg_hi:[0,1]
	v_mov_b32_e32 v69, v64
	v_pk_add_f32 v[64:65], v[134:135], v[68:69] neg_lo:[0,1] neg_hi:[0,1]
	s_mov_b32 s58, 0x3f317218
	v_add_f32_e32 v65, v147, v65
	v_add_f32_e32 v64, v64, v65
	v_add_f32_e32 v65, v67, v64
	v_mul_f32_e32 v147, v146, v65
	v_mul_f32_e32 v66, v145, v147
	v_fma_f32 v68, v147, v145, -v66
	v_fmac_f32_e32 v68, v147, v55
	v_sub_f32_e32 v55, v67, v65
	v_add_f32_e32 v55, v64, v55
	v_add_f32_e32 v64, v66, v68
	v_sub_f32_e32 v67, v65, v64
	v_pk_add_f32 v[134:135], v[64:65], v[66:67] neg_lo:[0,1] neg_hi:[0,1]
	v_mov_b32_e32 v69, v64
	v_pk_add_f32 v[64:65], v[134:135], v[68:69] neg_lo:[0,1] neg_hi:[0,1]
	v_cvt_f32_i32_e32 v66, v144
	v_add_f32_e32 v55, v55, v65
	v_add_f32_e32 v55, v64, v55
	;; [unrolled: 1-line block ×4, first 2 shown]
	v_sub_f32_e32 v65, v64, v148
	v_mul_f32_e32 v55, v146, v55
	v_sub_f32_e32 v65, v147, v65
	v_add_f32_e32 v55, v65, v55
	v_add_f32_e32 v67, v64, v55
	v_mul_f32_e32 v68, v67, v67
	v_mov_b32_e32 v65, 0x3ecc95a3
	v_fmac_f32_e32 v65, 0x3e9b6dac, v68
	v_sub_f32_e32 v64, v67, v64
	v_fmaak_f32 v65, v68, v65, 0x3f2aaada
	v_sub_f32_e32 v55, v55, v64
	v_ldexp_f32 v69, v67, 1
	v_mul_f32_e32 v67, v67, v68
	v_mov_b32_e32 v64, 0x3f317218
	v_pk_mul_f32 v[64:65], v[66:67], v[64:65]
	v_ldexp_f32 v55, v55, 1
	v_fma_f32 v67, v66, s58, -v64
	v_fmamk_f32 v68, v66, 0xb102e308, v67
	v_pk_add_f32 v[66:67], v[64:65], v[68:69]
	v_mov_b32_e32 v134, v64
	v_sub_f32_e32 v69, v67, v69
	v_sub_f32_e32 v69, v65, v69
	v_add_f32_e32 v135, v55, v69
	v_pk_add_f32 v[64:65], v[66:67], v[64:65] neg_lo:[0,1] neg_hi:[0,1]
	v_pk_add_f32 v[144:145], v[66:67], v[134:135]
	v_mov_b32_e32 v69, v66
	v_mov_b32_e32 v65, v145
	v_pk_add_f32 v[146:147], v[68:69], v[64:65] neg_lo:[0,1] neg_hi:[0,1]
	v_pk_add_f32 v[64:65], v[68:69], v[64:65]
	v_mov_b32_e32 v134, v135
	v_mov_b32_e32 v68, v65
	v_pk_add_f32 v[148:149], v[68:69], v[66:67] neg_lo:[0,1] neg_hi:[0,1]
	v_mov_b32_e32 v64, v145
	v_mov_b32_e32 v55, v148
	v_pk_add_f32 v[150:151], v[144:145], v[54:55] neg_lo:[0,1] neg_hi:[0,1]
	v_mov_b32_e32 v144, v67
	v_mov_b32_e32 v145, v148
	;; [unrolled: 1-line block ×3, first 2 shown]
	v_pk_add_f32 v[64:65], v[64:65], v[144:145] neg_lo:[0,1] neg_hi:[0,1]
	v_mov_b32_e32 v135, v66
	v_pk_add_f32 v[64:65], v[134:135], v[64:65] neg_lo:[0,1] neg_hi:[0,1]
	v_mov_b32_e32 v150, v146
	v_pk_add_f32 v[66:67], v[150:151], v[64:65]
	v_cmp_eq_f32_e64 s[58:59], s66, v133
	v_mov_b32_e32 v134, v67
	v_pk_add_f32 v[134:135], v[66:67], v[134:135]
	s_mov_b32 s66, 0x33800000
	v_pk_add_f32 v[68:69], v[68:69], v[134:135]
	v_mov_b32_e32 v65, v134
	v_mov_b32_e32 v67, v68
	v_pk_add_f32 v[144:145], v[66:67], v[146:147] neg_lo:[0,1] neg_hi:[0,1]
	v_cmp_lt_f32_e64 s[66:67], |v133|, s66
	v_sub_f32_e32 v55, v66, v144
	v_pk_add_f32 v[64:65], v[64:65], v[144:145] neg_lo:[0,1] neg_hi:[0,1]
	v_sub_f32_e32 v55, v146, v55
	v_add_f32_e32 v55, v64, v55
	v_add_f32_e32 v55, v55, v65
	;; [unrolled: 1-line block ×3, first 2 shown]
	s_or_b64 s[58:59], s[58:59], s[66:67]
	v_cndmask_b32_e64 v55, v55, v133, s[58:59]
	v_add_f32_e32 v55, v54, v55
.LBB161_111:
	s_or_b64 exec, exec, s[60:61]
	v_mov_b32_e32 v54, v55
.LBB161_112:
	s_or_b64 exec, exec, s[64:65]
	s_nop 0
	v_mov_b32_dpp v55, v54 row_shr:2 row_mask:0xf bank_mask:0xf
	v_cmp_lt_u32_e64 s[58:59], 1, v53
	s_and_saveexec_b64 s[64:65], s[58:59]
	s_cbranch_execz .LBB161_116
; %bb.113:
	v_max_f32_e32 v65, v54, v54
	v_max_f32_e32 v66, v55, v55
	v_min_f32_e32 v64, v66, v65
	v_cmp_u_f32_e64 s[58:59], v55, v55
	v_max_f32_e32 v65, v66, v65
	v_cmp_u_f32_e64 s[60:61], v54, v54
	v_cndmask_b32_e64 v64, v64, v55, s[58:59]
	v_cndmask_b32_e64 v65, v65, v55, s[58:59]
	;; [unrolled: 1-line block ×4, first 2 shown]
	s_movk_i32 s60, 0x1f8
	v_cmp_neq_f32_e64 s[58:59], v64, v54
	v_cmp_class_f32_e64 s[60:61], v64, s60
	s_or_b64 s[58:59], s[58:59], s[60:61]
	s_and_saveexec_b64 s[60:61], s[58:59]
	s_cbranch_execz .LBB161_115
; %bb.114:
	v_sub_f32_e32 v55, v64, v54
	s_mov_b32 s58, 0x3fb8aa3b
	v_mul_f32_e32 v64, 0x3fb8aa3b, v55
	v_fma_f32 v65, v55, s58, -v64
	v_rndne_f32_e32 v66, v64
	v_fmamk_f32 v65, v55, 0x32a5705f, v65
	v_sub_f32_e32 v64, v64, v66
	v_add_f32_e32 v64, v64, v65
	v_exp_f32_e32 v64, v64
	v_cvt_i32_f32_e32 v65, v66
	s_mov_b32 s58, 0xc2ce8ed0
	v_cmp_ngt_f32_e64 s[58:59], s58, v55
	s_mov_b32 s66, 0x7f800000
	v_ldexp_f32 v64, v64, v65
	v_cndmask_b32_e64 v64, 0, v64, s[58:59]
	s_mov_b32 s58, 0x42b17218
	v_mov_b32_e32 v65, 0x7f800000
	v_cmp_nlt_f32_e64 s[58:59], s58, v55
	s_nop 1
	v_cndmask_b32_e64 v133, v65, v64, s[58:59]
	v_add_f32_e32 v55, 1.0, v133
	v_add_f32_e32 v64, -1.0, v55
	v_sub_f32_e32 v65, v64, v55
	v_add_f32_e32 v65, 1.0, v65
	v_sub_f32_e32 v64, v133, v64
	v_add_f32_e32 v66, v64, v65
	v_frexp_mant_f32_e32 v67, v55
	s_mov_b32 s58, 0x3f2aaaab
	v_cvt_f64_f32_e32 v[64:65], v55
	v_frexp_exp_i32_f64_e32 v64, v[64:65]
	v_cmp_gt_f32_e64 s[58:59], s58, v67
	s_nop 1
	v_subbrev_co_u32_e64 v144, s[58:59], 0, v64, s[58:59]
	v_sub_u32_e32 v64, 0, v144
	v_ldexp_f32 v55, v55, v64
	v_ldexp_f32 v64, v66, v64
	v_add_f32_e32 v66, -1.0, v55
	v_add_f32_e32 v65, 1.0, v66
	v_sub_f32_e32 v65, v55, v65
	v_add_f32_e32 v67, v64, v65
	v_add_f32_e32 v65, 1.0, v55
	v_add_f32_e32 v68, -1.0, v65
	v_sub_f32_e32 v55, v55, v68
	v_add_f32_e32 v55, v64, v55
	v_add_f32_e32 v145, v65, v55
	v_rcp_f32_e32 v146, v145
	v_sub_f32_e32 v64, v65, v145
	v_add_f32_e32 v65, v66, v67
	v_add_f32_e32 v55, v55, v64
	v_mul_f32_e32 v148, v65, v146
	v_sub_f32_e32 v64, v66, v65
	v_mul_f32_e32 v66, v145, v148
	v_fma_f32 v68, v148, v145, -v66
	v_fmac_f32_e32 v68, v148, v55
	v_add_f32_e32 v147, v67, v64
	v_add_f32_e32 v64, v66, v68
	v_sub_f32_e32 v67, v65, v64
	v_pk_add_f32 v[134:135], v[64:65], v[66:67] neg_lo:[0,1] neg_hi:[0,1]
	v_mov_b32_e32 v69, v64
	v_pk_add_f32 v[64:65], v[134:135], v[68:69] neg_lo:[0,1] neg_hi:[0,1]
	s_mov_b32 s58, 0x3f317218
	v_add_f32_e32 v65, v147, v65
	v_add_f32_e32 v64, v64, v65
	;; [unrolled: 1-line block ×3, first 2 shown]
	v_mul_f32_e32 v147, v146, v65
	v_mul_f32_e32 v66, v145, v147
	v_fma_f32 v68, v147, v145, -v66
	v_fmac_f32_e32 v68, v147, v55
	v_sub_f32_e32 v55, v67, v65
	v_add_f32_e32 v55, v64, v55
	v_add_f32_e32 v64, v66, v68
	v_sub_f32_e32 v67, v65, v64
	v_pk_add_f32 v[134:135], v[64:65], v[66:67] neg_lo:[0,1] neg_hi:[0,1]
	v_mov_b32_e32 v69, v64
	v_pk_add_f32 v[64:65], v[134:135], v[68:69] neg_lo:[0,1] neg_hi:[0,1]
	v_cvt_f32_i32_e32 v66, v144
	v_add_f32_e32 v55, v55, v65
	v_add_f32_e32 v55, v64, v55
	;; [unrolled: 1-line block ×4, first 2 shown]
	v_sub_f32_e32 v65, v64, v148
	v_mul_f32_e32 v55, v146, v55
	v_sub_f32_e32 v65, v147, v65
	v_add_f32_e32 v55, v65, v55
	v_add_f32_e32 v67, v64, v55
	v_mul_f32_e32 v68, v67, v67
	v_mov_b32_e32 v65, 0x3ecc95a3
	v_fmac_f32_e32 v65, 0x3e9b6dac, v68
	v_sub_f32_e32 v64, v67, v64
	v_fmaak_f32 v65, v68, v65, 0x3f2aaada
	v_sub_f32_e32 v55, v55, v64
	v_ldexp_f32 v69, v67, 1
	v_mul_f32_e32 v67, v67, v68
	v_mov_b32_e32 v64, 0x3f317218
	v_pk_mul_f32 v[64:65], v[66:67], v[64:65]
	v_ldexp_f32 v55, v55, 1
	v_fma_f32 v67, v66, s58, -v64
	v_fmamk_f32 v68, v66, 0xb102e308, v67
	v_pk_add_f32 v[66:67], v[64:65], v[68:69]
	v_mov_b32_e32 v134, v64
	v_sub_f32_e32 v69, v67, v69
	v_sub_f32_e32 v69, v65, v69
	v_add_f32_e32 v135, v55, v69
	v_pk_add_f32 v[64:65], v[66:67], v[64:65] neg_lo:[0,1] neg_hi:[0,1]
	v_pk_add_f32 v[144:145], v[66:67], v[134:135]
	v_mov_b32_e32 v69, v66
	v_mov_b32_e32 v65, v145
	v_pk_add_f32 v[146:147], v[68:69], v[64:65] neg_lo:[0,1] neg_hi:[0,1]
	v_pk_add_f32 v[64:65], v[68:69], v[64:65]
	v_mov_b32_e32 v134, v135
	v_mov_b32_e32 v68, v65
	v_pk_add_f32 v[148:149], v[68:69], v[66:67] neg_lo:[0,1] neg_hi:[0,1]
	v_mov_b32_e32 v64, v145
	v_mov_b32_e32 v55, v148
	v_pk_add_f32 v[150:151], v[144:145], v[54:55] neg_lo:[0,1] neg_hi:[0,1]
	v_mov_b32_e32 v144, v67
	v_mov_b32_e32 v145, v148
	;; [unrolled: 1-line block ×3, first 2 shown]
	v_pk_add_f32 v[64:65], v[64:65], v[144:145] neg_lo:[0,1] neg_hi:[0,1]
	v_mov_b32_e32 v135, v66
	v_pk_add_f32 v[64:65], v[134:135], v[64:65] neg_lo:[0,1] neg_hi:[0,1]
	v_mov_b32_e32 v150, v146
	v_pk_add_f32 v[66:67], v[150:151], v[64:65]
	v_cmp_eq_f32_e64 s[58:59], s66, v133
	v_mov_b32_e32 v134, v67
	v_pk_add_f32 v[134:135], v[66:67], v[134:135]
	s_mov_b32 s66, 0x33800000
	v_pk_add_f32 v[68:69], v[68:69], v[134:135]
	v_mov_b32_e32 v65, v134
	v_mov_b32_e32 v67, v68
	v_pk_add_f32 v[144:145], v[66:67], v[146:147] neg_lo:[0,1] neg_hi:[0,1]
	v_cmp_lt_f32_e64 s[66:67], |v133|, s66
	v_sub_f32_e32 v55, v66, v144
	v_pk_add_f32 v[64:65], v[64:65], v[144:145] neg_lo:[0,1] neg_hi:[0,1]
	v_sub_f32_e32 v55, v146, v55
	v_add_f32_e32 v55, v64, v55
	v_add_f32_e32 v55, v55, v65
	;; [unrolled: 1-line block ×3, first 2 shown]
	s_or_b64 s[58:59], s[58:59], s[66:67]
	v_cndmask_b32_e64 v55, v55, v133, s[58:59]
	v_add_f32_e32 v55, v54, v55
.LBB161_115:
	s_or_b64 exec, exec, s[60:61]
	v_mov_b32_e32 v54, v55
.LBB161_116:
	s_or_b64 exec, exec, s[64:65]
	s_nop 0
	v_mov_b32_dpp v55, v54 row_shr:4 row_mask:0xf bank_mask:0xf
	v_cmp_lt_u32_e64 s[58:59], 3, v53
	s_and_saveexec_b64 s[64:65], s[58:59]
	s_cbranch_execz .LBB161_120
; %bb.117:
	v_max_f32_e32 v65, v54, v54
	v_max_f32_e32 v66, v55, v55
	v_min_f32_e32 v64, v66, v65
	v_cmp_u_f32_e64 s[58:59], v55, v55
	v_max_f32_e32 v65, v66, v65
	v_cmp_u_f32_e64 s[60:61], v54, v54
	v_cndmask_b32_e64 v64, v64, v55, s[58:59]
	v_cndmask_b32_e64 v65, v65, v55, s[58:59]
	;; [unrolled: 1-line block ×4, first 2 shown]
	s_movk_i32 s60, 0x1f8
	v_cmp_neq_f32_e64 s[58:59], v64, v54
	v_cmp_class_f32_e64 s[60:61], v64, s60
	s_or_b64 s[58:59], s[58:59], s[60:61]
	s_and_saveexec_b64 s[60:61], s[58:59]
	s_cbranch_execz .LBB161_119
; %bb.118:
	v_sub_f32_e32 v55, v64, v54
	s_mov_b32 s58, 0x3fb8aa3b
	v_mul_f32_e32 v64, 0x3fb8aa3b, v55
	v_fma_f32 v65, v55, s58, -v64
	v_rndne_f32_e32 v66, v64
	v_fmamk_f32 v65, v55, 0x32a5705f, v65
	v_sub_f32_e32 v64, v64, v66
	v_add_f32_e32 v64, v64, v65
	v_exp_f32_e32 v64, v64
	v_cvt_i32_f32_e32 v65, v66
	s_mov_b32 s58, 0xc2ce8ed0
	v_cmp_ngt_f32_e64 s[58:59], s58, v55
	s_mov_b32 s66, 0x7f800000
	v_ldexp_f32 v64, v64, v65
	v_cndmask_b32_e64 v64, 0, v64, s[58:59]
	s_mov_b32 s58, 0x42b17218
	v_mov_b32_e32 v65, 0x7f800000
	v_cmp_nlt_f32_e64 s[58:59], s58, v55
	s_nop 1
	v_cndmask_b32_e64 v133, v65, v64, s[58:59]
	v_add_f32_e32 v55, 1.0, v133
	v_add_f32_e32 v64, -1.0, v55
	v_sub_f32_e32 v65, v64, v55
	v_add_f32_e32 v65, 1.0, v65
	v_sub_f32_e32 v64, v133, v64
	v_add_f32_e32 v66, v64, v65
	v_frexp_mant_f32_e32 v67, v55
	s_mov_b32 s58, 0x3f2aaaab
	v_cvt_f64_f32_e32 v[64:65], v55
	v_frexp_exp_i32_f64_e32 v64, v[64:65]
	v_cmp_gt_f32_e64 s[58:59], s58, v67
	s_nop 1
	v_subbrev_co_u32_e64 v144, s[58:59], 0, v64, s[58:59]
	v_sub_u32_e32 v64, 0, v144
	v_ldexp_f32 v55, v55, v64
	v_ldexp_f32 v64, v66, v64
	v_add_f32_e32 v66, -1.0, v55
	v_add_f32_e32 v65, 1.0, v66
	v_sub_f32_e32 v65, v55, v65
	v_add_f32_e32 v67, v64, v65
	v_add_f32_e32 v65, 1.0, v55
	v_add_f32_e32 v68, -1.0, v65
	v_sub_f32_e32 v55, v55, v68
	v_add_f32_e32 v55, v64, v55
	v_add_f32_e32 v145, v65, v55
	v_rcp_f32_e32 v146, v145
	v_sub_f32_e32 v64, v65, v145
	v_add_f32_e32 v65, v66, v67
	v_add_f32_e32 v55, v55, v64
	v_mul_f32_e32 v148, v65, v146
	v_sub_f32_e32 v64, v66, v65
	v_mul_f32_e32 v66, v145, v148
	v_fma_f32 v68, v148, v145, -v66
	v_fmac_f32_e32 v68, v148, v55
	v_add_f32_e32 v147, v67, v64
	v_add_f32_e32 v64, v66, v68
	v_sub_f32_e32 v67, v65, v64
	v_pk_add_f32 v[134:135], v[64:65], v[66:67] neg_lo:[0,1] neg_hi:[0,1]
	v_mov_b32_e32 v69, v64
	v_pk_add_f32 v[64:65], v[134:135], v[68:69] neg_lo:[0,1] neg_hi:[0,1]
	s_mov_b32 s58, 0x3f317218
	v_add_f32_e32 v65, v147, v65
	v_add_f32_e32 v64, v64, v65
	;; [unrolled: 1-line block ×3, first 2 shown]
	v_mul_f32_e32 v147, v146, v65
	v_mul_f32_e32 v66, v145, v147
	v_fma_f32 v68, v147, v145, -v66
	v_fmac_f32_e32 v68, v147, v55
	v_sub_f32_e32 v55, v67, v65
	v_add_f32_e32 v55, v64, v55
	v_add_f32_e32 v64, v66, v68
	v_sub_f32_e32 v67, v65, v64
	v_pk_add_f32 v[134:135], v[64:65], v[66:67] neg_lo:[0,1] neg_hi:[0,1]
	v_mov_b32_e32 v69, v64
	v_pk_add_f32 v[64:65], v[134:135], v[68:69] neg_lo:[0,1] neg_hi:[0,1]
	v_cvt_f32_i32_e32 v66, v144
	v_add_f32_e32 v55, v55, v65
	v_add_f32_e32 v55, v64, v55
	v_add_f32_e32 v64, v148, v147
	v_add_f32_e32 v55, v67, v55
	v_sub_f32_e32 v65, v64, v148
	v_mul_f32_e32 v55, v146, v55
	v_sub_f32_e32 v65, v147, v65
	v_add_f32_e32 v55, v65, v55
	v_add_f32_e32 v67, v64, v55
	v_mul_f32_e32 v68, v67, v67
	v_mov_b32_e32 v65, 0x3ecc95a3
	v_fmac_f32_e32 v65, 0x3e9b6dac, v68
	v_sub_f32_e32 v64, v67, v64
	v_fmaak_f32 v65, v68, v65, 0x3f2aaada
	v_sub_f32_e32 v55, v55, v64
	v_ldexp_f32 v69, v67, 1
	v_mul_f32_e32 v67, v67, v68
	v_mov_b32_e32 v64, 0x3f317218
	v_pk_mul_f32 v[64:65], v[66:67], v[64:65]
	v_ldexp_f32 v55, v55, 1
	v_fma_f32 v67, v66, s58, -v64
	v_fmamk_f32 v68, v66, 0xb102e308, v67
	v_pk_add_f32 v[66:67], v[64:65], v[68:69]
	v_mov_b32_e32 v134, v64
	v_sub_f32_e32 v69, v67, v69
	v_sub_f32_e32 v69, v65, v69
	v_add_f32_e32 v135, v55, v69
	v_pk_add_f32 v[64:65], v[66:67], v[64:65] neg_lo:[0,1] neg_hi:[0,1]
	v_pk_add_f32 v[144:145], v[66:67], v[134:135]
	v_mov_b32_e32 v69, v66
	v_mov_b32_e32 v65, v145
	v_pk_add_f32 v[146:147], v[68:69], v[64:65] neg_lo:[0,1] neg_hi:[0,1]
	v_pk_add_f32 v[64:65], v[68:69], v[64:65]
	v_mov_b32_e32 v134, v135
	v_mov_b32_e32 v68, v65
	v_pk_add_f32 v[148:149], v[68:69], v[66:67] neg_lo:[0,1] neg_hi:[0,1]
	v_mov_b32_e32 v64, v145
	v_mov_b32_e32 v55, v148
	v_pk_add_f32 v[150:151], v[144:145], v[54:55] neg_lo:[0,1] neg_hi:[0,1]
	v_mov_b32_e32 v144, v67
	v_mov_b32_e32 v145, v148
	;; [unrolled: 1-line block ×3, first 2 shown]
	v_pk_add_f32 v[64:65], v[64:65], v[144:145] neg_lo:[0,1] neg_hi:[0,1]
	v_mov_b32_e32 v135, v66
	v_pk_add_f32 v[64:65], v[134:135], v[64:65] neg_lo:[0,1] neg_hi:[0,1]
	v_mov_b32_e32 v150, v146
	v_pk_add_f32 v[66:67], v[150:151], v[64:65]
	v_cmp_eq_f32_e64 s[58:59], s66, v133
	v_mov_b32_e32 v134, v67
	v_pk_add_f32 v[134:135], v[66:67], v[134:135]
	s_mov_b32 s66, 0x33800000
	v_pk_add_f32 v[68:69], v[68:69], v[134:135]
	v_mov_b32_e32 v65, v134
	v_mov_b32_e32 v67, v68
	v_pk_add_f32 v[144:145], v[66:67], v[146:147] neg_lo:[0,1] neg_hi:[0,1]
	v_cmp_lt_f32_e64 s[66:67], |v133|, s66
	v_sub_f32_e32 v55, v66, v144
	v_pk_add_f32 v[64:65], v[64:65], v[144:145] neg_lo:[0,1] neg_hi:[0,1]
	v_sub_f32_e32 v55, v146, v55
	v_add_f32_e32 v55, v64, v55
	v_add_f32_e32 v55, v55, v65
	;; [unrolled: 1-line block ×3, first 2 shown]
	s_or_b64 s[58:59], s[58:59], s[66:67]
	v_cndmask_b32_e64 v55, v55, v133, s[58:59]
	v_add_f32_e32 v55, v54, v55
.LBB161_119:
	s_or_b64 exec, exec, s[60:61]
	v_mov_b32_e32 v54, v55
.LBB161_120:
	s_or_b64 exec, exec, s[64:65]
	s_nop 0
	v_mov_b32_dpp v55, v54 row_shr:8 row_mask:0xf bank_mask:0xf
	v_cmp_lt_u32_e64 s[58:59], 7, v53
	s_and_saveexec_b64 s[64:65], s[58:59]
	s_cbranch_execz .LBB161_124
; %bb.121:
	v_max_f32_e32 v53, v54, v54
	v_max_f32_e32 v65, v55, v55
	v_min_f32_e32 v64, v65, v53
	v_cmp_u_f32_e64 s[58:59], v55, v55
	v_max_f32_e32 v53, v65, v53
	v_cmp_u_f32_e64 s[60:61], v54, v54
	v_cndmask_b32_e64 v64, v64, v55, s[58:59]
	v_cndmask_b32_e64 v53, v53, v55, s[58:59]
	;; [unrolled: 1-line block ×4, first 2 shown]
	s_movk_i32 s60, 0x1f8
	v_cmp_neq_f32_e64 s[58:59], v64, v53
	v_cmp_class_f32_e64 s[60:61], v64, s60
	s_or_b64 s[58:59], s[58:59], s[60:61]
	s_and_saveexec_b64 s[60:61], s[58:59]
	s_cbranch_execz .LBB161_123
; %bb.122:
	v_sub_f32_e32 v54, v64, v53
	s_mov_b32 s58, 0x3fb8aa3b
	v_mul_f32_e32 v55, 0x3fb8aa3b, v54
	v_fma_f32 v64, v54, s58, -v55
	v_rndne_f32_e32 v65, v55
	v_fmamk_f32 v64, v54, 0x32a5705f, v64
	v_sub_f32_e32 v55, v55, v65
	v_add_f32_e32 v55, v55, v64
	v_exp_f32_e32 v55, v55
	v_cvt_i32_f32_e32 v64, v65
	s_mov_b32 s58, 0xc2ce8ed0
	v_cmp_ngt_f32_e64 s[58:59], s58, v54
	s_mov_b32 s66, 0x7f800000
	v_ldexp_f32 v55, v55, v64
	v_cndmask_b32_e64 v55, 0, v55, s[58:59]
	s_mov_b32 s58, 0x42b17218
	v_mov_b32_e32 v64, 0x7f800000
	v_cmp_nlt_f32_e64 s[58:59], s58, v54
	s_nop 1
	v_cndmask_b32_e64 v133, v64, v55, s[58:59]
	v_add_f32_e32 v64, 1.0, v133
	v_add_f32_e32 v54, -1.0, v64
	v_sub_f32_e32 v55, v54, v64
	v_add_f32_e32 v55, 1.0, v55
	v_sub_f32_e32 v54, v133, v54
	v_add_f32_e32 v65, v54, v55
	v_frexp_mant_f32_e32 v66, v64
	s_mov_b32 s58, 0x3f2aaaab
	v_cvt_f64_f32_e32 v[54:55], v64
	v_frexp_exp_i32_f64_e32 v54, v[54:55]
	v_cmp_gt_f32_e64 s[58:59], s58, v66
	s_nop 1
	v_subbrev_co_u32_e64 v134, s[58:59], 0, v54, s[58:59]
	v_sub_u32_e32 v54, 0, v134
	v_ldexp_f32 v55, v64, v54
	v_add_f32_e32 v64, -1.0, v55
	v_add_f32_e32 v66, 1.0, v55
	v_ldexp_f32 v54, v65, v54
	v_add_f32_e32 v65, 1.0, v64
	v_add_f32_e32 v67, -1.0, v66
	v_sub_f32_e32 v65, v55, v65
	v_sub_f32_e32 v55, v55, v67
	v_add_f32_e32 v65, v54, v65
	v_add_f32_e32 v54, v54, v55
	;; [unrolled: 1-line block ×3, first 2 shown]
	v_rcp_f32_e32 v145, v135
	v_sub_f32_e32 v55, v66, v135
	v_add_f32_e32 v144, v54, v55
	v_add_f32_e32 v55, v64, v65
	v_mul_f32_e32 v147, v55, v145
	v_sub_f32_e32 v54, v64, v55
	v_mul_f32_e32 v64, v135, v147
	v_fma_f32 v66, v147, v135, -v64
	v_fmac_f32_e32 v66, v147, v144
	v_add_f32_e32 v146, v65, v54
	v_add_f32_e32 v54, v64, v66
	v_sub_f32_e32 v65, v55, v54
	v_pk_add_f32 v[68:69], v[54:55], v[64:65] neg_lo:[0,1] neg_hi:[0,1]
	v_mov_b32_e32 v67, v54
	v_pk_add_f32 v[54:55], v[68:69], v[66:67] neg_lo:[0,1] neg_hi:[0,1]
	s_mov_b32 s58, 0x3f317218
	v_add_f32_e32 v55, v146, v55
	v_add_f32_e32 v54, v54, v55
	;; [unrolled: 1-line block ×3, first 2 shown]
	v_mul_f32_e32 v146, v145, v55
	v_mul_f32_e32 v64, v135, v146
	v_fma_f32 v66, v146, v135, -v64
	v_fmac_f32_e32 v66, v146, v144
	v_sub_f32_e32 v65, v65, v55
	v_add_f32_e32 v135, v54, v65
	v_add_f32_e32 v54, v64, v66
	v_sub_f32_e32 v65, v55, v54
	v_pk_add_f32 v[68:69], v[54:55], v[64:65] neg_lo:[0,1] neg_hi:[0,1]
	v_mov_b32_e32 v67, v54
	v_pk_add_f32 v[54:55], v[68:69], v[66:67] neg_lo:[0,1] neg_hi:[0,1]
	v_cvt_f32_i32_e32 v64, v134
	v_add_f32_e32 v55, v135, v55
	v_add_f32_e32 v54, v54, v55
	v_add_f32_e32 v54, v65, v54
	v_add_f32_e32 v65, v147, v146
	v_sub_f32_e32 v55, v65, v147
	v_mul_f32_e32 v54, v145, v54
	v_sub_f32_e32 v55, v146, v55
	v_add_f32_e32 v54, v55, v54
	v_add_f32_e32 v66, v65, v54
	v_mul_f32_e32 v68, v66, v66
	v_mov_b32_e32 v55, 0x3ecc95a3
	v_sub_f32_e32 v65, v66, v65
	v_fmac_f32_e32 v55, 0x3e9b6dac, v68
	v_sub_f32_e32 v54, v54, v65
	v_fmaak_f32 v55, v68, v55, 0x3f2aaada
	v_ldexp_f32 v69, v54, 1
	v_mul_f32_e32 v65, v66, v68
	v_mov_b32_e32 v54, 0x3f317218
	v_pk_mul_f32 v[54:55], v[64:65], v[54:55]
	v_ldexp_f32 v67, v66, 1
	v_fma_f32 v65, v64, s58, -v54
	v_fmamk_f32 v66, v64, 0xb102e308, v65
	v_pk_add_f32 v[64:65], v[54:55], v[66:67]
	v_mov_b32_e32 v68, v54
	v_sub_f32_e32 v67, v65, v67
	v_sub_f32_e32 v67, v55, v67
	v_add_f32_e32 v69, v69, v67
	v_pk_add_f32 v[54:55], v[64:65], v[54:55] neg_lo:[0,1] neg_hi:[0,1]
	v_pk_add_f32 v[134:135], v[64:65], v[68:69]
	v_mov_b32_e32 v67, v64
	v_mov_b32_e32 v55, v135
	v_pk_add_f32 v[144:145], v[66:67], v[54:55] neg_lo:[0,1] neg_hi:[0,1]
	v_pk_add_f32 v[54:55], v[66:67], v[54:55]
	v_mov_b32_e32 v68, v69
	v_mov_b32_e32 v66, v55
	v_pk_add_f32 v[146:147], v[66:67], v[64:65] neg_lo:[0,1] neg_hi:[0,1]
	v_mov_b32_e32 v54, v135
	v_mov_b32_e32 v67, v146
	v_pk_add_f32 v[148:149], v[134:135], v[66:67] neg_lo:[0,1] neg_hi:[0,1]
	v_mov_b32_e32 v134, v65
	v_mov_b32_e32 v135, v146
	;; [unrolled: 1-line block ×3, first 2 shown]
	v_pk_add_f32 v[54:55], v[54:55], v[134:135] neg_lo:[0,1] neg_hi:[0,1]
	v_mov_b32_e32 v69, v64
	v_pk_add_f32 v[54:55], v[68:69], v[54:55] neg_lo:[0,1] neg_hi:[0,1]
	v_mov_b32_e32 v148, v144
	v_pk_add_f32 v[64:65], v[148:149], v[54:55]
	v_cmp_eq_f32_e64 s[58:59], s66, v133
	v_mov_b32_e32 v68, v65
	v_pk_add_f32 v[68:69], v[64:65], v[68:69]
	s_mov_b32 s66, 0x33800000
	v_pk_add_f32 v[66:67], v[66:67], v[68:69]
	v_mov_b32_e32 v55, v68
	v_mov_b32_e32 v65, v66
	v_pk_add_f32 v[134:135], v[64:65], v[144:145] neg_lo:[0,1] neg_hi:[0,1]
	v_cmp_lt_f32_e64 s[66:67], |v133|, s66
	v_sub_f32_e32 v64, v64, v134
	v_pk_add_f32 v[54:55], v[54:55], v[134:135] neg_lo:[0,1] neg_hi:[0,1]
	v_sub_f32_e32 v64, v144, v64
	v_add_f32_e32 v54, v54, v64
	v_add_f32_e32 v54, v54, v55
	;; [unrolled: 1-line block ×3, first 2 shown]
	s_or_b64 s[58:59], s[58:59], s[66:67]
	v_cndmask_b32_e64 v54, v54, v133, s[58:59]
	v_add_f32_e32 v55, v53, v54
.LBB161_123:
	s_or_b64 exec, exec, s[60:61]
	v_mov_b32_e32 v54, v55
.LBB161_124:
	s_or_b64 exec, exec, s[64:65]
	v_and_b32_e32 v53, 16, v49
	v_mov_b32_dpp v55, v54 row_bcast:15 row_mask:0xf bank_mask:0xf
	v_cmp_ne_u32_e64 s[58:59], 0, v53
	s_and_saveexec_b64 s[64:65], s[58:59]
	s_cbranch_execz .LBB161_128
; %bb.125:
	v_max_f32_e32 v53, v54, v54
	v_max_f32_e32 v65, v55, v55
	v_min_f32_e32 v64, v65, v53
	v_cmp_u_f32_e64 s[58:59], v55, v55
	v_max_f32_e32 v53, v65, v53
	v_cmp_u_f32_e64 s[60:61], v54, v54
	v_cndmask_b32_e64 v64, v64, v55, s[58:59]
	v_cndmask_b32_e64 v53, v53, v55, s[58:59]
	;; [unrolled: 1-line block ×4, first 2 shown]
	s_movk_i32 s60, 0x1f8
	v_cmp_neq_f32_e64 s[58:59], v64, v53
	v_cmp_class_f32_e64 s[60:61], v64, s60
	s_or_b64 s[58:59], s[58:59], s[60:61]
	s_and_saveexec_b64 s[60:61], s[58:59]
	s_cbranch_execz .LBB161_127
; %bb.126:
	v_sub_f32_e32 v54, v64, v53
	s_mov_b32 s58, 0x3fb8aa3b
	v_mul_f32_e32 v55, 0x3fb8aa3b, v54
	v_fma_f32 v64, v54, s58, -v55
	v_rndne_f32_e32 v65, v55
	v_fmamk_f32 v64, v54, 0x32a5705f, v64
	v_sub_f32_e32 v55, v55, v65
	v_add_f32_e32 v55, v55, v64
	v_exp_f32_e32 v55, v55
	v_cvt_i32_f32_e32 v64, v65
	s_mov_b32 s58, 0xc2ce8ed0
	v_cmp_ngt_f32_e64 s[58:59], s58, v54
	s_mov_b32 s66, 0x7f800000
	v_ldexp_f32 v55, v55, v64
	v_cndmask_b32_e64 v55, 0, v55, s[58:59]
	s_mov_b32 s58, 0x42b17218
	v_mov_b32_e32 v64, 0x7f800000
	v_cmp_nlt_f32_e64 s[58:59], s58, v54
	s_nop 1
	v_cndmask_b32_e64 v133, v64, v55, s[58:59]
	v_add_f32_e32 v64, 1.0, v133
	v_add_f32_e32 v54, -1.0, v64
	v_sub_f32_e32 v55, v54, v64
	v_add_f32_e32 v55, 1.0, v55
	v_sub_f32_e32 v54, v133, v54
	v_add_f32_e32 v65, v54, v55
	v_frexp_mant_f32_e32 v66, v64
	s_mov_b32 s58, 0x3f2aaaab
	v_cvt_f64_f32_e32 v[54:55], v64
	v_frexp_exp_i32_f64_e32 v54, v[54:55]
	v_cmp_gt_f32_e64 s[58:59], s58, v66
	s_nop 1
	v_subbrev_co_u32_e64 v134, s[58:59], 0, v54, s[58:59]
	v_sub_u32_e32 v54, 0, v134
	v_ldexp_f32 v55, v64, v54
	v_add_f32_e32 v64, -1.0, v55
	v_add_f32_e32 v66, 1.0, v55
	v_ldexp_f32 v54, v65, v54
	v_add_f32_e32 v65, 1.0, v64
	v_add_f32_e32 v67, -1.0, v66
	v_sub_f32_e32 v65, v55, v65
	v_sub_f32_e32 v55, v55, v67
	v_add_f32_e32 v65, v54, v65
	v_add_f32_e32 v54, v54, v55
	;; [unrolled: 1-line block ×3, first 2 shown]
	v_rcp_f32_e32 v145, v135
	v_sub_f32_e32 v55, v66, v135
	v_add_f32_e32 v144, v54, v55
	v_add_f32_e32 v55, v64, v65
	v_mul_f32_e32 v147, v55, v145
	v_sub_f32_e32 v54, v64, v55
	v_mul_f32_e32 v64, v135, v147
	v_fma_f32 v66, v147, v135, -v64
	v_fmac_f32_e32 v66, v147, v144
	v_add_f32_e32 v146, v65, v54
	v_add_f32_e32 v54, v64, v66
	v_sub_f32_e32 v65, v55, v54
	v_pk_add_f32 v[68:69], v[54:55], v[64:65] neg_lo:[0,1] neg_hi:[0,1]
	v_mov_b32_e32 v67, v54
	v_pk_add_f32 v[54:55], v[68:69], v[66:67] neg_lo:[0,1] neg_hi:[0,1]
	s_mov_b32 s58, 0x3f317218
	v_add_f32_e32 v55, v146, v55
	v_add_f32_e32 v54, v54, v55
	;; [unrolled: 1-line block ×3, first 2 shown]
	v_mul_f32_e32 v146, v145, v55
	v_mul_f32_e32 v64, v135, v146
	v_fma_f32 v66, v146, v135, -v64
	v_fmac_f32_e32 v66, v146, v144
	v_sub_f32_e32 v65, v65, v55
	v_add_f32_e32 v135, v54, v65
	v_add_f32_e32 v54, v64, v66
	v_sub_f32_e32 v65, v55, v54
	v_pk_add_f32 v[68:69], v[54:55], v[64:65] neg_lo:[0,1] neg_hi:[0,1]
	v_mov_b32_e32 v67, v54
	v_pk_add_f32 v[54:55], v[68:69], v[66:67] neg_lo:[0,1] neg_hi:[0,1]
	v_cvt_f32_i32_e32 v64, v134
	v_add_f32_e32 v55, v135, v55
	v_add_f32_e32 v54, v54, v55
	v_add_f32_e32 v54, v65, v54
	v_add_f32_e32 v65, v147, v146
	v_sub_f32_e32 v55, v65, v147
	v_mul_f32_e32 v54, v145, v54
	v_sub_f32_e32 v55, v146, v55
	v_add_f32_e32 v54, v55, v54
	v_add_f32_e32 v66, v65, v54
	v_mul_f32_e32 v68, v66, v66
	v_mov_b32_e32 v55, 0x3ecc95a3
	v_sub_f32_e32 v65, v66, v65
	v_fmac_f32_e32 v55, 0x3e9b6dac, v68
	v_sub_f32_e32 v54, v54, v65
	v_fmaak_f32 v55, v68, v55, 0x3f2aaada
	v_ldexp_f32 v69, v54, 1
	v_mul_f32_e32 v65, v66, v68
	v_mov_b32_e32 v54, 0x3f317218
	v_pk_mul_f32 v[54:55], v[64:65], v[54:55]
	v_ldexp_f32 v67, v66, 1
	v_fma_f32 v65, v64, s58, -v54
	v_fmamk_f32 v66, v64, 0xb102e308, v65
	v_pk_add_f32 v[64:65], v[54:55], v[66:67]
	v_mov_b32_e32 v68, v54
	v_sub_f32_e32 v67, v65, v67
	v_sub_f32_e32 v67, v55, v67
	v_add_f32_e32 v69, v69, v67
	v_pk_add_f32 v[54:55], v[64:65], v[54:55] neg_lo:[0,1] neg_hi:[0,1]
	v_pk_add_f32 v[134:135], v[64:65], v[68:69]
	v_mov_b32_e32 v67, v64
	v_mov_b32_e32 v55, v135
	v_pk_add_f32 v[144:145], v[66:67], v[54:55] neg_lo:[0,1] neg_hi:[0,1]
	v_pk_add_f32 v[54:55], v[66:67], v[54:55]
	v_mov_b32_e32 v68, v69
	v_mov_b32_e32 v66, v55
	v_pk_add_f32 v[146:147], v[66:67], v[64:65] neg_lo:[0,1] neg_hi:[0,1]
	v_mov_b32_e32 v54, v135
	v_mov_b32_e32 v67, v146
	v_pk_add_f32 v[148:149], v[134:135], v[66:67] neg_lo:[0,1] neg_hi:[0,1]
	v_mov_b32_e32 v134, v65
	v_mov_b32_e32 v135, v146
	v_mov_b32_e32 v145, v55
	v_pk_add_f32 v[54:55], v[54:55], v[134:135] neg_lo:[0,1] neg_hi:[0,1]
	v_mov_b32_e32 v69, v64
	v_pk_add_f32 v[54:55], v[68:69], v[54:55] neg_lo:[0,1] neg_hi:[0,1]
	v_mov_b32_e32 v148, v144
	v_pk_add_f32 v[64:65], v[148:149], v[54:55]
	v_cmp_eq_f32_e64 s[58:59], s66, v133
	v_mov_b32_e32 v68, v65
	v_pk_add_f32 v[68:69], v[64:65], v[68:69]
	s_mov_b32 s66, 0x33800000
	v_pk_add_f32 v[66:67], v[66:67], v[68:69]
	v_mov_b32_e32 v55, v68
	v_mov_b32_e32 v65, v66
	v_pk_add_f32 v[134:135], v[64:65], v[144:145] neg_lo:[0,1] neg_hi:[0,1]
	v_cmp_lt_f32_e64 s[66:67], |v133|, s66
	v_sub_f32_e32 v64, v64, v134
	v_pk_add_f32 v[54:55], v[54:55], v[134:135] neg_lo:[0,1] neg_hi:[0,1]
	v_sub_f32_e32 v64, v144, v64
	v_add_f32_e32 v54, v54, v64
	v_add_f32_e32 v54, v54, v55
	v_add_f32_e32 v54, v66, v54
	s_or_b64 s[58:59], s[58:59], s[66:67]
	v_cndmask_b32_e64 v54, v54, v133, s[58:59]
	v_add_f32_e32 v55, v53, v54
.LBB161_127:
	s_or_b64 exec, exec, s[60:61]
	v_mov_b32_e32 v54, v55
.LBB161_128:
	s_or_b64 exec, exec, s[64:65]
	s_nop 0
	v_mov_b32_dpp v55, v54 row_bcast:31 row_mask:0xf bank_mask:0xf
	v_cmp_lt_u32_e64 s[58:59], 31, v49
	s_and_saveexec_b64 s[64:65], s[58:59]
	s_cbranch_execz .LBB161_132
; %bb.129:
	v_max_f32_e32 v53, v54, v54
	v_max_f32_e32 v65, v55, v55
	v_min_f32_e32 v64, v65, v53
	v_cmp_u_f32_e64 s[58:59], v55, v55
	v_max_f32_e32 v53, v65, v53
	v_cmp_u_f32_e64 s[60:61], v54, v54
	v_cndmask_b32_e64 v64, v64, v55, s[58:59]
	v_cndmask_b32_e64 v53, v53, v55, s[58:59]
	;; [unrolled: 1-line block ×4, first 2 shown]
	s_movk_i32 s60, 0x1f8
	v_cmp_neq_f32_e64 s[58:59], v64, v53
	v_cmp_class_f32_e64 s[60:61], v64, s60
	s_or_b64 s[58:59], s[58:59], s[60:61]
	s_and_saveexec_b64 s[60:61], s[58:59]
	s_cbranch_execz .LBB161_131
; %bb.130:
	v_sub_f32_e32 v54, v64, v53
	s_mov_b32 s58, 0x3fb8aa3b
	v_mul_f32_e32 v55, 0x3fb8aa3b, v54
	v_fma_f32 v64, v54, s58, -v55
	v_rndne_f32_e32 v65, v55
	v_fmamk_f32 v64, v54, 0x32a5705f, v64
	v_sub_f32_e32 v55, v55, v65
	v_add_f32_e32 v55, v55, v64
	v_exp_f32_e32 v55, v55
	v_cvt_i32_f32_e32 v64, v65
	s_mov_b32 s58, 0xc2ce8ed0
	v_cmp_ngt_f32_e64 s[58:59], s58, v54
	s_mov_b32 s66, 0x7f800000
	v_ldexp_f32 v55, v55, v64
	v_cndmask_b32_e64 v55, 0, v55, s[58:59]
	s_mov_b32 s58, 0x42b17218
	v_mov_b32_e32 v64, 0x7f800000
	v_cmp_nlt_f32_e64 s[58:59], s58, v54
	s_nop 1
	v_cndmask_b32_e64 v133, v64, v55, s[58:59]
	v_add_f32_e32 v64, 1.0, v133
	v_add_f32_e32 v54, -1.0, v64
	v_sub_f32_e32 v55, v54, v64
	v_add_f32_e32 v55, 1.0, v55
	v_sub_f32_e32 v54, v133, v54
	v_add_f32_e32 v65, v54, v55
	v_frexp_mant_f32_e32 v66, v64
	s_mov_b32 s58, 0x3f2aaaab
	v_cvt_f64_f32_e32 v[54:55], v64
	v_frexp_exp_i32_f64_e32 v54, v[54:55]
	v_cmp_gt_f32_e64 s[58:59], s58, v66
	s_nop 1
	v_subbrev_co_u32_e64 v134, s[58:59], 0, v54, s[58:59]
	v_sub_u32_e32 v54, 0, v134
	v_ldexp_f32 v55, v64, v54
	v_add_f32_e32 v64, -1.0, v55
	v_add_f32_e32 v66, 1.0, v55
	v_ldexp_f32 v54, v65, v54
	v_add_f32_e32 v65, 1.0, v64
	v_add_f32_e32 v67, -1.0, v66
	v_sub_f32_e32 v65, v55, v65
	v_sub_f32_e32 v55, v55, v67
	v_add_f32_e32 v65, v54, v65
	v_add_f32_e32 v54, v54, v55
	;; [unrolled: 1-line block ×3, first 2 shown]
	v_rcp_f32_e32 v145, v135
	v_sub_f32_e32 v55, v66, v135
	v_add_f32_e32 v144, v54, v55
	v_add_f32_e32 v55, v64, v65
	v_mul_f32_e32 v147, v55, v145
	v_sub_f32_e32 v54, v64, v55
	v_mul_f32_e32 v64, v135, v147
	v_fma_f32 v66, v147, v135, -v64
	v_fmac_f32_e32 v66, v147, v144
	v_add_f32_e32 v146, v65, v54
	v_add_f32_e32 v54, v64, v66
	v_sub_f32_e32 v65, v55, v54
	v_pk_add_f32 v[68:69], v[54:55], v[64:65] neg_lo:[0,1] neg_hi:[0,1]
	v_mov_b32_e32 v67, v54
	v_pk_add_f32 v[54:55], v[68:69], v[66:67] neg_lo:[0,1] neg_hi:[0,1]
	s_mov_b32 s58, 0x3f317218
	v_add_f32_e32 v55, v146, v55
	v_add_f32_e32 v54, v54, v55
	;; [unrolled: 1-line block ×3, first 2 shown]
	v_mul_f32_e32 v146, v145, v55
	v_mul_f32_e32 v64, v135, v146
	v_fma_f32 v66, v146, v135, -v64
	v_fmac_f32_e32 v66, v146, v144
	v_sub_f32_e32 v65, v65, v55
	v_add_f32_e32 v135, v54, v65
	v_add_f32_e32 v54, v64, v66
	v_sub_f32_e32 v65, v55, v54
	v_pk_add_f32 v[68:69], v[54:55], v[64:65] neg_lo:[0,1] neg_hi:[0,1]
	v_mov_b32_e32 v67, v54
	v_pk_add_f32 v[54:55], v[68:69], v[66:67] neg_lo:[0,1] neg_hi:[0,1]
	v_cvt_f32_i32_e32 v64, v134
	v_add_f32_e32 v55, v135, v55
	v_add_f32_e32 v54, v54, v55
	;; [unrolled: 1-line block ×4, first 2 shown]
	v_sub_f32_e32 v55, v65, v147
	v_mul_f32_e32 v54, v145, v54
	v_sub_f32_e32 v55, v146, v55
	v_add_f32_e32 v54, v55, v54
	v_add_f32_e32 v66, v65, v54
	v_mul_f32_e32 v68, v66, v66
	v_mov_b32_e32 v55, 0x3ecc95a3
	v_sub_f32_e32 v65, v66, v65
	v_fmac_f32_e32 v55, 0x3e9b6dac, v68
	v_sub_f32_e32 v54, v54, v65
	v_fmaak_f32 v55, v68, v55, 0x3f2aaada
	v_ldexp_f32 v69, v54, 1
	v_mul_f32_e32 v65, v66, v68
	v_mov_b32_e32 v54, 0x3f317218
	v_pk_mul_f32 v[54:55], v[64:65], v[54:55]
	v_ldexp_f32 v67, v66, 1
	v_fma_f32 v65, v64, s58, -v54
	v_fmamk_f32 v66, v64, 0xb102e308, v65
	v_pk_add_f32 v[64:65], v[54:55], v[66:67]
	v_mov_b32_e32 v68, v54
	v_sub_f32_e32 v67, v65, v67
	v_sub_f32_e32 v67, v55, v67
	v_add_f32_e32 v69, v69, v67
	v_pk_add_f32 v[54:55], v[64:65], v[54:55] neg_lo:[0,1] neg_hi:[0,1]
	v_pk_add_f32 v[134:135], v[64:65], v[68:69]
	v_mov_b32_e32 v67, v64
	v_mov_b32_e32 v55, v135
	v_pk_add_f32 v[144:145], v[66:67], v[54:55] neg_lo:[0,1] neg_hi:[0,1]
	v_pk_add_f32 v[54:55], v[66:67], v[54:55]
	v_mov_b32_e32 v68, v69
	v_mov_b32_e32 v66, v55
	v_pk_add_f32 v[146:147], v[66:67], v[64:65] neg_lo:[0,1] neg_hi:[0,1]
	v_mov_b32_e32 v54, v135
	v_mov_b32_e32 v67, v146
	v_pk_add_f32 v[148:149], v[134:135], v[66:67] neg_lo:[0,1] neg_hi:[0,1]
	v_mov_b32_e32 v134, v65
	v_mov_b32_e32 v135, v146
	;; [unrolled: 1-line block ×3, first 2 shown]
	v_pk_add_f32 v[54:55], v[54:55], v[134:135] neg_lo:[0,1] neg_hi:[0,1]
	v_mov_b32_e32 v69, v64
	v_pk_add_f32 v[54:55], v[68:69], v[54:55] neg_lo:[0,1] neg_hi:[0,1]
	v_mov_b32_e32 v148, v144
	v_pk_add_f32 v[64:65], v[148:149], v[54:55]
	v_cmp_eq_f32_e64 s[58:59], s66, v133
	v_mov_b32_e32 v68, v65
	v_pk_add_f32 v[68:69], v[64:65], v[68:69]
	s_mov_b32 s66, 0x33800000
	v_pk_add_f32 v[66:67], v[66:67], v[68:69]
	v_mov_b32_e32 v55, v68
	v_mov_b32_e32 v65, v66
	v_pk_add_f32 v[134:135], v[64:65], v[144:145] neg_lo:[0,1] neg_hi:[0,1]
	v_cmp_lt_f32_e64 s[66:67], |v133|, s66
	v_sub_f32_e32 v64, v64, v134
	v_pk_add_f32 v[54:55], v[54:55], v[134:135] neg_lo:[0,1] neg_hi:[0,1]
	v_sub_f32_e32 v64, v144, v64
	v_add_f32_e32 v54, v54, v64
	v_add_f32_e32 v54, v54, v55
	;; [unrolled: 1-line block ×3, first 2 shown]
	s_or_b64 s[58:59], s[58:59], s[66:67]
	v_cndmask_b32_e64 v54, v54, v133, s[58:59]
	v_add_f32_e32 v55, v53, v54
.LBB161_131:
	s_or_b64 exec, exec, s[60:61]
	v_mov_b32_e32 v54, v55
.LBB161_132:
	s_or_b64 exec, exec, s[64:65]
	v_add_u32_e32 v53, -1, v49
	v_and_b32_e32 v55, 64, v49
	v_cmp_lt_i32_e64 s[58:59], v53, v55
	s_movk_i32 s60, 0x1f8
	s_nop 0
	v_cndmask_b32_e64 v49, v53, v49, s[58:59]
	v_lshlrev_b32_e32 v49, 2, v49
	ds_bpermute_b32 v49, v49, v54
	s_waitcnt lgkmcnt(0)
	v_max_f32_e32 v53, v49, v49
	v_min_f32_e32 v54, v53, v51
	v_max_f32_e32 v53, v53, v51
	v_cmp_u_f32_e64 s[58:59], v49, v49
	s_nop 1
	v_cndmask_b32_e64 v51, v54, v49, s[58:59]
	v_cndmask_b32_e64 v53, v53, v49, s[58:59]
	;; [unrolled: 1-line block ×4, first 2 shown]
	v_cmp_neq_f32_e64 s[56:57], v51, v48
	v_cmp_class_f32_e64 s[58:59], v51, s60
	s_or_b64 s[56:57], s[56:57], s[58:59]
	s_and_saveexec_b64 s[58:59], s[56:57]
	s_cbranch_execz .LBB161_134
; %bb.133:
	v_sub_f32_e32 v49, v51, v48
	s_mov_b32 s56, 0x3fb8aa3b
	v_mul_f32_e32 v51, 0x3fb8aa3b, v49
	v_fma_f32 v53, v49, s56, -v51
	v_rndne_f32_e32 v54, v51
	v_fmamk_f32 v53, v49, 0x32a5705f, v53
	v_sub_f32_e32 v51, v51, v54
	v_add_f32_e32 v51, v51, v53
	v_exp_f32_e32 v51, v51
	v_cvt_i32_f32_e32 v53, v54
	s_mov_b32 s56, 0xc2ce8ed0
	v_cmp_ngt_f32_e64 s[56:57], s56, v49
	s_mov_b32 s61, 0x7f800000
	v_ldexp_f32 v51, v51, v53
	v_cndmask_b32_e64 v51, 0, v51, s[56:57]
	s_mov_b32 s56, 0x42b17218
	v_mov_b32_e32 v53, 0x7f800000
	v_cmp_nlt_f32_e64 s[56:57], s56, v49
	s_nop 1
	v_cndmask_b32_e64 v51, v53, v51, s[56:57]
	v_add_f32_e32 v49, 1.0, v51
	v_add_f32_e32 v53, -1.0, v49
	v_sub_f32_e32 v54, v53, v49
	v_add_f32_e32 v54, 1.0, v54
	v_sub_f32_e32 v53, v51, v53
	v_add_f32_e32 v53, v53, v54
	v_frexp_mant_f32_e32 v64, v49
	s_mov_b32 s56, 0x3f2aaaab
	v_cvt_f64_f32_e32 v[54:55], v49
	v_frexp_exp_i32_f64_e32 v54, v[54:55]
	v_cmp_gt_f32_e64 s[56:57], s56, v64
	s_nop 1
	v_subbrev_co_u32_e64 v133, s[56:57], 0, v54, s[56:57]
	v_sub_u32_e32 v54, 0, v133
	v_ldexp_f32 v49, v49, v54
	v_ldexp_f32 v53, v53, v54
	v_add_f32_e32 v54, -1.0, v49
	v_add_f32_e32 v55, 1.0, v54
	v_sub_f32_e32 v55, v49, v55
	v_add_f32_e32 v64, v53, v55
	v_add_f32_e32 v55, 1.0, v49
	v_add_f32_e32 v65, -1.0, v55
	v_sub_f32_e32 v49, v49, v65
	v_add_f32_e32 v49, v53, v49
	v_add_f32_e32 v53, v55, v49
	v_rcp_f32_e32 v134, v53
	v_sub_f32_e32 v55, v55, v53
	v_add_f32_e32 v49, v49, v55
	v_add_f32_e32 v55, v54, v64
	v_sub_f32_e32 v54, v54, v55
	v_mul_f32_e32 v144, v55, v134
	v_add_f32_e32 v135, v64, v54
	v_mul_f32_e32 v64, v53, v144
	v_fma_f32 v66, v144, v53, -v64
	v_fmac_f32_e32 v66, v144, v49
	v_add_f32_e32 v54, v64, v66
	v_sub_f32_e32 v65, v55, v54
	v_pk_add_f32 v[68:69], v[54:55], v[64:65] neg_lo:[0,1] neg_hi:[0,1]
	v_mov_b32_e32 v67, v54
	v_pk_add_f32 v[54:55], v[68:69], v[66:67] neg_lo:[0,1] neg_hi:[0,1]
	s_mov_b32 s56, 0x3f317218
	v_add_f32_e32 v55, v135, v55
	v_add_f32_e32 v54, v54, v55
	;; [unrolled: 1-line block ×3, first 2 shown]
	v_mul_f32_e32 v135, v134, v55
	v_mul_f32_e32 v64, v53, v135
	v_fma_f32 v66, v135, v53, -v64
	v_fmac_f32_e32 v66, v135, v49
	v_sub_f32_e32 v49, v65, v55
	v_add_f32_e32 v49, v54, v49
	v_add_f32_e32 v54, v64, v66
	v_sub_f32_e32 v65, v55, v54
	v_pk_add_f32 v[68:69], v[54:55], v[64:65] neg_lo:[0,1] neg_hi:[0,1]
	v_mov_b32_e32 v67, v54
	v_pk_add_f32 v[54:55], v[68:69], v[66:67] neg_lo:[0,1] neg_hi:[0,1]
	v_add_f32_e32 v53, v144, v135
	v_add_f32_e32 v49, v49, v55
	;; [unrolled: 1-line block ×4, first 2 shown]
	v_sub_f32_e32 v54, v53, v144
	v_mul_f32_e32 v49, v134, v49
	v_sub_f32_e32 v54, v135, v54
	v_add_f32_e32 v49, v54, v49
	v_add_f32_e32 v54, v53, v49
	v_cvt_f32_i32_e32 v64, v133
	v_mul_f32_e32 v65, v54, v54
	v_mov_b32_e32 v55, 0x3ecc95a3
	v_fmac_f32_e32 v55, 0x3e9b6dac, v65
	v_fmaak_f32 v55, v65, v55, 0x3f2aaada
	v_sub_f32_e32 v53, v54, v53
	v_ldexp_f32 v67, v54, 1
	v_mul_f32_e32 v65, v54, v65
	v_mov_b32_e32 v54, 0x3f317218
	v_pk_mul_f32 v[54:55], v[64:65], v[54:55]
	v_sub_f32_e32 v49, v49, v53
	v_fma_f32 v53, v64, s56, -v54
	v_fmamk_f32 v66, v64, 0xb102e308, v53
	v_pk_add_f32 v[64:65], v[54:55], v[66:67]
	v_ldexp_f32 v49, v49, 1
	v_sub_f32_e32 v53, v65, v67
	v_sub_f32_e32 v53, v55, v53
	v_add_f32_e32 v69, v49, v53
	v_mov_b32_e32 v68, v54
	v_pk_add_f32 v[54:55], v[64:65], v[54:55] neg_lo:[0,1] neg_hi:[0,1]
	v_pk_add_f32 v[134:135], v[64:65], v[68:69]
	v_mov_b32_e32 v67, v64
	v_mov_b32_e32 v55, v135
	v_pk_add_f32 v[144:145], v[66:67], v[54:55] neg_lo:[0,1] neg_hi:[0,1]
	v_pk_add_f32 v[54:55], v[66:67], v[54:55]
	v_mov_b32_e32 v68, v69
	v_mov_b32_e32 v66, v55
	v_pk_add_f32 v[146:147], v[66:67], v[64:65] neg_lo:[0,1] neg_hi:[0,1]
	v_mov_b32_e32 v54, v135
	v_mov_b32_e32 v49, v146
	v_pk_add_f32 v[148:149], v[134:135], v[48:49] neg_lo:[0,1] neg_hi:[0,1]
	v_mov_b32_e32 v134, v65
	v_mov_b32_e32 v135, v146
	;; [unrolled: 1-line block ×3, first 2 shown]
	v_pk_add_f32 v[54:55], v[54:55], v[134:135] neg_lo:[0,1] neg_hi:[0,1]
	v_mov_b32_e32 v69, v64
	v_pk_add_f32 v[54:55], v[68:69], v[54:55] neg_lo:[0,1] neg_hi:[0,1]
	v_mov_b32_e32 v148, v144
	v_pk_add_f32 v[64:65], v[148:149], v[54:55]
	v_cmp_eq_f32_e64 s[56:57], s61, v51
	v_mov_b32_e32 v68, v65
	v_pk_add_f32 v[68:69], v[64:65], v[68:69]
	s_mov_b32 s61, 0x33800000
	v_pk_add_f32 v[66:67], v[66:67], v[68:69]
	v_mov_b32_e32 v55, v68
	v_mov_b32_e32 v65, v66
	v_pk_add_f32 v[134:135], v[64:65], v[144:145] neg_lo:[0,1] neg_hi:[0,1]
	v_cmp_lt_f32_e64 s[64:65], |v51|, s61
	v_sub_f32_e32 v49, v64, v134
	v_pk_add_f32 v[54:55], v[54:55], v[134:135] neg_lo:[0,1] neg_hi:[0,1]
	v_sub_f32_e32 v49, v144, v49
	v_add_f32_e32 v49, v54, v49
	v_add_f32_e32 v49, v49, v55
	;; [unrolled: 1-line block ×3, first 2 shown]
	s_or_b64 s[56:57], s[56:57], s[64:65]
	v_cndmask_b32_e64 v49, v49, v51, s[56:57]
	v_add_f32_e32 v49, v48, v49
.LBB161_134:
	s_or_b64 exec, exec, s[58:59]
	v_cndmask_b32_e64 v49, v49, v132, s[4:5]
	; wave barrier
	ds_write_b32 v50, v49
	; wave barrier
	ds_read_b32 v48, v50 offset:4
	v_max_f32_e32 v53, v49, v49
	v_cmp_u_f32_e64 s[56:57], v49, v49
	s_waitcnt lgkmcnt(0)
	v_max_f32_e32 v54, v48, v48
	v_min_f32_e32 v51, v53, v54
	v_max_f32_e32 v53, v53, v54
	v_cndmask_b32_e64 v51, v51, v49, s[56:57]
	v_cmp_u_f32_e64 s[58:59], v48, v48
	v_cndmask_b32_e64 v53, v53, v49, s[56:57]
	s_nop 0
	v_cndmask_b32_e64 v51, v51, v48, s[58:59]
	v_cndmask_b32_e64 v48, v53, v48, s[58:59]
	v_cmp_neq_f32_e64 s[56:57], v51, v48
	v_cmp_class_f32_e64 s[58:59], v51, s60
	s_or_b64 s[56:57], s[56:57], s[58:59]
	s_and_saveexec_b64 s[58:59], s[56:57]
	s_cbranch_execz .LBB161_136
; %bb.135:
	v_sub_f32_e32 v49, v51, v48
	s_mov_b32 s56, 0x3fb8aa3b
	v_mul_f32_e32 v51, 0x3fb8aa3b, v49
	v_fma_f32 v53, v49, s56, -v51
	v_rndne_f32_e32 v54, v51
	v_fmamk_f32 v53, v49, 0x32a5705f, v53
	v_sub_f32_e32 v51, v51, v54
	v_add_f32_e32 v51, v51, v53
	v_exp_f32_e32 v51, v51
	v_cvt_i32_f32_e32 v53, v54
	s_mov_b32 s56, 0xc2ce8ed0
	v_cmp_ngt_f32_e64 s[56:57], s56, v49
	s_mov_b32 s60, 0x7f800000
	v_ldexp_f32 v51, v51, v53
	v_cndmask_b32_e64 v51, 0, v51, s[56:57]
	s_mov_b32 s56, 0x42b17218
	v_mov_b32_e32 v53, 0x7f800000
	v_cmp_nlt_f32_e64 s[56:57], s56, v49
	s_nop 1
	v_cndmask_b32_e64 v51, v53, v51, s[56:57]
	v_add_f32_e32 v49, 1.0, v51
	v_add_f32_e32 v53, -1.0, v49
	v_sub_f32_e32 v54, v53, v49
	v_add_f32_e32 v54, 1.0, v54
	v_sub_f32_e32 v53, v51, v53
	v_add_f32_e32 v53, v53, v54
	v_frexp_mant_f32_e32 v64, v49
	s_mov_b32 s56, 0x3f2aaaab
	v_cvt_f64_f32_e32 v[54:55], v49
	v_frexp_exp_i32_f64_e32 v54, v[54:55]
	v_cmp_gt_f32_e64 s[56:57], s56, v64
	s_nop 1
	v_subbrev_co_u32_e64 v133, s[56:57], 0, v54, s[56:57]
	v_sub_u32_e32 v54, 0, v133
	v_ldexp_f32 v49, v49, v54
	v_ldexp_f32 v53, v53, v54
	v_add_f32_e32 v54, -1.0, v49
	v_add_f32_e32 v55, 1.0, v54
	v_sub_f32_e32 v55, v49, v55
	v_add_f32_e32 v64, v53, v55
	v_add_f32_e32 v55, 1.0, v49
	v_add_f32_e32 v65, -1.0, v55
	v_sub_f32_e32 v49, v49, v65
	v_add_f32_e32 v49, v53, v49
	v_add_f32_e32 v53, v55, v49
	v_rcp_f32_e32 v134, v53
	v_sub_f32_e32 v55, v55, v53
	v_add_f32_e32 v49, v49, v55
	v_add_f32_e32 v55, v54, v64
	v_sub_f32_e32 v54, v54, v55
	v_mul_f32_e32 v144, v55, v134
	v_add_f32_e32 v135, v64, v54
	v_mul_f32_e32 v64, v53, v144
	v_fma_f32 v66, v144, v53, -v64
	v_fmac_f32_e32 v66, v144, v49
	v_add_f32_e32 v54, v64, v66
	v_sub_f32_e32 v65, v55, v54
	v_pk_add_f32 v[68:69], v[54:55], v[64:65] neg_lo:[0,1] neg_hi:[0,1]
	v_mov_b32_e32 v67, v54
	v_pk_add_f32 v[54:55], v[68:69], v[66:67] neg_lo:[0,1] neg_hi:[0,1]
	s_mov_b32 s56, 0x3f317218
	v_add_f32_e32 v55, v135, v55
	v_add_f32_e32 v54, v54, v55
	;; [unrolled: 1-line block ×3, first 2 shown]
	v_mul_f32_e32 v135, v134, v55
	v_mul_f32_e32 v64, v53, v135
	v_fma_f32 v66, v135, v53, -v64
	v_fmac_f32_e32 v66, v135, v49
	v_sub_f32_e32 v49, v65, v55
	v_add_f32_e32 v49, v54, v49
	v_add_f32_e32 v54, v64, v66
	v_sub_f32_e32 v65, v55, v54
	v_pk_add_f32 v[68:69], v[54:55], v[64:65] neg_lo:[0,1] neg_hi:[0,1]
	v_mov_b32_e32 v67, v54
	v_pk_add_f32 v[54:55], v[68:69], v[66:67] neg_lo:[0,1] neg_hi:[0,1]
	v_add_f32_e32 v53, v144, v135
	v_add_f32_e32 v49, v49, v55
	;; [unrolled: 1-line block ×4, first 2 shown]
	v_sub_f32_e32 v54, v53, v144
	v_mul_f32_e32 v49, v134, v49
	v_sub_f32_e32 v54, v135, v54
	v_add_f32_e32 v49, v54, v49
	v_add_f32_e32 v54, v53, v49
	v_cvt_f32_i32_e32 v64, v133
	v_mul_f32_e32 v65, v54, v54
	v_mov_b32_e32 v55, 0x3ecc95a3
	v_fmac_f32_e32 v55, 0x3e9b6dac, v65
	v_fmaak_f32 v55, v65, v55, 0x3f2aaada
	v_sub_f32_e32 v53, v54, v53
	v_ldexp_f32 v67, v54, 1
	v_mul_f32_e32 v65, v54, v65
	v_mov_b32_e32 v54, 0x3f317218
	v_pk_mul_f32 v[54:55], v[64:65], v[54:55]
	v_sub_f32_e32 v49, v49, v53
	v_fma_f32 v53, v64, s56, -v54
	v_fmamk_f32 v66, v64, 0xb102e308, v53
	v_pk_add_f32 v[64:65], v[54:55], v[66:67]
	v_ldexp_f32 v49, v49, 1
	v_sub_f32_e32 v53, v65, v67
	v_sub_f32_e32 v53, v55, v53
	v_add_f32_e32 v69, v49, v53
	v_mov_b32_e32 v68, v54
	v_pk_add_f32 v[54:55], v[64:65], v[54:55] neg_lo:[0,1] neg_hi:[0,1]
	v_pk_add_f32 v[134:135], v[64:65], v[68:69]
	v_mov_b32_e32 v67, v64
	v_mov_b32_e32 v55, v135
	v_pk_add_f32 v[144:145], v[66:67], v[54:55] neg_lo:[0,1] neg_hi:[0,1]
	v_pk_add_f32 v[54:55], v[66:67], v[54:55]
	v_mov_b32_e32 v68, v69
	v_mov_b32_e32 v66, v55
	v_pk_add_f32 v[146:147], v[66:67], v[64:65] neg_lo:[0,1] neg_hi:[0,1]
	v_mov_b32_e32 v54, v135
	v_mov_b32_e32 v49, v146
	v_pk_add_f32 v[148:149], v[134:135], v[48:49] neg_lo:[0,1] neg_hi:[0,1]
	v_mov_b32_e32 v134, v65
	v_mov_b32_e32 v135, v146
	;; [unrolled: 1-line block ×3, first 2 shown]
	v_pk_add_f32 v[54:55], v[54:55], v[134:135] neg_lo:[0,1] neg_hi:[0,1]
	v_mov_b32_e32 v69, v64
	v_pk_add_f32 v[54:55], v[68:69], v[54:55] neg_lo:[0,1] neg_hi:[0,1]
	v_mov_b32_e32 v148, v144
	v_pk_add_f32 v[64:65], v[148:149], v[54:55]
	v_cmp_eq_f32_e64 s[56:57], s60, v51
	v_mov_b32_e32 v68, v65
	v_pk_add_f32 v[68:69], v[64:65], v[68:69]
	s_mov_b32 s60, 0x33800000
	v_pk_add_f32 v[66:67], v[66:67], v[68:69]
	v_mov_b32_e32 v55, v68
	v_mov_b32_e32 v65, v66
	v_pk_add_f32 v[134:135], v[64:65], v[144:145] neg_lo:[0,1] neg_hi:[0,1]
	v_cmp_lt_f32_e64 s[60:61], |v51|, s60
	v_sub_f32_e32 v49, v64, v134
	v_pk_add_f32 v[54:55], v[54:55], v[134:135] neg_lo:[0,1] neg_hi:[0,1]
	v_sub_f32_e32 v49, v144, v49
	v_add_f32_e32 v49, v54, v49
	v_add_f32_e32 v49, v49, v55
	;; [unrolled: 1-line block ×3, first 2 shown]
	s_or_b64 s[56:57], s[56:57], s[60:61]
	v_cndmask_b32_e64 v49, v49, v51, s[56:57]
	v_add_f32_e32 v49, v48, v49
.LBB161_136:
	s_or_b64 exec, exec, s[58:59]
	ds_read_b32 v48, v50 offset:8
	v_max_f32_e32 v53, v49, v49
	v_cmp_u_f32_e64 s[56:57], v49, v49
	s_movk_i32 s60, 0x1f8
	ds_write_b32 v50, v49 offset:4
	s_waitcnt lgkmcnt(1)
	v_max_f32_e32 v54, v48, v48
	v_min_f32_e32 v51, v53, v54
	v_max_f32_e32 v53, v53, v54
	v_cndmask_b32_e64 v51, v51, v49, s[56:57]
	v_cmp_u_f32_e64 s[58:59], v48, v48
	v_cndmask_b32_e64 v53, v53, v49, s[56:57]
	s_nop 0
	v_cndmask_b32_e64 v51, v51, v48, s[58:59]
	v_cndmask_b32_e64 v48, v53, v48, s[58:59]
	v_cmp_neq_f32_e64 s[56:57], v51, v48
	v_cmp_class_f32_e64 s[58:59], v51, s60
	s_or_b64 s[56:57], s[56:57], s[58:59]
	s_and_saveexec_b64 s[58:59], s[56:57]
	s_cbranch_execz .LBB161_138
; %bb.137:
	v_sub_f32_e32 v49, v51, v48
	s_mov_b32 s56, 0x3fb8aa3b
	v_mul_f32_e32 v51, 0x3fb8aa3b, v49
	v_fma_f32 v53, v49, s56, -v51
	v_rndne_f32_e32 v54, v51
	v_fmamk_f32 v53, v49, 0x32a5705f, v53
	v_sub_f32_e32 v51, v51, v54
	v_add_f32_e32 v51, v51, v53
	v_exp_f32_e32 v51, v51
	v_cvt_i32_f32_e32 v53, v54
	s_mov_b32 s56, 0xc2ce8ed0
	v_cmp_ngt_f32_e64 s[56:57], s56, v49
	s_mov_b32 s61, 0x7f800000
	v_ldexp_f32 v51, v51, v53
	v_cndmask_b32_e64 v51, 0, v51, s[56:57]
	s_mov_b32 s56, 0x42b17218
	v_mov_b32_e32 v53, 0x7f800000
	v_cmp_nlt_f32_e64 s[56:57], s56, v49
	s_nop 1
	v_cndmask_b32_e64 v51, v53, v51, s[56:57]
	v_add_f32_e32 v49, 1.0, v51
	v_add_f32_e32 v53, -1.0, v49
	v_sub_f32_e32 v54, v53, v49
	v_add_f32_e32 v54, 1.0, v54
	v_sub_f32_e32 v53, v51, v53
	v_add_f32_e32 v53, v53, v54
	v_frexp_mant_f32_e32 v64, v49
	s_mov_b32 s56, 0x3f2aaaab
	v_cvt_f64_f32_e32 v[54:55], v49
	v_frexp_exp_i32_f64_e32 v54, v[54:55]
	v_cmp_gt_f32_e64 s[56:57], s56, v64
	s_nop 1
	v_subbrev_co_u32_e64 v133, s[56:57], 0, v54, s[56:57]
	v_sub_u32_e32 v54, 0, v133
	v_ldexp_f32 v49, v49, v54
	v_ldexp_f32 v53, v53, v54
	v_add_f32_e32 v54, -1.0, v49
	v_add_f32_e32 v55, 1.0, v54
	v_sub_f32_e32 v55, v49, v55
	v_add_f32_e32 v64, v53, v55
	v_add_f32_e32 v55, 1.0, v49
	v_add_f32_e32 v65, -1.0, v55
	v_sub_f32_e32 v49, v49, v65
	v_add_f32_e32 v49, v53, v49
	v_add_f32_e32 v53, v55, v49
	v_rcp_f32_e32 v134, v53
	v_sub_f32_e32 v55, v55, v53
	v_add_f32_e32 v49, v49, v55
	v_add_f32_e32 v55, v54, v64
	v_sub_f32_e32 v54, v54, v55
	v_mul_f32_e32 v144, v55, v134
	v_add_f32_e32 v135, v64, v54
	v_mul_f32_e32 v64, v53, v144
	v_fma_f32 v66, v144, v53, -v64
	v_fmac_f32_e32 v66, v144, v49
	v_add_f32_e32 v54, v64, v66
	v_sub_f32_e32 v65, v55, v54
	v_pk_add_f32 v[68:69], v[54:55], v[64:65] neg_lo:[0,1] neg_hi:[0,1]
	v_mov_b32_e32 v67, v54
	v_pk_add_f32 v[54:55], v[68:69], v[66:67] neg_lo:[0,1] neg_hi:[0,1]
	s_mov_b32 s56, 0x3f317218
	v_add_f32_e32 v55, v135, v55
	v_add_f32_e32 v54, v54, v55
	;; [unrolled: 1-line block ×3, first 2 shown]
	v_mul_f32_e32 v135, v134, v55
	v_mul_f32_e32 v64, v53, v135
	v_fma_f32 v66, v135, v53, -v64
	v_fmac_f32_e32 v66, v135, v49
	v_sub_f32_e32 v49, v65, v55
	v_add_f32_e32 v49, v54, v49
	v_add_f32_e32 v54, v64, v66
	v_sub_f32_e32 v65, v55, v54
	v_pk_add_f32 v[68:69], v[54:55], v[64:65] neg_lo:[0,1] neg_hi:[0,1]
	v_mov_b32_e32 v67, v54
	v_pk_add_f32 v[54:55], v[68:69], v[66:67] neg_lo:[0,1] neg_hi:[0,1]
	v_add_f32_e32 v53, v144, v135
	v_add_f32_e32 v49, v49, v55
	v_add_f32_e32 v49, v54, v49
	v_add_f32_e32 v49, v65, v49
	v_sub_f32_e32 v54, v53, v144
	v_mul_f32_e32 v49, v134, v49
	v_sub_f32_e32 v54, v135, v54
	v_add_f32_e32 v49, v54, v49
	v_add_f32_e32 v54, v53, v49
	v_cvt_f32_i32_e32 v64, v133
	v_mul_f32_e32 v65, v54, v54
	v_mov_b32_e32 v55, 0x3ecc95a3
	v_fmac_f32_e32 v55, 0x3e9b6dac, v65
	v_fmaak_f32 v55, v65, v55, 0x3f2aaada
	v_sub_f32_e32 v53, v54, v53
	v_ldexp_f32 v67, v54, 1
	v_mul_f32_e32 v65, v54, v65
	v_mov_b32_e32 v54, 0x3f317218
	v_pk_mul_f32 v[54:55], v[64:65], v[54:55]
	v_sub_f32_e32 v49, v49, v53
	v_fma_f32 v53, v64, s56, -v54
	v_fmamk_f32 v66, v64, 0xb102e308, v53
	v_pk_add_f32 v[64:65], v[54:55], v[66:67]
	v_ldexp_f32 v49, v49, 1
	v_sub_f32_e32 v53, v65, v67
	v_sub_f32_e32 v53, v55, v53
	v_add_f32_e32 v69, v49, v53
	v_mov_b32_e32 v68, v54
	v_pk_add_f32 v[54:55], v[64:65], v[54:55] neg_lo:[0,1] neg_hi:[0,1]
	v_pk_add_f32 v[134:135], v[64:65], v[68:69]
	v_mov_b32_e32 v67, v64
	v_mov_b32_e32 v55, v135
	v_pk_add_f32 v[144:145], v[66:67], v[54:55] neg_lo:[0,1] neg_hi:[0,1]
	v_pk_add_f32 v[54:55], v[66:67], v[54:55]
	v_mov_b32_e32 v68, v69
	v_mov_b32_e32 v66, v55
	v_pk_add_f32 v[146:147], v[66:67], v[64:65] neg_lo:[0,1] neg_hi:[0,1]
	v_mov_b32_e32 v54, v135
	v_mov_b32_e32 v49, v146
	v_pk_add_f32 v[148:149], v[134:135], v[48:49] neg_lo:[0,1] neg_hi:[0,1]
	v_mov_b32_e32 v134, v65
	v_mov_b32_e32 v135, v146
	;; [unrolled: 1-line block ×3, first 2 shown]
	v_pk_add_f32 v[54:55], v[54:55], v[134:135] neg_lo:[0,1] neg_hi:[0,1]
	v_mov_b32_e32 v69, v64
	v_pk_add_f32 v[54:55], v[68:69], v[54:55] neg_lo:[0,1] neg_hi:[0,1]
	v_mov_b32_e32 v148, v144
	v_pk_add_f32 v[64:65], v[148:149], v[54:55]
	v_cmp_eq_f32_e64 s[56:57], s61, v51
	v_mov_b32_e32 v68, v65
	v_pk_add_f32 v[68:69], v[64:65], v[68:69]
	s_mov_b32 s61, 0x33800000
	v_pk_add_f32 v[66:67], v[66:67], v[68:69]
	v_mov_b32_e32 v55, v68
	v_mov_b32_e32 v65, v66
	v_pk_add_f32 v[134:135], v[64:65], v[144:145] neg_lo:[0,1] neg_hi:[0,1]
	v_cmp_lt_f32_e64 s[64:65], |v51|, s61
	v_sub_f32_e32 v49, v64, v134
	v_pk_add_f32 v[54:55], v[54:55], v[134:135] neg_lo:[0,1] neg_hi:[0,1]
	v_sub_f32_e32 v49, v144, v49
	v_add_f32_e32 v49, v54, v49
	v_add_f32_e32 v49, v49, v55
	;; [unrolled: 1-line block ×3, first 2 shown]
	s_or_b64 s[56:57], s[56:57], s[64:65]
	v_cndmask_b32_e64 v49, v49, v51, s[56:57]
	v_add_f32_e32 v49, v48, v49
.LBB161_138:
	s_or_b64 exec, exec, s[58:59]
	ds_read_b32 v48, v50 offset:12
	v_max_f32_e32 v53, v49, v49
	v_cmp_u_f32_e64 s[56:57], v49, v49
	ds_write_b32 v50, v49 offset:8
	s_waitcnt lgkmcnt(1)
	v_max_f32_e32 v54, v48, v48
	v_min_f32_e32 v51, v53, v54
	v_max_f32_e32 v53, v53, v54
	v_cndmask_b32_e64 v51, v51, v49, s[56:57]
	v_cmp_u_f32_e64 s[58:59], v48, v48
	v_cndmask_b32_e64 v53, v53, v49, s[56:57]
	s_nop 0
	v_cndmask_b32_e64 v51, v51, v48, s[58:59]
	v_cndmask_b32_e64 v48, v53, v48, s[58:59]
	v_cmp_neq_f32_e64 s[56:57], v51, v48
	v_cmp_class_f32_e64 s[58:59], v51, s60
	s_or_b64 s[56:57], s[56:57], s[58:59]
	s_and_saveexec_b64 s[58:59], s[56:57]
	s_cbranch_execz .LBB161_140
; %bb.139:
	v_sub_f32_e32 v49, v51, v48
	s_mov_b32 s56, 0x3fb8aa3b
	v_mul_f32_e32 v51, 0x3fb8aa3b, v49
	v_fma_f32 v53, v49, s56, -v51
	v_rndne_f32_e32 v54, v51
	v_fmamk_f32 v53, v49, 0x32a5705f, v53
	v_sub_f32_e32 v51, v51, v54
	v_add_f32_e32 v51, v51, v53
	v_exp_f32_e32 v51, v51
	v_cvt_i32_f32_e32 v53, v54
	s_mov_b32 s56, 0xc2ce8ed0
	v_cmp_ngt_f32_e64 s[56:57], s56, v49
	s_mov_b32 s60, 0x7f800000
	v_ldexp_f32 v51, v51, v53
	v_cndmask_b32_e64 v51, 0, v51, s[56:57]
	s_mov_b32 s56, 0x42b17218
	v_mov_b32_e32 v53, 0x7f800000
	v_cmp_nlt_f32_e64 s[56:57], s56, v49
	s_nop 1
	v_cndmask_b32_e64 v51, v53, v51, s[56:57]
	v_add_f32_e32 v49, 1.0, v51
	v_add_f32_e32 v53, -1.0, v49
	v_sub_f32_e32 v54, v53, v49
	v_add_f32_e32 v54, 1.0, v54
	v_sub_f32_e32 v53, v51, v53
	v_add_f32_e32 v53, v53, v54
	v_frexp_mant_f32_e32 v64, v49
	s_mov_b32 s56, 0x3f2aaaab
	v_cvt_f64_f32_e32 v[54:55], v49
	v_frexp_exp_i32_f64_e32 v54, v[54:55]
	v_cmp_gt_f32_e64 s[56:57], s56, v64
	s_nop 1
	v_subbrev_co_u32_e64 v133, s[56:57], 0, v54, s[56:57]
	v_sub_u32_e32 v54, 0, v133
	v_ldexp_f32 v49, v49, v54
	v_ldexp_f32 v53, v53, v54
	v_add_f32_e32 v54, -1.0, v49
	v_add_f32_e32 v55, 1.0, v54
	v_sub_f32_e32 v55, v49, v55
	v_add_f32_e32 v64, v53, v55
	v_add_f32_e32 v55, 1.0, v49
	v_add_f32_e32 v65, -1.0, v55
	v_sub_f32_e32 v49, v49, v65
	v_add_f32_e32 v49, v53, v49
	v_add_f32_e32 v53, v55, v49
	v_rcp_f32_e32 v134, v53
	v_sub_f32_e32 v55, v55, v53
	v_add_f32_e32 v49, v49, v55
	v_add_f32_e32 v55, v54, v64
	v_sub_f32_e32 v54, v54, v55
	v_mul_f32_e32 v144, v55, v134
	v_add_f32_e32 v135, v64, v54
	v_mul_f32_e32 v64, v53, v144
	v_fma_f32 v66, v144, v53, -v64
	v_fmac_f32_e32 v66, v144, v49
	v_add_f32_e32 v54, v64, v66
	v_sub_f32_e32 v65, v55, v54
	v_pk_add_f32 v[68:69], v[54:55], v[64:65] neg_lo:[0,1] neg_hi:[0,1]
	v_mov_b32_e32 v67, v54
	v_pk_add_f32 v[54:55], v[68:69], v[66:67] neg_lo:[0,1] neg_hi:[0,1]
	s_mov_b32 s56, 0x3f317218
	v_add_f32_e32 v55, v135, v55
	v_add_f32_e32 v54, v54, v55
	;; [unrolled: 1-line block ×3, first 2 shown]
	v_mul_f32_e32 v135, v134, v55
	v_mul_f32_e32 v64, v53, v135
	v_fma_f32 v66, v135, v53, -v64
	v_fmac_f32_e32 v66, v135, v49
	v_sub_f32_e32 v49, v65, v55
	v_add_f32_e32 v49, v54, v49
	v_add_f32_e32 v54, v64, v66
	v_sub_f32_e32 v65, v55, v54
	v_pk_add_f32 v[68:69], v[54:55], v[64:65] neg_lo:[0,1] neg_hi:[0,1]
	v_mov_b32_e32 v67, v54
	v_pk_add_f32 v[54:55], v[68:69], v[66:67] neg_lo:[0,1] neg_hi:[0,1]
	v_add_f32_e32 v53, v144, v135
	v_add_f32_e32 v49, v49, v55
	;; [unrolled: 1-line block ×4, first 2 shown]
	v_sub_f32_e32 v54, v53, v144
	v_mul_f32_e32 v49, v134, v49
	v_sub_f32_e32 v54, v135, v54
	v_add_f32_e32 v49, v54, v49
	v_add_f32_e32 v54, v53, v49
	v_cvt_f32_i32_e32 v64, v133
	v_mul_f32_e32 v65, v54, v54
	v_mov_b32_e32 v55, 0x3ecc95a3
	v_fmac_f32_e32 v55, 0x3e9b6dac, v65
	v_fmaak_f32 v55, v65, v55, 0x3f2aaada
	v_sub_f32_e32 v53, v54, v53
	v_ldexp_f32 v67, v54, 1
	v_mul_f32_e32 v65, v54, v65
	v_mov_b32_e32 v54, 0x3f317218
	v_pk_mul_f32 v[54:55], v[64:65], v[54:55]
	v_sub_f32_e32 v49, v49, v53
	v_fma_f32 v53, v64, s56, -v54
	v_fmamk_f32 v66, v64, 0xb102e308, v53
	v_pk_add_f32 v[64:65], v[54:55], v[66:67]
	v_ldexp_f32 v49, v49, 1
	v_sub_f32_e32 v53, v65, v67
	v_sub_f32_e32 v53, v55, v53
	v_add_f32_e32 v69, v49, v53
	v_mov_b32_e32 v68, v54
	v_pk_add_f32 v[54:55], v[64:65], v[54:55] neg_lo:[0,1] neg_hi:[0,1]
	v_pk_add_f32 v[134:135], v[64:65], v[68:69]
	v_mov_b32_e32 v67, v64
	v_mov_b32_e32 v55, v135
	v_pk_add_f32 v[144:145], v[66:67], v[54:55] neg_lo:[0,1] neg_hi:[0,1]
	v_pk_add_f32 v[54:55], v[66:67], v[54:55]
	v_mov_b32_e32 v68, v69
	v_mov_b32_e32 v66, v55
	v_pk_add_f32 v[146:147], v[66:67], v[64:65] neg_lo:[0,1] neg_hi:[0,1]
	v_mov_b32_e32 v54, v135
	v_mov_b32_e32 v49, v146
	v_pk_add_f32 v[148:149], v[134:135], v[48:49] neg_lo:[0,1] neg_hi:[0,1]
	v_mov_b32_e32 v134, v65
	v_mov_b32_e32 v135, v146
	;; [unrolled: 1-line block ×3, first 2 shown]
	v_pk_add_f32 v[54:55], v[54:55], v[134:135] neg_lo:[0,1] neg_hi:[0,1]
	v_mov_b32_e32 v69, v64
	v_pk_add_f32 v[54:55], v[68:69], v[54:55] neg_lo:[0,1] neg_hi:[0,1]
	v_mov_b32_e32 v148, v144
	v_pk_add_f32 v[64:65], v[148:149], v[54:55]
	v_cmp_eq_f32_e64 s[56:57], s60, v51
	v_mov_b32_e32 v68, v65
	v_pk_add_f32 v[68:69], v[64:65], v[68:69]
	s_mov_b32 s60, 0x33800000
	v_pk_add_f32 v[66:67], v[66:67], v[68:69]
	v_mov_b32_e32 v55, v68
	v_mov_b32_e32 v65, v66
	v_pk_add_f32 v[134:135], v[64:65], v[144:145] neg_lo:[0,1] neg_hi:[0,1]
	v_cmp_lt_f32_e64 s[60:61], |v51|, s60
	v_sub_f32_e32 v49, v64, v134
	v_pk_add_f32 v[54:55], v[54:55], v[134:135] neg_lo:[0,1] neg_hi:[0,1]
	v_sub_f32_e32 v49, v144, v49
	v_add_f32_e32 v49, v54, v49
	v_add_f32_e32 v49, v49, v55
	;; [unrolled: 1-line block ×3, first 2 shown]
	s_or_b64 s[56:57], s[56:57], s[60:61]
	v_cndmask_b32_e64 v49, v49, v51, s[56:57]
	v_add_f32_e32 v49, v48, v49
.LBB161_140:
	s_or_b64 exec, exec, s[58:59]
	ds_write_b32 v50, v49 offset:12
.LBB161_141:
	s_or_b64 exec, exec, s[62:63]
	s_waitcnt lgkmcnt(0)
	s_barrier
	s_and_saveexec_b64 s[56:57], s[2:3]
	s_cbranch_execz .LBB161_143
; %bb.142:
	v_add_u32_e32 v48, -1, v100
	v_lshrrev_b32_e32 v49, 5, v48
	v_add_lshl_u32 v48, v49, v48, 2
	ds_read_b32 v132, v48
.LBB161_143:
	s_or_b64 exec, exec, s[56:57]
	s_and_saveexec_b64 s[60:61], vcc
	s_cbranch_execz .LBB161_214
; %bb.144:
	v_mov_b32_e32 v65, 0
	ds_read_b32 v50, v65 offset:1048
	v_mbcnt_lo_u32_b32 v48, -1, 0
	v_mbcnt_hi_u32_b32 v53, -1, v48
	v_cmp_eq_u32_e64 s[56:57], 0, v53
	v_add_u32_e32 v48, 64, v52
	s_and_saveexec_b64 vcc, s[56:57]
	s_cbranch_execz .LBB161_146
; %bb.145:
	v_mov_b32_e32 v49, v65
	v_lshl_add_u64 v[54:55], v[48:49], 3, v[96:97]
	v_mov_b32_e32 v51, 1
	s_waitcnt lgkmcnt(0)
	flat_store_dwordx2 v[54:55], v[50:51] sc1
.LBB161_146:
	s_or_b64 exec, exec, vcc
	v_xad_u32 v52, v53, -1, v52
	v_add_u32_e32 v64, 64, v52
	v_lshl_add_u64 v[66:67], v[64:65], 3, v[96:97]
	flat_load_dwordx2 v[54:55], v[66:67] sc1
	s_waitcnt vmcnt(0) lgkmcnt(0)
	v_cmp_eq_u16_sdwa s[58:59], v55, v65 src0_sel:BYTE_0 src1_sel:DWORD
	s_and_saveexec_b64 vcc, s[58:59]
	s_cbranch_execz .LBB161_150
; %bb.147:
	s_mov_b64 s[58:59], 0
	v_mov_b32_e32 v49, 0
.LBB161_148:                            ; =>This Inner Loop Header: Depth=1
	flat_load_dwordx2 v[54:55], v[66:67] sc1
	s_waitcnt vmcnt(0) lgkmcnt(0)
	v_cmp_ne_u16_sdwa s[62:63], v55, v49 src0_sel:BYTE_0 src1_sel:DWORD
	s_or_b64 s[58:59], s[62:63], s[58:59]
	s_andn2_b64 exec, exec, s[58:59]
	s_cbranch_execnz .LBB161_148
; %bb.149:
	s_or_b64 exec, exec, s[58:59]
.LBB161_150:
	s_or_b64 exec, exec, vcc
	v_mov_b32_e32 v49, 2
	v_cmp_eq_u16_sdwa vcc, v55, v49 src0_sel:BYTE_0 src1_sel:DWORD
	v_lshlrev_b64 v[64:65], v53, -1
	s_nop 0
	v_and_b32_e32 v49, vcc_hi, v65
	v_or_b32_e32 v49, 0x80000000, v49
	v_ffbl_b32_e32 v49, v49
	v_add_u32_e32 v67, 32, v49
	v_and_b32_e32 v49, 63, v53
	v_and_b32_e32 v66, vcc_lo, v64
	v_cmp_ne_u32_e32 vcc, 63, v49
	v_ffbl_b32_e32 v66, v66
	v_min_u32_e32 v66, v66, v67
	v_addc_co_u32_e32 v51, vcc, 0, v53, vcc
	v_lshlrev_b32_e32 v51, 2, v51
	ds_bpermute_b32 v68, v51, v54
	v_cmp_lt_u32_e32 vcc, v49, v66
	v_mov_b32_e32 v67, v54
	s_and_saveexec_b64 s[62:63], vcc
	s_cbranch_execz .LBB161_154
; %bb.151:
	v_max_f32_e32 v69, v54, v54
	s_waitcnt lgkmcnt(0)
	v_max_f32_e32 v133, v68, v68
	v_min_f32_e32 v67, v133, v69
	v_cmp_u_f32_e32 vcc, v68, v68
	v_max_f32_e32 v69, v133, v69
	v_cmp_u_f32_e64 s[58:59], v54, v54
	v_cndmask_b32_e32 v67, v67, v68, vcc
	v_cndmask_b32_e32 v69, v69, v68, vcc
	v_cndmask_b32_e64 v67, v67, v54, s[58:59]
	v_cndmask_b32_e64 v54, v69, v54, s[58:59]
	s_movk_i32 s58, 0x1f8
	v_cmp_neq_f32_e32 vcc, v67, v54
	v_cmp_class_f32_e64 s[58:59], v67, s58
	s_or_b64 vcc, vcc, s[58:59]
	s_and_saveexec_b64 s[58:59], vcc
	s_cbranch_execz .LBB161_153
; %bb.152:
	v_sub_f32_e32 v67, v67, v54
	s_mov_b32 s64, 0x3fb8aa3b
	v_mul_f32_e32 v68, 0x3fb8aa3b, v67
	v_fma_f32 v69, v67, s64, -v68
	v_rndne_f32_e32 v133, v68
	v_fmamk_f32 v69, v67, 0x32a5705f, v69
	v_sub_f32_e32 v68, v68, v133
	v_add_f32_e32 v68, v68, v69
	v_exp_f32_e32 v68, v68
	v_cvt_i32_f32_e32 v69, v133
	s_mov_b32 s64, 0xc2ce8ed0
	v_cmp_ngt_f32_e32 vcc, s64, v67
	s_mov_b32 s64, 0x42b17218
	v_ldexp_f32 v68, v68, v69
	v_cndmask_b32_e32 v68, 0, v68, vcc
	v_mov_b32_e32 v69, 0x7f800000
	v_cmp_nlt_f32_e32 vcc, s64, v67
	s_mov_b32 s64, 0x3f2aaaab
	s_mov_b32 s65, 0x7f800000
	v_cndmask_b32_e32 v133, v69, v68, vcc
	v_add_f32_e32 v67, 1.0, v133
	v_add_f32_e32 v68, -1.0, v67
	v_sub_f32_e32 v69, v68, v67
	v_add_f32_e32 v69, 1.0, v69
	v_sub_f32_e32 v68, v133, v68
	v_add_f32_e32 v134, v68, v69
	v_frexp_mant_f32_e32 v135, v67
	v_cvt_f64_f32_e32 v[68:69], v67
	v_frexp_exp_i32_f64_e32 v68, v[68:69]
	v_cmp_gt_f32_e32 vcc, s64, v135
	s_mov_b32 s64, 0x3f317218
	s_nop 0
	v_subbrev_co_u32_e32 v148, vcc, 0, v68, vcc
	v_sub_u32_e32 v68, 0, v148
	v_ldexp_f32 v67, v67, v68
	v_ldexp_f32 v68, v134, v68
	v_add_f32_e32 v134, -1.0, v67
	v_add_f32_e32 v69, 1.0, v134
	v_sub_f32_e32 v69, v67, v69
	v_add_f32_e32 v135, v68, v69
	v_add_f32_e32 v69, 1.0, v67
	v_add_f32_e32 v144, -1.0, v69
	v_sub_f32_e32 v67, v67, v144
	v_add_f32_e32 v67, v68, v67
	v_add_f32_e32 v149, v69, v67
	v_rcp_f32_e32 v150, v149
	v_sub_f32_e32 v68, v69, v149
	v_add_f32_e32 v69, v134, v135
	v_add_f32_e32 v67, v67, v68
	v_mul_f32_e32 v160, v69, v150
	v_sub_f32_e32 v68, v134, v69
	v_mul_f32_e32 v134, v149, v160
	v_fma_f32 v144, v160, v149, -v134
	v_fmac_f32_e32 v144, v160, v67
	v_add_f32_e32 v151, v135, v68
	v_add_f32_e32 v68, v134, v144
	v_sub_f32_e32 v135, v69, v68
	v_pk_add_f32 v[146:147], v[68:69], v[134:135] neg_lo:[0,1] neg_hi:[0,1]
	v_mov_b32_e32 v145, v68
	v_pk_add_f32 v[68:69], v[146:147], v[144:145] neg_lo:[0,1] neg_hi:[0,1]
	v_cmp_eq_f32_e32 vcc, s65, v133
	v_add_f32_e32 v69, v151, v69
	v_add_f32_e32 v68, v68, v69
	v_add_f32_e32 v69, v135, v68
	v_mul_f32_e32 v151, v150, v69
	v_mul_f32_e32 v134, v149, v151
	v_fma_f32 v144, v151, v149, -v134
	v_fmac_f32_e32 v144, v151, v67
	v_sub_f32_e32 v67, v135, v69
	v_add_f32_e32 v67, v68, v67
	v_add_f32_e32 v68, v134, v144
	v_sub_f32_e32 v135, v69, v68
	v_pk_add_f32 v[146:147], v[68:69], v[134:135] neg_lo:[0,1] neg_hi:[0,1]
	v_mov_b32_e32 v145, v68
	v_pk_add_f32 v[68:69], v[146:147], v[144:145] neg_lo:[0,1] neg_hi:[0,1]
	v_cvt_f32_i32_e32 v134, v148
	v_add_f32_e32 v67, v67, v69
	v_add_f32_e32 v67, v68, v67
	;; [unrolled: 1-line block ×4, first 2 shown]
	v_sub_f32_e32 v69, v68, v160
	v_mul_f32_e32 v67, v150, v67
	v_sub_f32_e32 v69, v151, v69
	v_add_f32_e32 v67, v69, v67
	v_add_f32_e32 v135, v68, v67
	v_mul_f32_e32 v144, v135, v135
	v_mov_b32_e32 v69, 0x3ecc95a3
	v_fmac_f32_e32 v69, 0x3e9b6dac, v144
	v_sub_f32_e32 v68, v135, v68
	v_fmaak_f32 v69, v144, v69, 0x3f2aaada
	v_sub_f32_e32 v67, v67, v68
	v_ldexp_f32 v145, v135, 1
	v_mul_f32_e32 v135, v135, v144
	v_mov_b32_e32 v68, 0x3f317218
	v_pk_mul_f32 v[68:69], v[134:135], v[68:69]
	v_ldexp_f32 v67, v67, 1
	v_fma_f32 v135, v134, s64, -v68
	v_fmamk_f32 v144, v134, 0xb102e308, v135
	v_pk_add_f32 v[134:135], v[68:69], v[144:145]
	v_mov_b32_e32 v146, v68
	v_sub_f32_e32 v145, v135, v145
	v_sub_f32_e32 v145, v69, v145
	v_add_f32_e32 v147, v67, v145
	v_pk_add_f32 v[68:69], v[134:135], v[68:69] neg_lo:[0,1] neg_hi:[0,1]
	v_pk_add_f32 v[148:149], v[134:135], v[146:147]
	v_mov_b32_e32 v145, v134
	v_mov_b32_e32 v69, v149
	v_pk_add_f32 v[150:151], v[144:145], v[68:69] neg_lo:[0,1] neg_hi:[0,1]
	v_pk_add_f32 v[68:69], v[144:145], v[68:69]
	v_mov_b32_e32 v146, v147
	v_mov_b32_e32 v144, v69
	v_pk_add_f32 v[160:161], v[144:145], v[134:135] neg_lo:[0,1] neg_hi:[0,1]
	v_mov_b32_e32 v68, v149
	v_mov_b32_e32 v67, v160
	v_pk_add_f32 v[162:163], v[148:149], v[66:67] neg_lo:[0,1] neg_hi:[0,1]
	v_mov_b32_e32 v148, v135
	v_mov_b32_e32 v149, v160
	;; [unrolled: 1-line block ×3, first 2 shown]
	v_pk_add_f32 v[68:69], v[68:69], v[148:149] neg_lo:[0,1] neg_hi:[0,1]
	v_mov_b32_e32 v147, v134
	v_pk_add_f32 v[68:69], v[146:147], v[68:69] neg_lo:[0,1] neg_hi:[0,1]
	v_mov_b32_e32 v162, v150
	v_pk_add_f32 v[134:135], v[162:163], v[68:69]
	s_mov_b32 s64, 0x33800000
	v_mov_b32_e32 v146, v135
	v_pk_add_f32 v[146:147], v[134:135], v[146:147]
	v_cmp_lt_f32_e64 s[64:65], |v133|, s64
	v_pk_add_f32 v[144:145], v[144:145], v[146:147]
	v_mov_b32_e32 v69, v146
	v_mov_b32_e32 v135, v144
	v_pk_add_f32 v[148:149], v[134:135], v[150:151] neg_lo:[0,1] neg_hi:[0,1]
	s_or_b64 vcc, vcc, s[64:65]
	v_sub_f32_e32 v67, v134, v148
	v_pk_add_f32 v[68:69], v[68:69], v[148:149] neg_lo:[0,1] neg_hi:[0,1]
	v_sub_f32_e32 v67, v150, v67
	v_add_f32_e32 v67, v68, v67
	v_add_f32_e32 v67, v67, v69
	;; [unrolled: 1-line block ×3, first 2 shown]
	v_cndmask_b32_e32 v67, v67, v133, vcc
	v_add_f32_e32 v68, v54, v67
.LBB161_153:
	s_or_b64 exec, exec, s[58:59]
	v_mov_b32_e32 v54, v68
	v_mov_b32_e32 v67, v68
.LBB161_154:
	s_or_b64 exec, exec, s[62:63]
	v_cmp_gt_u32_e32 vcc, 62, v49
	v_add_u32_e32 v134, 2, v49
	s_waitcnt lgkmcnt(0)
	v_cndmask_b32_e64 v68, 0, 1, vcc
	v_lshlrev_b32_e32 v68, 1, v68
	v_add_lshl_u32 v133, v68, v53, 2
	ds_bpermute_b32 v68, v133, v54
	v_cmp_le_u32_e32 vcc, v134, v66
	s_and_saveexec_b64 s[62:63], vcc
	s_cbranch_execz .LBB161_158
; %bb.155:
	v_max_f32_e32 v54, v67, v67
	s_waitcnt lgkmcnt(0)
	v_max_f32_e32 v135, v68, v68
	v_min_f32_e32 v69, v135, v54
	v_cmp_u_f32_e32 vcc, v68, v68
	v_max_f32_e32 v54, v135, v54
	v_cmp_u_f32_e64 s[58:59], v67, v67
	v_cndmask_b32_e32 v69, v69, v68, vcc
	v_cndmask_b32_e32 v54, v54, v68, vcc
	v_cndmask_b32_e64 v69, v69, v67, s[58:59]
	v_cndmask_b32_e64 v54, v54, v67, s[58:59]
	s_movk_i32 s58, 0x1f8
	v_cmp_neq_f32_e32 vcc, v69, v54
	v_cmp_class_f32_e64 s[58:59], v69, s58
	s_or_b64 vcc, vcc, s[58:59]
	s_and_saveexec_b64 s[58:59], vcc
	s_cbranch_execz .LBB161_157
; %bb.156:
	v_sub_f32_e32 v67, v69, v54
	s_mov_b32 s64, 0x3fb8aa3b
	v_mul_f32_e32 v68, 0x3fb8aa3b, v67
	v_fma_f32 v69, v67, s64, -v68
	v_rndne_f32_e32 v135, v68
	v_fmamk_f32 v69, v67, 0x32a5705f, v69
	v_sub_f32_e32 v68, v68, v135
	v_add_f32_e32 v68, v68, v69
	v_exp_f32_e32 v68, v68
	v_cvt_i32_f32_e32 v69, v135
	s_mov_b32 s64, 0xc2ce8ed0
	v_cmp_ngt_f32_e32 vcc, s64, v67
	s_mov_b32 s64, 0x42b17218
	v_ldexp_f32 v68, v68, v69
	v_cndmask_b32_e32 v68, 0, v68, vcc
	v_mov_b32_e32 v69, 0x7f800000
	v_cmp_nlt_f32_e32 vcc, s64, v67
	s_mov_b32 s64, 0x3f2aaaab
	s_mov_b32 s65, 0x7f800000
	v_cndmask_b32_e32 v135, v69, v68, vcc
	v_add_f32_e32 v67, 1.0, v135
	v_add_f32_e32 v68, -1.0, v67
	v_sub_f32_e32 v69, v68, v67
	v_add_f32_e32 v69, 1.0, v69
	v_sub_f32_e32 v68, v135, v68
	v_add_f32_e32 v144, v68, v69
	v_frexp_mant_f32_e32 v145, v67
	v_cvt_f64_f32_e32 v[68:69], v67
	v_frexp_exp_i32_f64_e32 v68, v[68:69]
	v_cmp_gt_f32_e32 vcc, s64, v145
	s_mov_b32 s64, 0x3f317218
	s_nop 0
	v_subbrev_co_u32_e32 v150, vcc, 0, v68, vcc
	v_sub_u32_e32 v68, 0, v150
	v_ldexp_f32 v67, v67, v68
	v_ldexp_f32 v68, v144, v68
	v_add_f32_e32 v144, -1.0, v67
	v_add_f32_e32 v69, 1.0, v144
	v_sub_f32_e32 v69, v67, v69
	v_add_f32_e32 v145, v68, v69
	v_add_f32_e32 v69, 1.0, v67
	v_add_f32_e32 v146, -1.0, v69
	v_sub_f32_e32 v67, v67, v146
	v_add_f32_e32 v67, v68, v67
	v_add_f32_e32 v151, v69, v67
	v_rcp_f32_e32 v160, v151
	v_sub_f32_e32 v68, v69, v151
	v_add_f32_e32 v69, v144, v145
	v_add_f32_e32 v67, v67, v68
	v_mul_f32_e32 v162, v69, v160
	v_sub_f32_e32 v68, v144, v69
	v_mul_f32_e32 v144, v151, v162
	v_fma_f32 v146, v162, v151, -v144
	v_fmac_f32_e32 v146, v162, v67
	v_add_f32_e32 v161, v145, v68
	v_add_f32_e32 v68, v144, v146
	v_sub_f32_e32 v145, v69, v68
	v_pk_add_f32 v[148:149], v[68:69], v[144:145] neg_lo:[0,1] neg_hi:[0,1]
	v_mov_b32_e32 v147, v68
	v_pk_add_f32 v[68:69], v[148:149], v[146:147] neg_lo:[0,1] neg_hi:[0,1]
	v_cmp_eq_f32_e32 vcc, s65, v135
	v_add_f32_e32 v69, v161, v69
	v_add_f32_e32 v68, v68, v69
	;; [unrolled: 1-line block ×3, first 2 shown]
	v_mul_f32_e32 v161, v160, v69
	v_mul_f32_e32 v144, v151, v161
	v_fma_f32 v146, v161, v151, -v144
	v_fmac_f32_e32 v146, v161, v67
	v_sub_f32_e32 v67, v145, v69
	v_add_f32_e32 v67, v68, v67
	v_add_f32_e32 v68, v144, v146
	v_sub_f32_e32 v145, v69, v68
	v_pk_add_f32 v[148:149], v[68:69], v[144:145] neg_lo:[0,1] neg_hi:[0,1]
	v_mov_b32_e32 v147, v68
	v_pk_add_f32 v[68:69], v[148:149], v[146:147] neg_lo:[0,1] neg_hi:[0,1]
	v_cvt_f32_i32_e32 v144, v150
	v_add_f32_e32 v67, v67, v69
	v_add_f32_e32 v67, v68, v67
	v_add_f32_e32 v68, v162, v161
	v_add_f32_e32 v67, v145, v67
	v_sub_f32_e32 v69, v68, v162
	v_mul_f32_e32 v67, v160, v67
	v_sub_f32_e32 v69, v161, v69
	v_add_f32_e32 v67, v69, v67
	v_add_f32_e32 v145, v68, v67
	v_mul_f32_e32 v146, v145, v145
	v_mov_b32_e32 v69, 0x3ecc95a3
	v_fmac_f32_e32 v69, 0x3e9b6dac, v146
	v_sub_f32_e32 v68, v145, v68
	v_fmaak_f32 v69, v146, v69, 0x3f2aaada
	v_sub_f32_e32 v67, v67, v68
	v_ldexp_f32 v147, v145, 1
	v_mul_f32_e32 v145, v145, v146
	v_mov_b32_e32 v68, 0x3f317218
	v_pk_mul_f32 v[68:69], v[144:145], v[68:69]
	v_ldexp_f32 v67, v67, 1
	v_fma_f32 v145, v144, s64, -v68
	v_fmamk_f32 v146, v144, 0xb102e308, v145
	v_pk_add_f32 v[144:145], v[68:69], v[146:147]
	v_mov_b32_e32 v148, v68
	v_sub_f32_e32 v147, v145, v147
	v_sub_f32_e32 v147, v69, v147
	v_add_f32_e32 v149, v67, v147
	v_pk_add_f32 v[68:69], v[144:145], v[68:69] neg_lo:[0,1] neg_hi:[0,1]
	v_pk_add_f32 v[150:151], v[144:145], v[148:149]
	v_mov_b32_e32 v147, v144
	v_mov_b32_e32 v69, v151
	v_pk_add_f32 v[160:161], v[146:147], v[68:69] neg_lo:[0,1] neg_hi:[0,1]
	v_pk_add_f32 v[68:69], v[146:147], v[68:69]
	v_mov_b32_e32 v148, v149
	v_mov_b32_e32 v146, v69
	v_pk_add_f32 v[162:163], v[146:147], v[144:145] neg_lo:[0,1] neg_hi:[0,1]
	v_mov_b32_e32 v68, v151
	v_mov_b32_e32 v67, v162
	v_pk_add_f32 v[164:165], v[150:151], v[66:67] neg_lo:[0,1] neg_hi:[0,1]
	v_mov_b32_e32 v150, v145
	v_mov_b32_e32 v151, v162
	;; [unrolled: 1-line block ×3, first 2 shown]
	v_pk_add_f32 v[68:69], v[68:69], v[150:151] neg_lo:[0,1] neg_hi:[0,1]
	v_mov_b32_e32 v149, v144
	v_pk_add_f32 v[68:69], v[148:149], v[68:69] neg_lo:[0,1] neg_hi:[0,1]
	v_mov_b32_e32 v164, v160
	v_pk_add_f32 v[144:145], v[164:165], v[68:69]
	s_mov_b32 s64, 0x33800000
	v_mov_b32_e32 v148, v145
	v_pk_add_f32 v[148:149], v[144:145], v[148:149]
	v_cmp_lt_f32_e64 s[64:65], |v135|, s64
	v_pk_add_f32 v[146:147], v[146:147], v[148:149]
	v_mov_b32_e32 v69, v148
	v_mov_b32_e32 v145, v146
	v_pk_add_f32 v[150:151], v[144:145], v[160:161] neg_lo:[0,1] neg_hi:[0,1]
	s_or_b64 vcc, vcc, s[64:65]
	v_sub_f32_e32 v67, v144, v150
	v_pk_add_f32 v[68:69], v[68:69], v[150:151] neg_lo:[0,1] neg_hi:[0,1]
	v_sub_f32_e32 v67, v160, v67
	v_add_f32_e32 v67, v68, v67
	v_add_f32_e32 v67, v67, v69
	;; [unrolled: 1-line block ×3, first 2 shown]
	v_cndmask_b32_e32 v67, v67, v135, vcc
	v_add_f32_e32 v68, v54, v67
.LBB161_157:
	s_or_b64 exec, exec, s[58:59]
	v_mov_b32_e32 v54, v68
	v_mov_b32_e32 v67, v68
.LBB161_158:
	s_or_b64 exec, exec, s[62:63]
	v_cmp_gt_u32_e32 vcc, 60, v49
	v_add_u32_e32 v144, 4, v49
	s_waitcnt lgkmcnt(0)
	v_cndmask_b32_e64 v68, 0, 1, vcc
	v_lshlrev_b32_e32 v68, 2, v68
	v_add_lshl_u32 v135, v68, v53, 2
	ds_bpermute_b32 v68, v135, v54
	v_cmp_le_u32_e32 vcc, v144, v66
	s_and_saveexec_b64 s[62:63], vcc
	s_cbranch_execz .LBB161_162
; %bb.159:
	v_max_f32_e32 v54, v67, v67
	s_waitcnt lgkmcnt(0)
	v_max_f32_e32 v145, v68, v68
	v_min_f32_e32 v69, v145, v54
	v_cmp_u_f32_e32 vcc, v68, v68
	v_max_f32_e32 v54, v145, v54
	v_cmp_u_f32_e64 s[58:59], v67, v67
	v_cndmask_b32_e32 v69, v69, v68, vcc
	v_cndmask_b32_e32 v54, v54, v68, vcc
	v_cndmask_b32_e64 v69, v69, v67, s[58:59]
	v_cndmask_b32_e64 v54, v54, v67, s[58:59]
	s_movk_i32 s58, 0x1f8
	v_cmp_neq_f32_e32 vcc, v69, v54
	v_cmp_class_f32_e64 s[58:59], v69, s58
	s_or_b64 vcc, vcc, s[58:59]
	s_and_saveexec_b64 s[58:59], vcc
	s_cbranch_execz .LBB161_161
; %bb.160:
	v_sub_f32_e32 v67, v69, v54
	s_mov_b32 s64, 0x3fb8aa3b
	v_mul_f32_e32 v68, 0x3fb8aa3b, v67
	v_fma_f32 v69, v67, s64, -v68
	v_rndne_f32_e32 v145, v68
	v_fmamk_f32 v69, v67, 0x32a5705f, v69
	v_sub_f32_e32 v68, v68, v145
	v_add_f32_e32 v68, v68, v69
	v_exp_f32_e32 v68, v68
	v_cvt_i32_f32_e32 v69, v145
	s_mov_b32 s64, 0xc2ce8ed0
	v_cmp_ngt_f32_e32 vcc, s64, v67
	s_mov_b32 s64, 0x42b17218
	v_ldexp_f32 v68, v68, v69
	v_cndmask_b32_e32 v68, 0, v68, vcc
	v_mov_b32_e32 v69, 0x7f800000
	v_cmp_nlt_f32_e32 vcc, s64, v67
	s_mov_b32 s64, 0x3f2aaaab
	s_mov_b32 s65, 0x7f800000
	v_cndmask_b32_e32 v145, v69, v68, vcc
	v_add_f32_e32 v67, 1.0, v145
	v_add_f32_e32 v68, -1.0, v67
	v_sub_f32_e32 v69, v68, v67
	v_add_f32_e32 v69, 1.0, v69
	v_sub_f32_e32 v68, v145, v68
	v_add_f32_e32 v146, v68, v69
	v_frexp_mant_f32_e32 v147, v67
	v_cvt_f64_f32_e32 v[68:69], v67
	v_frexp_exp_i32_f64_e32 v68, v[68:69]
	v_cmp_gt_f32_e32 vcc, s64, v147
	s_mov_b32 s64, 0x3f317218
	s_nop 0
	v_subbrev_co_u32_e32 v160, vcc, 0, v68, vcc
	v_sub_u32_e32 v68, 0, v160
	v_ldexp_f32 v67, v67, v68
	v_ldexp_f32 v68, v146, v68
	v_add_f32_e32 v146, -1.0, v67
	v_add_f32_e32 v69, 1.0, v146
	v_sub_f32_e32 v69, v67, v69
	v_add_f32_e32 v147, v68, v69
	v_add_f32_e32 v69, 1.0, v67
	v_add_f32_e32 v148, -1.0, v69
	v_sub_f32_e32 v67, v67, v148
	v_add_f32_e32 v67, v68, v67
	v_add_f32_e32 v161, v69, v67
	v_rcp_f32_e32 v162, v161
	v_sub_f32_e32 v68, v69, v161
	v_add_f32_e32 v69, v146, v147
	v_add_f32_e32 v67, v67, v68
	v_mul_f32_e32 v164, v69, v162
	v_sub_f32_e32 v68, v146, v69
	v_mul_f32_e32 v146, v161, v164
	v_fma_f32 v148, v164, v161, -v146
	v_fmac_f32_e32 v148, v164, v67
	v_add_f32_e32 v163, v147, v68
	v_add_f32_e32 v68, v146, v148
	v_sub_f32_e32 v147, v69, v68
	v_pk_add_f32 v[150:151], v[68:69], v[146:147] neg_lo:[0,1] neg_hi:[0,1]
	v_mov_b32_e32 v149, v68
	v_pk_add_f32 v[68:69], v[150:151], v[148:149] neg_lo:[0,1] neg_hi:[0,1]
	v_cmp_eq_f32_e32 vcc, s65, v145
	v_add_f32_e32 v69, v163, v69
	v_add_f32_e32 v68, v68, v69
	;; [unrolled: 1-line block ×3, first 2 shown]
	v_mul_f32_e32 v163, v162, v69
	v_mul_f32_e32 v146, v161, v163
	v_fma_f32 v148, v163, v161, -v146
	v_fmac_f32_e32 v148, v163, v67
	v_sub_f32_e32 v67, v147, v69
	v_add_f32_e32 v67, v68, v67
	v_add_f32_e32 v68, v146, v148
	v_sub_f32_e32 v147, v69, v68
	v_pk_add_f32 v[150:151], v[68:69], v[146:147] neg_lo:[0,1] neg_hi:[0,1]
	v_mov_b32_e32 v149, v68
	v_pk_add_f32 v[68:69], v[150:151], v[148:149] neg_lo:[0,1] neg_hi:[0,1]
	v_cvt_f32_i32_e32 v146, v160
	v_add_f32_e32 v67, v67, v69
	v_add_f32_e32 v67, v68, v67
	;; [unrolled: 1-line block ×4, first 2 shown]
	v_sub_f32_e32 v69, v68, v164
	v_mul_f32_e32 v67, v162, v67
	v_sub_f32_e32 v69, v163, v69
	v_add_f32_e32 v67, v69, v67
	v_add_f32_e32 v147, v68, v67
	v_mul_f32_e32 v148, v147, v147
	v_mov_b32_e32 v69, 0x3ecc95a3
	v_fmac_f32_e32 v69, 0x3e9b6dac, v148
	v_sub_f32_e32 v68, v147, v68
	v_fmaak_f32 v69, v148, v69, 0x3f2aaada
	v_sub_f32_e32 v67, v67, v68
	v_ldexp_f32 v149, v147, 1
	v_mul_f32_e32 v147, v147, v148
	v_mov_b32_e32 v68, 0x3f317218
	v_pk_mul_f32 v[68:69], v[146:147], v[68:69]
	v_ldexp_f32 v67, v67, 1
	v_fma_f32 v147, v146, s64, -v68
	v_fmamk_f32 v148, v146, 0xb102e308, v147
	v_pk_add_f32 v[146:147], v[68:69], v[148:149]
	v_mov_b32_e32 v150, v68
	v_sub_f32_e32 v149, v147, v149
	v_sub_f32_e32 v149, v69, v149
	v_add_f32_e32 v151, v67, v149
	v_pk_add_f32 v[68:69], v[146:147], v[68:69] neg_lo:[0,1] neg_hi:[0,1]
	v_pk_add_f32 v[160:161], v[146:147], v[150:151]
	v_mov_b32_e32 v149, v146
	v_mov_b32_e32 v69, v161
	v_pk_add_f32 v[162:163], v[148:149], v[68:69] neg_lo:[0,1] neg_hi:[0,1]
	v_pk_add_f32 v[68:69], v[148:149], v[68:69]
	v_mov_b32_e32 v150, v151
	v_mov_b32_e32 v148, v69
	v_pk_add_f32 v[164:165], v[148:149], v[146:147] neg_lo:[0,1] neg_hi:[0,1]
	v_mov_b32_e32 v68, v161
	v_mov_b32_e32 v67, v164
	v_pk_add_f32 v[166:167], v[160:161], v[66:67] neg_lo:[0,1] neg_hi:[0,1]
	v_mov_b32_e32 v160, v147
	v_mov_b32_e32 v161, v164
	;; [unrolled: 1-line block ×3, first 2 shown]
	v_pk_add_f32 v[68:69], v[68:69], v[160:161] neg_lo:[0,1] neg_hi:[0,1]
	v_mov_b32_e32 v151, v146
	v_pk_add_f32 v[68:69], v[150:151], v[68:69] neg_lo:[0,1] neg_hi:[0,1]
	v_mov_b32_e32 v166, v162
	v_pk_add_f32 v[146:147], v[166:167], v[68:69]
	s_mov_b32 s64, 0x33800000
	v_mov_b32_e32 v150, v147
	v_pk_add_f32 v[150:151], v[146:147], v[150:151]
	v_cmp_lt_f32_e64 s[64:65], |v145|, s64
	v_pk_add_f32 v[148:149], v[148:149], v[150:151]
	v_mov_b32_e32 v69, v150
	v_mov_b32_e32 v147, v148
	v_pk_add_f32 v[160:161], v[146:147], v[162:163] neg_lo:[0,1] neg_hi:[0,1]
	s_or_b64 vcc, vcc, s[64:65]
	v_sub_f32_e32 v67, v146, v160
	v_pk_add_f32 v[68:69], v[68:69], v[160:161] neg_lo:[0,1] neg_hi:[0,1]
	v_sub_f32_e32 v67, v162, v67
	v_add_f32_e32 v67, v68, v67
	v_add_f32_e32 v67, v67, v69
	;; [unrolled: 1-line block ×3, first 2 shown]
	v_cndmask_b32_e32 v67, v67, v145, vcc
	v_add_f32_e32 v68, v54, v67
.LBB161_161:
	s_or_b64 exec, exec, s[58:59]
	v_mov_b32_e32 v54, v68
	v_mov_b32_e32 v67, v68
.LBB161_162:
	s_or_b64 exec, exec, s[62:63]
	v_cmp_gt_u32_e32 vcc, 56, v49
	v_add_u32_e32 v146, 8, v49
	s_waitcnt lgkmcnt(0)
	v_cndmask_b32_e64 v68, 0, 1, vcc
	v_lshlrev_b32_e32 v68, 3, v68
	v_add_lshl_u32 v145, v68, v53, 2
	ds_bpermute_b32 v68, v145, v54
	v_cmp_le_u32_e32 vcc, v146, v66
	s_and_saveexec_b64 s[62:63], vcc
	s_cbranch_execz .LBB161_166
; %bb.163:
	v_max_f32_e32 v54, v67, v67
	s_waitcnt lgkmcnt(0)
	v_max_f32_e32 v147, v68, v68
	v_min_f32_e32 v69, v147, v54
	v_cmp_u_f32_e32 vcc, v68, v68
	v_max_f32_e32 v54, v147, v54
	v_cmp_u_f32_e64 s[58:59], v67, v67
	v_cndmask_b32_e32 v69, v69, v68, vcc
	v_cndmask_b32_e32 v54, v54, v68, vcc
	v_cndmask_b32_e64 v69, v69, v67, s[58:59]
	v_cndmask_b32_e64 v54, v54, v67, s[58:59]
	s_movk_i32 s58, 0x1f8
	v_cmp_neq_f32_e32 vcc, v69, v54
	v_cmp_class_f32_e64 s[58:59], v69, s58
	s_or_b64 vcc, vcc, s[58:59]
	s_and_saveexec_b64 s[58:59], vcc
	s_cbranch_execz .LBB161_165
; %bb.164:
	v_sub_f32_e32 v67, v69, v54
	s_mov_b32 s64, 0x3fb8aa3b
	v_mul_f32_e32 v68, 0x3fb8aa3b, v67
	v_fma_f32 v69, v67, s64, -v68
	v_rndne_f32_e32 v147, v68
	v_fmamk_f32 v69, v67, 0x32a5705f, v69
	v_sub_f32_e32 v68, v68, v147
	v_add_f32_e32 v68, v68, v69
	v_exp_f32_e32 v68, v68
	v_cvt_i32_f32_e32 v69, v147
	s_mov_b32 s64, 0xc2ce8ed0
	v_cmp_ngt_f32_e32 vcc, s64, v67
	s_mov_b32 s64, 0x42b17218
	v_ldexp_f32 v68, v68, v69
	v_cndmask_b32_e32 v68, 0, v68, vcc
	v_mov_b32_e32 v69, 0x7f800000
	v_cmp_nlt_f32_e32 vcc, s64, v67
	s_mov_b32 s64, 0x3f2aaaab
	s_mov_b32 s65, 0x7f800000
	v_cndmask_b32_e32 v147, v69, v68, vcc
	v_add_f32_e32 v67, 1.0, v147
	v_add_f32_e32 v68, -1.0, v67
	v_sub_f32_e32 v69, v68, v67
	v_add_f32_e32 v69, 1.0, v69
	v_sub_f32_e32 v68, v147, v68
	v_add_f32_e32 v148, v68, v69
	v_frexp_mant_f32_e32 v149, v67
	v_cvt_f64_f32_e32 v[68:69], v67
	v_frexp_exp_i32_f64_e32 v68, v[68:69]
	v_cmp_gt_f32_e32 vcc, s64, v149
	s_mov_b32 s64, 0x3f317218
	s_nop 0
	v_subbrev_co_u32_e32 v162, vcc, 0, v68, vcc
	v_sub_u32_e32 v68, 0, v162
	v_ldexp_f32 v67, v67, v68
	v_ldexp_f32 v68, v148, v68
	v_add_f32_e32 v148, -1.0, v67
	v_add_f32_e32 v69, 1.0, v148
	v_sub_f32_e32 v69, v67, v69
	v_add_f32_e32 v149, v68, v69
	v_add_f32_e32 v69, 1.0, v67
	v_add_f32_e32 v150, -1.0, v69
	v_sub_f32_e32 v67, v67, v150
	v_add_f32_e32 v67, v68, v67
	v_add_f32_e32 v163, v69, v67
	v_rcp_f32_e32 v164, v163
	v_sub_f32_e32 v68, v69, v163
	v_add_f32_e32 v69, v148, v149
	v_add_f32_e32 v67, v67, v68
	v_mul_f32_e32 v166, v69, v164
	v_sub_f32_e32 v68, v148, v69
	v_mul_f32_e32 v148, v163, v166
	v_fma_f32 v150, v166, v163, -v148
	v_fmac_f32_e32 v150, v166, v67
	v_add_f32_e32 v165, v149, v68
	v_add_f32_e32 v68, v148, v150
	v_sub_f32_e32 v149, v69, v68
	v_pk_add_f32 v[160:161], v[68:69], v[148:149] neg_lo:[0,1] neg_hi:[0,1]
	v_mov_b32_e32 v151, v68
	v_pk_add_f32 v[68:69], v[160:161], v[150:151] neg_lo:[0,1] neg_hi:[0,1]
	v_cmp_eq_f32_e32 vcc, s65, v147
	v_add_f32_e32 v69, v165, v69
	v_add_f32_e32 v68, v68, v69
	;; [unrolled: 1-line block ×3, first 2 shown]
	v_mul_f32_e32 v165, v164, v69
	v_mul_f32_e32 v148, v163, v165
	v_fma_f32 v150, v165, v163, -v148
	v_fmac_f32_e32 v150, v165, v67
	v_sub_f32_e32 v67, v149, v69
	v_add_f32_e32 v67, v68, v67
	v_add_f32_e32 v68, v148, v150
	v_sub_f32_e32 v149, v69, v68
	v_pk_add_f32 v[160:161], v[68:69], v[148:149] neg_lo:[0,1] neg_hi:[0,1]
	v_mov_b32_e32 v151, v68
	v_pk_add_f32 v[68:69], v[160:161], v[150:151] neg_lo:[0,1] neg_hi:[0,1]
	v_cvt_f32_i32_e32 v148, v162
	v_add_f32_e32 v67, v67, v69
	v_add_f32_e32 v67, v68, v67
	;; [unrolled: 1-line block ×4, first 2 shown]
	v_sub_f32_e32 v69, v68, v166
	v_mul_f32_e32 v67, v164, v67
	v_sub_f32_e32 v69, v165, v69
	v_add_f32_e32 v67, v69, v67
	v_add_f32_e32 v149, v68, v67
	v_mul_f32_e32 v150, v149, v149
	v_mov_b32_e32 v69, 0x3ecc95a3
	v_fmac_f32_e32 v69, 0x3e9b6dac, v150
	v_sub_f32_e32 v68, v149, v68
	v_fmaak_f32 v69, v150, v69, 0x3f2aaada
	v_sub_f32_e32 v67, v67, v68
	v_ldexp_f32 v151, v149, 1
	v_mul_f32_e32 v149, v149, v150
	v_mov_b32_e32 v68, 0x3f317218
	v_pk_mul_f32 v[68:69], v[148:149], v[68:69]
	v_ldexp_f32 v67, v67, 1
	v_fma_f32 v149, v148, s64, -v68
	v_fmamk_f32 v150, v148, 0xb102e308, v149
	v_pk_add_f32 v[148:149], v[68:69], v[150:151]
	v_mov_b32_e32 v160, v68
	v_sub_f32_e32 v151, v149, v151
	v_sub_f32_e32 v151, v69, v151
	v_add_f32_e32 v161, v67, v151
	v_pk_add_f32 v[68:69], v[148:149], v[68:69] neg_lo:[0,1] neg_hi:[0,1]
	v_pk_add_f32 v[162:163], v[148:149], v[160:161]
	v_mov_b32_e32 v151, v148
	v_mov_b32_e32 v69, v163
	v_pk_add_f32 v[164:165], v[150:151], v[68:69] neg_lo:[0,1] neg_hi:[0,1]
	v_pk_add_f32 v[68:69], v[150:151], v[68:69]
	v_mov_b32_e32 v160, v161
	v_mov_b32_e32 v150, v69
	v_pk_add_f32 v[166:167], v[150:151], v[148:149] neg_lo:[0,1] neg_hi:[0,1]
	v_mov_b32_e32 v68, v163
	v_mov_b32_e32 v67, v166
	v_pk_add_f32 v[176:177], v[162:163], v[66:67] neg_lo:[0,1] neg_hi:[0,1]
	v_mov_b32_e32 v162, v149
	v_mov_b32_e32 v163, v166
	;; [unrolled: 1-line block ×3, first 2 shown]
	v_pk_add_f32 v[68:69], v[68:69], v[162:163] neg_lo:[0,1] neg_hi:[0,1]
	v_mov_b32_e32 v161, v148
	v_pk_add_f32 v[68:69], v[160:161], v[68:69] neg_lo:[0,1] neg_hi:[0,1]
	v_mov_b32_e32 v176, v164
	v_pk_add_f32 v[148:149], v[176:177], v[68:69]
	s_mov_b32 s64, 0x33800000
	v_mov_b32_e32 v160, v149
	v_pk_add_f32 v[160:161], v[148:149], v[160:161]
	v_cmp_lt_f32_e64 s[64:65], |v147|, s64
	v_pk_add_f32 v[150:151], v[150:151], v[160:161]
	v_mov_b32_e32 v69, v160
	v_mov_b32_e32 v149, v150
	v_pk_add_f32 v[162:163], v[148:149], v[164:165] neg_lo:[0,1] neg_hi:[0,1]
	s_or_b64 vcc, vcc, s[64:65]
	v_sub_f32_e32 v67, v148, v162
	v_pk_add_f32 v[68:69], v[68:69], v[162:163] neg_lo:[0,1] neg_hi:[0,1]
	v_sub_f32_e32 v67, v164, v67
	v_add_f32_e32 v67, v68, v67
	v_add_f32_e32 v67, v67, v69
	;; [unrolled: 1-line block ×3, first 2 shown]
	v_cndmask_b32_e32 v67, v67, v147, vcc
	v_add_f32_e32 v68, v54, v67
.LBB161_165:
	s_or_b64 exec, exec, s[58:59]
	v_mov_b32_e32 v54, v68
	v_mov_b32_e32 v67, v68
.LBB161_166:
	s_or_b64 exec, exec, s[62:63]
	v_cmp_gt_u32_e32 vcc, 48, v49
	v_add_u32_e32 v148, 16, v49
	s_waitcnt lgkmcnt(0)
	v_cndmask_b32_e64 v68, 0, 1, vcc
	v_lshlrev_b32_e32 v68, 4, v68
	v_add_lshl_u32 v147, v68, v53, 2
	ds_bpermute_b32 v68, v147, v54
	v_cmp_le_u32_e32 vcc, v148, v66
	s_and_saveexec_b64 s[62:63], vcc
	s_cbranch_execz .LBB161_170
; %bb.167:
	v_max_f32_e32 v54, v67, v67
	s_waitcnt lgkmcnt(0)
	v_max_f32_e32 v149, v68, v68
	v_min_f32_e32 v69, v149, v54
	v_cmp_u_f32_e32 vcc, v68, v68
	v_max_f32_e32 v54, v149, v54
	v_cmp_u_f32_e64 s[58:59], v67, v67
	v_cndmask_b32_e32 v69, v69, v68, vcc
	v_cndmask_b32_e32 v54, v54, v68, vcc
	v_cndmask_b32_e64 v69, v69, v67, s[58:59]
	v_cndmask_b32_e64 v54, v54, v67, s[58:59]
	s_movk_i32 s58, 0x1f8
	v_cmp_neq_f32_e32 vcc, v69, v54
	v_cmp_class_f32_e64 s[58:59], v69, s58
	s_or_b64 vcc, vcc, s[58:59]
	s_and_saveexec_b64 s[58:59], vcc
	s_cbranch_execz .LBB161_169
; %bb.168:
	v_sub_f32_e32 v67, v69, v54
	s_mov_b32 s64, 0x3fb8aa3b
	v_mul_f32_e32 v68, 0x3fb8aa3b, v67
	v_fma_f32 v69, v67, s64, -v68
	v_rndne_f32_e32 v149, v68
	v_fmamk_f32 v69, v67, 0x32a5705f, v69
	v_sub_f32_e32 v68, v68, v149
	v_add_f32_e32 v68, v68, v69
	v_exp_f32_e32 v68, v68
	v_cvt_i32_f32_e32 v69, v149
	s_mov_b32 s64, 0xc2ce8ed0
	v_cmp_ngt_f32_e32 vcc, s64, v67
	s_mov_b32 s64, 0x42b17218
	v_ldexp_f32 v68, v68, v69
	v_cndmask_b32_e32 v68, 0, v68, vcc
	v_mov_b32_e32 v69, 0x7f800000
	v_cmp_nlt_f32_e32 vcc, s64, v67
	s_mov_b32 s64, 0x3f2aaaab
	s_mov_b32 s65, 0x7f800000
	v_cndmask_b32_e32 v149, v69, v68, vcc
	v_add_f32_e32 v67, 1.0, v149
	v_add_f32_e32 v68, -1.0, v67
	v_sub_f32_e32 v69, v68, v67
	v_add_f32_e32 v69, 1.0, v69
	v_sub_f32_e32 v68, v149, v68
	v_add_f32_e32 v150, v68, v69
	v_frexp_mant_f32_e32 v151, v67
	v_cvt_f64_f32_e32 v[68:69], v67
	v_frexp_exp_i32_f64_e32 v68, v[68:69]
	v_cmp_gt_f32_e32 vcc, s64, v151
	s_mov_b32 s64, 0x3f317218
	s_nop 0
	v_subbrev_co_u32_e32 v164, vcc, 0, v68, vcc
	v_sub_u32_e32 v68, 0, v164
	v_ldexp_f32 v67, v67, v68
	v_ldexp_f32 v68, v150, v68
	v_add_f32_e32 v150, -1.0, v67
	v_add_f32_e32 v69, 1.0, v150
	v_sub_f32_e32 v69, v67, v69
	v_add_f32_e32 v151, v68, v69
	v_add_f32_e32 v69, 1.0, v67
	v_add_f32_e32 v160, -1.0, v69
	v_sub_f32_e32 v67, v67, v160
	v_add_f32_e32 v67, v68, v67
	v_add_f32_e32 v165, v69, v67
	v_rcp_f32_e32 v166, v165
	v_sub_f32_e32 v68, v69, v165
	v_add_f32_e32 v69, v150, v151
	v_add_f32_e32 v67, v67, v68
	v_mul_f32_e32 v176, v69, v166
	v_sub_f32_e32 v68, v150, v69
	v_mul_f32_e32 v150, v165, v176
	v_fma_f32 v160, v176, v165, -v150
	v_fmac_f32_e32 v160, v176, v67
	v_add_f32_e32 v167, v151, v68
	v_add_f32_e32 v68, v150, v160
	v_sub_f32_e32 v151, v69, v68
	v_pk_add_f32 v[162:163], v[68:69], v[150:151] neg_lo:[0,1] neg_hi:[0,1]
	v_mov_b32_e32 v161, v68
	v_pk_add_f32 v[68:69], v[162:163], v[160:161] neg_lo:[0,1] neg_hi:[0,1]
	v_cmp_eq_f32_e32 vcc, s65, v149
	v_add_f32_e32 v69, v167, v69
	v_add_f32_e32 v68, v68, v69
	;; [unrolled: 1-line block ×3, first 2 shown]
	v_mul_f32_e32 v167, v166, v69
	v_mul_f32_e32 v150, v165, v167
	v_fma_f32 v160, v167, v165, -v150
	v_fmac_f32_e32 v160, v167, v67
	v_sub_f32_e32 v67, v151, v69
	v_add_f32_e32 v67, v68, v67
	v_add_f32_e32 v68, v150, v160
	v_sub_f32_e32 v151, v69, v68
	v_pk_add_f32 v[162:163], v[68:69], v[150:151] neg_lo:[0,1] neg_hi:[0,1]
	v_mov_b32_e32 v161, v68
	v_pk_add_f32 v[68:69], v[162:163], v[160:161] neg_lo:[0,1] neg_hi:[0,1]
	v_cvt_f32_i32_e32 v150, v164
	v_add_f32_e32 v67, v67, v69
	v_add_f32_e32 v67, v68, v67
	;; [unrolled: 1-line block ×4, first 2 shown]
	v_sub_f32_e32 v69, v68, v176
	v_mul_f32_e32 v67, v166, v67
	v_sub_f32_e32 v69, v167, v69
	v_add_f32_e32 v67, v69, v67
	v_add_f32_e32 v151, v68, v67
	v_mul_f32_e32 v160, v151, v151
	v_mov_b32_e32 v69, 0x3ecc95a3
	v_fmac_f32_e32 v69, 0x3e9b6dac, v160
	v_sub_f32_e32 v68, v151, v68
	v_fmaak_f32 v69, v160, v69, 0x3f2aaada
	v_sub_f32_e32 v67, v67, v68
	v_ldexp_f32 v161, v151, 1
	v_mul_f32_e32 v151, v151, v160
	v_mov_b32_e32 v68, 0x3f317218
	v_pk_mul_f32 v[68:69], v[150:151], v[68:69]
	v_ldexp_f32 v67, v67, 1
	v_fma_f32 v151, v150, s64, -v68
	v_fmamk_f32 v160, v150, 0xb102e308, v151
	v_pk_add_f32 v[150:151], v[68:69], v[160:161]
	v_mov_b32_e32 v162, v68
	v_sub_f32_e32 v161, v151, v161
	v_sub_f32_e32 v161, v69, v161
	v_add_f32_e32 v163, v67, v161
	v_pk_add_f32 v[68:69], v[150:151], v[68:69] neg_lo:[0,1] neg_hi:[0,1]
	v_pk_add_f32 v[164:165], v[150:151], v[162:163]
	v_mov_b32_e32 v161, v150
	v_mov_b32_e32 v69, v165
	v_pk_add_f32 v[166:167], v[160:161], v[68:69] neg_lo:[0,1] neg_hi:[0,1]
	v_pk_add_f32 v[68:69], v[160:161], v[68:69]
	v_mov_b32_e32 v162, v163
	v_mov_b32_e32 v160, v69
	v_pk_add_f32 v[176:177], v[160:161], v[150:151] neg_lo:[0,1] neg_hi:[0,1]
	v_mov_b32_e32 v68, v165
	v_mov_b32_e32 v67, v176
	v_pk_add_f32 v[178:179], v[164:165], v[66:67] neg_lo:[0,1] neg_hi:[0,1]
	v_mov_b32_e32 v164, v151
	v_mov_b32_e32 v165, v176
	;; [unrolled: 1-line block ×3, first 2 shown]
	v_pk_add_f32 v[68:69], v[68:69], v[164:165] neg_lo:[0,1] neg_hi:[0,1]
	v_mov_b32_e32 v163, v150
	v_pk_add_f32 v[68:69], v[162:163], v[68:69] neg_lo:[0,1] neg_hi:[0,1]
	v_mov_b32_e32 v178, v166
	v_pk_add_f32 v[150:151], v[178:179], v[68:69]
	s_mov_b32 s64, 0x33800000
	v_mov_b32_e32 v162, v151
	v_pk_add_f32 v[162:163], v[150:151], v[162:163]
	v_cmp_lt_f32_e64 s[64:65], |v149|, s64
	v_pk_add_f32 v[160:161], v[160:161], v[162:163]
	v_mov_b32_e32 v69, v162
	v_mov_b32_e32 v151, v160
	v_pk_add_f32 v[164:165], v[150:151], v[166:167] neg_lo:[0,1] neg_hi:[0,1]
	s_or_b64 vcc, vcc, s[64:65]
	v_sub_f32_e32 v67, v150, v164
	v_pk_add_f32 v[68:69], v[68:69], v[164:165] neg_lo:[0,1] neg_hi:[0,1]
	v_sub_f32_e32 v67, v166, v67
	v_add_f32_e32 v67, v68, v67
	v_add_f32_e32 v67, v67, v69
	;; [unrolled: 1-line block ×3, first 2 shown]
	v_cndmask_b32_e32 v67, v67, v149, vcc
	v_add_f32_e32 v68, v54, v67
.LBB161_169:
	s_or_b64 exec, exec, s[58:59]
	v_mov_b32_e32 v54, v68
	v_mov_b32_e32 v67, v68
.LBB161_170:
	s_or_b64 exec, exec, s[62:63]
	v_cmp_gt_u32_e32 vcc, 32, v49
	v_add_u32_e32 v150, 32, v49
	s_waitcnt lgkmcnt(0)
	v_cndmask_b32_e64 v68, 0, 1, vcc
	v_lshlrev_b32_e32 v68, 5, v68
	v_add_lshl_u32 v149, v68, v53, 2
	ds_bpermute_b32 v54, v149, v54
	v_cmp_le_u32_e32 vcc, v150, v66
	s_and_saveexec_b64 s[62:63], vcc
	s_cbranch_execz .LBB161_174
; %bb.171:
	v_max_f32_e32 v53, v67, v67
	s_waitcnt lgkmcnt(0)
	v_max_f32_e32 v68, v54, v54
	v_min_f32_e32 v66, v68, v53
	v_cmp_u_f32_e32 vcc, v54, v54
	v_max_f32_e32 v53, v68, v53
	v_cmp_u_f32_e64 s[58:59], v67, v67
	v_cndmask_b32_e32 v66, v66, v54, vcc
	v_cndmask_b32_e32 v53, v53, v54, vcc
	v_cndmask_b32_e64 v66, v66, v67, s[58:59]
	v_cndmask_b32_e64 v53, v53, v67, s[58:59]
	s_movk_i32 s58, 0x1f8
	v_cmp_neq_f32_e32 vcc, v66, v53
	v_cmp_class_f32_e64 s[58:59], v66, s58
	s_or_b64 vcc, vcc, s[58:59]
	s_and_saveexec_b64 s[58:59], vcc
	s_cbranch_execz .LBB161_173
; %bb.172:
	v_sub_f32_e32 v54, v66, v53
	s_mov_b32 s64, 0x3fb8aa3b
	v_mul_f32_e32 v66, 0x3fb8aa3b, v54
	v_fma_f32 v67, v54, s64, -v66
	v_rndne_f32_e32 v68, v66
	v_fmamk_f32 v67, v54, 0x32a5705f, v67
	v_sub_f32_e32 v66, v66, v68
	v_add_f32_e32 v66, v66, v67
	v_exp_f32_e32 v66, v66
	v_cvt_i32_f32_e32 v67, v68
	s_mov_b32 s64, 0xc2ce8ed0
	v_cmp_ngt_f32_e32 vcc, s64, v54
	s_mov_b32 s64, 0x42b17218
	v_ldexp_f32 v66, v66, v67
	v_cndmask_b32_e32 v66, 0, v66, vcc
	v_mov_b32_e32 v67, 0x7f800000
	v_cmp_nlt_f32_e32 vcc, s64, v54
	s_mov_b32 s64, 0x3f2aaaab
	s_mov_b32 s65, 0x7f800000
	v_cndmask_b32_e32 v178, v67, v66, vcc
	v_add_f32_e32 v54, 1.0, v178
	v_add_f32_e32 v66, -1.0, v54
	v_sub_f32_e32 v67, v66, v54
	v_add_f32_e32 v67, 1.0, v67
	v_sub_f32_e32 v66, v178, v66
	v_add_f32_e32 v68, v66, v67
	v_frexp_mant_f32_e32 v69, v54
	v_cvt_f64_f32_e32 v[66:67], v54
	v_frexp_exp_i32_f64_e32 v66, v[66:67]
	v_cmp_gt_f32_e32 vcc, s64, v69
	s_mov_b32 s64, 0x3f317218
	s_nop 0
	v_subbrev_co_u32_e32 v151, vcc, 0, v66, vcc
	v_sub_u32_e32 v66, 0, v151
	v_ldexp_f32 v54, v54, v66
	v_ldexp_f32 v66, v68, v66
	v_add_f32_e32 v68, -1.0, v54
	v_add_f32_e32 v67, 1.0, v68
	v_sub_f32_e32 v67, v54, v67
	v_add_f32_e32 v69, v66, v67
	v_add_f32_e32 v67, 1.0, v54
	v_add_f32_e32 v160, -1.0, v67
	v_sub_f32_e32 v54, v54, v160
	v_add_f32_e32 v54, v66, v54
	v_add_f32_e32 v164, v67, v54
	v_rcp_f32_e32 v165, v164
	v_sub_f32_e32 v66, v67, v164
	v_add_f32_e32 v67, v68, v69
	v_add_f32_e32 v54, v54, v66
	v_mul_f32_e32 v167, v67, v165
	v_sub_f32_e32 v66, v68, v67
	v_mul_f32_e32 v68, v164, v167
	v_fma_f32 v160, v167, v164, -v68
	v_fmac_f32_e32 v160, v167, v54
	v_add_f32_e32 v166, v69, v66
	v_add_f32_e32 v66, v68, v160
	v_sub_f32_e32 v69, v67, v66
	v_pk_add_f32 v[162:163], v[66:67], v[68:69] neg_lo:[0,1] neg_hi:[0,1]
	v_mov_b32_e32 v161, v66
	v_pk_add_f32 v[66:67], v[162:163], v[160:161] neg_lo:[0,1] neg_hi:[0,1]
	v_cmp_eq_f32_e32 vcc, s65, v178
	v_add_f32_e32 v67, v166, v67
	v_add_f32_e32 v66, v66, v67
	;; [unrolled: 1-line block ×3, first 2 shown]
	v_mul_f32_e32 v166, v165, v67
	v_mul_f32_e32 v68, v164, v166
	v_fma_f32 v160, v166, v164, -v68
	v_fmac_f32_e32 v160, v166, v54
	v_sub_f32_e32 v54, v69, v67
	v_add_f32_e32 v54, v66, v54
	v_add_f32_e32 v66, v68, v160
	v_sub_f32_e32 v69, v67, v66
	v_pk_add_f32 v[162:163], v[66:67], v[68:69] neg_lo:[0,1] neg_hi:[0,1]
	v_mov_b32_e32 v161, v66
	v_pk_add_f32 v[66:67], v[162:163], v[160:161] neg_lo:[0,1] neg_hi:[0,1]
	v_cvt_f32_i32_e32 v68, v151
	v_add_f32_e32 v54, v54, v67
	v_add_f32_e32 v54, v66, v54
	;; [unrolled: 1-line block ×4, first 2 shown]
	v_sub_f32_e32 v67, v66, v167
	v_mul_f32_e32 v54, v165, v54
	v_sub_f32_e32 v67, v166, v67
	v_add_f32_e32 v54, v67, v54
	v_add_f32_e32 v69, v66, v54
	v_mul_f32_e32 v160, v69, v69
	v_mov_b32_e32 v67, 0x3ecc95a3
	v_fmac_f32_e32 v67, 0x3e9b6dac, v160
	v_sub_f32_e32 v66, v69, v66
	v_fmaak_f32 v67, v160, v67, 0x3f2aaada
	v_sub_f32_e32 v54, v54, v66
	v_ldexp_f32 v161, v69, 1
	v_mul_f32_e32 v69, v69, v160
	v_mov_b32_e32 v66, 0x3f317218
	v_pk_mul_f32 v[66:67], v[68:69], v[66:67]
	v_ldexp_f32 v54, v54, 1
	v_fma_f32 v69, v68, s64, -v66
	v_fmamk_f32 v160, v68, 0xb102e308, v69
	v_pk_add_f32 v[68:69], v[66:67], v[160:161]
	v_mov_b32_e32 v162, v66
	v_sub_f32_e32 v151, v69, v161
	v_sub_f32_e32 v151, v67, v151
	v_add_f32_e32 v163, v54, v151
	v_pk_add_f32 v[66:67], v[68:69], v[66:67] neg_lo:[0,1] neg_hi:[0,1]
	v_pk_add_f32 v[164:165], v[68:69], v[162:163]
	v_mov_b32_e32 v161, v68
	v_mov_b32_e32 v67, v165
	v_pk_add_f32 v[166:167], v[160:161], v[66:67] neg_lo:[0,1] neg_hi:[0,1]
	v_pk_add_f32 v[66:67], v[160:161], v[66:67]
	s_mov_b32 s64, 0x33800000
	v_mov_b32_e32 v54, v67
	v_pk_add_f32 v[160:161], v[54:55], v[68:69] neg_lo:[0,1] neg_hi:[0,1]
	v_mov_b32_e32 v66, v165
	v_mov_b32_e32 v151, v160
	v_pk_add_f32 v[176:177], v[164:165], v[150:151] neg_lo:[0,1] neg_hi:[0,1]
	v_mov_b32_e32 v164, v69
	v_mov_b32_e32 v165, v160
	;; [unrolled: 1-line block ×3, first 2 shown]
	v_pk_add_f32 v[66:67], v[66:67], v[164:165] neg_lo:[0,1] neg_hi:[0,1]
	v_mov_b32_e32 v160, v163
	v_mov_b32_e32 v161, v68
	v_pk_add_f32 v[66:67], v[160:161], v[66:67] neg_lo:[0,1] neg_hi:[0,1]
	v_mov_b32_e32 v176, v166
	v_pk_add_f32 v[68:69], v[176:177], v[66:67]
	v_cmp_lt_f32_e64 s[64:65], |v178|, s64
	v_mov_b32_e32 v160, v69
	v_pk_add_f32 v[160:161], v[68:69], v[160:161]
	s_or_b64 vcc, vcc, s[64:65]
	v_pk_add_f32 v[162:163], v[54:55], v[160:161]
	v_mov_b32_e32 v67, v160
	v_mov_b32_e32 v69, v162
	v_pk_add_f32 v[164:165], v[68:69], v[166:167] neg_lo:[0,1] neg_hi:[0,1]
	s_nop 0
	v_sub_f32_e32 v54, v68, v164
	v_pk_add_f32 v[66:67], v[66:67], v[164:165] neg_lo:[0,1] neg_hi:[0,1]
	v_sub_f32_e32 v54, v166, v54
	v_add_f32_e32 v54, v66, v54
	v_add_f32_e32 v54, v54, v67
	;; [unrolled: 1-line block ×3, first 2 shown]
	v_cndmask_b32_e32 v54, v54, v178, vcc
	v_add_f32_e32 v54, v53, v54
.LBB161_173:
	s_or_b64 exec, exec, s[58:59]
	v_mov_b32_e32 v67, v54
.LBB161_174:
	s_or_b64 exec, exec, s[62:63]
	v_mov_b32_e32 v53, 0
	s_movk_i32 s64, 0x1f8
	s_mov_b32 s65, 0x3fb8aa3b
	s_mov_b32 s66, 0xc2ce8ed0
	;; [unrolled: 1-line block ×5, first 2 shown]
	v_mov_b32_e32 v160, 0x3ecc95a3
	s_mov_b32 s70, 0x3f317218
	s_mov_b32 s71, 0x33800000
	v_mov_b32_e32 v161, 2
	v_mov_b32_e32 v162, 0x7f800000
	;; [unrolled: 1-line block ×3, first 2 shown]
                                        ; implicit-def: $vgpr54
	s_branch .LBB161_176
.LBB161_175:                            ;   in Loop: Header=BB161_176 Depth=1
	s_or_b64 exec, exec, s[58:59]
	v_subrev_u32_e32 v52, 64, v52
.LBB161_176:                            ; =>This Loop Header: Depth=1
                                        ;     Child Loop BB161_179 Depth 2
	v_cmp_ne_u16_sdwa vcc, v55, v161 src0_sel:BYTE_0 src1_sel:DWORD
	v_mov_b32_e32 v151, v67
	s_waitcnt lgkmcnt(0)
	v_cndmask_b32_e64 v54, 0, 1, vcc
	;;#ASMSTART
	;;#ASMEND
	s_nop 0
	v_cmp_ne_u32_e32 vcc, 0, v54
	s_cmp_lg_u64 vcc, exec
	s_cbranch_scc1 .LBB161_207
; %bb.177:                              ;   in Loop: Header=BB161_176 Depth=1
	v_lshl_add_u64 v[68:69], v[52:53], 3, v[96:97]
	flat_load_dwordx2 v[54:55], v[68:69] sc1
	s_waitcnt vmcnt(0) lgkmcnt(0)
	v_cmp_eq_u16_sdwa s[58:59], v55, v53 src0_sel:BYTE_0 src1_sel:DWORD
	s_and_saveexec_b64 vcc, s[58:59]
	s_cbranch_execz .LBB161_181
; %bb.178:                              ;   in Loop: Header=BB161_176 Depth=1
	s_mov_b64 s[58:59], 0
.LBB161_179:                            ;   Parent Loop BB161_176 Depth=1
                                        ; =>  This Inner Loop Header: Depth=2
	flat_load_dwordx2 v[54:55], v[68:69] sc1
	s_waitcnt vmcnt(0) lgkmcnt(0)
	v_cmp_ne_u16_sdwa s[62:63], v55, v53 src0_sel:BYTE_0 src1_sel:DWORD
	s_or_b64 s[58:59], s[62:63], s[58:59]
	s_andn2_b64 exec, exec, s[58:59]
	s_cbranch_execnz .LBB161_179
; %bb.180:                              ;   in Loop: Header=BB161_176 Depth=1
	s_or_b64 exec, exec, s[58:59]
.LBB161_181:                            ;   in Loop: Header=BB161_176 Depth=1
	s_or_b64 exec, exec, vcc
	v_cmp_eq_u16_sdwa vcc, v55, v161 src0_sel:BYTE_0 src1_sel:DWORD
	ds_bpermute_b32 v69, v51, v54
	s_nop 0
	v_and_b32_e32 v67, vcc_hi, v65
	v_or_b32_e32 v67, 0x80000000, v67
	v_and_b32_e32 v68, vcc_lo, v64
	v_ffbl_b32_e32 v67, v67
	v_add_u32_e32 v67, 32, v67
	v_ffbl_b32_e32 v68, v68
	v_min_u32_e32 v68, v68, v67
	v_cmp_lt_u32_e32 vcc, v49, v68
	v_mov_b32_e32 v67, v54
	s_and_saveexec_b64 s[62:63], vcc
	s_cbranch_execz .LBB161_185
; %bb.182:                              ;   in Loop: Header=BB161_176 Depth=1
	v_max_f32_e32 v163, v54, v54
	s_waitcnt lgkmcnt(0)
	v_max_f32_e32 v164, v69, v69
	v_min_f32_e32 v67, v164, v163
	v_cmp_u_f32_e32 vcc, v69, v69
	v_max_f32_e32 v163, v164, v163
	v_cmp_u_f32_e64 s[58:59], v54, v54
	v_cndmask_b32_e32 v67, v67, v69, vcc
	v_cndmask_b32_e32 v163, v163, v69, vcc
	v_cndmask_b32_e64 v67, v67, v54, s[58:59]
	v_cndmask_b32_e64 v54, v163, v54, s[58:59]
	v_cmp_neq_f32_e32 vcc, v67, v54
	v_cmp_class_f32_e64 s[58:59], v67, s64
	s_or_b64 vcc, vcc, s[58:59]
	s_and_saveexec_b64 s[58:59], vcc
	s_cbranch_execz .LBB161_184
; %bb.183:                              ;   in Loop: Header=BB161_176 Depth=1
	v_sub_f32_e32 v67, v67, v54
	v_mul_f32_e32 v69, 0x3fb8aa3b, v67
	v_fma_f32 v163, v67, s65, -v69
	v_rndne_f32_e32 v164, v69
	v_fmac_f32_e32 v163, 0x32a5705f, v67
	v_sub_f32_e32 v69, v69, v164
	v_add_f32_e32 v69, v69, v163
	v_cvt_i32_f32_e32 v163, v164
	v_exp_f32_e32 v69, v69
	v_cmp_ngt_f32_e32 vcc, s66, v67
	v_ldexp_f32 v69, v69, v163
	s_nop 0
	v_cndmask_b32_e32 v69, 0, v69, vcc
	v_cmp_nlt_f32_e32 vcc, s67, v67
	s_nop 1
	v_cndmask_b32_e32 v69, v162, v69, vcc
	v_add_f32_e32 v67, 1.0, v69
	v_add_f32_e32 v163, -1.0, v67
	v_sub_f32_e32 v164, v163, v67
	v_add_f32_e32 v164, 1.0, v164
	v_sub_f32_e32 v163, v69, v163
	v_add_f32_e32 v163, v163, v164
	v_frexp_mant_f32_e32 v166, v67
	v_cvt_f64_f32_e32 v[164:165], v67
	v_frexp_exp_i32_f64_e32 v164, v[164:165]
	v_cmp_gt_f32_e32 vcc, s69, v166
	v_cmp_lt_f32_e64 s[72:73], |v69|, s71
	s_nop 0
	v_subbrev_co_u32_e32 v180, vcc, 0, v164, vcc
	v_sub_u32_e32 v164, 0, v180
	v_ldexp_f32 v67, v67, v164
	v_ldexp_f32 v163, v163, v164
	v_add_f32_e32 v164, -1.0, v67
	v_add_f32_e32 v165, 1.0, v164
	v_sub_f32_e32 v165, v67, v165
	v_add_f32_e32 v166, v163, v165
	v_add_f32_e32 v165, 1.0, v67
	v_add_f32_e32 v167, -1.0, v165
	v_sub_f32_e32 v67, v67, v167
	v_add_f32_e32 v67, v163, v67
	v_add_f32_e32 v163, v165, v67
	v_rcp_f32_e32 v181, v163
	v_sub_f32_e32 v165, v165, v163
	v_add_f32_e32 v67, v67, v165
	v_add_f32_e32 v165, v164, v166
	v_sub_f32_e32 v164, v164, v165
	v_mul_f32_e32 v183, v165, v181
	v_add_f32_e32 v182, v166, v164
	v_mul_f32_e32 v166, v163, v183
	v_fma_f32 v176, v183, v163, -v166
	v_fmac_f32_e32 v176, v183, v67
	v_add_f32_e32 v164, v166, v176
	v_sub_f32_e32 v167, v165, v164
	v_pk_add_f32 v[178:179], v[164:165], v[166:167] neg_lo:[0,1] neg_hi:[0,1]
	v_mov_b32_e32 v177, v164
	v_pk_add_f32 v[164:165], v[178:179], v[176:177] neg_lo:[0,1] neg_hi:[0,1]
	v_cmp_eq_f32_e32 vcc, s68, v69
	v_add_f32_e32 v165, v182, v165
	v_add_f32_e32 v164, v164, v165
	;; [unrolled: 1-line block ×3, first 2 shown]
	v_mul_f32_e32 v182, v181, v165
	v_mul_f32_e32 v166, v163, v182
	v_fma_f32 v176, v182, v163, -v166
	v_fmac_f32_e32 v176, v182, v67
	v_sub_f32_e32 v67, v167, v165
	v_add_f32_e32 v67, v164, v67
	v_add_f32_e32 v164, v166, v176
	v_sub_f32_e32 v167, v165, v164
	v_pk_add_f32 v[178:179], v[164:165], v[166:167] neg_lo:[0,1] neg_hi:[0,1]
	v_mov_b32_e32 v177, v164
	v_pk_add_f32 v[164:165], v[178:179], v[176:177] neg_lo:[0,1] neg_hi:[0,1]
	v_add_f32_e32 v163, v183, v182
	v_add_f32_e32 v67, v67, v165
	;; [unrolled: 1-line block ×4, first 2 shown]
	v_sub_f32_e32 v164, v163, v183
	v_mul_f32_e32 v67, v181, v67
	v_sub_f32_e32 v164, v182, v164
	v_add_f32_e32 v165, v164, v67
	v_add_f32_e32 v166, v163, v165
	v_cvt_f32_i32_e32 v164, v180
	v_mul_f32_e32 v176, v166, v166
	v_fmamk_f32 v67, v176, 0x3e9b6dac, v160
	v_sub_f32_e32 v163, v166, v163
	v_fmaak_f32 v67, v176, v67, 0x3f2aaada
	v_sub_f32_e32 v163, v165, v163
	v_mul_f32_e32 v165, v166, v176
	v_pk_mul_f32 v[176:177], v[164:165], v[66:67]
	v_ldexp_f32 v167, v166, 1
	v_fma_f32 v166, v164, s70, -v176
	v_fmac_f32_e32 v166, 0xb102e308, v164
	v_pk_add_f32 v[164:165], v[176:177], v[166:167]
	v_ldexp_f32 v163, v163, 1
	v_sub_f32_e32 v67, v165, v167
	v_sub_f32_e32 v67, v177, v67
	v_add_f32_e32 v179, v163, v67
	v_mov_b32_e32 v178, v176
	v_pk_add_f32 v[176:177], v[164:165], v[176:177] neg_lo:[0,1] neg_hi:[0,1]
	v_pk_add_f32 v[180:181], v[164:165], v[178:179]
	v_mov_b32_e32 v167, v164
	v_mov_b32_e32 v177, v181
	v_pk_add_f32 v[182:183], v[166:167], v[176:177] neg_lo:[0,1] neg_hi:[0,1]
	v_pk_add_f32 v[166:167], v[166:167], v[176:177]
	v_mov_b32_e32 v178, v179
	v_mov_b32_e32 v176, v167
	v_pk_add_f32 v[192:193], v[176:177], v[164:165] neg_lo:[0,1] neg_hi:[0,1]
	v_mov_b32_e32 v166, v181
	v_mov_b32_e32 v67, v192
	v_pk_add_f32 v[194:195], v[180:181], v[66:67] neg_lo:[0,1] neg_hi:[0,1]
	v_mov_b32_e32 v180, v165
	v_mov_b32_e32 v181, v192
	v_mov_b32_e32 v183, v167
	v_pk_add_f32 v[166:167], v[166:167], v[180:181] neg_lo:[0,1] neg_hi:[0,1]
	v_mov_b32_e32 v179, v164
	v_pk_add_f32 v[164:165], v[178:179], v[166:167] neg_lo:[0,1] neg_hi:[0,1]
	v_mov_b32_e32 v194, v182
	v_pk_add_f32 v[166:167], v[194:195], v[164:165]
	s_or_b64 vcc, vcc, s[72:73]
	v_mov_b32_e32 v178, v167
	v_pk_add_f32 v[178:179], v[166:167], v[178:179]
	s_nop 0
	v_pk_add_f32 v[176:177], v[176:177], v[178:179]
	v_mov_b32_e32 v165, v178
	v_mov_b32_e32 v167, v176
	v_pk_add_f32 v[180:181], v[166:167], v[182:183] neg_lo:[0,1] neg_hi:[0,1]
	s_nop 0
	v_sub_f32_e32 v67, v166, v180
	v_pk_add_f32 v[164:165], v[164:165], v[180:181] neg_lo:[0,1] neg_hi:[0,1]
	v_sub_f32_e32 v67, v182, v67
	v_add_f32_e32 v67, v164, v67
	v_add_f32_e32 v67, v67, v165
	;; [unrolled: 1-line block ×3, first 2 shown]
	v_cndmask_b32_e32 v67, v67, v69, vcc
	v_add_f32_e32 v69, v54, v67
.LBB161_184:                            ;   in Loop: Header=BB161_176 Depth=1
	s_or_b64 exec, exec, s[58:59]
	v_mov_b32_e32 v54, v69
	v_mov_b32_e32 v67, v69
.LBB161_185:                            ;   in Loop: Header=BB161_176 Depth=1
	s_or_b64 exec, exec, s[62:63]
	s_waitcnt lgkmcnt(0)
	ds_bpermute_b32 v69, v133, v54
	v_cmp_le_u32_e32 vcc, v134, v68
	s_and_saveexec_b64 s[62:63], vcc
	s_cbranch_execz .LBB161_189
; %bb.186:                              ;   in Loop: Header=BB161_176 Depth=1
	v_max_f32_e32 v54, v67, v67
	s_waitcnt lgkmcnt(0)
	v_max_f32_e32 v164, v69, v69
	v_min_f32_e32 v163, v164, v54
	v_cmp_u_f32_e32 vcc, v69, v69
	v_max_f32_e32 v54, v164, v54
	v_cmp_u_f32_e64 s[58:59], v67, v67
	v_cndmask_b32_e32 v163, v163, v69, vcc
	v_cndmask_b32_e32 v54, v54, v69, vcc
	v_cndmask_b32_e64 v163, v163, v67, s[58:59]
	v_cndmask_b32_e64 v54, v54, v67, s[58:59]
	v_cmp_neq_f32_e32 vcc, v163, v54
	v_cmp_class_f32_e64 s[58:59], v163, s64
	s_or_b64 vcc, vcc, s[58:59]
	s_and_saveexec_b64 s[58:59], vcc
	s_cbranch_execz .LBB161_188
; %bb.187:                              ;   in Loop: Header=BB161_176 Depth=1
	v_sub_f32_e32 v67, v163, v54
	v_mul_f32_e32 v69, 0x3fb8aa3b, v67
	v_fma_f32 v163, v67, s65, -v69
	v_rndne_f32_e32 v164, v69
	v_fmac_f32_e32 v163, 0x32a5705f, v67
	v_sub_f32_e32 v69, v69, v164
	v_add_f32_e32 v69, v69, v163
	v_cvt_i32_f32_e32 v163, v164
	v_exp_f32_e32 v69, v69
	v_cmp_ngt_f32_e32 vcc, s66, v67
	v_ldexp_f32 v69, v69, v163
	s_nop 0
	v_cndmask_b32_e32 v69, 0, v69, vcc
	v_cmp_nlt_f32_e32 vcc, s67, v67
	s_nop 1
	v_cndmask_b32_e32 v69, v162, v69, vcc
	v_add_f32_e32 v67, 1.0, v69
	v_add_f32_e32 v163, -1.0, v67
	v_sub_f32_e32 v164, v163, v67
	v_add_f32_e32 v164, 1.0, v164
	v_sub_f32_e32 v163, v69, v163
	v_add_f32_e32 v163, v163, v164
	v_frexp_mant_f32_e32 v166, v67
	v_cvt_f64_f32_e32 v[164:165], v67
	v_frexp_exp_i32_f64_e32 v164, v[164:165]
	v_cmp_gt_f32_e32 vcc, s69, v166
	v_cmp_lt_f32_e64 s[72:73], |v69|, s71
	s_nop 0
	v_subbrev_co_u32_e32 v180, vcc, 0, v164, vcc
	v_sub_u32_e32 v164, 0, v180
	v_ldexp_f32 v67, v67, v164
	v_ldexp_f32 v163, v163, v164
	v_add_f32_e32 v164, -1.0, v67
	v_add_f32_e32 v165, 1.0, v164
	v_sub_f32_e32 v165, v67, v165
	v_add_f32_e32 v166, v163, v165
	v_add_f32_e32 v165, 1.0, v67
	v_add_f32_e32 v167, -1.0, v165
	v_sub_f32_e32 v67, v67, v167
	v_add_f32_e32 v67, v163, v67
	v_add_f32_e32 v163, v165, v67
	v_rcp_f32_e32 v181, v163
	v_sub_f32_e32 v165, v165, v163
	v_add_f32_e32 v67, v67, v165
	v_add_f32_e32 v165, v164, v166
	v_sub_f32_e32 v164, v164, v165
	v_mul_f32_e32 v183, v165, v181
	v_add_f32_e32 v182, v166, v164
	v_mul_f32_e32 v166, v163, v183
	v_fma_f32 v176, v183, v163, -v166
	v_fmac_f32_e32 v176, v183, v67
	v_add_f32_e32 v164, v166, v176
	v_sub_f32_e32 v167, v165, v164
	v_pk_add_f32 v[178:179], v[164:165], v[166:167] neg_lo:[0,1] neg_hi:[0,1]
	v_mov_b32_e32 v177, v164
	v_pk_add_f32 v[164:165], v[178:179], v[176:177] neg_lo:[0,1] neg_hi:[0,1]
	v_cmp_eq_f32_e32 vcc, s68, v69
	v_add_f32_e32 v165, v182, v165
	v_add_f32_e32 v164, v164, v165
	;; [unrolled: 1-line block ×3, first 2 shown]
	v_mul_f32_e32 v182, v181, v165
	v_mul_f32_e32 v166, v163, v182
	v_fma_f32 v176, v182, v163, -v166
	v_fmac_f32_e32 v176, v182, v67
	v_sub_f32_e32 v67, v167, v165
	v_add_f32_e32 v67, v164, v67
	v_add_f32_e32 v164, v166, v176
	v_sub_f32_e32 v167, v165, v164
	v_pk_add_f32 v[178:179], v[164:165], v[166:167] neg_lo:[0,1] neg_hi:[0,1]
	v_mov_b32_e32 v177, v164
	v_pk_add_f32 v[164:165], v[178:179], v[176:177] neg_lo:[0,1] neg_hi:[0,1]
	v_add_f32_e32 v163, v183, v182
	v_add_f32_e32 v67, v67, v165
	;; [unrolled: 1-line block ×4, first 2 shown]
	v_sub_f32_e32 v164, v163, v183
	v_mul_f32_e32 v67, v181, v67
	v_sub_f32_e32 v164, v182, v164
	v_add_f32_e32 v165, v164, v67
	v_add_f32_e32 v166, v163, v165
	v_cvt_f32_i32_e32 v164, v180
	v_mul_f32_e32 v176, v166, v166
	v_fmamk_f32 v67, v176, 0x3e9b6dac, v160
	v_sub_f32_e32 v163, v166, v163
	v_fmaak_f32 v67, v176, v67, 0x3f2aaada
	v_sub_f32_e32 v163, v165, v163
	v_mul_f32_e32 v165, v166, v176
	v_pk_mul_f32 v[176:177], v[164:165], v[66:67]
	v_ldexp_f32 v167, v166, 1
	v_fma_f32 v166, v164, s70, -v176
	v_fmac_f32_e32 v166, 0xb102e308, v164
	v_pk_add_f32 v[164:165], v[176:177], v[166:167]
	v_ldexp_f32 v163, v163, 1
	v_sub_f32_e32 v67, v165, v167
	v_sub_f32_e32 v67, v177, v67
	v_add_f32_e32 v179, v163, v67
	v_mov_b32_e32 v178, v176
	v_pk_add_f32 v[176:177], v[164:165], v[176:177] neg_lo:[0,1] neg_hi:[0,1]
	v_pk_add_f32 v[180:181], v[164:165], v[178:179]
	v_mov_b32_e32 v167, v164
	v_mov_b32_e32 v177, v181
	v_pk_add_f32 v[182:183], v[166:167], v[176:177] neg_lo:[0,1] neg_hi:[0,1]
	v_pk_add_f32 v[166:167], v[166:167], v[176:177]
	v_mov_b32_e32 v178, v179
	v_mov_b32_e32 v176, v167
	v_pk_add_f32 v[192:193], v[176:177], v[164:165] neg_lo:[0,1] neg_hi:[0,1]
	v_mov_b32_e32 v166, v181
	v_mov_b32_e32 v67, v192
	v_pk_add_f32 v[194:195], v[180:181], v[66:67] neg_lo:[0,1] neg_hi:[0,1]
	v_mov_b32_e32 v180, v165
	v_mov_b32_e32 v181, v192
	;; [unrolled: 1-line block ×3, first 2 shown]
	v_pk_add_f32 v[166:167], v[166:167], v[180:181] neg_lo:[0,1] neg_hi:[0,1]
	v_mov_b32_e32 v179, v164
	v_pk_add_f32 v[164:165], v[178:179], v[166:167] neg_lo:[0,1] neg_hi:[0,1]
	v_mov_b32_e32 v194, v182
	v_pk_add_f32 v[166:167], v[194:195], v[164:165]
	s_or_b64 vcc, vcc, s[72:73]
	v_mov_b32_e32 v178, v167
	v_pk_add_f32 v[178:179], v[166:167], v[178:179]
	s_nop 0
	v_pk_add_f32 v[176:177], v[176:177], v[178:179]
	v_mov_b32_e32 v165, v178
	v_mov_b32_e32 v167, v176
	v_pk_add_f32 v[180:181], v[166:167], v[182:183] neg_lo:[0,1] neg_hi:[0,1]
	s_nop 0
	v_sub_f32_e32 v67, v166, v180
	v_pk_add_f32 v[164:165], v[164:165], v[180:181] neg_lo:[0,1] neg_hi:[0,1]
	v_sub_f32_e32 v67, v182, v67
	v_add_f32_e32 v67, v164, v67
	v_add_f32_e32 v67, v67, v165
	;; [unrolled: 1-line block ×3, first 2 shown]
	v_cndmask_b32_e32 v67, v67, v69, vcc
	v_add_f32_e32 v69, v54, v67
.LBB161_188:                            ;   in Loop: Header=BB161_176 Depth=1
	s_or_b64 exec, exec, s[58:59]
	v_mov_b32_e32 v54, v69
	v_mov_b32_e32 v67, v69
.LBB161_189:                            ;   in Loop: Header=BB161_176 Depth=1
	s_or_b64 exec, exec, s[62:63]
	s_waitcnt lgkmcnt(0)
	ds_bpermute_b32 v69, v135, v54
	v_cmp_le_u32_e32 vcc, v144, v68
	s_and_saveexec_b64 s[62:63], vcc
	s_cbranch_execz .LBB161_193
; %bb.190:                              ;   in Loop: Header=BB161_176 Depth=1
	v_max_f32_e32 v54, v67, v67
	s_waitcnt lgkmcnt(0)
	v_max_f32_e32 v164, v69, v69
	v_min_f32_e32 v163, v164, v54
	v_cmp_u_f32_e32 vcc, v69, v69
	v_max_f32_e32 v54, v164, v54
	v_cmp_u_f32_e64 s[58:59], v67, v67
	v_cndmask_b32_e32 v163, v163, v69, vcc
	v_cndmask_b32_e32 v54, v54, v69, vcc
	v_cndmask_b32_e64 v163, v163, v67, s[58:59]
	v_cndmask_b32_e64 v54, v54, v67, s[58:59]
	v_cmp_neq_f32_e32 vcc, v163, v54
	v_cmp_class_f32_e64 s[58:59], v163, s64
	s_or_b64 vcc, vcc, s[58:59]
	s_and_saveexec_b64 s[58:59], vcc
	s_cbranch_execz .LBB161_192
; %bb.191:                              ;   in Loop: Header=BB161_176 Depth=1
	v_sub_f32_e32 v67, v163, v54
	v_mul_f32_e32 v69, 0x3fb8aa3b, v67
	v_fma_f32 v163, v67, s65, -v69
	v_rndne_f32_e32 v164, v69
	v_fmac_f32_e32 v163, 0x32a5705f, v67
	v_sub_f32_e32 v69, v69, v164
	v_add_f32_e32 v69, v69, v163
	v_cvt_i32_f32_e32 v163, v164
	v_exp_f32_e32 v69, v69
	v_cmp_ngt_f32_e32 vcc, s66, v67
	v_ldexp_f32 v69, v69, v163
	s_nop 0
	v_cndmask_b32_e32 v69, 0, v69, vcc
	v_cmp_nlt_f32_e32 vcc, s67, v67
	s_nop 1
	v_cndmask_b32_e32 v69, v162, v69, vcc
	v_add_f32_e32 v67, 1.0, v69
	v_add_f32_e32 v163, -1.0, v67
	v_sub_f32_e32 v164, v163, v67
	v_add_f32_e32 v164, 1.0, v164
	v_sub_f32_e32 v163, v69, v163
	v_add_f32_e32 v163, v163, v164
	v_frexp_mant_f32_e32 v166, v67
	v_cvt_f64_f32_e32 v[164:165], v67
	v_frexp_exp_i32_f64_e32 v164, v[164:165]
	v_cmp_gt_f32_e32 vcc, s69, v166
	v_cmp_lt_f32_e64 s[72:73], |v69|, s71
	s_nop 0
	v_subbrev_co_u32_e32 v180, vcc, 0, v164, vcc
	v_sub_u32_e32 v164, 0, v180
	v_ldexp_f32 v67, v67, v164
	v_ldexp_f32 v163, v163, v164
	v_add_f32_e32 v164, -1.0, v67
	v_add_f32_e32 v165, 1.0, v164
	v_sub_f32_e32 v165, v67, v165
	v_add_f32_e32 v166, v163, v165
	v_add_f32_e32 v165, 1.0, v67
	v_add_f32_e32 v167, -1.0, v165
	v_sub_f32_e32 v67, v67, v167
	v_add_f32_e32 v67, v163, v67
	v_add_f32_e32 v163, v165, v67
	v_rcp_f32_e32 v181, v163
	v_sub_f32_e32 v165, v165, v163
	v_add_f32_e32 v67, v67, v165
	v_add_f32_e32 v165, v164, v166
	v_sub_f32_e32 v164, v164, v165
	v_mul_f32_e32 v183, v165, v181
	v_add_f32_e32 v182, v166, v164
	v_mul_f32_e32 v166, v163, v183
	v_fma_f32 v176, v183, v163, -v166
	v_fmac_f32_e32 v176, v183, v67
	v_add_f32_e32 v164, v166, v176
	v_sub_f32_e32 v167, v165, v164
	v_pk_add_f32 v[178:179], v[164:165], v[166:167] neg_lo:[0,1] neg_hi:[0,1]
	v_mov_b32_e32 v177, v164
	v_pk_add_f32 v[164:165], v[178:179], v[176:177] neg_lo:[0,1] neg_hi:[0,1]
	v_cmp_eq_f32_e32 vcc, s68, v69
	v_add_f32_e32 v165, v182, v165
	v_add_f32_e32 v164, v164, v165
	;; [unrolled: 1-line block ×3, first 2 shown]
	v_mul_f32_e32 v182, v181, v165
	v_mul_f32_e32 v166, v163, v182
	v_fma_f32 v176, v182, v163, -v166
	v_fmac_f32_e32 v176, v182, v67
	v_sub_f32_e32 v67, v167, v165
	v_add_f32_e32 v67, v164, v67
	v_add_f32_e32 v164, v166, v176
	v_sub_f32_e32 v167, v165, v164
	v_pk_add_f32 v[178:179], v[164:165], v[166:167] neg_lo:[0,1] neg_hi:[0,1]
	v_mov_b32_e32 v177, v164
	v_pk_add_f32 v[164:165], v[178:179], v[176:177] neg_lo:[0,1] neg_hi:[0,1]
	v_add_f32_e32 v163, v183, v182
	v_add_f32_e32 v67, v67, v165
	;; [unrolled: 1-line block ×4, first 2 shown]
	v_sub_f32_e32 v164, v163, v183
	v_mul_f32_e32 v67, v181, v67
	v_sub_f32_e32 v164, v182, v164
	v_add_f32_e32 v165, v164, v67
	v_add_f32_e32 v166, v163, v165
	v_cvt_f32_i32_e32 v164, v180
	v_mul_f32_e32 v176, v166, v166
	v_fmamk_f32 v67, v176, 0x3e9b6dac, v160
	v_sub_f32_e32 v163, v166, v163
	v_fmaak_f32 v67, v176, v67, 0x3f2aaada
	v_sub_f32_e32 v163, v165, v163
	v_mul_f32_e32 v165, v166, v176
	v_pk_mul_f32 v[176:177], v[164:165], v[66:67]
	v_ldexp_f32 v167, v166, 1
	v_fma_f32 v166, v164, s70, -v176
	v_fmac_f32_e32 v166, 0xb102e308, v164
	v_pk_add_f32 v[164:165], v[176:177], v[166:167]
	v_ldexp_f32 v163, v163, 1
	v_sub_f32_e32 v67, v165, v167
	v_sub_f32_e32 v67, v177, v67
	v_add_f32_e32 v179, v163, v67
	v_mov_b32_e32 v178, v176
	v_pk_add_f32 v[176:177], v[164:165], v[176:177] neg_lo:[0,1] neg_hi:[0,1]
	v_pk_add_f32 v[180:181], v[164:165], v[178:179]
	v_mov_b32_e32 v167, v164
	v_mov_b32_e32 v177, v181
	v_pk_add_f32 v[182:183], v[166:167], v[176:177] neg_lo:[0,1] neg_hi:[0,1]
	v_pk_add_f32 v[166:167], v[166:167], v[176:177]
	v_mov_b32_e32 v178, v179
	v_mov_b32_e32 v176, v167
	v_pk_add_f32 v[192:193], v[176:177], v[164:165] neg_lo:[0,1] neg_hi:[0,1]
	v_mov_b32_e32 v166, v181
	v_mov_b32_e32 v67, v192
	v_pk_add_f32 v[194:195], v[180:181], v[66:67] neg_lo:[0,1] neg_hi:[0,1]
	v_mov_b32_e32 v180, v165
	v_mov_b32_e32 v181, v192
	;; [unrolled: 1-line block ×3, first 2 shown]
	v_pk_add_f32 v[166:167], v[166:167], v[180:181] neg_lo:[0,1] neg_hi:[0,1]
	v_mov_b32_e32 v179, v164
	v_pk_add_f32 v[164:165], v[178:179], v[166:167] neg_lo:[0,1] neg_hi:[0,1]
	v_mov_b32_e32 v194, v182
	v_pk_add_f32 v[166:167], v[194:195], v[164:165]
	s_or_b64 vcc, vcc, s[72:73]
	v_mov_b32_e32 v178, v167
	v_pk_add_f32 v[178:179], v[166:167], v[178:179]
	s_nop 0
	v_pk_add_f32 v[176:177], v[176:177], v[178:179]
	v_mov_b32_e32 v165, v178
	v_mov_b32_e32 v167, v176
	v_pk_add_f32 v[180:181], v[166:167], v[182:183] neg_lo:[0,1] neg_hi:[0,1]
	s_nop 0
	v_sub_f32_e32 v67, v166, v180
	v_pk_add_f32 v[164:165], v[164:165], v[180:181] neg_lo:[0,1] neg_hi:[0,1]
	v_sub_f32_e32 v67, v182, v67
	v_add_f32_e32 v67, v164, v67
	v_add_f32_e32 v67, v67, v165
	;; [unrolled: 1-line block ×3, first 2 shown]
	v_cndmask_b32_e32 v67, v67, v69, vcc
	v_add_f32_e32 v69, v54, v67
.LBB161_192:                            ;   in Loop: Header=BB161_176 Depth=1
	s_or_b64 exec, exec, s[58:59]
	v_mov_b32_e32 v54, v69
	v_mov_b32_e32 v67, v69
.LBB161_193:                            ;   in Loop: Header=BB161_176 Depth=1
	s_or_b64 exec, exec, s[62:63]
	s_waitcnt lgkmcnt(0)
	ds_bpermute_b32 v69, v145, v54
	v_cmp_le_u32_e32 vcc, v146, v68
	s_and_saveexec_b64 s[62:63], vcc
	s_cbranch_execz .LBB161_197
; %bb.194:                              ;   in Loop: Header=BB161_176 Depth=1
	v_max_f32_e32 v54, v67, v67
	s_waitcnt lgkmcnt(0)
	v_max_f32_e32 v164, v69, v69
	v_min_f32_e32 v163, v164, v54
	v_cmp_u_f32_e32 vcc, v69, v69
	v_max_f32_e32 v54, v164, v54
	v_cmp_u_f32_e64 s[58:59], v67, v67
	v_cndmask_b32_e32 v163, v163, v69, vcc
	v_cndmask_b32_e32 v54, v54, v69, vcc
	v_cndmask_b32_e64 v163, v163, v67, s[58:59]
	v_cndmask_b32_e64 v54, v54, v67, s[58:59]
	v_cmp_neq_f32_e32 vcc, v163, v54
	v_cmp_class_f32_e64 s[58:59], v163, s64
	s_or_b64 vcc, vcc, s[58:59]
	s_and_saveexec_b64 s[58:59], vcc
	s_cbranch_execz .LBB161_196
; %bb.195:                              ;   in Loop: Header=BB161_176 Depth=1
	v_sub_f32_e32 v67, v163, v54
	v_mul_f32_e32 v69, 0x3fb8aa3b, v67
	v_fma_f32 v163, v67, s65, -v69
	v_rndne_f32_e32 v164, v69
	v_fmac_f32_e32 v163, 0x32a5705f, v67
	v_sub_f32_e32 v69, v69, v164
	v_add_f32_e32 v69, v69, v163
	v_cvt_i32_f32_e32 v163, v164
	v_exp_f32_e32 v69, v69
	v_cmp_ngt_f32_e32 vcc, s66, v67
	v_ldexp_f32 v69, v69, v163
	s_nop 0
	v_cndmask_b32_e32 v69, 0, v69, vcc
	v_cmp_nlt_f32_e32 vcc, s67, v67
	s_nop 1
	v_cndmask_b32_e32 v69, v162, v69, vcc
	v_add_f32_e32 v67, 1.0, v69
	v_add_f32_e32 v163, -1.0, v67
	v_sub_f32_e32 v164, v163, v67
	v_add_f32_e32 v164, 1.0, v164
	v_sub_f32_e32 v163, v69, v163
	v_add_f32_e32 v163, v163, v164
	v_frexp_mant_f32_e32 v166, v67
	v_cvt_f64_f32_e32 v[164:165], v67
	v_frexp_exp_i32_f64_e32 v164, v[164:165]
	v_cmp_gt_f32_e32 vcc, s69, v166
	v_cmp_lt_f32_e64 s[72:73], |v69|, s71
	s_nop 0
	v_subbrev_co_u32_e32 v180, vcc, 0, v164, vcc
	v_sub_u32_e32 v164, 0, v180
	v_ldexp_f32 v67, v67, v164
	v_ldexp_f32 v163, v163, v164
	v_add_f32_e32 v164, -1.0, v67
	v_add_f32_e32 v165, 1.0, v164
	v_sub_f32_e32 v165, v67, v165
	v_add_f32_e32 v166, v163, v165
	v_add_f32_e32 v165, 1.0, v67
	v_add_f32_e32 v167, -1.0, v165
	v_sub_f32_e32 v67, v67, v167
	v_add_f32_e32 v67, v163, v67
	v_add_f32_e32 v163, v165, v67
	v_rcp_f32_e32 v181, v163
	v_sub_f32_e32 v165, v165, v163
	v_add_f32_e32 v67, v67, v165
	v_add_f32_e32 v165, v164, v166
	v_sub_f32_e32 v164, v164, v165
	v_mul_f32_e32 v183, v165, v181
	v_add_f32_e32 v182, v166, v164
	v_mul_f32_e32 v166, v163, v183
	v_fma_f32 v176, v183, v163, -v166
	v_fmac_f32_e32 v176, v183, v67
	v_add_f32_e32 v164, v166, v176
	v_sub_f32_e32 v167, v165, v164
	v_pk_add_f32 v[178:179], v[164:165], v[166:167] neg_lo:[0,1] neg_hi:[0,1]
	v_mov_b32_e32 v177, v164
	v_pk_add_f32 v[164:165], v[178:179], v[176:177] neg_lo:[0,1] neg_hi:[0,1]
	v_cmp_eq_f32_e32 vcc, s68, v69
	v_add_f32_e32 v165, v182, v165
	v_add_f32_e32 v164, v164, v165
	;; [unrolled: 1-line block ×3, first 2 shown]
	v_mul_f32_e32 v182, v181, v165
	v_mul_f32_e32 v166, v163, v182
	v_fma_f32 v176, v182, v163, -v166
	v_fmac_f32_e32 v176, v182, v67
	v_sub_f32_e32 v67, v167, v165
	v_add_f32_e32 v67, v164, v67
	v_add_f32_e32 v164, v166, v176
	v_sub_f32_e32 v167, v165, v164
	v_pk_add_f32 v[178:179], v[164:165], v[166:167] neg_lo:[0,1] neg_hi:[0,1]
	v_mov_b32_e32 v177, v164
	v_pk_add_f32 v[164:165], v[178:179], v[176:177] neg_lo:[0,1] neg_hi:[0,1]
	v_add_f32_e32 v163, v183, v182
	v_add_f32_e32 v67, v67, v165
	;; [unrolled: 1-line block ×4, first 2 shown]
	v_sub_f32_e32 v164, v163, v183
	v_mul_f32_e32 v67, v181, v67
	v_sub_f32_e32 v164, v182, v164
	v_add_f32_e32 v165, v164, v67
	v_add_f32_e32 v166, v163, v165
	v_cvt_f32_i32_e32 v164, v180
	v_mul_f32_e32 v176, v166, v166
	v_fmamk_f32 v67, v176, 0x3e9b6dac, v160
	v_sub_f32_e32 v163, v166, v163
	v_fmaak_f32 v67, v176, v67, 0x3f2aaada
	v_sub_f32_e32 v163, v165, v163
	v_mul_f32_e32 v165, v166, v176
	v_pk_mul_f32 v[176:177], v[164:165], v[66:67]
	v_ldexp_f32 v167, v166, 1
	v_fma_f32 v166, v164, s70, -v176
	v_fmac_f32_e32 v166, 0xb102e308, v164
	v_pk_add_f32 v[164:165], v[176:177], v[166:167]
	v_ldexp_f32 v163, v163, 1
	v_sub_f32_e32 v67, v165, v167
	v_sub_f32_e32 v67, v177, v67
	v_add_f32_e32 v179, v163, v67
	v_mov_b32_e32 v178, v176
	v_pk_add_f32 v[176:177], v[164:165], v[176:177] neg_lo:[0,1] neg_hi:[0,1]
	v_pk_add_f32 v[180:181], v[164:165], v[178:179]
	v_mov_b32_e32 v167, v164
	v_mov_b32_e32 v177, v181
	v_pk_add_f32 v[182:183], v[166:167], v[176:177] neg_lo:[0,1] neg_hi:[0,1]
	v_pk_add_f32 v[166:167], v[166:167], v[176:177]
	v_mov_b32_e32 v178, v179
	v_mov_b32_e32 v176, v167
	v_pk_add_f32 v[192:193], v[176:177], v[164:165] neg_lo:[0,1] neg_hi:[0,1]
	v_mov_b32_e32 v166, v181
	v_mov_b32_e32 v67, v192
	v_pk_add_f32 v[194:195], v[180:181], v[66:67] neg_lo:[0,1] neg_hi:[0,1]
	v_mov_b32_e32 v180, v165
	v_mov_b32_e32 v181, v192
	;; [unrolled: 1-line block ×3, first 2 shown]
	v_pk_add_f32 v[166:167], v[166:167], v[180:181] neg_lo:[0,1] neg_hi:[0,1]
	v_mov_b32_e32 v179, v164
	v_pk_add_f32 v[164:165], v[178:179], v[166:167] neg_lo:[0,1] neg_hi:[0,1]
	v_mov_b32_e32 v194, v182
	v_pk_add_f32 v[166:167], v[194:195], v[164:165]
	s_or_b64 vcc, vcc, s[72:73]
	v_mov_b32_e32 v178, v167
	v_pk_add_f32 v[178:179], v[166:167], v[178:179]
	s_nop 0
	v_pk_add_f32 v[176:177], v[176:177], v[178:179]
	v_mov_b32_e32 v165, v178
	v_mov_b32_e32 v167, v176
	v_pk_add_f32 v[180:181], v[166:167], v[182:183] neg_lo:[0,1] neg_hi:[0,1]
	s_nop 0
	v_sub_f32_e32 v67, v166, v180
	v_pk_add_f32 v[164:165], v[164:165], v[180:181] neg_lo:[0,1] neg_hi:[0,1]
	v_sub_f32_e32 v67, v182, v67
	v_add_f32_e32 v67, v164, v67
	v_add_f32_e32 v67, v67, v165
	;; [unrolled: 1-line block ×3, first 2 shown]
	v_cndmask_b32_e32 v67, v67, v69, vcc
	v_add_f32_e32 v69, v54, v67
.LBB161_196:                            ;   in Loop: Header=BB161_176 Depth=1
	s_or_b64 exec, exec, s[58:59]
	v_mov_b32_e32 v54, v69
	v_mov_b32_e32 v67, v69
.LBB161_197:                            ;   in Loop: Header=BB161_176 Depth=1
	s_or_b64 exec, exec, s[62:63]
	s_waitcnt lgkmcnt(0)
	ds_bpermute_b32 v69, v147, v54
	v_cmp_le_u32_e32 vcc, v148, v68
	s_and_saveexec_b64 s[62:63], vcc
	s_cbranch_execz .LBB161_201
; %bb.198:                              ;   in Loop: Header=BB161_176 Depth=1
	v_max_f32_e32 v54, v67, v67
	s_waitcnt lgkmcnt(0)
	v_max_f32_e32 v164, v69, v69
	v_min_f32_e32 v163, v164, v54
	v_cmp_u_f32_e32 vcc, v69, v69
	v_max_f32_e32 v54, v164, v54
	v_cmp_u_f32_e64 s[58:59], v67, v67
	v_cndmask_b32_e32 v163, v163, v69, vcc
	v_cndmask_b32_e32 v54, v54, v69, vcc
	v_cndmask_b32_e64 v163, v163, v67, s[58:59]
	v_cndmask_b32_e64 v54, v54, v67, s[58:59]
	v_cmp_neq_f32_e32 vcc, v163, v54
	v_cmp_class_f32_e64 s[58:59], v163, s64
	s_or_b64 vcc, vcc, s[58:59]
	s_and_saveexec_b64 s[58:59], vcc
	s_cbranch_execz .LBB161_200
; %bb.199:                              ;   in Loop: Header=BB161_176 Depth=1
	v_sub_f32_e32 v67, v163, v54
	v_mul_f32_e32 v69, 0x3fb8aa3b, v67
	v_fma_f32 v163, v67, s65, -v69
	v_rndne_f32_e32 v164, v69
	v_fmac_f32_e32 v163, 0x32a5705f, v67
	v_sub_f32_e32 v69, v69, v164
	v_add_f32_e32 v69, v69, v163
	v_cvt_i32_f32_e32 v163, v164
	v_exp_f32_e32 v69, v69
	v_cmp_ngt_f32_e32 vcc, s66, v67
	v_ldexp_f32 v69, v69, v163
	s_nop 0
	v_cndmask_b32_e32 v69, 0, v69, vcc
	v_cmp_nlt_f32_e32 vcc, s67, v67
	s_nop 1
	v_cndmask_b32_e32 v69, v162, v69, vcc
	v_add_f32_e32 v67, 1.0, v69
	v_add_f32_e32 v163, -1.0, v67
	v_sub_f32_e32 v164, v163, v67
	v_add_f32_e32 v164, 1.0, v164
	v_sub_f32_e32 v163, v69, v163
	v_add_f32_e32 v163, v163, v164
	v_frexp_mant_f32_e32 v166, v67
	v_cvt_f64_f32_e32 v[164:165], v67
	v_frexp_exp_i32_f64_e32 v164, v[164:165]
	v_cmp_gt_f32_e32 vcc, s69, v166
	v_cmp_lt_f32_e64 s[72:73], |v69|, s71
	s_nop 0
	v_subbrev_co_u32_e32 v180, vcc, 0, v164, vcc
	v_sub_u32_e32 v164, 0, v180
	v_ldexp_f32 v67, v67, v164
	v_ldexp_f32 v163, v163, v164
	v_add_f32_e32 v164, -1.0, v67
	v_add_f32_e32 v165, 1.0, v164
	v_sub_f32_e32 v165, v67, v165
	v_add_f32_e32 v166, v163, v165
	v_add_f32_e32 v165, 1.0, v67
	v_add_f32_e32 v167, -1.0, v165
	v_sub_f32_e32 v67, v67, v167
	v_add_f32_e32 v67, v163, v67
	v_add_f32_e32 v163, v165, v67
	v_rcp_f32_e32 v181, v163
	v_sub_f32_e32 v165, v165, v163
	v_add_f32_e32 v67, v67, v165
	v_add_f32_e32 v165, v164, v166
	v_sub_f32_e32 v164, v164, v165
	v_mul_f32_e32 v183, v165, v181
	v_add_f32_e32 v182, v166, v164
	v_mul_f32_e32 v166, v163, v183
	v_fma_f32 v176, v183, v163, -v166
	v_fmac_f32_e32 v176, v183, v67
	v_add_f32_e32 v164, v166, v176
	v_sub_f32_e32 v167, v165, v164
	v_pk_add_f32 v[178:179], v[164:165], v[166:167] neg_lo:[0,1] neg_hi:[0,1]
	v_mov_b32_e32 v177, v164
	v_pk_add_f32 v[164:165], v[178:179], v[176:177] neg_lo:[0,1] neg_hi:[0,1]
	v_cmp_eq_f32_e32 vcc, s68, v69
	v_add_f32_e32 v165, v182, v165
	v_add_f32_e32 v164, v164, v165
	;; [unrolled: 1-line block ×3, first 2 shown]
	v_mul_f32_e32 v182, v181, v165
	v_mul_f32_e32 v166, v163, v182
	v_fma_f32 v176, v182, v163, -v166
	v_fmac_f32_e32 v176, v182, v67
	v_sub_f32_e32 v67, v167, v165
	v_add_f32_e32 v67, v164, v67
	v_add_f32_e32 v164, v166, v176
	v_sub_f32_e32 v167, v165, v164
	v_pk_add_f32 v[178:179], v[164:165], v[166:167] neg_lo:[0,1] neg_hi:[0,1]
	v_mov_b32_e32 v177, v164
	v_pk_add_f32 v[164:165], v[178:179], v[176:177] neg_lo:[0,1] neg_hi:[0,1]
	v_add_f32_e32 v163, v183, v182
	v_add_f32_e32 v67, v67, v165
	;; [unrolled: 1-line block ×4, first 2 shown]
	v_sub_f32_e32 v164, v163, v183
	v_mul_f32_e32 v67, v181, v67
	v_sub_f32_e32 v164, v182, v164
	v_add_f32_e32 v165, v164, v67
	v_add_f32_e32 v166, v163, v165
	v_cvt_f32_i32_e32 v164, v180
	v_mul_f32_e32 v176, v166, v166
	v_fmamk_f32 v67, v176, 0x3e9b6dac, v160
	v_sub_f32_e32 v163, v166, v163
	v_fmaak_f32 v67, v176, v67, 0x3f2aaada
	v_sub_f32_e32 v163, v165, v163
	v_mul_f32_e32 v165, v166, v176
	v_pk_mul_f32 v[176:177], v[164:165], v[66:67]
	v_ldexp_f32 v167, v166, 1
	v_fma_f32 v166, v164, s70, -v176
	v_fmac_f32_e32 v166, 0xb102e308, v164
	v_pk_add_f32 v[164:165], v[176:177], v[166:167]
	v_ldexp_f32 v163, v163, 1
	v_sub_f32_e32 v67, v165, v167
	v_sub_f32_e32 v67, v177, v67
	v_add_f32_e32 v179, v163, v67
	v_mov_b32_e32 v178, v176
	v_pk_add_f32 v[176:177], v[164:165], v[176:177] neg_lo:[0,1] neg_hi:[0,1]
	v_pk_add_f32 v[180:181], v[164:165], v[178:179]
	v_mov_b32_e32 v167, v164
	v_mov_b32_e32 v177, v181
	v_pk_add_f32 v[182:183], v[166:167], v[176:177] neg_lo:[0,1] neg_hi:[0,1]
	v_pk_add_f32 v[166:167], v[166:167], v[176:177]
	v_mov_b32_e32 v178, v179
	v_mov_b32_e32 v176, v167
	v_pk_add_f32 v[192:193], v[176:177], v[164:165] neg_lo:[0,1] neg_hi:[0,1]
	v_mov_b32_e32 v166, v181
	v_mov_b32_e32 v67, v192
	v_pk_add_f32 v[194:195], v[180:181], v[66:67] neg_lo:[0,1] neg_hi:[0,1]
	v_mov_b32_e32 v180, v165
	v_mov_b32_e32 v181, v192
	;; [unrolled: 1-line block ×3, first 2 shown]
	v_pk_add_f32 v[166:167], v[166:167], v[180:181] neg_lo:[0,1] neg_hi:[0,1]
	v_mov_b32_e32 v179, v164
	v_pk_add_f32 v[164:165], v[178:179], v[166:167] neg_lo:[0,1] neg_hi:[0,1]
	v_mov_b32_e32 v194, v182
	v_pk_add_f32 v[166:167], v[194:195], v[164:165]
	s_or_b64 vcc, vcc, s[72:73]
	v_mov_b32_e32 v178, v167
	v_pk_add_f32 v[178:179], v[166:167], v[178:179]
	s_nop 0
	v_pk_add_f32 v[176:177], v[176:177], v[178:179]
	v_mov_b32_e32 v165, v178
	v_mov_b32_e32 v167, v176
	v_pk_add_f32 v[180:181], v[166:167], v[182:183] neg_lo:[0,1] neg_hi:[0,1]
	s_nop 0
	v_sub_f32_e32 v67, v166, v180
	v_pk_add_f32 v[164:165], v[164:165], v[180:181] neg_lo:[0,1] neg_hi:[0,1]
	v_sub_f32_e32 v67, v182, v67
	v_add_f32_e32 v67, v164, v67
	v_add_f32_e32 v67, v67, v165
	;; [unrolled: 1-line block ×3, first 2 shown]
	v_cndmask_b32_e32 v67, v67, v69, vcc
	v_add_f32_e32 v69, v54, v67
.LBB161_200:                            ;   in Loop: Header=BB161_176 Depth=1
	s_or_b64 exec, exec, s[58:59]
	v_mov_b32_e32 v54, v69
	v_mov_b32_e32 v67, v69
.LBB161_201:                            ;   in Loop: Header=BB161_176 Depth=1
	s_or_b64 exec, exec, s[62:63]
	s_waitcnt lgkmcnt(0)
	ds_bpermute_b32 v69, v149, v54
	v_cmp_le_u32_e32 vcc, v150, v68
	s_and_saveexec_b64 s[62:63], vcc
	s_cbranch_execz .LBB161_205
; %bb.202:                              ;   in Loop: Header=BB161_176 Depth=1
	v_max_f32_e32 v54, v67, v67
	s_waitcnt lgkmcnt(0)
	v_max_f32_e32 v163, v69, v69
	v_min_f32_e32 v68, v163, v54
	v_cmp_u_f32_e32 vcc, v69, v69
	v_max_f32_e32 v54, v163, v54
	v_cmp_u_f32_e64 s[58:59], v67, v67
	v_cndmask_b32_e32 v68, v68, v69, vcc
	v_cndmask_b32_e32 v54, v54, v69, vcc
	v_cndmask_b32_e64 v68, v68, v67, s[58:59]
	v_cndmask_b32_e64 v54, v54, v67, s[58:59]
	v_cmp_neq_f32_e32 vcc, v68, v54
	v_cmp_class_f32_e64 s[58:59], v68, s64
	s_or_b64 vcc, vcc, s[58:59]
	s_and_saveexec_b64 s[58:59], vcc
	s_cbranch_execz .LBB161_204
; %bb.203:                              ;   in Loop: Header=BB161_176 Depth=1
	v_sub_f32_e32 v67, v68, v54
	v_mul_f32_e32 v68, 0x3fb8aa3b, v67
	v_fma_f32 v69, v67, s65, -v68
	v_rndne_f32_e32 v163, v68
	v_fmac_f32_e32 v69, 0x32a5705f, v67
	v_sub_f32_e32 v68, v68, v163
	v_add_f32_e32 v68, v68, v69
	v_cvt_i32_f32_e32 v69, v163
	v_exp_f32_e32 v68, v68
	v_cmp_ngt_f32_e32 vcc, s66, v67
	v_ldexp_f32 v68, v68, v69
	s_nop 0
	v_cndmask_b32_e32 v68, 0, v68, vcc
	v_cmp_nlt_f32_e32 vcc, s67, v67
	s_nop 1
	v_cndmask_b32_e32 v163, v162, v68, vcc
	v_add_f32_e32 v67, 1.0, v163
	v_add_f32_e32 v68, -1.0, v67
	v_sub_f32_e32 v69, v68, v67
	v_add_f32_e32 v69, 1.0, v69
	v_sub_f32_e32 v68, v163, v68
	v_add_f32_e32 v164, v68, v69
	v_frexp_mant_f32_e32 v165, v67
	v_cvt_f64_f32_e32 v[68:69], v67
	v_frexp_exp_i32_f64_e32 v68, v[68:69]
	v_cmp_gt_f32_e32 vcc, s69, v165
	v_cmp_lt_f32_e64 s[72:73], |v163|, s71
	s_nop 0
	v_subbrev_co_u32_e32 v178, vcc, 0, v68, vcc
	v_sub_u32_e32 v68, 0, v178
	v_ldexp_f32 v67, v67, v68
	v_ldexp_f32 v68, v164, v68
	v_add_f32_e32 v164, -1.0, v67
	v_add_f32_e32 v69, 1.0, v164
	v_sub_f32_e32 v69, v67, v69
	v_add_f32_e32 v165, v68, v69
	v_add_f32_e32 v69, 1.0, v67
	v_add_f32_e32 v166, -1.0, v69
	v_sub_f32_e32 v67, v67, v166
	v_add_f32_e32 v67, v68, v67
	v_add_f32_e32 v179, v69, v67
	v_rcp_f32_e32 v180, v179
	v_sub_f32_e32 v68, v69, v179
	v_add_f32_e32 v69, v164, v165
	v_add_f32_e32 v67, v67, v68
	v_mul_f32_e32 v182, v69, v180
	v_sub_f32_e32 v68, v164, v69
	v_mul_f32_e32 v164, v179, v182
	v_fma_f32 v166, v182, v179, -v164
	v_fmac_f32_e32 v166, v182, v67
	v_add_f32_e32 v181, v165, v68
	v_add_f32_e32 v68, v164, v166
	v_sub_f32_e32 v165, v69, v68
	v_pk_add_f32 v[176:177], v[68:69], v[164:165] neg_lo:[0,1] neg_hi:[0,1]
	v_mov_b32_e32 v167, v68
	v_pk_add_f32 v[68:69], v[176:177], v[166:167] neg_lo:[0,1] neg_hi:[0,1]
	v_cmp_eq_f32_e32 vcc, s68, v163
	v_add_f32_e32 v69, v181, v69
	v_add_f32_e32 v68, v68, v69
	;; [unrolled: 1-line block ×3, first 2 shown]
	v_mul_f32_e32 v181, v180, v69
	v_mul_f32_e32 v164, v179, v181
	v_fma_f32 v166, v181, v179, -v164
	v_fmac_f32_e32 v166, v181, v67
	v_sub_f32_e32 v67, v165, v69
	v_add_f32_e32 v67, v68, v67
	v_add_f32_e32 v68, v164, v166
	v_sub_f32_e32 v165, v69, v68
	v_pk_add_f32 v[176:177], v[68:69], v[164:165] neg_lo:[0,1] neg_hi:[0,1]
	v_mov_b32_e32 v167, v68
	v_pk_add_f32 v[68:69], v[176:177], v[166:167] neg_lo:[0,1] neg_hi:[0,1]
	s_or_b64 vcc, vcc, s[72:73]
	v_add_f32_e32 v67, v67, v69
	v_add_f32_e32 v67, v68, v67
	;; [unrolled: 1-line block ×4, first 2 shown]
	v_sub_f32_e32 v68, v69, v182
	v_mul_f32_e32 v67, v180, v67
	v_sub_f32_e32 v68, v181, v68
	v_add_f32_e32 v164, v68, v67
	v_add_f32_e32 v166, v69, v164
	v_cvt_f32_i32_e32 v68, v178
	v_mul_f32_e32 v167, v166, v166
	v_sub_f32_e32 v69, v166, v69
	v_fmamk_f32 v67, v167, 0x3e9b6dac, v160
	v_sub_f32_e32 v69, v164, v69
	v_fmaak_f32 v67, v167, v67, 0x3f2aaada
	v_ldexp_f32 v176, v69, 1
	v_mul_f32_e32 v69, v166, v167
	v_ldexp_f32 v165, v166, 1
	v_pk_mul_f32 v[166:167], v[68:69], v[66:67]
	s_nop 0
	v_fma_f32 v164, v68, s70, -v166
	v_fmac_f32_e32 v164, 0xb102e308, v68
	v_pk_add_f32 v[68:69], v[166:167], v[164:165]
	s_nop 0
	v_sub_f32_e32 v67, v69, v165
	v_sub_f32_e32 v67, v167, v67
	v_add_f32_e32 v177, v176, v67
	v_mov_b32_e32 v176, v166
	v_pk_add_f32 v[166:167], v[68:69], v[166:167] neg_lo:[0,1] neg_hi:[0,1]
	v_pk_add_f32 v[178:179], v[68:69], v[176:177]
	v_mov_b32_e32 v165, v68
	v_mov_b32_e32 v167, v179
	v_pk_add_f32 v[180:181], v[164:165], v[166:167] neg_lo:[0,1] neg_hi:[0,1]
	v_pk_add_f32 v[164:165], v[164:165], v[166:167]
	v_mov_b32_e32 v176, v177
	v_mov_b32_e32 v166, v165
	v_pk_add_f32 v[182:183], v[166:167], v[68:69] neg_lo:[0,1] neg_hi:[0,1]
	v_mov_b32_e32 v164, v179
	v_mov_b32_e32 v67, v182
	v_pk_add_f32 v[192:193], v[178:179], v[66:67] neg_lo:[0,1] neg_hi:[0,1]
	v_mov_b32_e32 v178, v69
	v_mov_b32_e32 v179, v182
	;; [unrolled: 1-line block ×3, first 2 shown]
	v_pk_add_f32 v[164:165], v[164:165], v[178:179] neg_lo:[0,1] neg_hi:[0,1]
	v_mov_b32_e32 v177, v68
	v_pk_add_f32 v[68:69], v[176:177], v[164:165] neg_lo:[0,1] neg_hi:[0,1]
	v_mov_b32_e32 v192, v180
	v_pk_add_f32 v[164:165], v[192:193], v[68:69]
	s_nop 0
	v_mov_b32_e32 v176, v165
	v_pk_add_f32 v[176:177], v[164:165], v[176:177]
	s_nop 0
	v_pk_add_f32 v[166:167], v[166:167], v[176:177]
	v_mov_b32_e32 v69, v176
	v_mov_b32_e32 v165, v166
	v_pk_add_f32 v[178:179], v[164:165], v[180:181] neg_lo:[0,1] neg_hi:[0,1]
	s_nop 0
	v_sub_f32_e32 v67, v164, v178
	v_pk_add_f32 v[68:69], v[68:69], v[178:179] neg_lo:[0,1] neg_hi:[0,1]
	v_sub_f32_e32 v67, v180, v67
	v_add_f32_e32 v67, v68, v67
	v_add_f32_e32 v67, v67, v69
	;; [unrolled: 1-line block ×3, first 2 shown]
	v_cndmask_b32_e32 v67, v67, v163, vcc
	v_add_f32_e32 v69, v54, v67
.LBB161_204:                            ;   in Loop: Header=BB161_176 Depth=1
	s_or_b64 exec, exec, s[58:59]
	v_mov_b32_e32 v67, v69
.LBB161_205:                            ;   in Loop: Header=BB161_176 Depth=1
	s_or_b64 exec, exec, s[62:63]
	v_max_f32_e32 v54, v151, v151
	s_waitcnt lgkmcnt(0)
	v_max_f32_e32 v69, v67, v67
	v_min_f32_e32 v68, v69, v54
	v_cmp_u_f32_e32 vcc, v67, v67
	v_max_f32_e32 v54, v69, v54
	v_cmp_u_f32_e64 s[58:59], v151, v151
	v_cndmask_b32_e32 v68, v68, v67, vcc
	v_cndmask_b32_e32 v54, v54, v67, vcc
	v_cndmask_b32_e64 v68, v68, v151, s[58:59]
	v_cndmask_b32_e64 v54, v54, v151, s[58:59]
	v_cmp_neq_f32_e32 vcc, v68, v54
	v_cmp_class_f32_e64 s[58:59], v68, s64
	s_or_b64 vcc, vcc, s[58:59]
	s_and_saveexec_b64 s[58:59], vcc
	s_xor_b64 s[58:59], exec, s[58:59]
	s_cbranch_execz .LBB161_175
; %bb.206:                              ;   in Loop: Header=BB161_176 Depth=1
	v_sub_f32_e32 v67, v68, v54
	v_mul_f32_e32 v68, 0x3fb8aa3b, v67
	v_fma_f32 v69, v67, s65, -v68
	v_rndne_f32_e32 v163, v68
	v_fmac_f32_e32 v69, 0x32a5705f, v67
	v_sub_f32_e32 v68, v68, v163
	v_add_f32_e32 v68, v68, v69
	v_cvt_i32_f32_e32 v69, v163
	v_exp_f32_e32 v68, v68
	v_cmp_ngt_f32_e32 vcc, s66, v67
	v_ldexp_f32 v68, v68, v69
	s_nop 0
	v_cndmask_b32_e32 v68, 0, v68, vcc
	v_cmp_nlt_f32_e32 vcc, s67, v67
	s_nop 1
	v_cndmask_b32_e32 v163, v162, v68, vcc
	v_add_f32_e32 v67, 1.0, v163
	v_add_f32_e32 v68, -1.0, v67
	v_sub_f32_e32 v69, v68, v67
	v_add_f32_e32 v69, 1.0, v69
	v_sub_f32_e32 v68, v163, v68
	v_add_f32_e32 v164, v68, v69
	v_frexp_mant_f32_e32 v165, v67
	v_cvt_f64_f32_e32 v[68:69], v67
	v_frexp_exp_i32_f64_e32 v68, v[68:69]
	v_cmp_gt_f32_e32 vcc, s69, v165
	v_cmp_lt_f32_e64 s[62:63], |v163|, s71
	s_nop 0
	v_subbrev_co_u32_e32 v68, vcc, 0, v68, vcc
	v_sub_u32_e32 v69, 0, v68
	v_ldexp_f32 v67, v67, v69
	v_ldexp_f32 v69, v164, v69
	v_add_f32_e32 v164, -1.0, v67
	v_add_f32_e32 v167, 1.0, v67
	v_add_f32_e32 v165, 1.0, v164
	v_add_f32_e32 v176, -1.0, v167
	v_sub_f32_e32 v165, v67, v165
	v_sub_f32_e32 v67, v67, v176
	v_add_f32_e32 v67, v69, v67
	v_add_f32_e32 v165, v69, v165
	;; [unrolled: 1-line block ×3, first 2 shown]
	v_rcp_f32_e32 v176, v69
	v_add_f32_e32 v166, v164, v165
	v_sub_f32_e32 v164, v164, v166
	v_add_f32_e32 v164, v165, v164
	v_sub_f32_e32 v165, v167, v69
	v_add_f32_e32 v67, v67, v165
	v_mul_f32_e32 v165, v166, v176
	v_mul_f32_e32 v167, v69, v165
	v_fma_f32 v177, v165, v69, -v167
	v_fmac_f32_e32 v177, v165, v67
	v_add_f32_e32 v178, v167, v177
	v_sub_f32_e32 v179, v166, v178
	v_sub_f32_e32 v166, v166, v179
	;; [unrolled: 1-line block ×4, first 2 shown]
	v_add_f32_e32 v164, v164, v166
	v_sub_f32_e32 v166, v167, v177
	v_add_f32_e32 v164, v166, v164
	v_add_f32_e32 v166, v179, v164
	v_mul_f32_e32 v167, v176, v166
	v_mul_f32_e32 v177, v69, v167
	v_fma_f32 v69, v167, v69, -v177
	v_fmac_f32_e32 v69, v167, v67
	v_sub_f32_e32 v67, v179, v166
	v_add_f32_e32 v67, v164, v67
	v_add_f32_e32 v164, v177, v69
	v_sub_f32_e32 v178, v166, v164
	v_sub_f32_e32 v166, v166, v178
	;; [unrolled: 1-line block ×4, first 2 shown]
	v_add_f32_e32 v67, v67, v164
	v_sub_f32_e32 v69, v177, v69
	v_add_f32_e32 v67, v69, v67
	v_add_f32_e32 v69, v165, v167
	;; [unrolled: 1-line block ×3, first 2 shown]
	v_sub_f32_e32 v164, v69, v165
	v_mul_f32_e32 v67, v176, v67
	v_sub_f32_e32 v164, v167, v164
	v_add_f32_e32 v164, v164, v67
	v_add_f32_e32 v166, v69, v164
	v_cvt_f32_i32_e32 v68, v68
	v_mul_f32_e32 v167, v166, v166
	v_sub_f32_e32 v69, v166, v69
	v_fmamk_f32 v67, v167, 0x3e9b6dac, v160
	v_sub_f32_e32 v69, v164, v69
	v_fmaak_f32 v67, v167, v67, 0x3f2aaada
	v_ldexp_f32 v176, v69, 1
	v_mul_f32_e32 v69, v166, v167
	v_ldexp_f32 v165, v166, 1
	v_pk_mul_f32 v[166:167], v[68:69], v[66:67]
	v_cmp_eq_f32_e32 vcc, s68, v163
	v_fma_f32 v164, v68, s70, -v166
	v_fmac_f32_e32 v164, 0xb102e308, v68
	v_pk_add_f32 v[68:69], v[166:167], v[164:165]
	s_or_b64 vcc, vcc, s[62:63]
	v_sub_f32_e32 v67, v69, v165
	v_sub_f32_e32 v67, v167, v67
	v_add_f32_e32 v177, v176, v67
	v_mov_b32_e32 v176, v166
	v_pk_add_f32 v[166:167], v[68:69], v[166:167] neg_lo:[0,1] neg_hi:[0,1]
	v_pk_add_f32 v[178:179], v[68:69], v[176:177]
	v_mov_b32_e32 v165, v68
	v_mov_b32_e32 v167, v179
	v_pk_add_f32 v[180:181], v[164:165], v[166:167] neg_lo:[0,1] neg_hi:[0,1]
	v_pk_add_f32 v[164:165], v[164:165], v[166:167]
	v_mov_b32_e32 v176, v177
	v_mov_b32_e32 v166, v165
	v_pk_add_f32 v[182:183], v[166:167], v[68:69] neg_lo:[0,1] neg_hi:[0,1]
	v_mov_b32_e32 v164, v179
	v_mov_b32_e32 v67, v182
	v_pk_add_f32 v[192:193], v[178:179], v[66:67] neg_lo:[0,1] neg_hi:[0,1]
	v_mov_b32_e32 v178, v69
	v_mov_b32_e32 v179, v182
	v_mov_b32_e32 v181, v165
	v_pk_add_f32 v[164:165], v[164:165], v[178:179] neg_lo:[0,1] neg_hi:[0,1]
	v_mov_b32_e32 v177, v68
	v_pk_add_f32 v[68:69], v[176:177], v[164:165] neg_lo:[0,1] neg_hi:[0,1]
	v_mov_b32_e32 v192, v180
	v_pk_add_f32 v[164:165], v[192:193], v[68:69]
	s_nop 0
	v_mov_b32_e32 v176, v165
	v_pk_add_f32 v[176:177], v[164:165], v[176:177]
	s_nop 0
	v_pk_add_f32 v[166:167], v[166:167], v[176:177]
	v_mov_b32_e32 v69, v176
	v_mov_b32_e32 v165, v166
	v_pk_add_f32 v[178:179], v[164:165], v[180:181] neg_lo:[0,1] neg_hi:[0,1]
	s_nop 0
	v_sub_f32_e32 v67, v164, v178
	v_pk_add_f32 v[68:69], v[68:69], v[178:179] neg_lo:[0,1] neg_hi:[0,1]
	v_sub_f32_e32 v67, v180, v67
	v_add_f32_e32 v67, v68, v67
	v_add_f32_e32 v67, v67, v69
	;; [unrolled: 1-line block ×3, first 2 shown]
	v_cndmask_b32_e32 v67, v67, v163, vcc
	v_add_f32_e32 v67, v54, v67
	s_branch .LBB161_175
.LBB161_207:                            ;   in Loop: Header=BB161_176 Depth=1
                                        ; implicit-def: $vgpr67
                                        ; implicit-def: $vgpr55
	s_cbranch_execz .LBB161_176
; %bb.208:
	s_and_saveexec_b64 s[58:59], s[56:57]
	s_cbranch_execz .LBB161_212
; %bb.209:
	v_max_f32_e32 v49, v50, v50
	v_max_f32_e32 v52, v151, v151
	v_min_f32_e32 v51, v52, v49
	v_cmp_u_f32_e32 vcc, v151, v151
	v_max_f32_e32 v49, v52, v49
	v_cmp_u_f32_e64 s[56:57], v50, v50
	v_cndmask_b32_e32 v51, v51, v151, vcc
	v_cndmask_b32_e32 v49, v49, v151, vcc
	v_cndmask_b32_e64 v51, v51, v50, s[56:57]
	v_cndmask_b32_e64 v49, v49, v50, s[56:57]
	s_movk_i32 s56, 0x1f8
	v_cmp_neq_f32_e32 vcc, v51, v49
	v_cmp_class_f32_e64 s[56:57], v51, s56
	s_or_b64 vcc, vcc, s[56:57]
	v_mov_b32_e32 v50, v151
	s_and_saveexec_b64 s[56:57], vcc
	s_cbranch_execz .LBB161_211
; %bb.210:
	v_sub_f32_e32 v50, v51, v49
	s_mov_b32 s62, 0x3fb8aa3b
	v_mul_f32_e32 v51, 0x3fb8aa3b, v50
	v_fma_f32 v52, v50, s62, -v51
	v_rndne_f32_e32 v53, v51
	v_fmamk_f32 v52, v50, 0x32a5705f, v52
	v_sub_f32_e32 v51, v51, v53
	v_add_f32_e32 v51, v51, v52
	v_exp_f32_e32 v51, v51
	v_cvt_i32_f32_e32 v52, v53
	s_mov_b32 s62, 0xc2ce8ed0
	v_cmp_ngt_f32_e32 vcc, s62, v50
	s_mov_b32 s62, 0x42b17218
	v_ldexp_f32 v51, v51, v52
	v_cndmask_b32_e32 v51, 0, v51, vcc
	v_mov_b32_e32 v52, 0x7f800000
	v_cmp_nlt_f32_e32 vcc, s62, v50
	s_mov_b32 s62, 0x3f2aaaab
	s_mov_b32 s63, 0x7f800000
	v_cndmask_b32_e32 v133, v52, v51, vcc
	v_add_f32_e32 v52, 1.0, v133
	v_add_f32_e32 v50, -1.0, v52
	v_sub_f32_e32 v51, v50, v52
	v_add_f32_e32 v51, 1.0, v51
	v_sub_f32_e32 v50, v133, v50
	v_add_f32_e32 v53, v50, v51
	v_frexp_mant_f32_e32 v54, v52
	v_cvt_f64_f32_e32 v[50:51], v52
	v_frexp_exp_i32_f64_e32 v50, v[50:51]
	v_cmp_gt_f32_e32 vcc, s62, v54
	s_mov_b32 s62, 0x3f317218
	s_nop 0
	v_subbrev_co_u32_e32 v66, vcc, 0, v50, vcc
	v_sub_u32_e32 v50, 0, v66
	v_ldexp_f32 v51, v52, v50
	v_add_f32_e32 v52, -1.0, v51
	v_add_f32_e32 v54, 1.0, v51
	v_ldexp_f32 v50, v53, v50
	v_add_f32_e32 v53, 1.0, v52
	v_add_f32_e32 v55, -1.0, v54
	v_sub_f32_e32 v53, v51, v53
	v_sub_f32_e32 v51, v51, v55
	v_add_f32_e32 v53, v50, v53
	v_add_f32_e32 v50, v50, v51
	;; [unrolled: 1-line block ×3, first 2 shown]
	v_rcp_f32_e32 v69, v67
	v_sub_f32_e32 v51, v54, v67
	v_add_f32_e32 v68, v50, v51
	v_add_f32_e32 v51, v52, v53
	v_mul_f32_e32 v135, v51, v69
	v_sub_f32_e32 v50, v52, v51
	v_mul_f32_e32 v52, v67, v135
	v_fma_f32 v54, v135, v67, -v52
	v_fmac_f32_e32 v54, v135, v68
	v_add_f32_e32 v134, v53, v50
	v_add_f32_e32 v50, v52, v54
	v_sub_f32_e32 v53, v51, v50
	v_pk_add_f32 v[64:65], v[50:51], v[52:53] neg_lo:[0,1] neg_hi:[0,1]
	v_mov_b32_e32 v55, v50
	v_pk_add_f32 v[50:51], v[64:65], v[54:55] neg_lo:[0,1] neg_hi:[0,1]
	v_cmp_eq_f32_e32 vcc, s63, v133
	v_add_f32_e32 v51, v134, v51
	v_add_f32_e32 v50, v50, v51
	;; [unrolled: 1-line block ×3, first 2 shown]
	v_mul_f32_e32 v134, v69, v51
	v_mul_f32_e32 v52, v67, v134
	v_fma_f32 v54, v134, v67, -v52
	v_fmac_f32_e32 v54, v134, v68
	v_sub_f32_e32 v53, v53, v51
	v_add_f32_e32 v67, v50, v53
	v_add_f32_e32 v50, v52, v54
	v_sub_f32_e32 v53, v51, v50
	v_pk_add_f32 v[64:65], v[50:51], v[52:53] neg_lo:[0,1] neg_hi:[0,1]
	v_mov_b32_e32 v55, v50
	v_pk_add_f32 v[50:51], v[64:65], v[54:55] neg_lo:[0,1] neg_hi:[0,1]
	v_cvt_f32_i32_e32 v52, v66
	v_add_f32_e32 v51, v67, v51
	v_add_f32_e32 v50, v50, v51
	;; [unrolled: 1-line block ×4, first 2 shown]
	v_sub_f32_e32 v51, v53, v135
	v_mul_f32_e32 v50, v69, v50
	v_sub_f32_e32 v51, v134, v51
	v_add_f32_e32 v50, v51, v50
	v_add_f32_e32 v54, v53, v50
	v_mul_f32_e32 v64, v54, v54
	v_mov_b32_e32 v51, 0x3ecc95a3
	v_sub_f32_e32 v53, v54, v53
	v_fmac_f32_e32 v51, 0x3e9b6dac, v64
	v_sub_f32_e32 v50, v50, v53
	v_fmaak_f32 v51, v64, v51, 0x3f2aaada
	v_ldexp_f32 v65, v50, 1
	v_mul_f32_e32 v53, v54, v64
	v_mov_b32_e32 v50, 0x3f317218
	v_pk_mul_f32 v[50:51], v[52:53], v[50:51]
	v_ldexp_f32 v55, v54, 1
	v_fma_f32 v53, v52, s62, -v50
	v_fmamk_f32 v54, v52, 0xb102e308, v53
	v_pk_add_f32 v[52:53], v[50:51], v[54:55]
	v_mov_b32_e32 v64, v50
	v_sub_f32_e32 v55, v53, v55
	v_sub_f32_e32 v55, v51, v55
	v_add_f32_e32 v65, v65, v55
	v_pk_add_f32 v[50:51], v[52:53], v[50:51] neg_lo:[0,1] neg_hi:[0,1]
	v_pk_add_f32 v[66:67], v[52:53], v[64:65]
	v_mov_b32_e32 v55, v52
	v_mov_b32_e32 v51, v67
	v_pk_add_f32 v[68:69], v[54:55], v[50:51] neg_lo:[0,1] neg_hi:[0,1]
	v_pk_add_f32 v[50:51], v[54:55], v[50:51]
	v_mov_b32_e32 v64, v65
	v_mov_b32_e32 v54, v51
	v_pk_add_f32 v[134:135], v[54:55], v[52:53] neg_lo:[0,1] neg_hi:[0,1]
	v_mov_b32_e32 v50, v67
	v_mov_b32_e32 v55, v134
	v_pk_add_f32 v[144:145], v[66:67], v[54:55] neg_lo:[0,1] neg_hi:[0,1]
	v_mov_b32_e32 v66, v53
	v_mov_b32_e32 v67, v134
	;; [unrolled: 1-line block ×3, first 2 shown]
	v_pk_add_f32 v[50:51], v[50:51], v[66:67] neg_lo:[0,1] neg_hi:[0,1]
	v_mov_b32_e32 v65, v52
	v_pk_add_f32 v[50:51], v[64:65], v[50:51] neg_lo:[0,1] neg_hi:[0,1]
	v_mov_b32_e32 v144, v68
	v_pk_add_f32 v[52:53], v[144:145], v[50:51]
	s_mov_b32 s62, 0x33800000
	v_mov_b32_e32 v64, v53
	v_pk_add_f32 v[64:65], v[52:53], v[64:65]
	v_cmp_lt_f32_e64 s[62:63], |v133|, s62
	v_pk_add_f32 v[54:55], v[54:55], v[64:65]
	v_mov_b32_e32 v51, v64
	v_mov_b32_e32 v53, v54
	v_pk_add_f32 v[66:67], v[52:53], v[68:69] neg_lo:[0,1] neg_hi:[0,1]
	s_or_b64 vcc, vcc, s[62:63]
	v_sub_f32_e32 v52, v52, v66
	v_pk_add_f32 v[50:51], v[50:51], v[66:67] neg_lo:[0,1] neg_hi:[0,1]
	v_sub_f32_e32 v52, v68, v52
	v_add_f32_e32 v50, v50, v52
	v_add_f32_e32 v50, v50, v51
	;; [unrolled: 1-line block ×3, first 2 shown]
	v_cndmask_b32_e32 v50, v50, v133, vcc
	v_add_f32_e32 v50, v49, v50
.LBB161_211:
	s_or_b64 exec, exec, s[56:57]
	v_mov_b32_e32 v49, 0
	v_lshl_add_u64 v[48:49], v[48:49], 3, v[96:97]
	v_mov_b32_e32 v51, 2
	flat_store_dwordx2 v[48:49], v[50:51] sc1
.LBB161_212:
	s_or_b64 exec, exec, s[58:59]
	s_and_b64 exec, exec, s[4:5]
	s_cbranch_execz .LBB161_214
; %bb.213:
	v_mov_b32_e32 v48, 0
	ds_write_b32 v48, v151
.LBB161_214:
	s_or_b64 exec, exec, s[60:61]
	v_mov_b32_e32 v48, 0
	s_waitcnt lgkmcnt(0)
	s_barrier
	ds_read_b32 v48, v48
	v_mov_b32_e32 v49, v16
	s_and_saveexec_b64 s[56:57], s[2:3]
	s_cbranch_execz .LBB161_218
; %bb.215:
	v_max_f32_e32 v49, v132, v132
	v_min_f32_e32 v50, v49, v131
	v_cmp_u_f32_e32 vcc, v132, v132
	v_max_f32_e32 v49, v49, v131
	s_nop 0
	v_cndmask_b32_e32 v50, v50, v132, vcc
	v_cndmask_b32_e32 v49, v49, v132, vcc
	v_cndmask_b32_e64 v50, v50, v16, s[54:55]
	v_cndmask_b32_e64 v49, v49, v16, s[54:55]
	s_movk_i32 s54, 0x1f8
	v_cmp_neq_f32_e32 vcc, v50, v49
	v_cmp_class_f32_e64 s[54:55], v50, s54
	s_or_b64 vcc, vcc, s[54:55]
	s_and_saveexec_b64 s[54:55], vcc
	s_cbranch_execz .LBB161_217
; %bb.216:
	v_sub_f32_e32 v50, v50, v49
	s_mov_b32 s58, 0x3fb8aa3b
	v_mul_f32_e32 v51, 0x3fb8aa3b, v50
	v_fma_f32 v52, v50, s58, -v51
	v_rndne_f32_e32 v53, v51
	v_fmamk_f32 v52, v50, 0x32a5705f, v52
	v_sub_f32_e32 v51, v51, v53
	v_add_f32_e32 v51, v51, v52
	v_exp_f32_e32 v51, v51
	v_cvt_i32_f32_e32 v52, v53
	s_mov_b32 s58, 0xc2ce8ed0
	v_cmp_ngt_f32_e32 vcc, s58, v50
	s_mov_b32 s58, 0x42b17218
	v_ldexp_f32 v51, v51, v52
	v_cndmask_b32_e32 v51, 0, v51, vcc
	v_mov_b32_e32 v52, 0x7f800000
	v_cmp_nlt_f32_e32 vcc, s58, v50
	s_mov_b32 s58, 0x3f2aaaab
	s_mov_b32 s59, 0x7f800000
	v_cndmask_b32_e32 v131, v52, v51, vcc
	v_add_f32_e32 v52, 1.0, v131
	v_add_f32_e32 v50, -1.0, v52
	v_sub_f32_e32 v51, v50, v52
	v_add_f32_e32 v51, 1.0, v51
	v_sub_f32_e32 v50, v131, v50
	v_add_f32_e32 v53, v50, v51
	v_frexp_mant_f32_e32 v54, v52
	v_cvt_f64_f32_e32 v[50:51], v52
	v_frexp_exp_i32_f64_e32 v50, v[50:51]
	v_cmp_gt_f32_e32 vcc, s58, v54
	s_mov_b32 s58, 0x3f317218
	s_nop 0
	v_subbrev_co_u32_e32 v66, vcc, 0, v50, vcc
	v_sub_u32_e32 v50, 0, v66
	v_ldexp_f32 v51, v52, v50
	v_add_f32_e32 v52, -1.0, v51
	v_add_f32_e32 v54, 1.0, v51
	v_ldexp_f32 v50, v53, v50
	v_add_f32_e32 v53, 1.0, v52
	v_add_f32_e32 v55, -1.0, v54
	v_sub_f32_e32 v53, v51, v53
	v_sub_f32_e32 v51, v51, v55
	v_add_f32_e32 v53, v50, v53
	v_add_f32_e32 v50, v50, v51
	;; [unrolled: 1-line block ×3, first 2 shown]
	v_rcp_f32_e32 v69, v67
	v_sub_f32_e32 v51, v54, v67
	v_add_f32_e32 v68, v50, v51
	v_add_f32_e32 v51, v52, v53
	v_mul_f32_e32 v133, v51, v69
	v_sub_f32_e32 v50, v52, v51
	v_mul_f32_e32 v52, v67, v133
	v_fma_f32 v54, v133, v67, -v52
	v_fmac_f32_e32 v54, v133, v68
	v_add_f32_e32 v132, v53, v50
	v_add_f32_e32 v50, v52, v54
	v_sub_f32_e32 v53, v51, v50
	v_pk_add_f32 v[64:65], v[50:51], v[52:53] neg_lo:[0,1] neg_hi:[0,1]
	v_mov_b32_e32 v55, v50
	v_pk_add_f32 v[50:51], v[64:65], v[54:55] neg_lo:[0,1] neg_hi:[0,1]
	v_cmp_eq_f32_e32 vcc, s59, v131
	v_add_f32_e32 v51, v132, v51
	v_add_f32_e32 v50, v50, v51
	;; [unrolled: 1-line block ×3, first 2 shown]
	v_mul_f32_e32 v132, v69, v51
	v_mul_f32_e32 v52, v67, v132
	v_fma_f32 v54, v132, v67, -v52
	v_fmac_f32_e32 v54, v132, v68
	v_sub_f32_e32 v53, v53, v51
	v_add_f32_e32 v67, v50, v53
	v_add_f32_e32 v50, v52, v54
	v_sub_f32_e32 v53, v51, v50
	v_pk_add_f32 v[64:65], v[50:51], v[52:53] neg_lo:[0,1] neg_hi:[0,1]
	v_mov_b32_e32 v55, v50
	v_pk_add_f32 v[50:51], v[64:65], v[54:55] neg_lo:[0,1] neg_hi:[0,1]
	v_cvt_f32_i32_e32 v52, v66
	v_add_f32_e32 v51, v67, v51
	v_add_f32_e32 v50, v50, v51
	;; [unrolled: 1-line block ×4, first 2 shown]
	v_sub_f32_e32 v51, v53, v133
	v_mul_f32_e32 v50, v69, v50
	v_sub_f32_e32 v51, v132, v51
	v_add_f32_e32 v50, v51, v50
	v_add_f32_e32 v54, v53, v50
	v_mul_f32_e32 v64, v54, v54
	v_mov_b32_e32 v51, 0x3ecc95a3
	v_sub_f32_e32 v53, v54, v53
	v_fmac_f32_e32 v51, 0x3e9b6dac, v64
	v_sub_f32_e32 v50, v50, v53
	v_fmaak_f32 v51, v64, v51, 0x3f2aaada
	v_ldexp_f32 v65, v50, 1
	v_mul_f32_e32 v53, v54, v64
	v_mov_b32_e32 v50, 0x3f317218
	v_pk_mul_f32 v[50:51], v[52:53], v[50:51]
	v_ldexp_f32 v55, v54, 1
	v_fma_f32 v53, v52, s58, -v50
	v_fmamk_f32 v54, v52, 0xb102e308, v53
	v_pk_add_f32 v[52:53], v[50:51], v[54:55]
	v_mov_b32_e32 v64, v50
	v_sub_f32_e32 v55, v53, v55
	v_sub_f32_e32 v55, v51, v55
	v_add_f32_e32 v65, v65, v55
	v_pk_add_f32 v[50:51], v[52:53], v[50:51] neg_lo:[0,1] neg_hi:[0,1]
	v_pk_add_f32 v[66:67], v[52:53], v[64:65]
	v_mov_b32_e32 v55, v52
	v_mov_b32_e32 v51, v67
	v_pk_add_f32 v[68:69], v[54:55], v[50:51] neg_lo:[0,1] neg_hi:[0,1]
	v_pk_add_f32 v[50:51], v[54:55], v[50:51]
	v_mov_b32_e32 v64, v65
	v_mov_b32_e32 v54, v51
	v_pk_add_f32 v[132:133], v[54:55], v[52:53] neg_lo:[0,1] neg_hi:[0,1]
	v_mov_b32_e32 v50, v67
	v_mov_b32_e32 v55, v132
	v_pk_add_f32 v[134:135], v[66:67], v[54:55] neg_lo:[0,1] neg_hi:[0,1]
	v_mov_b32_e32 v66, v53
	v_mov_b32_e32 v67, v132
	;; [unrolled: 1-line block ×3, first 2 shown]
	v_pk_add_f32 v[50:51], v[50:51], v[66:67] neg_lo:[0,1] neg_hi:[0,1]
	v_mov_b32_e32 v65, v52
	v_pk_add_f32 v[50:51], v[64:65], v[50:51] neg_lo:[0,1] neg_hi:[0,1]
	v_mov_b32_e32 v134, v68
	v_pk_add_f32 v[52:53], v[134:135], v[50:51]
	s_mov_b32 s58, 0x33800000
	v_mov_b32_e32 v64, v53
	v_pk_add_f32 v[64:65], v[52:53], v[64:65]
	v_cmp_lt_f32_e64 s[58:59], |v131|, s58
	v_pk_add_f32 v[54:55], v[54:55], v[64:65]
	v_mov_b32_e32 v51, v64
	v_mov_b32_e32 v53, v54
	v_pk_add_f32 v[66:67], v[52:53], v[68:69] neg_lo:[0,1] neg_hi:[0,1]
	s_or_b64 vcc, vcc, s[58:59]
	v_sub_f32_e32 v52, v52, v66
	v_pk_add_f32 v[50:51], v[50:51], v[66:67] neg_lo:[0,1] neg_hi:[0,1]
	v_sub_f32_e32 v52, v68, v52
	v_add_f32_e32 v50, v50, v52
	v_add_f32_e32 v50, v50, v51
	;; [unrolled: 1-line block ×3, first 2 shown]
	v_cndmask_b32_e32 v50, v50, v131, vcc
	v_add_f32_e32 v132, v49, v50
.LBB161_217:
	s_or_b64 exec, exec, s[54:55]
	v_mov_b32_e32 v49, v132
.LBB161_218:
	s_or_b64 exec, exec, s[56:57]
	v_max_f32_e32 v51, v49, v49
	s_waitcnt lgkmcnt(0)
	v_max_f32_e32 v52, v48, v48
	v_min_f32_e32 v50, v52, v51
	v_cmp_u_f32_e32 vcc, v48, v48
	v_max_f32_e32 v51, v52, v51
	v_cmp_u_f32_e64 s[54:55], v49, v49
	v_cndmask_b32_e32 v50, v50, v48, vcc
	v_cndmask_b32_e32 v51, v51, v48, vcc
	v_cndmask_b32_e64 v50, v50, v49, s[54:55]
	v_cndmask_b32_e64 v49, v51, v49, s[54:55]
	s_movk_i32 s56, 0x1f8
	v_cmp_neq_f32_e32 vcc, v50, v49
	v_cmp_class_f32_e64 s[54:55], v50, s56
	s_or_b64 vcc, vcc, s[54:55]
	s_and_saveexec_b64 s[54:55], vcc
	s_cbranch_execz .LBB161_220
; %bb.219:
	v_sub_f32_e32 v48, v50, v49
	s_mov_b32 s57, 0x3fb8aa3b
	v_mul_f32_e32 v50, 0x3fb8aa3b, v48
	v_fma_f32 v51, v48, s57, -v50
	v_rndne_f32_e32 v52, v50
	v_fmamk_f32 v51, v48, 0x32a5705f, v51
	v_sub_f32_e32 v50, v50, v52
	v_add_f32_e32 v50, v50, v51
	v_exp_f32_e32 v50, v50
	v_cvt_i32_f32_e32 v51, v52
	s_mov_b32 s57, 0xc2ce8ed0
	v_cmp_ngt_f32_e32 vcc, s57, v48
	s_mov_b32 s57, 0x42b17218
	v_ldexp_f32 v50, v50, v51
	v_cndmask_b32_e32 v50, 0, v50, vcc
	v_mov_b32_e32 v51, 0x7f800000
	v_cmp_nlt_f32_e32 vcc, s57, v48
	s_mov_b32 s57, 0x3f2aaaab
	s_mov_b32 s58, 0x7f800000
	v_cndmask_b32_e32 v131, v51, v50, vcc
	v_add_f32_e32 v48, 1.0, v131
	v_add_f32_e32 v50, -1.0, v48
	v_sub_f32_e32 v51, v50, v48
	v_add_f32_e32 v51, 1.0, v51
	v_sub_f32_e32 v50, v131, v50
	v_add_f32_e32 v52, v50, v51
	v_frexp_mant_f32_e32 v53, v48
	v_cvt_f64_f32_e32 v[50:51], v48
	v_frexp_exp_i32_f64_e32 v50, v[50:51]
	v_cmp_gt_f32_e32 vcc, s57, v53
	s_mov_b32 s57, 0x3f317218
	s_nop 0
	v_subbrev_co_u32_e32 v66, vcc, 0, v50, vcc
	v_sub_u32_e32 v50, 0, v66
	v_ldexp_f32 v48, v48, v50
	v_ldexp_f32 v50, v52, v50
	v_add_f32_e32 v52, -1.0, v48
	v_add_f32_e32 v51, 1.0, v52
	v_sub_f32_e32 v51, v48, v51
	v_add_f32_e32 v53, v50, v51
	v_add_f32_e32 v51, 1.0, v48
	v_add_f32_e32 v54, -1.0, v51
	v_sub_f32_e32 v48, v48, v54
	v_add_f32_e32 v48, v50, v48
	v_add_f32_e32 v67, v51, v48
	v_rcp_f32_e32 v68, v67
	v_sub_f32_e32 v50, v51, v67
	v_add_f32_e32 v51, v52, v53
	v_add_f32_e32 v48, v48, v50
	v_mul_f32_e32 v132, v51, v68
	v_sub_f32_e32 v50, v52, v51
	v_mul_f32_e32 v52, v67, v132
	v_fma_f32 v54, v132, v67, -v52
	v_fmac_f32_e32 v54, v132, v48
	v_add_f32_e32 v69, v53, v50
	v_add_f32_e32 v50, v52, v54
	v_sub_f32_e32 v53, v51, v50
	v_pk_add_f32 v[64:65], v[50:51], v[52:53] neg_lo:[0,1] neg_hi:[0,1]
	v_mov_b32_e32 v55, v50
	v_pk_add_f32 v[50:51], v[64:65], v[54:55] neg_lo:[0,1] neg_hi:[0,1]
	v_cmp_eq_f32_e32 vcc, s58, v131
	v_add_f32_e32 v51, v69, v51
	v_add_f32_e32 v50, v50, v51
	;; [unrolled: 1-line block ×3, first 2 shown]
	v_mul_f32_e32 v69, v68, v51
	v_mul_f32_e32 v52, v67, v69
	v_fma_f32 v54, v69, v67, -v52
	v_fmac_f32_e32 v54, v69, v48
	v_sub_f32_e32 v48, v53, v51
	v_add_f32_e32 v48, v50, v48
	v_add_f32_e32 v50, v52, v54
	v_sub_f32_e32 v53, v51, v50
	v_pk_add_f32 v[64:65], v[50:51], v[52:53] neg_lo:[0,1] neg_hi:[0,1]
	v_mov_b32_e32 v55, v50
	v_pk_add_f32 v[50:51], v[64:65], v[54:55] neg_lo:[0,1] neg_hi:[0,1]
	v_cvt_f32_i32_e32 v52, v66
	v_add_f32_e32 v48, v48, v51
	v_add_f32_e32 v48, v50, v48
	;; [unrolled: 1-line block ×4, first 2 shown]
	v_sub_f32_e32 v51, v50, v132
	v_mul_f32_e32 v48, v68, v48
	v_sub_f32_e32 v51, v69, v51
	v_add_f32_e32 v48, v51, v48
	v_add_f32_e32 v53, v50, v48
	v_mul_f32_e32 v54, v53, v53
	v_mov_b32_e32 v51, 0x3ecc95a3
	v_fmac_f32_e32 v51, 0x3e9b6dac, v54
	v_sub_f32_e32 v50, v53, v50
	v_fmaak_f32 v51, v54, v51, 0x3f2aaada
	v_sub_f32_e32 v48, v48, v50
	v_ldexp_f32 v55, v53, 1
	v_mul_f32_e32 v53, v53, v54
	v_mov_b32_e32 v50, 0x3f317218
	v_pk_mul_f32 v[50:51], v[52:53], v[50:51]
	v_ldexp_f32 v48, v48, 1
	v_fma_f32 v53, v52, s57, -v50
	v_fmamk_f32 v54, v52, 0xb102e308, v53
	v_pk_add_f32 v[52:53], v[50:51], v[54:55]
	v_mov_b32_e32 v64, v50
	v_sub_f32_e32 v55, v53, v55
	v_sub_f32_e32 v55, v51, v55
	v_add_f32_e32 v65, v48, v55
	v_pk_add_f32 v[50:51], v[52:53], v[50:51] neg_lo:[0,1] neg_hi:[0,1]
	v_pk_add_f32 v[66:67], v[52:53], v[64:65]
	v_mov_b32_e32 v55, v52
	v_mov_b32_e32 v51, v67
	v_pk_add_f32 v[68:69], v[54:55], v[50:51] neg_lo:[0,1] neg_hi:[0,1]
	v_pk_add_f32 v[50:51], v[54:55], v[50:51]
	s_mov_b32 s57, 0x33800000
	v_mov_b32_e32 v48, v51
	v_pk_add_f32 v[54:55], v[48:49], v[52:53] neg_lo:[0,1] neg_hi:[0,1]
	v_mov_b32_e32 v50, v67
	v_mov_b32_e32 v55, v54
	v_pk_add_f32 v[132:133], v[66:67], v[54:55] neg_lo:[0,1] neg_hi:[0,1]
	v_mov_b32_e32 v66, v53
	v_mov_b32_e32 v67, v54
	;; [unrolled: 1-line block ×3, first 2 shown]
	v_pk_add_f32 v[50:51], v[50:51], v[66:67] neg_lo:[0,1] neg_hi:[0,1]
	v_mov_b32_e32 v54, v65
	v_mov_b32_e32 v55, v52
	v_pk_add_f32 v[50:51], v[54:55], v[50:51] neg_lo:[0,1] neg_hi:[0,1]
	v_mov_b32_e32 v132, v68
	v_pk_add_f32 v[52:53], v[132:133], v[50:51]
	v_cmp_lt_f32_e64 s[58:59], |v131|, s57
	v_mov_b32_e32 v54, v53
	v_pk_add_f32 v[54:55], v[52:53], v[54:55]
	s_or_b64 vcc, vcc, s[58:59]
	v_pk_add_f32 v[64:65], v[48:49], v[54:55]
	v_mov_b32_e32 v51, v54
	v_mov_b32_e32 v53, v64
	v_pk_add_f32 v[66:67], v[52:53], v[68:69] neg_lo:[0,1] neg_hi:[0,1]
	s_nop 0
	v_sub_f32_e32 v48, v52, v66
	v_pk_add_f32 v[50:51], v[50:51], v[66:67] neg_lo:[0,1] neg_hi:[0,1]
	v_sub_f32_e32 v48, v68, v48
	v_add_f32_e32 v48, v50, v48
	v_add_f32_e32 v48, v48, v51
	;; [unrolled: 1-line block ×3, first 2 shown]
	v_cndmask_b32_e32 v48, v48, v131, vcc
	v_add_f32_e32 v48, v49, v48
.LBB161_220:
	s_or_b64 exec, exec, s[54:55]
	v_max_f32_e32 v49, v48, v48
	v_min_f32_e32 v50, v49, v99
	v_cmp_u_f32_e32 vcc, v48, v48
	v_max_f32_e32 v49, v49, v99
	s_nop 0
	v_cndmask_b32_e32 v50, v50, v48, vcc
	v_cndmask_b32_e32 v49, v49, v48, vcc
	v_cndmask_b32_e64 v51, v50, v17, s[6:7]
	v_cndmask_b32_e64 v50, v49, v17, s[6:7]
	v_cmp_neq_f32_e32 vcc, v51, v50
	v_cmp_class_f32_e64 s[6:7], v51, s56
	s_or_b64 vcc, vcc, s[6:7]
	v_mov_b32_e32 v49, v48
	s_and_saveexec_b64 s[6:7], vcc
	s_cbranch_execz .LBB161_222
; %bb.221:
	v_sub_f32_e32 v49, v51, v50
	s_mov_b32 s54, 0x3fb8aa3b
	v_mul_f32_e32 v51, 0x3fb8aa3b, v49
	v_fma_f32 v52, v49, s54, -v51
	v_rndne_f32_e32 v53, v51
	v_fmamk_f32 v52, v49, 0x32a5705f, v52
	v_sub_f32_e32 v51, v51, v53
	v_add_f32_e32 v51, v51, v52
	v_exp_f32_e32 v51, v51
	v_cvt_i32_f32_e32 v52, v53
	s_mov_b32 s54, 0xc2ce8ed0
	v_cmp_ngt_f32_e32 vcc, s54, v49
	s_mov_b32 s54, 0x42b17218
	v_ldexp_f32 v51, v51, v52
	v_cndmask_b32_e32 v51, 0, v51, vcc
	v_mov_b32_e32 v52, 0x7f800000
	v_cmp_nlt_f32_e32 vcc, s54, v49
	s_mov_b32 s54, 0x3f2aaaab
	s_mov_b32 s55, 0x7f800000
	v_cndmask_b32_e32 v51, v52, v51, vcc
	v_add_f32_e32 v49, 1.0, v51
	v_add_f32_e32 v52, -1.0, v49
	v_sub_f32_e32 v53, v52, v49
	v_add_f32_e32 v53, 1.0, v53
	v_sub_f32_e32 v52, v51, v52
	v_add_f32_e32 v54, v52, v53
	v_frexp_mant_f32_e32 v55, v49
	v_cvt_f64_f32_e32 v[52:53], v49
	v_frexp_exp_i32_f64_e32 v52, v[52:53]
	v_cmp_gt_f32_e32 vcc, s54, v55
	s_mov_b32 s54, 0x3f317218
	s_nop 0
	v_subbrev_co_u32_e32 v68, vcc, 0, v52, vcc
	v_sub_u32_e32 v52, 0, v68
	v_ldexp_f32 v49, v49, v52
	v_ldexp_f32 v52, v54, v52
	v_add_f32_e32 v54, -1.0, v49
	v_add_f32_e32 v53, 1.0, v54
	v_sub_f32_e32 v53, v49, v53
	v_add_f32_e32 v55, v52, v53
	v_add_f32_e32 v53, 1.0, v49
	v_add_f32_e32 v64, -1.0, v53
	v_sub_f32_e32 v49, v49, v64
	v_add_f32_e32 v49, v52, v49
	v_add_f32_e32 v69, v53, v49
	v_rcp_f32_e32 v131, v69
	v_sub_f32_e32 v52, v53, v69
	v_add_f32_e32 v53, v54, v55
	v_add_f32_e32 v49, v49, v52
	v_mul_f32_e32 v133, v53, v131
	v_sub_f32_e32 v52, v54, v53
	v_mul_f32_e32 v54, v69, v133
	v_fma_f32 v64, v133, v69, -v54
	v_fmac_f32_e32 v64, v133, v49
	v_add_f32_e32 v132, v55, v52
	v_add_f32_e32 v52, v54, v64
	v_sub_f32_e32 v55, v53, v52
	v_pk_add_f32 v[66:67], v[52:53], v[54:55] neg_lo:[0,1] neg_hi:[0,1]
	v_mov_b32_e32 v65, v52
	v_pk_add_f32 v[52:53], v[66:67], v[64:65] neg_lo:[0,1] neg_hi:[0,1]
	v_cmp_eq_f32_e32 vcc, s55, v51
	v_add_f32_e32 v53, v132, v53
	v_add_f32_e32 v52, v52, v53
	;; [unrolled: 1-line block ×3, first 2 shown]
	v_mul_f32_e32 v132, v131, v53
	v_mul_f32_e32 v54, v69, v132
	v_fma_f32 v64, v132, v69, -v54
	v_fmac_f32_e32 v64, v132, v49
	v_sub_f32_e32 v49, v55, v53
	v_add_f32_e32 v49, v52, v49
	v_add_f32_e32 v52, v54, v64
	v_sub_f32_e32 v55, v53, v52
	v_pk_add_f32 v[66:67], v[52:53], v[54:55] neg_lo:[0,1] neg_hi:[0,1]
	v_mov_b32_e32 v65, v52
	v_pk_add_f32 v[52:53], v[66:67], v[64:65] neg_lo:[0,1] neg_hi:[0,1]
	v_cvt_f32_i32_e32 v54, v68
	v_add_f32_e32 v49, v49, v53
	v_add_f32_e32 v49, v52, v49
	;; [unrolled: 1-line block ×4, first 2 shown]
	v_sub_f32_e32 v53, v52, v133
	v_mul_f32_e32 v49, v131, v49
	v_sub_f32_e32 v53, v132, v53
	v_add_f32_e32 v49, v53, v49
	v_add_f32_e32 v55, v52, v49
	v_mul_f32_e32 v64, v55, v55
	v_mov_b32_e32 v53, 0x3ecc95a3
	v_fmac_f32_e32 v53, 0x3e9b6dac, v64
	v_sub_f32_e32 v52, v55, v52
	v_fmaak_f32 v53, v64, v53, 0x3f2aaada
	v_sub_f32_e32 v49, v49, v52
	v_ldexp_f32 v65, v55, 1
	v_mul_f32_e32 v55, v55, v64
	v_mov_b32_e32 v52, 0x3f317218
	v_pk_mul_f32 v[52:53], v[54:55], v[52:53]
	v_ldexp_f32 v49, v49, 1
	v_fma_f32 v55, v54, s54, -v52
	v_fmamk_f32 v64, v54, 0xb102e308, v55
	v_pk_add_f32 v[54:55], v[52:53], v[64:65]
	v_mov_b32_e32 v66, v52
	v_sub_f32_e32 v65, v55, v65
	v_sub_f32_e32 v65, v53, v65
	v_add_f32_e32 v67, v49, v65
	v_pk_add_f32 v[52:53], v[54:55], v[52:53] neg_lo:[0,1] neg_hi:[0,1]
	v_pk_add_f32 v[68:69], v[54:55], v[66:67]
	v_mov_b32_e32 v65, v54
	v_mov_b32_e32 v53, v69
	v_pk_add_f32 v[132:133], v[64:65], v[52:53] neg_lo:[0,1] neg_hi:[0,1]
	v_pk_add_f32 v[52:53], v[64:65], v[52:53]
	v_mov_b32_e32 v66, v67
	v_mov_b32_e32 v64, v53
	v_pk_add_f32 v[134:135], v[64:65], v[54:55] neg_lo:[0,1] neg_hi:[0,1]
	v_mov_b32_e32 v52, v69
	v_mov_b32_e32 v49, v134
	v_pk_add_f32 v[144:145], v[68:69], v[48:49] neg_lo:[0,1] neg_hi:[0,1]
	v_mov_b32_e32 v68, v55
	v_mov_b32_e32 v69, v134
	v_mov_b32_e32 v133, v53
	v_pk_add_f32 v[52:53], v[52:53], v[68:69] neg_lo:[0,1] neg_hi:[0,1]
	v_mov_b32_e32 v67, v54
	v_pk_add_f32 v[52:53], v[66:67], v[52:53] neg_lo:[0,1] neg_hi:[0,1]
	v_mov_b32_e32 v144, v132
	v_pk_add_f32 v[54:55], v[144:145], v[52:53]
	s_mov_b32 s54, 0x33800000
	v_mov_b32_e32 v66, v55
	v_pk_add_f32 v[66:67], v[54:55], v[66:67]
	v_cmp_lt_f32_e64 s[54:55], |v51|, s54
	v_pk_add_f32 v[64:65], v[64:65], v[66:67]
	v_mov_b32_e32 v53, v66
	v_mov_b32_e32 v55, v64
	v_pk_add_f32 v[68:69], v[54:55], v[132:133] neg_lo:[0,1] neg_hi:[0,1]
	s_or_b64 vcc, vcc, s[54:55]
	v_sub_f32_e32 v49, v54, v68
	v_pk_add_f32 v[52:53], v[52:53], v[68:69] neg_lo:[0,1] neg_hi:[0,1]
	v_sub_f32_e32 v49, v132, v49
	v_add_f32_e32 v49, v52, v49
	v_add_f32_e32 v49, v49, v53
	v_add_f32_e32 v49, v64, v49
	v_cndmask_b32_e32 v49, v49, v51, vcc
	v_add_f32_e32 v49, v50, v49
.LBB161_222:
	s_or_b64 exec, exec, s[6:7]
	v_max_f32_e32 v50, v49, v49
	v_min_f32_e32 v51, v50, v70
	v_cmp_u_f32_e32 vcc, v49, v49
	v_max_f32_e32 v50, v50, v70
	s_nop 0
	v_cndmask_b32_e32 v51, v51, v49, vcc
	v_cndmask_b32_e32 v50, v50, v49, vcc
	v_cndmask_b32_e64 v52, v51, v18, s[8:9]
	v_cndmask_b32_e64 v51, v50, v18, s[8:9]
	s_movk_i32 s8, 0x1f8
	v_cmp_neq_f32_e32 vcc, v52, v51
	v_cmp_class_f32_e64 s[6:7], v52, s8
	s_or_b64 vcc, vcc, s[6:7]
	v_mov_b32_e32 v50, v49
	s_and_saveexec_b64 s[6:7], vcc
	s_cbranch_execz .LBB161_224
; %bb.223:
	v_sub_f32_e32 v50, v52, v51
	s_mov_b32 s9, 0x3fb8aa3b
	v_mul_f32_e32 v52, 0x3fb8aa3b, v50
	v_fma_f32 v53, v50, s9, -v52
	v_rndne_f32_e32 v54, v52
	v_fmamk_f32 v53, v50, 0x32a5705f, v53
	v_sub_f32_e32 v52, v52, v54
	v_add_f32_e32 v52, v52, v53
	v_exp_f32_e32 v52, v52
	v_cvt_i32_f32_e32 v53, v54
	s_mov_b32 s9, 0xc2ce8ed0
	v_cmp_ngt_f32_e32 vcc, s9, v50
	s_mov_b32 s9, 0x42b17218
	v_ldexp_f32 v52, v52, v53
	v_cndmask_b32_e32 v52, 0, v52, vcc
	v_mov_b32_e32 v53, 0x7f800000
	v_cmp_nlt_f32_e32 vcc, s9, v50
	s_mov_b32 s9, 0x3f2aaaab
	s_mov_b32 s54, 0x7f800000
	v_cndmask_b32_e32 v70, v53, v52, vcc
	v_add_f32_e32 v50, 1.0, v70
	v_add_f32_e32 v52, -1.0, v50
	v_sub_f32_e32 v53, v52, v50
	v_add_f32_e32 v53, 1.0, v53
	v_sub_f32_e32 v52, v70, v52
	v_add_f32_e32 v54, v52, v53
	v_frexp_mant_f32_e32 v55, v50
	v_cvt_f64_f32_e32 v[52:53], v50
	v_frexp_exp_i32_f64_e32 v52, v[52:53]
	v_cmp_gt_f32_e32 vcc, s9, v55
	s_mov_b32 s9, 0x3f317218
	s_nop 0
	v_subbrev_co_u32_e32 v68, vcc, 0, v52, vcc
	v_sub_u32_e32 v52, 0, v68
	v_ldexp_f32 v50, v50, v52
	v_ldexp_f32 v52, v54, v52
	v_add_f32_e32 v54, -1.0, v50
	v_add_f32_e32 v53, 1.0, v54
	v_sub_f32_e32 v53, v50, v53
	v_add_f32_e32 v55, v52, v53
	v_add_f32_e32 v53, 1.0, v50
	v_add_f32_e32 v64, -1.0, v53
	v_sub_f32_e32 v50, v50, v64
	v_add_f32_e32 v50, v52, v50
	v_add_f32_e32 v69, v53, v50
	v_rcp_f32_e32 v131, v69
	v_sub_f32_e32 v52, v53, v69
	v_add_f32_e32 v53, v54, v55
	v_add_f32_e32 v50, v50, v52
	v_mul_f32_e32 v133, v53, v131
	v_sub_f32_e32 v52, v54, v53
	v_mul_f32_e32 v54, v69, v133
	v_fma_f32 v64, v133, v69, -v54
	v_fmac_f32_e32 v64, v133, v50
	v_add_f32_e32 v132, v55, v52
	v_add_f32_e32 v52, v54, v64
	v_sub_f32_e32 v55, v53, v52
	v_pk_add_f32 v[66:67], v[52:53], v[54:55] neg_lo:[0,1] neg_hi:[0,1]
	v_mov_b32_e32 v65, v52
	v_pk_add_f32 v[52:53], v[66:67], v[64:65] neg_lo:[0,1] neg_hi:[0,1]
	v_cmp_eq_f32_e32 vcc, s54, v70
	v_add_f32_e32 v53, v132, v53
	v_add_f32_e32 v52, v52, v53
	;; [unrolled: 1-line block ×3, first 2 shown]
	v_mul_f32_e32 v132, v131, v53
	v_mul_f32_e32 v54, v69, v132
	v_fma_f32 v64, v132, v69, -v54
	v_fmac_f32_e32 v64, v132, v50
	v_sub_f32_e32 v50, v55, v53
	v_add_f32_e32 v50, v52, v50
	v_add_f32_e32 v52, v54, v64
	v_sub_f32_e32 v55, v53, v52
	v_pk_add_f32 v[66:67], v[52:53], v[54:55] neg_lo:[0,1] neg_hi:[0,1]
	v_mov_b32_e32 v65, v52
	v_pk_add_f32 v[52:53], v[66:67], v[64:65] neg_lo:[0,1] neg_hi:[0,1]
	v_cvt_f32_i32_e32 v54, v68
	v_add_f32_e32 v50, v50, v53
	v_add_f32_e32 v50, v52, v50
	;; [unrolled: 1-line block ×4, first 2 shown]
	v_sub_f32_e32 v53, v52, v133
	v_mul_f32_e32 v50, v131, v50
	v_sub_f32_e32 v53, v132, v53
	v_add_f32_e32 v50, v53, v50
	v_add_f32_e32 v55, v52, v50
	v_mul_f32_e32 v64, v55, v55
	v_mov_b32_e32 v53, 0x3ecc95a3
	v_fmac_f32_e32 v53, 0x3e9b6dac, v64
	v_sub_f32_e32 v52, v55, v52
	v_fmaak_f32 v53, v64, v53, 0x3f2aaada
	v_sub_f32_e32 v50, v50, v52
	v_ldexp_f32 v65, v55, 1
	v_mul_f32_e32 v55, v55, v64
	v_mov_b32_e32 v52, 0x3f317218
	v_pk_mul_f32 v[52:53], v[54:55], v[52:53]
	v_ldexp_f32 v50, v50, 1
	v_fma_f32 v55, v54, s9, -v52
	v_fmamk_f32 v64, v54, 0xb102e308, v55
	v_pk_add_f32 v[54:55], v[52:53], v[64:65]
	v_mov_b32_e32 v66, v52
	v_sub_f32_e32 v65, v55, v65
	v_sub_f32_e32 v65, v53, v65
	v_add_f32_e32 v67, v50, v65
	v_pk_add_f32 v[52:53], v[54:55], v[52:53] neg_lo:[0,1] neg_hi:[0,1]
	v_pk_add_f32 v[68:69], v[54:55], v[66:67]
	v_mov_b32_e32 v65, v54
	v_mov_b32_e32 v53, v69
	v_pk_add_f32 v[132:133], v[64:65], v[52:53] neg_lo:[0,1] neg_hi:[0,1]
	v_pk_add_f32 v[52:53], v[64:65], v[52:53]
	s_mov_b32 s9, 0x33800000
	v_mov_b32_e32 v50, v53
	v_pk_add_f32 v[64:65], v[50:51], v[54:55] neg_lo:[0,1] neg_hi:[0,1]
	v_mov_b32_e32 v52, v69
	v_mov_b32_e32 v65, v64
	v_pk_add_f32 v[134:135], v[68:69], v[64:65] neg_lo:[0,1] neg_hi:[0,1]
	v_mov_b32_e32 v68, v55
	v_mov_b32_e32 v69, v64
	;; [unrolled: 1-line block ×3, first 2 shown]
	v_pk_add_f32 v[52:53], v[52:53], v[68:69] neg_lo:[0,1] neg_hi:[0,1]
	v_mov_b32_e32 v64, v67
	v_mov_b32_e32 v65, v54
	v_pk_add_f32 v[52:53], v[64:65], v[52:53] neg_lo:[0,1] neg_hi:[0,1]
	v_mov_b32_e32 v134, v132
	v_pk_add_f32 v[54:55], v[134:135], v[52:53]
	v_cmp_lt_f32_e64 s[54:55], |v70|, s9
	v_mov_b32_e32 v64, v55
	v_pk_add_f32 v[64:65], v[54:55], v[64:65]
	s_or_b64 vcc, vcc, s[54:55]
	v_pk_add_f32 v[66:67], v[50:51], v[64:65]
	v_mov_b32_e32 v53, v64
	v_mov_b32_e32 v55, v66
	v_pk_add_f32 v[68:69], v[54:55], v[132:133] neg_lo:[0,1] neg_hi:[0,1]
	s_nop 0
	v_sub_f32_e32 v50, v54, v68
	v_pk_add_f32 v[52:53], v[52:53], v[68:69] neg_lo:[0,1] neg_hi:[0,1]
	v_sub_f32_e32 v50, v132, v50
	v_add_f32_e32 v50, v52, v50
	v_add_f32_e32 v50, v50, v53
	;; [unrolled: 1-line block ×3, first 2 shown]
	v_cndmask_b32_e32 v50, v50, v70, vcc
	v_add_f32_e32 v50, v51, v50
.LBB161_224:
	s_or_b64 exec, exec, s[6:7]
	v_max_f32_e32 v51, v50, v50
	v_min_f32_e32 v52, v51, v71
	v_cmp_u_f32_e32 vcc, v50, v50
	v_max_f32_e32 v51, v51, v71
	s_nop 0
	v_cndmask_b32_e32 v52, v52, v50, vcc
	v_cndmask_b32_e32 v51, v51, v50, vcc
	v_cndmask_b32_e64 v53, v52, v19, s[10:11]
	v_cndmask_b32_e64 v52, v51, v19, s[10:11]
	v_cmp_neq_f32_e32 vcc, v53, v52
	v_cmp_class_f32_e64 s[6:7], v53, s8
	s_or_b64 s[8:9], vcc, s[6:7]
	v_mov_b32_e32 v51, v50
	s_and_saveexec_b64 s[6:7], s[8:9]
	s_cbranch_execz .LBB161_226
; %bb.225:
	v_sub_f32_e32 v51, v53, v52
	s_mov_b32 s8, 0x3fb8aa3b
	v_mul_f32_e32 v53, 0x3fb8aa3b, v51
	v_fma_f32 v54, v51, s8, -v53
	v_rndne_f32_e32 v55, v53
	v_fmamk_f32 v54, v51, 0x32a5705f, v54
	v_sub_f32_e32 v53, v53, v55
	v_add_f32_e32 v53, v53, v54
	v_exp_f32_e32 v53, v53
	v_cvt_i32_f32_e32 v54, v55
	s_mov_b32 s8, 0xc2ce8ed0
	v_cmp_ngt_f32_e32 vcc, s8, v51
	s_mov_b32 s8, 0x42b17218
	v_ldexp_f32 v53, v53, v54
	v_cndmask_b32_e32 v53, 0, v53, vcc
	v_mov_b32_e32 v54, 0x7f800000
	v_cmp_nlt_f32_e32 vcc, s8, v51
	s_mov_b32 s8, 0x3f2aaaab
	s_mov_b32 s9, 0x7f800000
	v_cndmask_b32_e32 v53, v54, v53, vcc
	v_add_f32_e32 v51, 1.0, v53
	v_add_f32_e32 v54, -1.0, v51
	v_sub_f32_e32 v55, v54, v51
	v_add_f32_e32 v55, 1.0, v55
	v_sub_f32_e32 v54, v53, v54
	v_add_f32_e32 v64, v54, v55
	v_frexp_mant_f32_e32 v65, v51
	v_cvt_f64_f32_e32 v[54:55], v51
	v_frexp_exp_i32_f64_e32 v54, v[54:55]
	v_cmp_gt_f32_e32 vcc, s8, v65
	s_mov_b32 s8, 0x3f317218
	s_nop 0
	v_subbrev_co_u32_e32 v70, vcc, 0, v54, vcc
	v_sub_u32_e32 v54, 0, v70
	v_ldexp_f32 v51, v51, v54
	v_ldexp_f32 v54, v64, v54
	v_add_f32_e32 v64, -1.0, v51
	v_add_f32_e32 v55, 1.0, v64
	v_sub_f32_e32 v55, v51, v55
	v_add_f32_e32 v65, v54, v55
	v_add_f32_e32 v55, 1.0, v51
	v_add_f32_e32 v66, -1.0, v55
	v_sub_f32_e32 v51, v51, v66
	v_add_f32_e32 v51, v54, v51
	v_add_f32_e32 v71, v55, v51
	v_rcp_f32_e32 v131, v71
	v_sub_f32_e32 v54, v55, v71
	v_add_f32_e32 v55, v64, v65
	v_add_f32_e32 v51, v51, v54
	v_mul_f32_e32 v133, v55, v131
	v_sub_f32_e32 v54, v64, v55
	v_mul_f32_e32 v64, v71, v133
	v_fma_f32 v66, v133, v71, -v64
	v_fmac_f32_e32 v66, v133, v51
	v_add_f32_e32 v132, v65, v54
	v_add_f32_e32 v54, v64, v66
	v_sub_f32_e32 v65, v55, v54
	v_pk_add_f32 v[68:69], v[54:55], v[64:65] neg_lo:[0,1] neg_hi:[0,1]
	v_mov_b32_e32 v67, v54
	v_pk_add_f32 v[54:55], v[68:69], v[66:67] neg_lo:[0,1] neg_hi:[0,1]
	v_cmp_eq_f32_e32 vcc, s9, v53
	v_add_f32_e32 v55, v132, v55
	v_add_f32_e32 v54, v54, v55
	;; [unrolled: 1-line block ×3, first 2 shown]
	v_mul_f32_e32 v132, v131, v55
	v_mul_f32_e32 v64, v71, v132
	v_fma_f32 v66, v132, v71, -v64
	v_fmac_f32_e32 v66, v132, v51
	v_sub_f32_e32 v51, v65, v55
	v_add_f32_e32 v51, v54, v51
	v_add_f32_e32 v54, v64, v66
	v_sub_f32_e32 v65, v55, v54
	v_pk_add_f32 v[68:69], v[54:55], v[64:65] neg_lo:[0,1] neg_hi:[0,1]
	v_mov_b32_e32 v67, v54
	v_pk_add_f32 v[54:55], v[68:69], v[66:67] neg_lo:[0,1] neg_hi:[0,1]
	v_cvt_f32_i32_e32 v64, v70
	v_add_f32_e32 v51, v51, v55
	v_add_f32_e32 v51, v54, v51
	;; [unrolled: 1-line block ×4, first 2 shown]
	v_sub_f32_e32 v55, v54, v133
	v_mul_f32_e32 v51, v131, v51
	v_sub_f32_e32 v55, v132, v55
	v_add_f32_e32 v51, v55, v51
	v_add_f32_e32 v65, v54, v51
	v_mul_f32_e32 v66, v65, v65
	v_mov_b32_e32 v55, 0x3ecc95a3
	v_fmac_f32_e32 v55, 0x3e9b6dac, v66
	v_sub_f32_e32 v54, v65, v54
	v_fmaak_f32 v55, v66, v55, 0x3f2aaada
	v_sub_f32_e32 v51, v51, v54
	v_ldexp_f32 v67, v65, 1
	v_mul_f32_e32 v65, v65, v66
	v_mov_b32_e32 v54, 0x3f317218
	v_pk_mul_f32 v[54:55], v[64:65], v[54:55]
	v_ldexp_f32 v51, v51, 1
	v_fma_f32 v65, v64, s8, -v54
	v_fmamk_f32 v66, v64, 0xb102e308, v65
	v_pk_add_f32 v[64:65], v[54:55], v[66:67]
	v_mov_b32_e32 v68, v54
	v_sub_f32_e32 v67, v65, v67
	v_sub_f32_e32 v67, v55, v67
	v_add_f32_e32 v69, v51, v67
	v_pk_add_f32 v[54:55], v[64:65], v[54:55] neg_lo:[0,1] neg_hi:[0,1]
	v_pk_add_f32 v[70:71], v[64:65], v[68:69]
	v_mov_b32_e32 v67, v64
	v_mov_b32_e32 v55, v71
	v_pk_add_f32 v[132:133], v[66:67], v[54:55] neg_lo:[0,1] neg_hi:[0,1]
	v_pk_add_f32 v[54:55], v[66:67], v[54:55]
	v_mov_b32_e32 v68, v69
	v_mov_b32_e32 v66, v55
	v_pk_add_f32 v[134:135], v[66:67], v[64:65] neg_lo:[0,1] neg_hi:[0,1]
	v_mov_b32_e32 v54, v71
	v_mov_b32_e32 v51, v134
	v_pk_add_f32 v[144:145], v[70:71], v[50:51] neg_lo:[0,1] neg_hi:[0,1]
	v_mov_b32_e32 v70, v65
	v_mov_b32_e32 v71, v134
	;; [unrolled: 1-line block ×3, first 2 shown]
	v_pk_add_f32 v[54:55], v[54:55], v[70:71] neg_lo:[0,1] neg_hi:[0,1]
	v_mov_b32_e32 v69, v64
	v_pk_add_f32 v[54:55], v[68:69], v[54:55] neg_lo:[0,1] neg_hi:[0,1]
	v_mov_b32_e32 v144, v132
	v_pk_add_f32 v[64:65], v[144:145], v[54:55]
	s_mov_b32 s8, 0x33800000
	v_mov_b32_e32 v68, v65
	v_pk_add_f32 v[68:69], v[64:65], v[68:69]
	v_cmp_lt_f32_e64 s[8:9], |v53|, s8
	v_pk_add_f32 v[66:67], v[66:67], v[68:69]
	v_mov_b32_e32 v55, v68
	v_mov_b32_e32 v65, v66
	v_pk_add_f32 v[70:71], v[64:65], v[132:133] neg_lo:[0,1] neg_hi:[0,1]
	s_or_b64 vcc, vcc, s[8:9]
	v_sub_f32_e32 v51, v64, v70
	v_pk_add_f32 v[54:55], v[54:55], v[70:71] neg_lo:[0,1] neg_hi:[0,1]
	v_sub_f32_e32 v51, v132, v51
	v_add_f32_e32 v51, v54, v51
	v_add_f32_e32 v51, v51, v55
	;; [unrolled: 1-line block ×3, first 2 shown]
	v_cndmask_b32_e32 v51, v51, v53, vcc
	v_add_f32_e32 v51, v52, v51
.LBB161_226:
	s_or_b64 exec, exec, s[6:7]
	v_max_f32_e32 v52, v51, v51
	v_min_f32_e32 v53, v52, v80
	v_cmp_u_f32_e32 vcc, v51, v51
	v_max_f32_e32 v52, v52, v80
	s_movk_i32 s8, 0x1f8
	v_cndmask_b32_e32 v53, v53, v51, vcc
	v_cndmask_b32_e32 v52, v52, v51, vcc
	v_cndmask_b32_e64 v54, v53, v36, s[12:13]
	v_cndmask_b32_e64 v53, v52, v36, s[12:13]
	v_cmp_neq_f32_e32 vcc, v54, v53
	v_cmp_class_f32_e64 s[6:7], v54, s8
	s_or_b64 s[10:11], vcc, s[6:7]
	v_mov_b32_e32 v52, v51
	s_and_saveexec_b64 s[6:7], s[10:11]
	s_cbranch_execz .LBB161_228
; %bb.227:
	v_sub_f32_e32 v52, v54, v53
	s_mov_b32 s9, 0x3fb8aa3b
	v_mul_f32_e32 v54, 0x3fb8aa3b, v52
	v_fma_f32 v55, v52, s9, -v54
	v_rndne_f32_e32 v64, v54
	v_fmamk_f32 v55, v52, 0x32a5705f, v55
	v_sub_f32_e32 v54, v54, v64
	v_add_f32_e32 v54, v54, v55
	v_exp_f32_e32 v54, v54
	v_cvt_i32_f32_e32 v55, v64
	s_mov_b32 s9, 0xc2ce8ed0
	v_cmp_ngt_f32_e32 vcc, s9, v52
	s_mov_b32 s9, 0x42b17218
	v_ldexp_f32 v54, v54, v55
	v_cndmask_b32_e32 v54, 0, v54, vcc
	v_mov_b32_e32 v55, 0x7f800000
	v_cmp_nlt_f32_e32 vcc, s9, v52
	s_mov_b32 s9, 0x3f2aaaab
	s_mov_b32 s10, 0x7f800000
	v_cndmask_b32_e32 v80, v55, v54, vcc
	v_add_f32_e32 v52, 1.0, v80
	v_add_f32_e32 v54, -1.0, v52
	v_sub_f32_e32 v55, v54, v52
	v_add_f32_e32 v55, 1.0, v55
	v_sub_f32_e32 v54, v80, v54
	v_add_f32_e32 v64, v54, v55
	v_frexp_mant_f32_e32 v65, v52
	v_cvt_f64_f32_e32 v[54:55], v52
	v_frexp_exp_i32_f64_e32 v54, v[54:55]
	v_cmp_gt_f32_e32 vcc, s9, v65
	s_mov_b32 s9, 0x3f317218
	s_nop 0
	v_subbrev_co_u32_e32 v70, vcc, 0, v54, vcc
	v_sub_u32_e32 v54, 0, v70
	v_ldexp_f32 v52, v52, v54
	v_ldexp_f32 v54, v64, v54
	v_add_f32_e32 v64, -1.0, v52
	v_add_f32_e32 v55, 1.0, v64
	v_sub_f32_e32 v55, v52, v55
	v_add_f32_e32 v65, v54, v55
	v_add_f32_e32 v55, 1.0, v52
	v_add_f32_e32 v66, -1.0, v55
	v_sub_f32_e32 v52, v52, v66
	v_add_f32_e32 v52, v54, v52
	v_add_f32_e32 v71, v55, v52
	v_rcp_f32_e32 v131, v71
	v_sub_f32_e32 v54, v55, v71
	v_add_f32_e32 v55, v64, v65
	v_add_f32_e32 v52, v52, v54
	v_mul_f32_e32 v133, v55, v131
	v_sub_f32_e32 v54, v64, v55
	v_mul_f32_e32 v64, v71, v133
	v_fma_f32 v66, v133, v71, -v64
	v_fmac_f32_e32 v66, v133, v52
	v_add_f32_e32 v132, v65, v54
	v_add_f32_e32 v54, v64, v66
	v_sub_f32_e32 v65, v55, v54
	v_pk_add_f32 v[68:69], v[54:55], v[64:65] neg_lo:[0,1] neg_hi:[0,1]
	v_mov_b32_e32 v67, v54
	v_pk_add_f32 v[54:55], v[68:69], v[66:67] neg_lo:[0,1] neg_hi:[0,1]
	v_cmp_eq_f32_e32 vcc, s10, v80
	v_add_f32_e32 v55, v132, v55
	v_add_f32_e32 v54, v54, v55
	;; [unrolled: 1-line block ×3, first 2 shown]
	v_mul_f32_e32 v132, v131, v55
	v_mul_f32_e32 v64, v71, v132
	v_fma_f32 v66, v132, v71, -v64
	v_fmac_f32_e32 v66, v132, v52
	v_sub_f32_e32 v52, v65, v55
	v_add_f32_e32 v52, v54, v52
	v_add_f32_e32 v54, v64, v66
	v_sub_f32_e32 v65, v55, v54
	v_pk_add_f32 v[68:69], v[54:55], v[64:65] neg_lo:[0,1] neg_hi:[0,1]
	v_mov_b32_e32 v67, v54
	v_pk_add_f32 v[54:55], v[68:69], v[66:67] neg_lo:[0,1] neg_hi:[0,1]
	v_cvt_f32_i32_e32 v64, v70
	v_add_f32_e32 v52, v52, v55
	v_add_f32_e32 v52, v54, v52
	;; [unrolled: 1-line block ×4, first 2 shown]
	v_sub_f32_e32 v55, v54, v133
	v_mul_f32_e32 v52, v131, v52
	v_sub_f32_e32 v55, v132, v55
	v_add_f32_e32 v52, v55, v52
	v_add_f32_e32 v65, v54, v52
	v_mul_f32_e32 v66, v65, v65
	v_mov_b32_e32 v55, 0x3ecc95a3
	v_fmac_f32_e32 v55, 0x3e9b6dac, v66
	v_sub_f32_e32 v54, v65, v54
	v_fmaak_f32 v55, v66, v55, 0x3f2aaada
	v_sub_f32_e32 v52, v52, v54
	v_ldexp_f32 v67, v65, 1
	v_mul_f32_e32 v65, v65, v66
	v_mov_b32_e32 v54, 0x3f317218
	v_pk_mul_f32 v[54:55], v[64:65], v[54:55]
	v_ldexp_f32 v52, v52, 1
	v_fma_f32 v65, v64, s9, -v54
	v_fmamk_f32 v66, v64, 0xb102e308, v65
	v_pk_add_f32 v[64:65], v[54:55], v[66:67]
	v_mov_b32_e32 v68, v54
	v_sub_f32_e32 v67, v65, v67
	v_sub_f32_e32 v67, v55, v67
	v_add_f32_e32 v69, v52, v67
	v_pk_add_f32 v[54:55], v[64:65], v[54:55] neg_lo:[0,1] neg_hi:[0,1]
	v_pk_add_f32 v[70:71], v[64:65], v[68:69]
	v_mov_b32_e32 v67, v64
	v_mov_b32_e32 v55, v71
	v_pk_add_f32 v[132:133], v[66:67], v[54:55] neg_lo:[0,1] neg_hi:[0,1]
	v_pk_add_f32 v[54:55], v[66:67], v[54:55]
	s_mov_b32 s9, 0x33800000
	v_mov_b32_e32 v52, v55
	v_pk_add_f32 v[66:67], v[52:53], v[64:65] neg_lo:[0,1] neg_hi:[0,1]
	v_mov_b32_e32 v54, v71
	v_mov_b32_e32 v67, v66
	v_pk_add_f32 v[134:135], v[70:71], v[66:67] neg_lo:[0,1] neg_hi:[0,1]
	v_mov_b32_e32 v70, v65
	v_mov_b32_e32 v71, v66
	v_mov_b32_e32 v133, v55
	v_pk_add_f32 v[54:55], v[54:55], v[70:71] neg_lo:[0,1] neg_hi:[0,1]
	v_mov_b32_e32 v66, v69
	v_mov_b32_e32 v67, v64
	v_pk_add_f32 v[54:55], v[66:67], v[54:55] neg_lo:[0,1] neg_hi:[0,1]
	v_mov_b32_e32 v134, v132
	v_pk_add_f32 v[64:65], v[134:135], v[54:55]
	v_cmp_lt_f32_e64 s[10:11], |v80|, s9
	v_mov_b32_e32 v66, v65
	v_pk_add_f32 v[66:67], v[64:65], v[66:67]
	s_or_b64 vcc, vcc, s[10:11]
	v_pk_add_f32 v[68:69], v[52:53], v[66:67]
	v_mov_b32_e32 v55, v66
	v_mov_b32_e32 v65, v68
	v_pk_add_f32 v[70:71], v[64:65], v[132:133] neg_lo:[0,1] neg_hi:[0,1]
	s_nop 0
	v_sub_f32_e32 v52, v64, v70
	v_pk_add_f32 v[54:55], v[54:55], v[70:71] neg_lo:[0,1] neg_hi:[0,1]
	v_sub_f32_e32 v52, v132, v52
	v_add_f32_e32 v52, v54, v52
	v_add_f32_e32 v52, v52, v55
	;; [unrolled: 1-line block ×3, first 2 shown]
	v_cndmask_b32_e32 v52, v52, v80, vcc
	v_add_f32_e32 v52, v53, v52
.LBB161_228:
	s_or_b64 exec, exec, s[6:7]
	v_max_f32_e32 v53, v52, v52
	v_min_f32_e32 v54, v53, v81
	v_cmp_u_f32_e32 vcc, v52, v52
	v_max_f32_e32 v53, v53, v81
	s_nop 0
	v_cndmask_b32_e32 v54, v54, v52, vcc
	v_cndmask_b32_e32 v53, v53, v52, vcc
	v_cndmask_b32_e64 v55, v54, v37, s[14:15]
	v_cndmask_b32_e64 v54, v53, v37, s[14:15]
	v_cmp_neq_f32_e32 vcc, v55, v54
	v_cmp_class_f32_e64 s[6:7], v55, s8
	s_or_b64 s[8:9], vcc, s[6:7]
	v_mov_b32_e32 v53, v52
	s_and_saveexec_b64 s[6:7], s[8:9]
	s_cbranch_execz .LBB161_230
; %bb.229:
	v_sub_f32_e32 v53, v55, v54
	s_mov_b32 s8, 0x3fb8aa3b
	v_mul_f32_e32 v55, 0x3fb8aa3b, v53
	v_fma_f32 v64, v53, s8, -v55
	v_rndne_f32_e32 v65, v55
	v_fmamk_f32 v64, v53, 0x32a5705f, v64
	v_sub_f32_e32 v55, v55, v65
	v_add_f32_e32 v55, v55, v64
	v_exp_f32_e32 v55, v55
	v_cvt_i32_f32_e32 v64, v65
	s_mov_b32 s8, 0xc2ce8ed0
	v_cmp_ngt_f32_e32 vcc, s8, v53
	s_mov_b32 s8, 0x42b17218
	v_ldexp_f32 v55, v55, v64
	v_cndmask_b32_e32 v55, 0, v55, vcc
	v_mov_b32_e32 v64, 0x7f800000
	v_cmp_nlt_f32_e32 vcc, s8, v53
	s_mov_b32 s8, 0x3f2aaaab
	s_mov_b32 s9, 0x7f800000
	v_cndmask_b32_e32 v55, v64, v55, vcc
	v_add_f32_e32 v53, 1.0, v55
	v_add_f32_e32 v64, -1.0, v53
	v_sub_f32_e32 v65, v64, v53
	v_add_f32_e32 v65, 1.0, v65
	v_sub_f32_e32 v64, v55, v64
	v_add_f32_e32 v66, v64, v65
	v_frexp_mant_f32_e32 v67, v53
	v_cvt_f64_f32_e32 v[64:65], v53
	v_frexp_exp_i32_f64_e32 v64, v[64:65]
	v_cmp_gt_f32_e32 vcc, s8, v67
	s_mov_b32 s8, 0x3f317218
	s_nop 0
	v_subbrev_co_u32_e32 v80, vcc, 0, v64, vcc
	v_sub_u32_e32 v64, 0, v80
	v_ldexp_f32 v53, v53, v64
	v_ldexp_f32 v64, v66, v64
	v_add_f32_e32 v66, -1.0, v53
	v_add_f32_e32 v65, 1.0, v66
	v_sub_f32_e32 v65, v53, v65
	v_add_f32_e32 v67, v64, v65
	v_add_f32_e32 v65, 1.0, v53
	v_add_f32_e32 v68, -1.0, v65
	v_sub_f32_e32 v53, v53, v68
	v_add_f32_e32 v53, v64, v53
	v_add_f32_e32 v81, v65, v53
	v_rcp_f32_e32 v131, v81
	v_sub_f32_e32 v64, v65, v81
	v_add_f32_e32 v65, v66, v67
	v_add_f32_e32 v53, v53, v64
	v_mul_f32_e32 v133, v65, v131
	v_sub_f32_e32 v64, v66, v65
	v_mul_f32_e32 v66, v81, v133
	v_fma_f32 v68, v133, v81, -v66
	v_fmac_f32_e32 v68, v133, v53
	v_add_f32_e32 v132, v67, v64
	v_add_f32_e32 v64, v66, v68
	v_sub_f32_e32 v67, v65, v64
	v_pk_add_f32 v[70:71], v[64:65], v[66:67] neg_lo:[0,1] neg_hi:[0,1]
	v_mov_b32_e32 v69, v64
	v_pk_add_f32 v[64:65], v[70:71], v[68:69] neg_lo:[0,1] neg_hi:[0,1]
	v_cmp_eq_f32_e32 vcc, s9, v55
	v_add_f32_e32 v65, v132, v65
	v_add_f32_e32 v64, v64, v65
	v_add_f32_e32 v65, v67, v64
	v_mul_f32_e32 v132, v131, v65
	v_mul_f32_e32 v66, v81, v132
	v_fma_f32 v68, v132, v81, -v66
	v_fmac_f32_e32 v68, v132, v53
	v_sub_f32_e32 v53, v67, v65
	v_add_f32_e32 v53, v64, v53
	v_add_f32_e32 v64, v66, v68
	v_sub_f32_e32 v67, v65, v64
	v_pk_add_f32 v[70:71], v[64:65], v[66:67] neg_lo:[0,1] neg_hi:[0,1]
	v_mov_b32_e32 v69, v64
	v_pk_add_f32 v[64:65], v[70:71], v[68:69] neg_lo:[0,1] neg_hi:[0,1]
	v_cvt_f32_i32_e32 v66, v80
	v_add_f32_e32 v53, v53, v65
	v_add_f32_e32 v53, v64, v53
	;; [unrolled: 1-line block ×4, first 2 shown]
	v_sub_f32_e32 v65, v64, v133
	v_mul_f32_e32 v53, v131, v53
	v_sub_f32_e32 v65, v132, v65
	v_add_f32_e32 v53, v65, v53
	v_add_f32_e32 v67, v64, v53
	v_mul_f32_e32 v68, v67, v67
	v_mov_b32_e32 v65, 0x3ecc95a3
	v_fmac_f32_e32 v65, 0x3e9b6dac, v68
	v_sub_f32_e32 v64, v67, v64
	v_fmaak_f32 v65, v68, v65, 0x3f2aaada
	v_sub_f32_e32 v53, v53, v64
	v_ldexp_f32 v69, v67, 1
	v_mul_f32_e32 v67, v67, v68
	v_mov_b32_e32 v64, 0x3f317218
	v_pk_mul_f32 v[64:65], v[66:67], v[64:65]
	v_ldexp_f32 v53, v53, 1
	v_fma_f32 v67, v66, s8, -v64
	v_fmamk_f32 v68, v66, 0xb102e308, v67
	v_pk_add_f32 v[66:67], v[64:65], v[68:69]
	v_mov_b32_e32 v70, v64
	v_sub_f32_e32 v69, v67, v69
	v_sub_f32_e32 v69, v65, v69
	v_add_f32_e32 v71, v53, v69
	v_pk_add_f32 v[64:65], v[66:67], v[64:65] neg_lo:[0,1] neg_hi:[0,1]
	v_pk_add_f32 v[80:81], v[66:67], v[70:71]
	v_mov_b32_e32 v69, v66
	v_mov_b32_e32 v65, v81
	v_pk_add_f32 v[132:133], v[68:69], v[64:65] neg_lo:[0,1] neg_hi:[0,1]
	v_pk_add_f32 v[64:65], v[68:69], v[64:65]
	v_mov_b32_e32 v70, v71
	v_mov_b32_e32 v68, v65
	v_pk_add_f32 v[134:135], v[68:69], v[66:67] neg_lo:[0,1] neg_hi:[0,1]
	v_mov_b32_e32 v64, v81
	v_mov_b32_e32 v53, v134
	v_pk_add_f32 v[144:145], v[80:81], v[52:53] neg_lo:[0,1] neg_hi:[0,1]
	v_mov_b32_e32 v80, v67
	v_mov_b32_e32 v81, v134
	;; [unrolled: 1-line block ×3, first 2 shown]
	v_pk_add_f32 v[64:65], v[64:65], v[80:81] neg_lo:[0,1] neg_hi:[0,1]
	v_mov_b32_e32 v71, v66
	v_pk_add_f32 v[64:65], v[70:71], v[64:65] neg_lo:[0,1] neg_hi:[0,1]
	v_mov_b32_e32 v144, v132
	v_pk_add_f32 v[66:67], v[144:145], v[64:65]
	s_mov_b32 s8, 0x33800000
	v_mov_b32_e32 v70, v67
	v_pk_add_f32 v[70:71], v[66:67], v[70:71]
	v_cmp_lt_f32_e64 s[8:9], |v55|, s8
	v_pk_add_f32 v[68:69], v[68:69], v[70:71]
	v_mov_b32_e32 v65, v70
	v_mov_b32_e32 v67, v68
	v_pk_add_f32 v[80:81], v[66:67], v[132:133] neg_lo:[0,1] neg_hi:[0,1]
	s_or_b64 vcc, vcc, s[8:9]
	v_sub_f32_e32 v53, v66, v80
	v_pk_add_f32 v[64:65], v[64:65], v[80:81] neg_lo:[0,1] neg_hi:[0,1]
	v_sub_f32_e32 v53, v132, v53
	v_add_f32_e32 v53, v64, v53
	v_add_f32_e32 v53, v53, v65
	;; [unrolled: 1-line block ×3, first 2 shown]
	v_cndmask_b32_e32 v53, v53, v55, vcc
	v_add_f32_e32 v53, v54, v53
.LBB161_230:
	s_or_b64 exec, exec, s[6:7]
	v_max_f32_e32 v54, v53, v53
	v_min_f32_e32 v55, v54, v82
	v_cmp_u_f32_e32 vcc, v53, v53
	v_max_f32_e32 v54, v54, v82
	s_movk_i32 s8, 0x1f8
	v_cndmask_b32_e32 v55, v55, v53, vcc
	v_cndmask_b32_e32 v54, v54, v53, vcc
	v_cndmask_b32_e64 v64, v55, v38, s[16:17]
	v_cndmask_b32_e64 v55, v54, v38, s[16:17]
	v_cmp_neq_f32_e32 vcc, v64, v55
	v_cmp_class_f32_e64 s[6:7], v64, s8
	s_or_b64 s[10:11], vcc, s[6:7]
	v_mov_b32_e32 v54, v53
	s_and_saveexec_b64 s[6:7], s[10:11]
	s_cbranch_execz .LBB161_232
; %bb.231:
	v_sub_f32_e32 v54, v64, v55
	s_mov_b32 s9, 0x3fb8aa3b
	v_mul_f32_e32 v64, 0x3fb8aa3b, v54
	v_fma_f32 v65, v54, s9, -v64
	v_rndne_f32_e32 v66, v64
	v_fmamk_f32 v65, v54, 0x32a5705f, v65
	v_sub_f32_e32 v64, v64, v66
	v_add_f32_e32 v64, v64, v65
	v_exp_f32_e32 v64, v64
	v_cvt_i32_f32_e32 v65, v66
	s_mov_b32 s9, 0xc2ce8ed0
	v_cmp_ngt_f32_e32 vcc, s9, v54
	s_mov_b32 s9, 0x42b17218
	v_ldexp_f32 v64, v64, v65
	v_cndmask_b32_e32 v64, 0, v64, vcc
	v_mov_b32_e32 v65, 0x7f800000
	v_cmp_nlt_f32_e32 vcc, s9, v54
	s_mov_b32 s9, 0x3f2aaaab
	s_mov_b32 s10, 0x7f800000
	v_cndmask_b32_e32 v82, v65, v64, vcc
	v_add_f32_e32 v54, 1.0, v82
	v_add_f32_e32 v64, -1.0, v54
	v_sub_f32_e32 v65, v64, v54
	v_add_f32_e32 v65, 1.0, v65
	v_sub_f32_e32 v64, v82, v64
	v_add_f32_e32 v66, v64, v65
	v_frexp_mant_f32_e32 v67, v54
	v_cvt_f64_f32_e32 v[64:65], v54
	v_frexp_exp_i32_f64_e32 v64, v[64:65]
	v_cmp_gt_f32_e32 vcc, s9, v67
	s_mov_b32 s9, 0x3f317218
	s_nop 0
	v_subbrev_co_u32_e32 v80, vcc, 0, v64, vcc
	v_sub_u32_e32 v64, 0, v80
	v_ldexp_f32 v54, v54, v64
	v_ldexp_f32 v64, v66, v64
	v_add_f32_e32 v66, -1.0, v54
	v_add_f32_e32 v65, 1.0, v66
	v_sub_f32_e32 v65, v54, v65
	v_add_f32_e32 v67, v64, v65
	v_add_f32_e32 v65, 1.0, v54
	v_add_f32_e32 v68, -1.0, v65
	v_sub_f32_e32 v54, v54, v68
	v_add_f32_e32 v54, v64, v54
	v_add_f32_e32 v81, v65, v54
	v_rcp_f32_e32 v131, v81
	v_sub_f32_e32 v64, v65, v81
	v_add_f32_e32 v65, v66, v67
	v_add_f32_e32 v54, v54, v64
	v_mul_f32_e32 v133, v65, v131
	v_sub_f32_e32 v64, v66, v65
	v_mul_f32_e32 v66, v81, v133
	v_fma_f32 v68, v133, v81, -v66
	v_fmac_f32_e32 v68, v133, v54
	v_add_f32_e32 v132, v67, v64
	v_add_f32_e32 v64, v66, v68
	v_sub_f32_e32 v67, v65, v64
	v_pk_add_f32 v[70:71], v[64:65], v[66:67] neg_lo:[0,1] neg_hi:[0,1]
	v_mov_b32_e32 v69, v64
	v_pk_add_f32 v[64:65], v[70:71], v[68:69] neg_lo:[0,1] neg_hi:[0,1]
	v_cmp_eq_f32_e32 vcc, s10, v82
	v_add_f32_e32 v65, v132, v65
	v_add_f32_e32 v64, v64, v65
	;; [unrolled: 1-line block ×3, first 2 shown]
	v_mul_f32_e32 v132, v131, v65
	v_mul_f32_e32 v66, v81, v132
	v_fma_f32 v68, v132, v81, -v66
	v_fmac_f32_e32 v68, v132, v54
	v_sub_f32_e32 v54, v67, v65
	v_add_f32_e32 v54, v64, v54
	v_add_f32_e32 v64, v66, v68
	v_sub_f32_e32 v67, v65, v64
	v_pk_add_f32 v[70:71], v[64:65], v[66:67] neg_lo:[0,1] neg_hi:[0,1]
	v_mov_b32_e32 v69, v64
	v_pk_add_f32 v[64:65], v[70:71], v[68:69] neg_lo:[0,1] neg_hi:[0,1]
	v_cvt_f32_i32_e32 v66, v80
	v_add_f32_e32 v54, v54, v65
	v_add_f32_e32 v54, v64, v54
	;; [unrolled: 1-line block ×4, first 2 shown]
	v_sub_f32_e32 v65, v64, v133
	v_mul_f32_e32 v54, v131, v54
	v_sub_f32_e32 v65, v132, v65
	v_add_f32_e32 v54, v65, v54
	v_add_f32_e32 v67, v64, v54
	v_mul_f32_e32 v68, v67, v67
	v_mov_b32_e32 v65, 0x3ecc95a3
	v_fmac_f32_e32 v65, 0x3e9b6dac, v68
	v_sub_f32_e32 v64, v67, v64
	v_fmaak_f32 v65, v68, v65, 0x3f2aaada
	v_sub_f32_e32 v54, v54, v64
	v_ldexp_f32 v69, v67, 1
	v_mul_f32_e32 v67, v67, v68
	v_mov_b32_e32 v64, 0x3f317218
	v_pk_mul_f32 v[64:65], v[66:67], v[64:65]
	v_ldexp_f32 v54, v54, 1
	v_fma_f32 v67, v66, s9, -v64
	v_fmamk_f32 v68, v66, 0xb102e308, v67
	v_pk_add_f32 v[66:67], v[64:65], v[68:69]
	v_mov_b32_e32 v70, v64
	v_sub_f32_e32 v69, v67, v69
	v_sub_f32_e32 v69, v65, v69
	v_add_f32_e32 v71, v54, v69
	v_pk_add_f32 v[64:65], v[66:67], v[64:65] neg_lo:[0,1] neg_hi:[0,1]
	v_pk_add_f32 v[80:81], v[66:67], v[70:71]
	v_mov_b32_e32 v69, v66
	v_mov_b32_e32 v65, v81
	v_pk_add_f32 v[132:133], v[68:69], v[64:65] neg_lo:[0,1] neg_hi:[0,1]
	v_pk_add_f32 v[64:65], v[68:69], v[64:65]
	s_mov_b32 s9, 0x33800000
	v_mov_b32_e32 v54, v65
	v_pk_add_f32 v[68:69], v[54:55], v[66:67] neg_lo:[0,1] neg_hi:[0,1]
	v_mov_b32_e32 v64, v81
	v_mov_b32_e32 v69, v68
	v_pk_add_f32 v[134:135], v[80:81], v[68:69] neg_lo:[0,1] neg_hi:[0,1]
	v_mov_b32_e32 v80, v67
	v_mov_b32_e32 v81, v68
	v_mov_b32_e32 v133, v65
	v_pk_add_f32 v[64:65], v[64:65], v[80:81] neg_lo:[0,1] neg_hi:[0,1]
	v_mov_b32_e32 v68, v71
	v_mov_b32_e32 v69, v66
	v_pk_add_f32 v[64:65], v[68:69], v[64:65] neg_lo:[0,1] neg_hi:[0,1]
	v_mov_b32_e32 v134, v132
	v_pk_add_f32 v[66:67], v[134:135], v[64:65]
	v_cmp_lt_f32_e64 s[10:11], |v82|, s9
	v_mov_b32_e32 v68, v67
	v_pk_add_f32 v[68:69], v[66:67], v[68:69]
	s_or_b64 vcc, vcc, s[10:11]
	v_pk_add_f32 v[70:71], v[54:55], v[68:69]
	v_mov_b32_e32 v65, v68
	v_mov_b32_e32 v67, v70
	v_pk_add_f32 v[80:81], v[66:67], v[132:133] neg_lo:[0,1] neg_hi:[0,1]
	s_nop 0
	v_sub_f32_e32 v54, v66, v80
	v_pk_add_f32 v[64:65], v[64:65], v[80:81] neg_lo:[0,1] neg_hi:[0,1]
	v_sub_f32_e32 v54, v132, v54
	v_add_f32_e32 v54, v64, v54
	v_add_f32_e32 v54, v54, v65
	;; [unrolled: 1-line block ×3, first 2 shown]
	v_cndmask_b32_e32 v54, v54, v82, vcc
	v_add_f32_e32 v54, v55, v54
.LBB161_232:
	s_or_b64 exec, exec, s[6:7]
	v_max_f32_e32 v55, v54, v54
	v_min_f32_e32 v64, v55, v83
	v_cmp_u_f32_e32 vcc, v54, v54
	v_max_f32_e32 v55, v55, v83
	s_nop 0
	v_cndmask_b32_e32 v64, v64, v54, vcc
	v_cndmask_b32_e32 v55, v55, v54, vcc
	v_cndmask_b32_e64 v65, v64, v39, s[18:19]
	v_cndmask_b32_e64 v64, v55, v39, s[18:19]
	v_cmp_neq_f32_e32 vcc, v65, v64
	v_cmp_class_f32_e64 s[6:7], v65, s8
	s_or_b64 s[8:9], vcc, s[6:7]
	v_mov_b32_e32 v55, v54
	s_and_saveexec_b64 s[6:7], s[8:9]
	s_cbranch_execz .LBB161_234
; %bb.233:
	v_sub_f32_e32 v55, v65, v64
	s_mov_b32 s8, 0x3fb8aa3b
	v_mul_f32_e32 v65, 0x3fb8aa3b, v55
	v_fma_f32 v66, v55, s8, -v65
	v_rndne_f32_e32 v67, v65
	v_fmamk_f32 v66, v55, 0x32a5705f, v66
	v_sub_f32_e32 v65, v65, v67
	v_add_f32_e32 v65, v65, v66
	v_exp_f32_e32 v65, v65
	v_cvt_i32_f32_e32 v66, v67
	s_mov_b32 s8, 0xc2ce8ed0
	v_cmp_ngt_f32_e32 vcc, s8, v55
	s_mov_b32 s8, 0x42b17218
	v_ldexp_f32 v65, v65, v66
	v_cndmask_b32_e32 v65, 0, v65, vcc
	v_mov_b32_e32 v66, 0x7f800000
	v_cmp_nlt_f32_e32 vcc, s8, v55
	s_mov_b32 s8, 0x3f2aaaab
	s_mov_b32 s9, 0x7f800000
	v_cndmask_b32_e32 v65, v66, v65, vcc
	v_add_f32_e32 v55, 1.0, v65
	v_add_f32_e32 v66, -1.0, v55
	v_sub_f32_e32 v67, v66, v55
	v_add_f32_e32 v67, 1.0, v67
	v_sub_f32_e32 v66, v65, v66
	v_add_f32_e32 v68, v66, v67
	v_frexp_mant_f32_e32 v69, v55
	v_cvt_f64_f32_e32 v[66:67], v55
	v_frexp_exp_i32_f64_e32 v66, v[66:67]
	v_cmp_gt_f32_e32 vcc, s8, v69
	s_mov_b32 s8, 0x3f317218
	s_nop 0
	v_subbrev_co_u32_e32 v82, vcc, 0, v66, vcc
	v_sub_u32_e32 v66, 0, v82
	v_ldexp_f32 v55, v55, v66
	v_ldexp_f32 v66, v68, v66
	v_add_f32_e32 v68, -1.0, v55
	v_add_f32_e32 v67, 1.0, v68
	v_sub_f32_e32 v67, v55, v67
	v_add_f32_e32 v69, v66, v67
	v_add_f32_e32 v67, 1.0, v55
	v_add_f32_e32 v70, -1.0, v67
	v_sub_f32_e32 v55, v55, v70
	v_add_f32_e32 v55, v66, v55
	v_add_f32_e32 v83, v67, v55
	v_rcp_f32_e32 v131, v83
	v_sub_f32_e32 v66, v67, v83
	v_add_f32_e32 v67, v68, v69
	v_add_f32_e32 v55, v55, v66
	v_mul_f32_e32 v133, v67, v131
	v_sub_f32_e32 v66, v68, v67
	v_mul_f32_e32 v68, v83, v133
	v_fma_f32 v70, v133, v83, -v68
	v_fmac_f32_e32 v70, v133, v55
	v_add_f32_e32 v132, v69, v66
	v_add_f32_e32 v66, v68, v70
	v_sub_f32_e32 v69, v67, v66
	v_pk_add_f32 v[80:81], v[66:67], v[68:69] neg_lo:[0,1] neg_hi:[0,1]
	v_mov_b32_e32 v71, v66
	v_pk_add_f32 v[66:67], v[80:81], v[70:71] neg_lo:[0,1] neg_hi:[0,1]
	v_cmp_eq_f32_e32 vcc, s9, v65
	v_add_f32_e32 v67, v132, v67
	v_add_f32_e32 v66, v66, v67
	;; [unrolled: 1-line block ×3, first 2 shown]
	v_mul_f32_e32 v132, v131, v67
	v_mul_f32_e32 v68, v83, v132
	v_fma_f32 v70, v132, v83, -v68
	v_fmac_f32_e32 v70, v132, v55
	v_sub_f32_e32 v55, v69, v67
	v_add_f32_e32 v55, v66, v55
	v_add_f32_e32 v66, v68, v70
	v_sub_f32_e32 v69, v67, v66
	v_pk_add_f32 v[80:81], v[66:67], v[68:69] neg_lo:[0,1] neg_hi:[0,1]
	v_mov_b32_e32 v71, v66
	v_pk_add_f32 v[66:67], v[80:81], v[70:71] neg_lo:[0,1] neg_hi:[0,1]
	v_cvt_f32_i32_e32 v68, v82
	v_add_f32_e32 v55, v55, v67
	v_add_f32_e32 v55, v66, v55
	;; [unrolled: 1-line block ×4, first 2 shown]
	v_sub_f32_e32 v67, v66, v133
	v_mul_f32_e32 v55, v131, v55
	v_sub_f32_e32 v67, v132, v67
	v_add_f32_e32 v55, v67, v55
	v_add_f32_e32 v69, v66, v55
	v_mul_f32_e32 v70, v69, v69
	v_mov_b32_e32 v67, 0x3ecc95a3
	v_fmac_f32_e32 v67, 0x3e9b6dac, v70
	v_sub_f32_e32 v66, v69, v66
	v_fmaak_f32 v67, v70, v67, 0x3f2aaada
	v_sub_f32_e32 v55, v55, v66
	v_ldexp_f32 v71, v69, 1
	v_mul_f32_e32 v69, v69, v70
	v_mov_b32_e32 v66, 0x3f317218
	v_pk_mul_f32 v[66:67], v[68:69], v[66:67]
	v_ldexp_f32 v55, v55, 1
	v_fma_f32 v69, v68, s8, -v66
	v_fmamk_f32 v70, v68, 0xb102e308, v69
	v_pk_add_f32 v[68:69], v[66:67], v[70:71]
	v_mov_b32_e32 v80, v66
	v_sub_f32_e32 v71, v69, v71
	v_sub_f32_e32 v71, v67, v71
	v_add_f32_e32 v81, v55, v71
	v_pk_add_f32 v[66:67], v[68:69], v[66:67] neg_lo:[0,1] neg_hi:[0,1]
	v_pk_add_f32 v[82:83], v[68:69], v[80:81]
	v_mov_b32_e32 v71, v68
	v_mov_b32_e32 v67, v83
	v_pk_add_f32 v[132:133], v[70:71], v[66:67] neg_lo:[0,1] neg_hi:[0,1]
	v_pk_add_f32 v[66:67], v[70:71], v[66:67]
	v_mov_b32_e32 v80, v81
	v_mov_b32_e32 v70, v67
	v_pk_add_f32 v[134:135], v[70:71], v[68:69] neg_lo:[0,1] neg_hi:[0,1]
	v_mov_b32_e32 v66, v83
	v_mov_b32_e32 v55, v134
	v_pk_add_f32 v[144:145], v[82:83], v[54:55] neg_lo:[0,1] neg_hi:[0,1]
	v_mov_b32_e32 v82, v69
	v_mov_b32_e32 v83, v134
	;; [unrolled: 1-line block ×3, first 2 shown]
	v_pk_add_f32 v[66:67], v[66:67], v[82:83] neg_lo:[0,1] neg_hi:[0,1]
	v_mov_b32_e32 v81, v68
	v_pk_add_f32 v[66:67], v[80:81], v[66:67] neg_lo:[0,1] neg_hi:[0,1]
	v_mov_b32_e32 v144, v132
	v_pk_add_f32 v[68:69], v[144:145], v[66:67]
	s_mov_b32 s8, 0x33800000
	v_mov_b32_e32 v80, v69
	v_pk_add_f32 v[80:81], v[68:69], v[80:81]
	v_cmp_lt_f32_e64 s[8:9], |v65|, s8
	v_pk_add_f32 v[70:71], v[70:71], v[80:81]
	v_mov_b32_e32 v67, v80
	v_mov_b32_e32 v69, v70
	v_pk_add_f32 v[82:83], v[68:69], v[132:133] neg_lo:[0,1] neg_hi:[0,1]
	s_or_b64 vcc, vcc, s[8:9]
	v_sub_f32_e32 v55, v68, v82
	v_pk_add_f32 v[66:67], v[66:67], v[82:83] neg_lo:[0,1] neg_hi:[0,1]
	v_sub_f32_e32 v55, v132, v55
	v_add_f32_e32 v55, v66, v55
	v_add_f32_e32 v55, v55, v67
	;; [unrolled: 1-line block ×3, first 2 shown]
	v_cndmask_b32_e32 v55, v55, v65, vcc
	v_add_f32_e32 v55, v64, v55
.LBB161_234:
	s_or_b64 exec, exec, s[6:7]
	v_max_f32_e32 v64, v55, v55
	v_min_f32_e32 v65, v64, v84
	v_cmp_u_f32_e32 vcc, v55, v55
	v_max_f32_e32 v64, v64, v84
	s_movk_i32 s8, 0x1f8
	v_cndmask_b32_e32 v65, v65, v55, vcc
	v_cndmask_b32_e32 v64, v64, v55, vcc
	v_cndmask_b32_e64 v66, v65, v32, s[20:21]
	v_cndmask_b32_e64 v65, v64, v32, s[20:21]
	v_cmp_neq_f32_e32 vcc, v66, v65
	v_cmp_class_f32_e64 s[6:7], v66, s8
	s_or_b64 s[10:11], vcc, s[6:7]
	v_mov_b32_e32 v64, v55
	s_and_saveexec_b64 s[6:7], s[10:11]
	s_cbranch_execz .LBB161_236
; %bb.235:
	v_sub_f32_e32 v64, v66, v65
	s_mov_b32 s9, 0x3fb8aa3b
	v_mul_f32_e32 v66, 0x3fb8aa3b, v64
	v_fma_f32 v67, v64, s9, -v66
	v_rndne_f32_e32 v68, v66
	v_fmamk_f32 v67, v64, 0x32a5705f, v67
	v_sub_f32_e32 v66, v66, v68
	v_add_f32_e32 v66, v66, v67
	v_exp_f32_e32 v66, v66
	v_cvt_i32_f32_e32 v67, v68
	s_mov_b32 s9, 0xc2ce8ed0
	v_cmp_ngt_f32_e32 vcc, s9, v64
	s_mov_b32 s9, 0x42b17218
	v_ldexp_f32 v66, v66, v67
	v_cndmask_b32_e32 v66, 0, v66, vcc
	v_mov_b32_e32 v67, 0x7f800000
	v_cmp_nlt_f32_e32 vcc, s9, v64
	s_mov_b32 s9, 0x3f2aaaab
	s_mov_b32 s10, 0x7f800000
	v_cndmask_b32_e32 v84, v67, v66, vcc
	v_add_f32_e32 v64, 1.0, v84
	v_add_f32_e32 v66, -1.0, v64
	v_sub_f32_e32 v67, v66, v64
	v_add_f32_e32 v67, 1.0, v67
	v_sub_f32_e32 v66, v84, v66
	v_add_f32_e32 v68, v66, v67
	v_frexp_mant_f32_e32 v69, v64
	v_cvt_f64_f32_e32 v[66:67], v64
	v_frexp_exp_i32_f64_e32 v66, v[66:67]
	v_cmp_gt_f32_e32 vcc, s9, v69
	s_mov_b32 s9, 0x3f317218
	s_nop 0
	v_subbrev_co_u32_e32 v82, vcc, 0, v66, vcc
	v_sub_u32_e32 v66, 0, v82
	v_ldexp_f32 v64, v64, v66
	v_ldexp_f32 v66, v68, v66
	v_add_f32_e32 v68, -1.0, v64
	v_add_f32_e32 v67, 1.0, v68
	v_sub_f32_e32 v67, v64, v67
	v_add_f32_e32 v69, v66, v67
	v_add_f32_e32 v67, 1.0, v64
	v_add_f32_e32 v70, -1.0, v67
	v_sub_f32_e32 v64, v64, v70
	v_add_f32_e32 v64, v66, v64
	v_add_f32_e32 v83, v67, v64
	v_rcp_f32_e32 v131, v83
	v_sub_f32_e32 v66, v67, v83
	v_add_f32_e32 v67, v68, v69
	v_add_f32_e32 v64, v64, v66
	v_mul_f32_e32 v133, v67, v131
	v_sub_f32_e32 v66, v68, v67
	v_mul_f32_e32 v68, v83, v133
	v_fma_f32 v70, v133, v83, -v68
	v_fmac_f32_e32 v70, v133, v64
	v_add_f32_e32 v132, v69, v66
	v_add_f32_e32 v66, v68, v70
	v_sub_f32_e32 v69, v67, v66
	v_pk_add_f32 v[80:81], v[66:67], v[68:69] neg_lo:[0,1] neg_hi:[0,1]
	v_mov_b32_e32 v71, v66
	v_pk_add_f32 v[66:67], v[80:81], v[70:71] neg_lo:[0,1] neg_hi:[0,1]
	v_cmp_eq_f32_e32 vcc, s10, v84
	v_add_f32_e32 v67, v132, v67
	v_add_f32_e32 v66, v66, v67
	;; [unrolled: 1-line block ×3, first 2 shown]
	v_mul_f32_e32 v132, v131, v67
	v_mul_f32_e32 v68, v83, v132
	v_fma_f32 v70, v132, v83, -v68
	v_fmac_f32_e32 v70, v132, v64
	v_sub_f32_e32 v64, v69, v67
	v_add_f32_e32 v64, v66, v64
	v_add_f32_e32 v66, v68, v70
	v_sub_f32_e32 v69, v67, v66
	v_pk_add_f32 v[80:81], v[66:67], v[68:69] neg_lo:[0,1] neg_hi:[0,1]
	v_mov_b32_e32 v71, v66
	v_pk_add_f32 v[66:67], v[80:81], v[70:71] neg_lo:[0,1] neg_hi:[0,1]
	v_cvt_f32_i32_e32 v68, v82
	v_add_f32_e32 v64, v64, v67
	v_add_f32_e32 v64, v66, v64
	;; [unrolled: 1-line block ×4, first 2 shown]
	v_sub_f32_e32 v67, v66, v133
	v_mul_f32_e32 v64, v131, v64
	v_sub_f32_e32 v67, v132, v67
	v_add_f32_e32 v64, v67, v64
	v_add_f32_e32 v69, v66, v64
	v_mul_f32_e32 v70, v69, v69
	v_mov_b32_e32 v67, 0x3ecc95a3
	v_fmac_f32_e32 v67, 0x3e9b6dac, v70
	v_sub_f32_e32 v66, v69, v66
	v_fmaak_f32 v67, v70, v67, 0x3f2aaada
	v_sub_f32_e32 v64, v64, v66
	v_ldexp_f32 v71, v69, 1
	v_mul_f32_e32 v69, v69, v70
	v_mov_b32_e32 v66, 0x3f317218
	v_pk_mul_f32 v[66:67], v[68:69], v[66:67]
	v_ldexp_f32 v64, v64, 1
	v_fma_f32 v69, v68, s9, -v66
	v_fmamk_f32 v70, v68, 0xb102e308, v69
	v_pk_add_f32 v[68:69], v[66:67], v[70:71]
	v_mov_b32_e32 v80, v66
	v_sub_f32_e32 v71, v69, v71
	v_sub_f32_e32 v71, v67, v71
	v_add_f32_e32 v81, v64, v71
	v_pk_add_f32 v[66:67], v[68:69], v[66:67] neg_lo:[0,1] neg_hi:[0,1]
	v_pk_add_f32 v[82:83], v[68:69], v[80:81]
	v_mov_b32_e32 v71, v68
	v_mov_b32_e32 v67, v83
	v_pk_add_f32 v[132:133], v[70:71], v[66:67] neg_lo:[0,1] neg_hi:[0,1]
	v_pk_add_f32 v[66:67], v[70:71], v[66:67]
	s_mov_b32 s9, 0x33800000
	v_mov_b32_e32 v64, v67
	v_pk_add_f32 v[70:71], v[64:65], v[68:69] neg_lo:[0,1] neg_hi:[0,1]
	v_mov_b32_e32 v66, v83
	v_mov_b32_e32 v71, v70
	v_pk_add_f32 v[134:135], v[82:83], v[70:71] neg_lo:[0,1] neg_hi:[0,1]
	v_mov_b32_e32 v82, v69
	v_mov_b32_e32 v83, v70
	;; [unrolled: 1-line block ×3, first 2 shown]
	v_pk_add_f32 v[66:67], v[66:67], v[82:83] neg_lo:[0,1] neg_hi:[0,1]
	v_mov_b32_e32 v70, v81
	v_mov_b32_e32 v71, v68
	v_pk_add_f32 v[66:67], v[70:71], v[66:67] neg_lo:[0,1] neg_hi:[0,1]
	v_mov_b32_e32 v134, v132
	v_pk_add_f32 v[68:69], v[134:135], v[66:67]
	v_cmp_lt_f32_e64 s[10:11], |v84|, s9
	v_mov_b32_e32 v70, v69
	v_pk_add_f32 v[70:71], v[68:69], v[70:71]
	s_or_b64 vcc, vcc, s[10:11]
	v_pk_add_f32 v[80:81], v[64:65], v[70:71]
	v_mov_b32_e32 v67, v70
	v_mov_b32_e32 v69, v80
	v_pk_add_f32 v[82:83], v[68:69], v[132:133] neg_lo:[0,1] neg_hi:[0,1]
	s_nop 0
	v_sub_f32_e32 v64, v68, v82
	v_pk_add_f32 v[66:67], v[66:67], v[82:83] neg_lo:[0,1] neg_hi:[0,1]
	v_sub_f32_e32 v64, v132, v64
	v_add_f32_e32 v64, v66, v64
	v_add_f32_e32 v64, v64, v67
	;; [unrolled: 1-line block ×3, first 2 shown]
	v_cndmask_b32_e32 v64, v64, v84, vcc
	v_add_f32_e32 v64, v65, v64
.LBB161_236:
	s_or_b64 exec, exec, s[6:7]
	v_max_f32_e32 v65, v64, v64
	v_min_f32_e32 v66, v65, v85
	v_cmp_u_f32_e32 vcc, v64, v64
	v_max_f32_e32 v65, v65, v85
	s_nop 0
	v_cndmask_b32_e32 v66, v66, v64, vcc
	v_cndmask_b32_e32 v65, v65, v64, vcc
	v_cndmask_b32_e64 v67, v66, v33, s[22:23]
	v_cndmask_b32_e64 v66, v65, v33, s[22:23]
	v_cmp_neq_f32_e32 vcc, v67, v66
	v_cmp_class_f32_e64 s[6:7], v67, s8
	s_or_b64 s[8:9], vcc, s[6:7]
	v_mov_b32_e32 v65, v64
	s_and_saveexec_b64 s[6:7], s[8:9]
	s_cbranch_execz .LBB161_238
; %bb.237:
	v_sub_f32_e32 v65, v67, v66
	s_mov_b32 s8, 0x3fb8aa3b
	v_mul_f32_e32 v67, 0x3fb8aa3b, v65
	v_fma_f32 v68, v65, s8, -v67
	v_rndne_f32_e32 v69, v67
	v_fmamk_f32 v68, v65, 0x32a5705f, v68
	v_sub_f32_e32 v67, v67, v69
	v_add_f32_e32 v67, v67, v68
	v_exp_f32_e32 v67, v67
	v_cvt_i32_f32_e32 v68, v69
	s_mov_b32 s8, 0xc2ce8ed0
	v_cmp_ngt_f32_e32 vcc, s8, v65
	s_mov_b32 s8, 0x42b17218
	v_ldexp_f32 v67, v67, v68
	v_cndmask_b32_e32 v67, 0, v67, vcc
	v_mov_b32_e32 v68, 0x7f800000
	v_cmp_nlt_f32_e32 vcc, s8, v65
	s_mov_b32 s8, 0x3f2aaaab
	s_mov_b32 s9, 0x7f800000
	v_cndmask_b32_e32 v67, v68, v67, vcc
	v_add_f32_e32 v65, 1.0, v67
	v_add_f32_e32 v68, -1.0, v65
	v_sub_f32_e32 v69, v68, v65
	v_add_f32_e32 v69, 1.0, v69
	v_sub_f32_e32 v68, v67, v68
	v_add_f32_e32 v70, v68, v69
	v_frexp_mant_f32_e32 v71, v65
	v_cvt_f64_f32_e32 v[68:69], v65
	v_frexp_exp_i32_f64_e32 v68, v[68:69]
	v_cmp_gt_f32_e32 vcc, s8, v71
	s_mov_b32 s8, 0x3f317218
	s_nop 0
	v_subbrev_co_u32_e32 v84, vcc, 0, v68, vcc
	v_sub_u32_e32 v68, 0, v84
	v_ldexp_f32 v65, v65, v68
	v_ldexp_f32 v68, v70, v68
	v_add_f32_e32 v70, -1.0, v65
	v_add_f32_e32 v69, 1.0, v70
	v_sub_f32_e32 v69, v65, v69
	v_add_f32_e32 v71, v68, v69
	v_add_f32_e32 v69, 1.0, v65
	v_add_f32_e32 v80, -1.0, v69
	v_sub_f32_e32 v65, v65, v80
	v_add_f32_e32 v65, v68, v65
	v_add_f32_e32 v85, v69, v65
	v_rcp_f32_e32 v131, v85
	v_sub_f32_e32 v68, v69, v85
	v_add_f32_e32 v69, v70, v71
	v_add_f32_e32 v65, v65, v68
	v_mul_f32_e32 v133, v69, v131
	v_sub_f32_e32 v68, v70, v69
	v_mul_f32_e32 v70, v85, v133
	v_fma_f32 v80, v133, v85, -v70
	v_fmac_f32_e32 v80, v133, v65
	v_add_f32_e32 v132, v71, v68
	v_add_f32_e32 v68, v70, v80
	v_sub_f32_e32 v71, v69, v68
	v_pk_add_f32 v[82:83], v[68:69], v[70:71] neg_lo:[0,1] neg_hi:[0,1]
	v_mov_b32_e32 v81, v68
	v_pk_add_f32 v[68:69], v[82:83], v[80:81] neg_lo:[0,1] neg_hi:[0,1]
	v_cmp_eq_f32_e32 vcc, s9, v67
	v_add_f32_e32 v69, v132, v69
	v_add_f32_e32 v68, v68, v69
	;; [unrolled: 1-line block ×3, first 2 shown]
	v_mul_f32_e32 v132, v131, v69
	v_mul_f32_e32 v70, v85, v132
	v_fma_f32 v80, v132, v85, -v70
	v_fmac_f32_e32 v80, v132, v65
	v_sub_f32_e32 v65, v71, v69
	v_add_f32_e32 v65, v68, v65
	v_add_f32_e32 v68, v70, v80
	v_sub_f32_e32 v71, v69, v68
	v_pk_add_f32 v[82:83], v[68:69], v[70:71] neg_lo:[0,1] neg_hi:[0,1]
	v_mov_b32_e32 v81, v68
	v_pk_add_f32 v[68:69], v[82:83], v[80:81] neg_lo:[0,1] neg_hi:[0,1]
	v_cvt_f32_i32_e32 v70, v84
	v_add_f32_e32 v65, v65, v69
	v_add_f32_e32 v65, v68, v65
	;; [unrolled: 1-line block ×4, first 2 shown]
	v_sub_f32_e32 v69, v68, v133
	v_mul_f32_e32 v65, v131, v65
	v_sub_f32_e32 v69, v132, v69
	v_add_f32_e32 v65, v69, v65
	v_add_f32_e32 v71, v68, v65
	v_mul_f32_e32 v80, v71, v71
	v_mov_b32_e32 v69, 0x3ecc95a3
	v_fmac_f32_e32 v69, 0x3e9b6dac, v80
	v_sub_f32_e32 v68, v71, v68
	v_fmaak_f32 v69, v80, v69, 0x3f2aaada
	v_sub_f32_e32 v65, v65, v68
	v_ldexp_f32 v81, v71, 1
	v_mul_f32_e32 v71, v71, v80
	v_mov_b32_e32 v68, 0x3f317218
	v_pk_mul_f32 v[68:69], v[70:71], v[68:69]
	v_ldexp_f32 v65, v65, 1
	v_fma_f32 v71, v70, s8, -v68
	v_fmamk_f32 v80, v70, 0xb102e308, v71
	v_pk_add_f32 v[70:71], v[68:69], v[80:81]
	v_mov_b32_e32 v82, v68
	v_sub_f32_e32 v81, v71, v81
	v_sub_f32_e32 v81, v69, v81
	v_add_f32_e32 v83, v65, v81
	v_pk_add_f32 v[68:69], v[70:71], v[68:69] neg_lo:[0,1] neg_hi:[0,1]
	v_pk_add_f32 v[84:85], v[70:71], v[82:83]
	v_mov_b32_e32 v81, v70
	v_mov_b32_e32 v69, v85
	v_pk_add_f32 v[132:133], v[80:81], v[68:69] neg_lo:[0,1] neg_hi:[0,1]
	v_pk_add_f32 v[68:69], v[80:81], v[68:69]
	v_mov_b32_e32 v82, v83
	v_mov_b32_e32 v80, v69
	v_pk_add_f32 v[134:135], v[80:81], v[70:71] neg_lo:[0,1] neg_hi:[0,1]
	v_mov_b32_e32 v68, v85
	v_mov_b32_e32 v65, v134
	v_pk_add_f32 v[144:145], v[84:85], v[64:65] neg_lo:[0,1] neg_hi:[0,1]
	v_mov_b32_e32 v84, v71
	v_mov_b32_e32 v85, v134
	;; [unrolled: 1-line block ×3, first 2 shown]
	v_pk_add_f32 v[68:69], v[68:69], v[84:85] neg_lo:[0,1] neg_hi:[0,1]
	v_mov_b32_e32 v83, v70
	v_pk_add_f32 v[68:69], v[82:83], v[68:69] neg_lo:[0,1] neg_hi:[0,1]
	v_mov_b32_e32 v144, v132
	v_pk_add_f32 v[70:71], v[144:145], v[68:69]
	s_mov_b32 s8, 0x33800000
	v_mov_b32_e32 v82, v71
	v_pk_add_f32 v[82:83], v[70:71], v[82:83]
	v_cmp_lt_f32_e64 s[8:9], |v67|, s8
	v_pk_add_f32 v[80:81], v[80:81], v[82:83]
	v_mov_b32_e32 v69, v82
	v_mov_b32_e32 v71, v80
	v_pk_add_f32 v[84:85], v[70:71], v[132:133] neg_lo:[0,1] neg_hi:[0,1]
	s_or_b64 vcc, vcc, s[8:9]
	v_sub_f32_e32 v65, v70, v84
	v_pk_add_f32 v[68:69], v[68:69], v[84:85] neg_lo:[0,1] neg_hi:[0,1]
	v_sub_f32_e32 v65, v132, v65
	v_add_f32_e32 v65, v68, v65
	v_add_f32_e32 v65, v65, v69
	;; [unrolled: 1-line block ×3, first 2 shown]
	v_cndmask_b32_e32 v65, v65, v67, vcc
	v_add_f32_e32 v65, v66, v65
.LBB161_238:
	s_or_b64 exec, exec, s[6:7]
	v_max_f32_e32 v66, v65, v65
	v_min_f32_e32 v67, v66, v86
	v_cmp_u_f32_e32 vcc, v65, v65
	v_max_f32_e32 v66, v66, v86
	s_movk_i32 s8, 0x1f8
	v_cndmask_b32_e32 v67, v67, v65, vcc
	v_cndmask_b32_e32 v66, v66, v65, vcc
	v_cndmask_b32_e64 v68, v67, v34, s[24:25]
	v_cndmask_b32_e64 v67, v66, v34, s[24:25]
	v_cmp_neq_f32_e32 vcc, v68, v67
	v_cmp_class_f32_e64 s[6:7], v68, s8
	s_or_b64 s[10:11], vcc, s[6:7]
	v_mov_b32_e32 v66, v65
	s_and_saveexec_b64 s[6:7], s[10:11]
	s_cbranch_execz .LBB161_240
; %bb.239:
	v_sub_f32_e32 v66, v68, v67
	s_mov_b32 s9, 0x3fb8aa3b
	v_mul_f32_e32 v68, 0x3fb8aa3b, v66
	v_fma_f32 v69, v66, s9, -v68
	v_rndne_f32_e32 v70, v68
	v_fmamk_f32 v69, v66, 0x32a5705f, v69
	v_sub_f32_e32 v68, v68, v70
	v_add_f32_e32 v68, v68, v69
	v_exp_f32_e32 v68, v68
	v_cvt_i32_f32_e32 v69, v70
	s_mov_b32 s9, 0xc2ce8ed0
	v_cmp_ngt_f32_e32 vcc, s9, v66
	s_mov_b32 s9, 0x42b17218
	v_ldexp_f32 v68, v68, v69
	v_cndmask_b32_e32 v68, 0, v68, vcc
	v_mov_b32_e32 v69, 0x7f800000
	v_cmp_nlt_f32_e32 vcc, s9, v66
	s_mov_b32 s9, 0x3f2aaaab
	s_mov_b32 s10, 0x7f800000
	v_cndmask_b32_e32 v86, v69, v68, vcc
	v_add_f32_e32 v66, 1.0, v86
	v_add_f32_e32 v68, -1.0, v66
	v_sub_f32_e32 v69, v68, v66
	v_add_f32_e32 v69, 1.0, v69
	v_sub_f32_e32 v68, v86, v68
	v_add_f32_e32 v70, v68, v69
	v_frexp_mant_f32_e32 v71, v66
	v_cvt_f64_f32_e32 v[68:69], v66
	v_frexp_exp_i32_f64_e32 v68, v[68:69]
	v_cmp_gt_f32_e32 vcc, s9, v71
	s_mov_b32 s9, 0x3f317218
	s_nop 0
	v_subbrev_co_u32_e32 v84, vcc, 0, v68, vcc
	v_sub_u32_e32 v68, 0, v84
	v_ldexp_f32 v66, v66, v68
	v_ldexp_f32 v68, v70, v68
	v_add_f32_e32 v70, -1.0, v66
	v_add_f32_e32 v69, 1.0, v70
	v_sub_f32_e32 v69, v66, v69
	v_add_f32_e32 v71, v68, v69
	v_add_f32_e32 v69, 1.0, v66
	v_add_f32_e32 v80, -1.0, v69
	v_sub_f32_e32 v66, v66, v80
	v_add_f32_e32 v66, v68, v66
	v_add_f32_e32 v85, v69, v66
	v_rcp_f32_e32 v131, v85
	v_sub_f32_e32 v68, v69, v85
	v_add_f32_e32 v69, v70, v71
	v_add_f32_e32 v66, v66, v68
	v_mul_f32_e32 v133, v69, v131
	v_sub_f32_e32 v68, v70, v69
	v_mul_f32_e32 v70, v85, v133
	v_fma_f32 v80, v133, v85, -v70
	v_fmac_f32_e32 v80, v133, v66
	v_add_f32_e32 v132, v71, v68
	v_add_f32_e32 v68, v70, v80
	v_sub_f32_e32 v71, v69, v68
	v_pk_add_f32 v[82:83], v[68:69], v[70:71] neg_lo:[0,1] neg_hi:[0,1]
	v_mov_b32_e32 v81, v68
	v_pk_add_f32 v[68:69], v[82:83], v[80:81] neg_lo:[0,1] neg_hi:[0,1]
	v_cmp_eq_f32_e32 vcc, s10, v86
	v_add_f32_e32 v69, v132, v69
	v_add_f32_e32 v68, v68, v69
	;; [unrolled: 1-line block ×3, first 2 shown]
	v_mul_f32_e32 v132, v131, v69
	v_mul_f32_e32 v70, v85, v132
	v_fma_f32 v80, v132, v85, -v70
	v_fmac_f32_e32 v80, v132, v66
	v_sub_f32_e32 v66, v71, v69
	v_add_f32_e32 v66, v68, v66
	v_add_f32_e32 v68, v70, v80
	v_sub_f32_e32 v71, v69, v68
	v_pk_add_f32 v[82:83], v[68:69], v[70:71] neg_lo:[0,1] neg_hi:[0,1]
	v_mov_b32_e32 v81, v68
	v_pk_add_f32 v[68:69], v[82:83], v[80:81] neg_lo:[0,1] neg_hi:[0,1]
	v_cvt_f32_i32_e32 v70, v84
	v_add_f32_e32 v66, v66, v69
	v_add_f32_e32 v66, v68, v66
	v_add_f32_e32 v68, v133, v132
	v_add_f32_e32 v66, v71, v66
	v_sub_f32_e32 v69, v68, v133
	v_mul_f32_e32 v66, v131, v66
	v_sub_f32_e32 v69, v132, v69
	v_add_f32_e32 v66, v69, v66
	v_add_f32_e32 v71, v68, v66
	v_mul_f32_e32 v80, v71, v71
	v_mov_b32_e32 v69, 0x3ecc95a3
	v_fmac_f32_e32 v69, 0x3e9b6dac, v80
	v_sub_f32_e32 v68, v71, v68
	v_fmaak_f32 v69, v80, v69, 0x3f2aaada
	v_sub_f32_e32 v66, v66, v68
	v_ldexp_f32 v81, v71, 1
	v_mul_f32_e32 v71, v71, v80
	v_mov_b32_e32 v68, 0x3f317218
	v_pk_mul_f32 v[68:69], v[70:71], v[68:69]
	v_ldexp_f32 v66, v66, 1
	v_fma_f32 v71, v70, s9, -v68
	v_fmamk_f32 v80, v70, 0xb102e308, v71
	v_pk_add_f32 v[70:71], v[68:69], v[80:81]
	v_mov_b32_e32 v82, v68
	v_sub_f32_e32 v81, v71, v81
	v_sub_f32_e32 v81, v69, v81
	v_add_f32_e32 v83, v66, v81
	v_pk_add_f32 v[68:69], v[70:71], v[68:69] neg_lo:[0,1] neg_hi:[0,1]
	v_pk_add_f32 v[84:85], v[70:71], v[82:83]
	v_mov_b32_e32 v81, v70
	v_mov_b32_e32 v69, v85
	v_pk_add_f32 v[132:133], v[80:81], v[68:69] neg_lo:[0,1] neg_hi:[0,1]
	v_pk_add_f32 v[68:69], v[80:81], v[68:69]
	s_mov_b32 s9, 0x33800000
	v_mov_b32_e32 v66, v69
	v_pk_add_f32 v[80:81], v[66:67], v[70:71] neg_lo:[0,1] neg_hi:[0,1]
	v_mov_b32_e32 v68, v85
	v_mov_b32_e32 v81, v80
	v_pk_add_f32 v[134:135], v[84:85], v[80:81] neg_lo:[0,1] neg_hi:[0,1]
	v_mov_b32_e32 v84, v71
	v_mov_b32_e32 v85, v80
	v_mov_b32_e32 v133, v69
	v_pk_add_f32 v[68:69], v[68:69], v[84:85] neg_lo:[0,1] neg_hi:[0,1]
	v_mov_b32_e32 v80, v83
	v_mov_b32_e32 v81, v70
	v_pk_add_f32 v[68:69], v[80:81], v[68:69] neg_lo:[0,1] neg_hi:[0,1]
	v_mov_b32_e32 v134, v132
	v_pk_add_f32 v[70:71], v[134:135], v[68:69]
	v_cmp_lt_f32_e64 s[10:11], |v86|, s9
	v_mov_b32_e32 v80, v71
	v_pk_add_f32 v[80:81], v[70:71], v[80:81]
	s_or_b64 vcc, vcc, s[10:11]
	v_pk_add_f32 v[82:83], v[66:67], v[80:81]
	v_mov_b32_e32 v69, v80
	v_mov_b32_e32 v71, v82
	v_pk_add_f32 v[84:85], v[70:71], v[132:133] neg_lo:[0,1] neg_hi:[0,1]
	s_nop 0
	v_sub_f32_e32 v66, v70, v84
	v_pk_add_f32 v[68:69], v[68:69], v[84:85] neg_lo:[0,1] neg_hi:[0,1]
	v_sub_f32_e32 v66, v132, v66
	v_add_f32_e32 v66, v68, v66
	v_add_f32_e32 v66, v66, v69
	;; [unrolled: 1-line block ×3, first 2 shown]
	v_cndmask_b32_e32 v66, v66, v86, vcc
	v_add_f32_e32 v66, v67, v66
.LBB161_240:
	s_or_b64 exec, exec, s[6:7]
	v_max_f32_e32 v67, v66, v66
	v_min_f32_e32 v68, v67, v87
	v_cmp_u_f32_e32 vcc, v66, v66
	v_max_f32_e32 v67, v67, v87
	s_nop 0
	v_cndmask_b32_e32 v68, v68, v66, vcc
	v_cndmask_b32_e32 v67, v67, v66, vcc
	v_cndmask_b32_e64 v69, v68, v35, s[26:27]
	v_cndmask_b32_e64 v68, v67, v35, s[26:27]
	v_cmp_neq_f32_e32 vcc, v69, v68
	v_cmp_class_f32_e64 s[6:7], v69, s8
	s_or_b64 s[8:9], vcc, s[6:7]
	v_mov_b32_e32 v67, v66
	s_and_saveexec_b64 s[6:7], s[8:9]
	s_cbranch_execz .LBB161_242
; %bb.241:
	v_sub_f32_e32 v67, v69, v68
	s_mov_b32 s8, 0x3fb8aa3b
	v_mul_f32_e32 v69, 0x3fb8aa3b, v67
	v_fma_f32 v70, v67, s8, -v69
	v_rndne_f32_e32 v71, v69
	v_fmamk_f32 v70, v67, 0x32a5705f, v70
	v_sub_f32_e32 v69, v69, v71
	v_add_f32_e32 v69, v69, v70
	v_exp_f32_e32 v69, v69
	v_cvt_i32_f32_e32 v70, v71
	s_mov_b32 s8, 0xc2ce8ed0
	v_cmp_ngt_f32_e32 vcc, s8, v67
	s_mov_b32 s8, 0x42b17218
	v_ldexp_f32 v69, v69, v70
	v_cndmask_b32_e32 v69, 0, v69, vcc
	v_mov_b32_e32 v70, 0x7f800000
	v_cmp_nlt_f32_e32 vcc, s8, v67
	s_mov_b32 s8, 0x3f2aaaab
	s_mov_b32 s9, 0x7f800000
	v_cndmask_b32_e32 v69, v70, v69, vcc
	v_add_f32_e32 v67, 1.0, v69
	v_add_f32_e32 v70, -1.0, v67
	v_sub_f32_e32 v71, v70, v67
	v_add_f32_e32 v71, 1.0, v71
	v_sub_f32_e32 v70, v69, v70
	v_add_f32_e32 v80, v70, v71
	v_frexp_mant_f32_e32 v81, v67
	v_cvt_f64_f32_e32 v[70:71], v67
	v_frexp_exp_i32_f64_e32 v70, v[70:71]
	v_cmp_gt_f32_e32 vcc, s8, v81
	s_mov_b32 s8, 0x3f317218
	s_nop 0
	v_subbrev_co_u32_e32 v86, vcc, 0, v70, vcc
	v_sub_u32_e32 v70, 0, v86
	v_ldexp_f32 v67, v67, v70
	v_ldexp_f32 v70, v80, v70
	v_add_f32_e32 v80, -1.0, v67
	v_add_f32_e32 v71, 1.0, v80
	v_sub_f32_e32 v71, v67, v71
	v_add_f32_e32 v81, v70, v71
	v_add_f32_e32 v71, 1.0, v67
	v_add_f32_e32 v82, -1.0, v71
	v_sub_f32_e32 v67, v67, v82
	v_add_f32_e32 v67, v70, v67
	v_add_f32_e32 v87, v71, v67
	v_rcp_f32_e32 v131, v87
	v_sub_f32_e32 v70, v71, v87
	v_add_f32_e32 v71, v80, v81
	v_add_f32_e32 v67, v67, v70
	v_mul_f32_e32 v133, v71, v131
	v_sub_f32_e32 v70, v80, v71
	v_mul_f32_e32 v80, v87, v133
	v_fma_f32 v82, v133, v87, -v80
	v_fmac_f32_e32 v82, v133, v67
	v_add_f32_e32 v132, v81, v70
	v_add_f32_e32 v70, v80, v82
	v_sub_f32_e32 v81, v71, v70
	v_pk_add_f32 v[84:85], v[70:71], v[80:81] neg_lo:[0,1] neg_hi:[0,1]
	v_mov_b32_e32 v83, v70
	v_pk_add_f32 v[70:71], v[84:85], v[82:83] neg_lo:[0,1] neg_hi:[0,1]
	v_cmp_eq_f32_e32 vcc, s9, v69
	v_add_f32_e32 v71, v132, v71
	v_add_f32_e32 v70, v70, v71
	;; [unrolled: 1-line block ×3, first 2 shown]
	v_mul_f32_e32 v132, v131, v71
	v_mul_f32_e32 v80, v87, v132
	v_fma_f32 v82, v132, v87, -v80
	v_fmac_f32_e32 v82, v132, v67
	v_sub_f32_e32 v67, v81, v71
	v_add_f32_e32 v67, v70, v67
	v_add_f32_e32 v70, v80, v82
	v_sub_f32_e32 v81, v71, v70
	v_pk_add_f32 v[84:85], v[70:71], v[80:81] neg_lo:[0,1] neg_hi:[0,1]
	v_mov_b32_e32 v83, v70
	v_pk_add_f32 v[70:71], v[84:85], v[82:83] neg_lo:[0,1] neg_hi:[0,1]
	v_cvt_f32_i32_e32 v80, v86
	v_add_f32_e32 v67, v67, v71
	v_add_f32_e32 v67, v70, v67
	;; [unrolled: 1-line block ×4, first 2 shown]
	v_sub_f32_e32 v71, v70, v133
	v_mul_f32_e32 v67, v131, v67
	v_sub_f32_e32 v71, v132, v71
	v_add_f32_e32 v67, v71, v67
	v_add_f32_e32 v81, v70, v67
	v_mul_f32_e32 v82, v81, v81
	v_mov_b32_e32 v71, 0x3ecc95a3
	v_fmac_f32_e32 v71, 0x3e9b6dac, v82
	v_sub_f32_e32 v70, v81, v70
	v_fmaak_f32 v71, v82, v71, 0x3f2aaada
	v_sub_f32_e32 v67, v67, v70
	v_ldexp_f32 v83, v81, 1
	v_mul_f32_e32 v81, v81, v82
	v_mov_b32_e32 v70, 0x3f317218
	v_pk_mul_f32 v[70:71], v[80:81], v[70:71]
	v_ldexp_f32 v67, v67, 1
	v_fma_f32 v81, v80, s8, -v70
	v_fmamk_f32 v82, v80, 0xb102e308, v81
	v_pk_add_f32 v[80:81], v[70:71], v[82:83]
	v_mov_b32_e32 v84, v70
	v_sub_f32_e32 v83, v81, v83
	v_sub_f32_e32 v83, v71, v83
	v_add_f32_e32 v85, v67, v83
	v_pk_add_f32 v[70:71], v[80:81], v[70:71] neg_lo:[0,1] neg_hi:[0,1]
	v_pk_add_f32 v[86:87], v[80:81], v[84:85]
	v_mov_b32_e32 v83, v80
	v_mov_b32_e32 v71, v87
	v_pk_add_f32 v[132:133], v[82:83], v[70:71] neg_lo:[0,1] neg_hi:[0,1]
	v_pk_add_f32 v[70:71], v[82:83], v[70:71]
	v_mov_b32_e32 v84, v85
	v_mov_b32_e32 v82, v71
	v_pk_add_f32 v[134:135], v[82:83], v[80:81] neg_lo:[0,1] neg_hi:[0,1]
	v_mov_b32_e32 v70, v87
	v_mov_b32_e32 v67, v134
	v_pk_add_f32 v[144:145], v[86:87], v[66:67] neg_lo:[0,1] neg_hi:[0,1]
	v_mov_b32_e32 v86, v81
	v_mov_b32_e32 v87, v134
	;; [unrolled: 1-line block ×3, first 2 shown]
	v_pk_add_f32 v[70:71], v[70:71], v[86:87] neg_lo:[0,1] neg_hi:[0,1]
	v_mov_b32_e32 v85, v80
	v_pk_add_f32 v[70:71], v[84:85], v[70:71] neg_lo:[0,1] neg_hi:[0,1]
	v_mov_b32_e32 v144, v132
	v_pk_add_f32 v[80:81], v[144:145], v[70:71]
	s_mov_b32 s8, 0x33800000
	v_mov_b32_e32 v84, v81
	v_pk_add_f32 v[84:85], v[80:81], v[84:85]
	v_cmp_lt_f32_e64 s[8:9], |v69|, s8
	v_pk_add_f32 v[82:83], v[82:83], v[84:85]
	v_mov_b32_e32 v71, v84
	v_mov_b32_e32 v81, v82
	v_pk_add_f32 v[86:87], v[80:81], v[132:133] neg_lo:[0,1] neg_hi:[0,1]
	s_or_b64 vcc, vcc, s[8:9]
	v_sub_f32_e32 v67, v80, v86
	v_pk_add_f32 v[70:71], v[70:71], v[86:87] neg_lo:[0,1] neg_hi:[0,1]
	v_sub_f32_e32 v67, v132, v67
	v_add_f32_e32 v67, v70, v67
	v_add_f32_e32 v67, v67, v71
	;; [unrolled: 1-line block ×3, first 2 shown]
	v_cndmask_b32_e32 v67, v67, v69, vcc
	v_add_f32_e32 v67, v68, v67
.LBB161_242:
	s_or_b64 exec, exec, s[6:7]
	v_max_f32_e32 v68, v67, v67
	v_min_f32_e32 v69, v68, v101
	v_cmp_u_f32_e32 vcc, v67, v67
	v_max_f32_e32 v68, v68, v101
	s_movk_i32 s8, 0x1f8
	v_cndmask_b32_e32 v69, v69, v67, vcc
	v_cndmask_b32_e32 v68, v68, v67, vcc
	v_cndmask_b32_e64 v70, v69, v28, s[28:29]
	v_cndmask_b32_e64 v69, v68, v28, s[28:29]
	v_cmp_neq_f32_e32 vcc, v70, v69
	v_cmp_class_f32_e64 s[6:7], v70, s8
	s_or_b64 s[10:11], vcc, s[6:7]
	v_mov_b32_e32 v68, v67
	s_and_saveexec_b64 s[6:7], s[10:11]
	s_cbranch_execz .LBB161_244
; %bb.243:
	v_sub_f32_e32 v68, v70, v69
	s_mov_b32 s9, 0x3fb8aa3b
	v_mul_f32_e32 v70, 0x3fb8aa3b, v68
	v_fma_f32 v71, v68, s9, -v70
	v_rndne_f32_e32 v80, v70
	v_fmamk_f32 v71, v68, 0x32a5705f, v71
	v_sub_f32_e32 v70, v70, v80
	v_add_f32_e32 v70, v70, v71
	v_exp_f32_e32 v70, v70
	v_cvt_i32_f32_e32 v71, v80
	s_mov_b32 s9, 0xc2ce8ed0
	v_cmp_ngt_f32_e32 vcc, s9, v68
	s_mov_b32 s9, 0x42b17218
	v_ldexp_f32 v70, v70, v71
	v_cndmask_b32_e32 v70, 0, v70, vcc
	v_mov_b32_e32 v71, 0x7f800000
	v_cmp_nlt_f32_e32 vcc, s9, v68
	s_mov_b32 s9, 0x3f2aaaab
	s_mov_b32 s10, 0x7f800000
	v_cndmask_b32_e32 v101, v71, v70, vcc
	v_add_f32_e32 v68, 1.0, v101
	v_add_f32_e32 v70, -1.0, v68
	v_sub_f32_e32 v71, v70, v68
	v_add_f32_e32 v71, 1.0, v71
	v_sub_f32_e32 v70, v101, v70
	v_add_f32_e32 v80, v70, v71
	v_frexp_mant_f32_e32 v81, v68
	v_cvt_f64_f32_e32 v[70:71], v68
	v_frexp_exp_i32_f64_e32 v70, v[70:71]
	v_cmp_gt_f32_e32 vcc, s9, v81
	s_mov_b32 s9, 0x3f317218
	s_nop 0
	v_subbrev_co_u32_e32 v86, vcc, 0, v70, vcc
	v_sub_u32_e32 v70, 0, v86
	v_ldexp_f32 v68, v68, v70
	v_ldexp_f32 v70, v80, v70
	v_add_f32_e32 v80, -1.0, v68
	v_add_f32_e32 v71, 1.0, v80
	v_sub_f32_e32 v71, v68, v71
	v_add_f32_e32 v81, v70, v71
	v_add_f32_e32 v71, 1.0, v68
	v_add_f32_e32 v82, -1.0, v71
	v_sub_f32_e32 v68, v68, v82
	v_add_f32_e32 v68, v70, v68
	v_add_f32_e32 v87, v71, v68
	v_rcp_f32_e32 v131, v87
	v_sub_f32_e32 v70, v71, v87
	v_add_f32_e32 v71, v80, v81
	v_add_f32_e32 v68, v68, v70
	v_mul_f32_e32 v133, v71, v131
	v_sub_f32_e32 v70, v80, v71
	v_mul_f32_e32 v80, v87, v133
	v_fma_f32 v82, v133, v87, -v80
	v_fmac_f32_e32 v82, v133, v68
	v_add_f32_e32 v132, v81, v70
	v_add_f32_e32 v70, v80, v82
	v_sub_f32_e32 v81, v71, v70
	v_pk_add_f32 v[84:85], v[70:71], v[80:81] neg_lo:[0,1] neg_hi:[0,1]
	v_mov_b32_e32 v83, v70
	v_pk_add_f32 v[70:71], v[84:85], v[82:83] neg_lo:[0,1] neg_hi:[0,1]
	v_cmp_eq_f32_e32 vcc, s10, v101
	v_add_f32_e32 v71, v132, v71
	v_add_f32_e32 v70, v70, v71
	;; [unrolled: 1-line block ×3, first 2 shown]
	v_mul_f32_e32 v132, v131, v71
	v_mul_f32_e32 v80, v87, v132
	v_fma_f32 v82, v132, v87, -v80
	v_fmac_f32_e32 v82, v132, v68
	v_sub_f32_e32 v68, v81, v71
	v_add_f32_e32 v68, v70, v68
	v_add_f32_e32 v70, v80, v82
	v_sub_f32_e32 v81, v71, v70
	v_pk_add_f32 v[84:85], v[70:71], v[80:81] neg_lo:[0,1] neg_hi:[0,1]
	v_mov_b32_e32 v83, v70
	v_pk_add_f32 v[70:71], v[84:85], v[82:83] neg_lo:[0,1] neg_hi:[0,1]
	v_cvt_f32_i32_e32 v80, v86
	v_add_f32_e32 v68, v68, v71
	v_add_f32_e32 v68, v70, v68
	;; [unrolled: 1-line block ×4, first 2 shown]
	v_sub_f32_e32 v71, v70, v133
	v_mul_f32_e32 v68, v131, v68
	v_sub_f32_e32 v71, v132, v71
	v_add_f32_e32 v68, v71, v68
	v_add_f32_e32 v81, v70, v68
	v_mul_f32_e32 v82, v81, v81
	v_mov_b32_e32 v71, 0x3ecc95a3
	v_fmac_f32_e32 v71, 0x3e9b6dac, v82
	v_sub_f32_e32 v70, v81, v70
	v_fmaak_f32 v71, v82, v71, 0x3f2aaada
	v_sub_f32_e32 v68, v68, v70
	v_ldexp_f32 v83, v81, 1
	v_mul_f32_e32 v81, v81, v82
	v_mov_b32_e32 v70, 0x3f317218
	v_pk_mul_f32 v[70:71], v[80:81], v[70:71]
	v_ldexp_f32 v68, v68, 1
	v_fma_f32 v81, v80, s9, -v70
	v_fmamk_f32 v82, v80, 0xb102e308, v81
	v_pk_add_f32 v[80:81], v[70:71], v[82:83]
	v_mov_b32_e32 v84, v70
	v_sub_f32_e32 v83, v81, v83
	v_sub_f32_e32 v83, v71, v83
	v_add_f32_e32 v85, v68, v83
	v_pk_add_f32 v[70:71], v[80:81], v[70:71] neg_lo:[0,1] neg_hi:[0,1]
	v_pk_add_f32 v[86:87], v[80:81], v[84:85]
	v_mov_b32_e32 v83, v80
	v_mov_b32_e32 v71, v87
	v_pk_add_f32 v[132:133], v[82:83], v[70:71] neg_lo:[0,1] neg_hi:[0,1]
	v_pk_add_f32 v[70:71], v[82:83], v[70:71]
	s_mov_b32 s9, 0x33800000
	v_mov_b32_e32 v68, v71
	v_pk_add_f32 v[82:83], v[68:69], v[80:81] neg_lo:[0,1] neg_hi:[0,1]
	v_mov_b32_e32 v70, v87
	v_mov_b32_e32 v83, v82
	v_pk_add_f32 v[134:135], v[86:87], v[82:83] neg_lo:[0,1] neg_hi:[0,1]
	v_mov_b32_e32 v86, v81
	v_mov_b32_e32 v87, v82
	;; [unrolled: 1-line block ×3, first 2 shown]
	v_pk_add_f32 v[70:71], v[70:71], v[86:87] neg_lo:[0,1] neg_hi:[0,1]
	v_mov_b32_e32 v82, v85
	v_mov_b32_e32 v83, v80
	v_pk_add_f32 v[70:71], v[82:83], v[70:71] neg_lo:[0,1] neg_hi:[0,1]
	v_mov_b32_e32 v134, v132
	v_pk_add_f32 v[80:81], v[134:135], v[70:71]
	v_cmp_lt_f32_e64 s[10:11], |v101|, s9
	v_mov_b32_e32 v82, v81
	v_pk_add_f32 v[82:83], v[80:81], v[82:83]
	s_or_b64 vcc, vcc, s[10:11]
	v_pk_add_f32 v[84:85], v[68:69], v[82:83]
	v_mov_b32_e32 v71, v82
	v_mov_b32_e32 v81, v84
	v_pk_add_f32 v[86:87], v[80:81], v[132:133] neg_lo:[0,1] neg_hi:[0,1]
	s_nop 0
	v_sub_f32_e32 v68, v80, v86
	v_pk_add_f32 v[70:71], v[70:71], v[86:87] neg_lo:[0,1] neg_hi:[0,1]
	v_sub_f32_e32 v68, v132, v68
	v_add_f32_e32 v68, v70, v68
	v_add_f32_e32 v68, v68, v71
	;; [unrolled: 1-line block ×3, first 2 shown]
	v_cndmask_b32_e32 v68, v68, v101, vcc
	v_add_f32_e32 v68, v69, v68
.LBB161_244:
	s_or_b64 exec, exec, s[6:7]
	v_max_f32_e32 v69, v68, v68
	v_min_f32_e32 v70, v69, v112
	v_cmp_u_f32_e32 vcc, v68, v68
	v_max_f32_e32 v69, v69, v112
	s_nop 0
	v_cndmask_b32_e32 v70, v70, v68, vcc
	v_cndmask_b32_e32 v69, v69, v68, vcc
	v_cndmask_b32_e64 v71, v70, v29, s[30:31]
	v_cndmask_b32_e64 v70, v69, v29, s[30:31]
	v_cmp_neq_f32_e32 vcc, v71, v70
	v_cmp_class_f32_e64 s[6:7], v71, s8
	s_or_b64 s[8:9], vcc, s[6:7]
	v_mov_b32_e32 v69, v68
	s_and_saveexec_b64 s[6:7], s[8:9]
	s_cbranch_execz .LBB161_246
; %bb.245:
	v_sub_f32_e32 v69, v71, v70
	s_mov_b32 s8, 0x3fb8aa3b
	v_mul_f32_e32 v71, 0x3fb8aa3b, v69
	v_fma_f32 v80, v69, s8, -v71
	v_rndne_f32_e32 v81, v71
	v_fmamk_f32 v80, v69, 0x32a5705f, v80
	v_sub_f32_e32 v71, v71, v81
	v_add_f32_e32 v71, v71, v80
	v_exp_f32_e32 v71, v71
	v_cvt_i32_f32_e32 v80, v81
	s_mov_b32 s8, 0xc2ce8ed0
	v_cmp_ngt_f32_e32 vcc, s8, v69
	s_mov_b32 s8, 0x42b17218
	v_ldexp_f32 v71, v71, v80
	v_cndmask_b32_e32 v71, 0, v71, vcc
	v_mov_b32_e32 v80, 0x7f800000
	v_cmp_nlt_f32_e32 vcc, s8, v69
	s_mov_b32 s8, 0x3f2aaaab
	s_mov_b32 s9, 0x7f800000
	v_cndmask_b32_e32 v71, v80, v71, vcc
	v_add_f32_e32 v69, 1.0, v71
	v_add_f32_e32 v80, -1.0, v69
	v_sub_f32_e32 v81, v80, v69
	v_add_f32_e32 v81, 1.0, v81
	v_sub_f32_e32 v80, v71, v80
	v_add_f32_e32 v82, v80, v81
	v_frexp_mant_f32_e32 v83, v69
	v_cvt_f64_f32_e32 v[80:81], v69
	v_frexp_exp_i32_f64_e32 v80, v[80:81]
	v_cmp_gt_f32_e32 vcc, s8, v83
	s_mov_b32 s8, 0x3f317218
	s_nop 0
	v_subbrev_co_u32_e32 v101, vcc, 0, v80, vcc
	v_sub_u32_e32 v80, 0, v101
	v_ldexp_f32 v69, v69, v80
	v_ldexp_f32 v80, v82, v80
	v_add_f32_e32 v82, -1.0, v69
	v_add_f32_e32 v81, 1.0, v82
	v_sub_f32_e32 v81, v69, v81
	v_add_f32_e32 v83, v80, v81
	v_add_f32_e32 v81, 1.0, v69
	v_add_f32_e32 v84, -1.0, v81
	v_sub_f32_e32 v69, v69, v84
	v_add_f32_e32 v69, v80, v69
	v_add_f32_e32 v112, v81, v69
	v_rcp_f32_e32 v131, v112
	v_sub_f32_e32 v80, v81, v112
	v_add_f32_e32 v81, v82, v83
	v_add_f32_e32 v69, v69, v80
	v_mul_f32_e32 v133, v81, v131
	v_sub_f32_e32 v80, v82, v81
	v_mul_f32_e32 v82, v112, v133
	v_fma_f32 v84, v133, v112, -v82
	v_fmac_f32_e32 v84, v133, v69
	v_add_f32_e32 v132, v83, v80
	v_add_f32_e32 v80, v82, v84
	v_sub_f32_e32 v83, v81, v80
	v_pk_add_f32 v[86:87], v[80:81], v[82:83] neg_lo:[0,1] neg_hi:[0,1]
	v_mov_b32_e32 v85, v80
	v_pk_add_f32 v[80:81], v[86:87], v[84:85] neg_lo:[0,1] neg_hi:[0,1]
	v_cmp_eq_f32_e32 vcc, s9, v71
	v_add_f32_e32 v81, v132, v81
	v_add_f32_e32 v80, v80, v81
	;; [unrolled: 1-line block ×3, first 2 shown]
	v_mul_f32_e32 v132, v131, v81
	v_mul_f32_e32 v82, v112, v132
	v_fma_f32 v84, v132, v112, -v82
	v_fmac_f32_e32 v84, v132, v69
	v_sub_f32_e32 v69, v83, v81
	v_add_f32_e32 v69, v80, v69
	v_add_f32_e32 v80, v82, v84
	v_sub_f32_e32 v83, v81, v80
	v_pk_add_f32 v[86:87], v[80:81], v[82:83] neg_lo:[0,1] neg_hi:[0,1]
	v_mov_b32_e32 v85, v80
	v_pk_add_f32 v[80:81], v[86:87], v[84:85] neg_lo:[0,1] neg_hi:[0,1]
	v_cvt_f32_i32_e32 v82, v101
	v_add_f32_e32 v69, v69, v81
	v_add_f32_e32 v69, v80, v69
	;; [unrolled: 1-line block ×4, first 2 shown]
	v_sub_f32_e32 v81, v80, v133
	v_mul_f32_e32 v69, v131, v69
	v_sub_f32_e32 v81, v132, v81
	v_add_f32_e32 v69, v81, v69
	v_add_f32_e32 v83, v80, v69
	v_mul_f32_e32 v84, v83, v83
	v_mov_b32_e32 v81, 0x3ecc95a3
	v_fmac_f32_e32 v81, 0x3e9b6dac, v84
	v_sub_f32_e32 v80, v83, v80
	v_fmaak_f32 v81, v84, v81, 0x3f2aaada
	v_sub_f32_e32 v69, v69, v80
	v_ldexp_f32 v85, v83, 1
	v_mul_f32_e32 v83, v83, v84
	v_mov_b32_e32 v80, 0x3f317218
	v_pk_mul_f32 v[80:81], v[82:83], v[80:81]
	v_ldexp_f32 v69, v69, 1
	v_fma_f32 v83, v82, s8, -v80
	v_fmamk_f32 v84, v82, 0xb102e308, v83
	v_pk_add_f32 v[82:83], v[80:81], v[84:85]
	v_mov_b32_e32 v86, v80
	v_sub_f32_e32 v85, v83, v85
	v_sub_f32_e32 v85, v81, v85
	v_add_f32_e32 v87, v69, v85
	v_pk_add_f32 v[80:81], v[82:83], v[80:81] neg_lo:[0,1] neg_hi:[0,1]
	v_pk_add_f32 v[132:133], v[82:83], v[86:87]
	v_mov_b32_e32 v85, v82
	v_mov_b32_e32 v81, v133
	v_pk_add_f32 v[134:135], v[84:85], v[80:81] neg_lo:[0,1] neg_hi:[0,1]
	v_pk_add_f32 v[80:81], v[84:85], v[80:81]
	v_mov_b32_e32 v86, v87
	v_mov_b32_e32 v84, v81
	v_pk_add_f32 v[144:145], v[84:85], v[82:83] neg_lo:[0,1] neg_hi:[0,1]
	v_mov_b32_e32 v80, v133
	v_mov_b32_e32 v69, v144
	v_pk_add_f32 v[146:147], v[132:133], v[68:69] neg_lo:[0,1] neg_hi:[0,1]
	v_mov_b32_e32 v132, v83
	v_mov_b32_e32 v133, v144
	;; [unrolled: 1-line block ×3, first 2 shown]
	v_pk_add_f32 v[80:81], v[80:81], v[132:133] neg_lo:[0,1] neg_hi:[0,1]
	v_mov_b32_e32 v87, v82
	v_pk_add_f32 v[80:81], v[86:87], v[80:81] neg_lo:[0,1] neg_hi:[0,1]
	v_mov_b32_e32 v146, v134
	v_pk_add_f32 v[82:83], v[146:147], v[80:81]
	s_mov_b32 s8, 0x33800000
	v_mov_b32_e32 v86, v83
	v_pk_add_f32 v[86:87], v[82:83], v[86:87]
	v_cmp_lt_f32_e64 s[8:9], |v71|, s8
	v_pk_add_f32 v[84:85], v[84:85], v[86:87]
	v_mov_b32_e32 v81, v86
	v_mov_b32_e32 v83, v84
	v_pk_add_f32 v[132:133], v[82:83], v[134:135] neg_lo:[0,1] neg_hi:[0,1]
	s_or_b64 vcc, vcc, s[8:9]
	v_sub_f32_e32 v69, v82, v132
	v_pk_add_f32 v[80:81], v[80:81], v[132:133] neg_lo:[0,1] neg_hi:[0,1]
	v_sub_f32_e32 v69, v134, v69
	v_add_f32_e32 v69, v80, v69
	v_add_f32_e32 v69, v69, v81
	v_add_f32_e32 v69, v84, v69
	v_cndmask_b32_e32 v69, v69, v71, vcc
	v_add_f32_e32 v69, v70, v69
.LBB161_246:
	s_or_b64 exec, exec, s[6:7]
	v_max_f32_e32 v70, v69, v69
	v_min_f32_e32 v71, v70, v113
	v_cmp_u_f32_e32 vcc, v69, v69
	v_max_f32_e32 v70, v70, v113
	s_movk_i32 s8, 0x1f8
	v_cndmask_b32_e32 v71, v71, v69, vcc
	v_cndmask_b32_e32 v70, v70, v69, vcc
	v_cndmask_b32_e64 v80, v71, v30, s[34:35]
	v_cndmask_b32_e64 v71, v70, v30, s[34:35]
	v_cmp_neq_f32_e32 vcc, v80, v71
	v_cmp_class_f32_e64 s[6:7], v80, s8
	s_or_b64 s[10:11], vcc, s[6:7]
	v_mov_b32_e32 v70, v69
	s_and_saveexec_b64 s[6:7], s[10:11]
	s_cbranch_execz .LBB161_248
; %bb.247:
	v_sub_f32_e32 v70, v80, v71
	s_mov_b32 s9, 0x3fb8aa3b
	v_mul_f32_e32 v80, 0x3fb8aa3b, v70
	v_fma_f32 v81, v70, s9, -v80
	v_rndne_f32_e32 v82, v80
	v_fmamk_f32 v81, v70, 0x32a5705f, v81
	v_sub_f32_e32 v80, v80, v82
	v_add_f32_e32 v80, v80, v81
	v_exp_f32_e32 v80, v80
	v_cvt_i32_f32_e32 v81, v82
	s_mov_b32 s9, 0xc2ce8ed0
	v_cmp_ngt_f32_e32 vcc, s9, v70
	s_mov_b32 s9, 0x42b17218
	v_ldexp_f32 v80, v80, v81
	v_cndmask_b32_e32 v80, 0, v80, vcc
	v_mov_b32_e32 v81, 0x7f800000
	v_cmp_nlt_f32_e32 vcc, s9, v70
	s_mov_b32 s9, 0x3f2aaaab
	s_mov_b32 s10, 0x7f800000
	v_cndmask_b32_e32 v101, v81, v80, vcc
	v_add_f32_e32 v70, 1.0, v101
	v_add_f32_e32 v80, -1.0, v70
	v_sub_f32_e32 v81, v80, v70
	v_add_f32_e32 v81, 1.0, v81
	v_sub_f32_e32 v80, v101, v80
	v_add_f32_e32 v82, v80, v81
	v_frexp_mant_f32_e32 v83, v70
	v_cvt_f64_f32_e32 v[80:81], v70
	v_frexp_exp_i32_f64_e32 v80, v[80:81]
	v_cmp_gt_f32_e32 vcc, s9, v83
	s_mov_b32 s9, 0x3f317218
	s_nop 0
	v_subbrev_co_u32_e32 v112, vcc, 0, v80, vcc
	v_sub_u32_e32 v80, 0, v112
	v_ldexp_f32 v70, v70, v80
	v_ldexp_f32 v80, v82, v80
	v_add_f32_e32 v82, -1.0, v70
	v_add_f32_e32 v81, 1.0, v82
	v_sub_f32_e32 v81, v70, v81
	v_add_f32_e32 v83, v80, v81
	v_add_f32_e32 v81, 1.0, v70
	v_add_f32_e32 v84, -1.0, v81
	v_sub_f32_e32 v70, v70, v84
	v_add_f32_e32 v70, v80, v70
	v_add_f32_e32 v113, v81, v70
	v_rcp_f32_e32 v131, v113
	v_sub_f32_e32 v80, v81, v113
	v_add_f32_e32 v81, v82, v83
	v_add_f32_e32 v70, v70, v80
	v_mul_f32_e32 v133, v81, v131
	v_sub_f32_e32 v80, v82, v81
	v_mul_f32_e32 v82, v113, v133
	v_fma_f32 v84, v133, v113, -v82
	v_fmac_f32_e32 v84, v133, v70
	v_add_f32_e32 v132, v83, v80
	v_add_f32_e32 v80, v82, v84
	v_sub_f32_e32 v83, v81, v80
	v_pk_add_f32 v[86:87], v[80:81], v[82:83] neg_lo:[0,1] neg_hi:[0,1]
	v_mov_b32_e32 v85, v80
	v_pk_add_f32 v[80:81], v[86:87], v[84:85] neg_lo:[0,1] neg_hi:[0,1]
	v_cmp_eq_f32_e32 vcc, s10, v101
	v_add_f32_e32 v81, v132, v81
	v_add_f32_e32 v80, v80, v81
	;; [unrolled: 1-line block ×3, first 2 shown]
	v_mul_f32_e32 v132, v131, v81
	v_mul_f32_e32 v82, v113, v132
	v_fma_f32 v84, v132, v113, -v82
	v_fmac_f32_e32 v84, v132, v70
	v_sub_f32_e32 v70, v83, v81
	v_add_f32_e32 v70, v80, v70
	v_add_f32_e32 v80, v82, v84
	v_sub_f32_e32 v83, v81, v80
	v_pk_add_f32 v[86:87], v[80:81], v[82:83] neg_lo:[0,1] neg_hi:[0,1]
	v_mov_b32_e32 v85, v80
	v_pk_add_f32 v[80:81], v[86:87], v[84:85] neg_lo:[0,1] neg_hi:[0,1]
	v_cvt_f32_i32_e32 v82, v112
	v_add_f32_e32 v70, v70, v81
	v_add_f32_e32 v70, v80, v70
	;; [unrolled: 1-line block ×4, first 2 shown]
	v_sub_f32_e32 v81, v80, v133
	v_mul_f32_e32 v70, v131, v70
	v_sub_f32_e32 v81, v132, v81
	v_add_f32_e32 v70, v81, v70
	v_add_f32_e32 v83, v80, v70
	v_mul_f32_e32 v84, v83, v83
	v_mov_b32_e32 v81, 0x3ecc95a3
	v_fmac_f32_e32 v81, 0x3e9b6dac, v84
	v_sub_f32_e32 v80, v83, v80
	v_fmaak_f32 v81, v84, v81, 0x3f2aaada
	v_sub_f32_e32 v70, v70, v80
	v_ldexp_f32 v85, v83, 1
	v_mul_f32_e32 v83, v83, v84
	v_mov_b32_e32 v80, 0x3f317218
	v_pk_mul_f32 v[80:81], v[82:83], v[80:81]
	v_ldexp_f32 v70, v70, 1
	v_fma_f32 v83, v82, s9, -v80
	v_fmamk_f32 v84, v82, 0xb102e308, v83
	v_pk_add_f32 v[82:83], v[80:81], v[84:85]
	v_mov_b32_e32 v86, v80
	v_sub_f32_e32 v85, v83, v85
	v_sub_f32_e32 v85, v81, v85
	v_add_f32_e32 v87, v70, v85
	v_pk_add_f32 v[80:81], v[82:83], v[80:81] neg_lo:[0,1] neg_hi:[0,1]
	v_pk_add_f32 v[112:113], v[82:83], v[86:87]
	v_mov_b32_e32 v85, v82
	v_mov_b32_e32 v81, v113
	v_pk_add_f32 v[132:133], v[84:85], v[80:81] neg_lo:[0,1] neg_hi:[0,1]
	v_pk_add_f32 v[80:81], v[84:85], v[80:81]
	s_mov_b32 s9, 0x33800000
	v_mov_b32_e32 v70, v81
	v_pk_add_f32 v[84:85], v[70:71], v[82:83] neg_lo:[0,1] neg_hi:[0,1]
	v_mov_b32_e32 v80, v113
	v_mov_b32_e32 v85, v84
	v_pk_add_f32 v[134:135], v[112:113], v[84:85] neg_lo:[0,1] neg_hi:[0,1]
	v_mov_b32_e32 v112, v83
	v_mov_b32_e32 v113, v84
	;; [unrolled: 1-line block ×3, first 2 shown]
	v_pk_add_f32 v[80:81], v[80:81], v[112:113] neg_lo:[0,1] neg_hi:[0,1]
	v_mov_b32_e32 v84, v87
	v_mov_b32_e32 v85, v82
	v_pk_add_f32 v[80:81], v[84:85], v[80:81] neg_lo:[0,1] neg_hi:[0,1]
	v_mov_b32_e32 v134, v132
	v_pk_add_f32 v[82:83], v[134:135], v[80:81]
	v_cmp_lt_f32_e64 s[10:11], |v101|, s9
	v_mov_b32_e32 v84, v83
	v_pk_add_f32 v[84:85], v[82:83], v[84:85]
	s_or_b64 vcc, vcc, s[10:11]
	v_pk_add_f32 v[86:87], v[70:71], v[84:85]
	v_mov_b32_e32 v81, v84
	v_mov_b32_e32 v83, v86
	v_pk_add_f32 v[112:113], v[82:83], v[132:133] neg_lo:[0,1] neg_hi:[0,1]
	s_nop 0
	v_sub_f32_e32 v70, v82, v112
	v_pk_add_f32 v[80:81], v[80:81], v[112:113] neg_lo:[0,1] neg_hi:[0,1]
	v_sub_f32_e32 v70, v132, v70
	v_add_f32_e32 v70, v80, v70
	v_add_f32_e32 v70, v70, v81
	;; [unrolled: 1-line block ×3, first 2 shown]
	v_cndmask_b32_e32 v70, v70, v101, vcc
	v_add_f32_e32 v70, v71, v70
.LBB161_248:
	s_or_b64 exec, exec, s[6:7]
	v_max_f32_e32 v71, v70, v70
	v_min_f32_e32 v80, v71, v114
	v_cmp_u_f32_e32 vcc, v70, v70
	v_max_f32_e32 v71, v71, v114
	s_nop 0
	v_cndmask_b32_e32 v80, v80, v70, vcc
	v_cndmask_b32_e32 v71, v71, v70, vcc
	v_cndmask_b32_e64 v81, v80, v31, s[36:37]
	v_cndmask_b32_e64 v80, v71, v31, s[36:37]
	v_cmp_neq_f32_e32 vcc, v81, v80
	v_cmp_class_f32_e64 s[6:7], v81, s8
	s_or_b64 s[8:9], vcc, s[6:7]
	v_mov_b32_e32 v71, v70
	s_and_saveexec_b64 s[6:7], s[8:9]
	s_cbranch_execz .LBB161_250
; %bb.249:
	v_sub_f32_e32 v71, v81, v80
	s_mov_b32 s8, 0x3fb8aa3b
	v_mul_f32_e32 v81, 0x3fb8aa3b, v71
	v_fma_f32 v82, v71, s8, -v81
	v_rndne_f32_e32 v83, v81
	v_fmamk_f32 v82, v71, 0x32a5705f, v82
	v_sub_f32_e32 v81, v81, v83
	v_add_f32_e32 v81, v81, v82
	v_exp_f32_e32 v81, v81
	v_cvt_i32_f32_e32 v82, v83
	s_mov_b32 s8, 0xc2ce8ed0
	v_cmp_ngt_f32_e32 vcc, s8, v71
	s_mov_b32 s8, 0x42b17218
	v_ldexp_f32 v81, v81, v82
	v_cndmask_b32_e32 v81, 0, v81, vcc
	v_mov_b32_e32 v82, 0x7f800000
	v_cmp_nlt_f32_e32 vcc, s8, v71
	s_mov_b32 s8, 0x3f2aaaab
	s_mov_b32 s9, 0x7f800000
	v_cndmask_b32_e32 v81, v82, v81, vcc
	v_add_f32_e32 v71, 1.0, v81
	v_add_f32_e32 v82, -1.0, v71
	v_sub_f32_e32 v83, v82, v71
	v_add_f32_e32 v83, 1.0, v83
	v_sub_f32_e32 v82, v81, v82
	v_add_f32_e32 v84, v82, v83
	v_frexp_mant_f32_e32 v85, v71
	v_cvt_f64_f32_e32 v[82:83], v71
	v_frexp_exp_i32_f64_e32 v82, v[82:83]
	v_cmp_gt_f32_e32 vcc, s8, v85
	s_mov_b32 s8, 0x3f317218
	s_nop 0
	v_subbrev_co_u32_e32 v101, vcc, 0, v82, vcc
	v_sub_u32_e32 v82, 0, v101
	v_ldexp_f32 v71, v71, v82
	v_ldexp_f32 v82, v84, v82
	v_add_f32_e32 v84, -1.0, v71
	v_add_f32_e32 v83, 1.0, v84
	v_sub_f32_e32 v83, v71, v83
	v_add_f32_e32 v85, v82, v83
	v_add_f32_e32 v83, 1.0, v71
	v_add_f32_e32 v86, -1.0, v83
	v_sub_f32_e32 v71, v71, v86
	v_add_f32_e32 v71, v82, v71
	v_add_f32_e32 v114, v83, v71
	v_rcp_f32_e32 v131, v114
	v_sub_f32_e32 v82, v83, v114
	v_add_f32_e32 v83, v84, v85
	v_add_f32_e32 v71, v71, v82
	v_mul_f32_e32 v133, v83, v131
	v_sub_f32_e32 v82, v84, v83
	v_mul_f32_e32 v84, v114, v133
	v_fma_f32 v86, v133, v114, -v84
	v_fmac_f32_e32 v86, v133, v71
	v_add_f32_e32 v132, v85, v82
	v_add_f32_e32 v82, v84, v86
	v_sub_f32_e32 v85, v83, v82
	v_pk_add_f32 v[112:113], v[82:83], v[84:85] neg_lo:[0,1] neg_hi:[0,1]
	v_mov_b32_e32 v87, v82
	v_pk_add_f32 v[82:83], v[112:113], v[86:87] neg_lo:[0,1] neg_hi:[0,1]
	v_cmp_eq_f32_e32 vcc, s9, v81
	v_add_f32_e32 v83, v132, v83
	v_add_f32_e32 v82, v82, v83
	;; [unrolled: 1-line block ×3, first 2 shown]
	v_mul_f32_e32 v132, v131, v83
	v_mul_f32_e32 v84, v114, v132
	v_fma_f32 v86, v132, v114, -v84
	v_fmac_f32_e32 v86, v132, v71
	v_sub_f32_e32 v71, v85, v83
	v_add_f32_e32 v71, v82, v71
	v_add_f32_e32 v82, v84, v86
	v_sub_f32_e32 v85, v83, v82
	v_pk_add_f32 v[112:113], v[82:83], v[84:85] neg_lo:[0,1] neg_hi:[0,1]
	v_mov_b32_e32 v87, v82
	v_pk_add_f32 v[82:83], v[112:113], v[86:87] neg_lo:[0,1] neg_hi:[0,1]
	v_cvt_f32_i32_e32 v84, v101
	v_add_f32_e32 v71, v71, v83
	v_add_f32_e32 v71, v82, v71
	v_add_f32_e32 v82, v133, v132
	v_add_f32_e32 v71, v85, v71
	v_sub_f32_e32 v83, v82, v133
	v_mul_f32_e32 v71, v131, v71
	v_sub_f32_e32 v83, v132, v83
	v_add_f32_e32 v71, v83, v71
	v_add_f32_e32 v85, v82, v71
	v_mul_f32_e32 v86, v85, v85
	v_mov_b32_e32 v83, 0x3ecc95a3
	v_fmac_f32_e32 v83, 0x3e9b6dac, v86
	v_sub_f32_e32 v82, v85, v82
	v_fmaak_f32 v83, v86, v83, 0x3f2aaada
	v_sub_f32_e32 v71, v71, v82
	v_ldexp_f32 v87, v85, 1
	v_mul_f32_e32 v85, v85, v86
	v_mov_b32_e32 v82, 0x3f317218
	v_pk_mul_f32 v[82:83], v[84:85], v[82:83]
	v_ldexp_f32 v71, v71, 1
	v_fma_f32 v85, v84, s8, -v82
	v_fmamk_f32 v86, v84, 0xb102e308, v85
	v_pk_add_f32 v[84:85], v[82:83], v[86:87]
	v_mov_b32_e32 v112, v82
	v_sub_f32_e32 v87, v85, v87
	v_sub_f32_e32 v87, v83, v87
	v_add_f32_e32 v113, v71, v87
	v_pk_add_f32 v[82:83], v[84:85], v[82:83] neg_lo:[0,1] neg_hi:[0,1]
	v_pk_add_f32 v[132:133], v[84:85], v[112:113]
	v_mov_b32_e32 v87, v84
	v_mov_b32_e32 v83, v133
	v_pk_add_f32 v[134:135], v[86:87], v[82:83] neg_lo:[0,1] neg_hi:[0,1]
	v_pk_add_f32 v[82:83], v[86:87], v[82:83]
	v_mov_b32_e32 v112, v113
	v_mov_b32_e32 v86, v83
	v_pk_add_f32 v[144:145], v[86:87], v[84:85] neg_lo:[0,1] neg_hi:[0,1]
	v_mov_b32_e32 v82, v133
	v_mov_b32_e32 v71, v144
	v_pk_add_f32 v[146:147], v[132:133], v[70:71] neg_lo:[0,1] neg_hi:[0,1]
	v_mov_b32_e32 v132, v85
	v_mov_b32_e32 v133, v144
	;; [unrolled: 1-line block ×3, first 2 shown]
	v_pk_add_f32 v[82:83], v[82:83], v[132:133] neg_lo:[0,1] neg_hi:[0,1]
	v_mov_b32_e32 v113, v84
	v_pk_add_f32 v[82:83], v[112:113], v[82:83] neg_lo:[0,1] neg_hi:[0,1]
	v_mov_b32_e32 v146, v134
	v_pk_add_f32 v[84:85], v[146:147], v[82:83]
	s_mov_b32 s8, 0x33800000
	v_mov_b32_e32 v112, v85
	v_pk_add_f32 v[112:113], v[84:85], v[112:113]
	v_cmp_lt_f32_e64 s[8:9], |v81|, s8
	v_pk_add_f32 v[86:87], v[86:87], v[112:113]
	v_mov_b32_e32 v83, v112
	v_mov_b32_e32 v85, v86
	v_pk_add_f32 v[132:133], v[84:85], v[134:135] neg_lo:[0,1] neg_hi:[0,1]
	s_or_b64 vcc, vcc, s[8:9]
	v_sub_f32_e32 v71, v84, v132
	v_pk_add_f32 v[82:83], v[82:83], v[132:133] neg_lo:[0,1] neg_hi:[0,1]
	v_sub_f32_e32 v71, v134, v71
	v_add_f32_e32 v71, v82, v71
	v_add_f32_e32 v71, v71, v83
	;; [unrolled: 1-line block ×3, first 2 shown]
	v_cndmask_b32_e32 v71, v71, v81, vcc
	v_add_f32_e32 v71, v80, v71
.LBB161_250:
	s_or_b64 exec, exec, s[6:7]
	v_max_f32_e32 v80, v71, v71
	v_min_f32_e32 v81, v80, v115
	v_cmp_u_f32_e32 vcc, v71, v71
	v_max_f32_e32 v80, v80, v115
	s_movk_i32 s8, 0x1f8
	v_cndmask_b32_e32 v81, v81, v71, vcc
	v_cndmask_b32_e32 v80, v80, v71, vcc
	v_cndmask_b32_e64 v82, v81, v24, s[38:39]
	v_cndmask_b32_e64 v81, v80, v24, s[38:39]
	v_cmp_neq_f32_e32 vcc, v82, v81
	v_cmp_class_f32_e64 s[6:7], v82, s8
	s_or_b64 s[10:11], vcc, s[6:7]
	v_mov_b32_e32 v80, v71
	s_and_saveexec_b64 s[6:7], s[10:11]
	s_cbranch_execz .LBB161_252
; %bb.251:
	v_sub_f32_e32 v80, v82, v81
	s_mov_b32 s9, 0x3fb8aa3b
	v_mul_f32_e32 v82, 0x3fb8aa3b, v80
	v_fma_f32 v83, v80, s9, -v82
	v_rndne_f32_e32 v84, v82
	v_fmamk_f32 v83, v80, 0x32a5705f, v83
	v_sub_f32_e32 v82, v82, v84
	v_add_f32_e32 v82, v82, v83
	v_exp_f32_e32 v82, v82
	v_cvt_i32_f32_e32 v83, v84
	s_mov_b32 s9, 0xc2ce8ed0
	v_cmp_ngt_f32_e32 vcc, s9, v80
	s_mov_b32 s9, 0x42b17218
	v_ldexp_f32 v82, v82, v83
	v_cndmask_b32_e32 v82, 0, v82, vcc
	v_mov_b32_e32 v83, 0x7f800000
	v_cmp_nlt_f32_e32 vcc, s9, v80
	s_mov_b32 s9, 0x3f2aaaab
	s_mov_b32 s10, 0x7f800000
	v_cndmask_b32_e32 v101, v83, v82, vcc
	v_add_f32_e32 v80, 1.0, v101
	v_add_f32_e32 v82, -1.0, v80
	v_sub_f32_e32 v83, v82, v80
	v_add_f32_e32 v83, 1.0, v83
	v_sub_f32_e32 v82, v101, v82
	v_add_f32_e32 v84, v82, v83
	v_frexp_mant_f32_e32 v85, v80
	v_cvt_f64_f32_e32 v[82:83], v80
	v_frexp_exp_i32_f64_e32 v82, v[82:83]
	v_cmp_gt_f32_e32 vcc, s9, v85
	s_mov_b32 s9, 0x3f317218
	s_nop 0
	v_subbrev_co_u32_e32 v114, vcc, 0, v82, vcc
	v_sub_u32_e32 v82, 0, v114
	v_ldexp_f32 v80, v80, v82
	v_ldexp_f32 v82, v84, v82
	v_add_f32_e32 v84, -1.0, v80
	v_add_f32_e32 v83, 1.0, v84
	v_sub_f32_e32 v83, v80, v83
	v_add_f32_e32 v85, v82, v83
	v_add_f32_e32 v83, 1.0, v80
	v_add_f32_e32 v86, -1.0, v83
	v_sub_f32_e32 v80, v80, v86
	v_add_f32_e32 v80, v82, v80
	v_add_f32_e32 v115, v83, v80
	v_rcp_f32_e32 v131, v115
	v_sub_f32_e32 v82, v83, v115
	v_add_f32_e32 v83, v84, v85
	v_add_f32_e32 v80, v80, v82
	v_mul_f32_e32 v133, v83, v131
	v_sub_f32_e32 v82, v84, v83
	v_mul_f32_e32 v84, v115, v133
	v_fma_f32 v86, v133, v115, -v84
	v_fmac_f32_e32 v86, v133, v80
	v_add_f32_e32 v132, v85, v82
	v_add_f32_e32 v82, v84, v86
	v_sub_f32_e32 v85, v83, v82
	v_pk_add_f32 v[112:113], v[82:83], v[84:85] neg_lo:[0,1] neg_hi:[0,1]
	v_mov_b32_e32 v87, v82
	v_pk_add_f32 v[82:83], v[112:113], v[86:87] neg_lo:[0,1] neg_hi:[0,1]
	v_cmp_eq_f32_e32 vcc, s10, v101
	v_add_f32_e32 v83, v132, v83
	v_add_f32_e32 v82, v82, v83
	;; [unrolled: 1-line block ×3, first 2 shown]
	v_mul_f32_e32 v132, v131, v83
	v_mul_f32_e32 v84, v115, v132
	v_fma_f32 v86, v132, v115, -v84
	v_fmac_f32_e32 v86, v132, v80
	v_sub_f32_e32 v80, v85, v83
	v_add_f32_e32 v80, v82, v80
	v_add_f32_e32 v82, v84, v86
	v_sub_f32_e32 v85, v83, v82
	v_pk_add_f32 v[112:113], v[82:83], v[84:85] neg_lo:[0,1] neg_hi:[0,1]
	v_mov_b32_e32 v87, v82
	v_pk_add_f32 v[82:83], v[112:113], v[86:87] neg_lo:[0,1] neg_hi:[0,1]
	v_cvt_f32_i32_e32 v84, v114
	v_add_f32_e32 v80, v80, v83
	v_add_f32_e32 v80, v82, v80
	;; [unrolled: 1-line block ×4, first 2 shown]
	v_sub_f32_e32 v83, v82, v133
	v_mul_f32_e32 v80, v131, v80
	v_sub_f32_e32 v83, v132, v83
	v_add_f32_e32 v80, v83, v80
	v_add_f32_e32 v85, v82, v80
	v_mul_f32_e32 v86, v85, v85
	v_mov_b32_e32 v83, 0x3ecc95a3
	v_fmac_f32_e32 v83, 0x3e9b6dac, v86
	v_sub_f32_e32 v82, v85, v82
	v_fmaak_f32 v83, v86, v83, 0x3f2aaada
	v_sub_f32_e32 v80, v80, v82
	v_ldexp_f32 v87, v85, 1
	v_mul_f32_e32 v85, v85, v86
	v_mov_b32_e32 v82, 0x3f317218
	v_pk_mul_f32 v[82:83], v[84:85], v[82:83]
	v_ldexp_f32 v80, v80, 1
	v_fma_f32 v85, v84, s9, -v82
	v_fmamk_f32 v86, v84, 0xb102e308, v85
	v_pk_add_f32 v[84:85], v[82:83], v[86:87]
	v_mov_b32_e32 v112, v82
	v_sub_f32_e32 v87, v85, v87
	v_sub_f32_e32 v87, v83, v87
	v_add_f32_e32 v113, v80, v87
	v_pk_add_f32 v[82:83], v[84:85], v[82:83] neg_lo:[0,1] neg_hi:[0,1]
	v_pk_add_f32 v[114:115], v[84:85], v[112:113]
	v_mov_b32_e32 v87, v84
	v_mov_b32_e32 v83, v115
	v_pk_add_f32 v[132:133], v[86:87], v[82:83] neg_lo:[0,1] neg_hi:[0,1]
	v_pk_add_f32 v[82:83], v[86:87], v[82:83]
	s_mov_b32 s9, 0x33800000
	v_mov_b32_e32 v80, v83
	v_pk_add_f32 v[86:87], v[80:81], v[84:85] neg_lo:[0,1] neg_hi:[0,1]
	v_mov_b32_e32 v82, v115
	v_mov_b32_e32 v87, v86
	v_pk_add_f32 v[134:135], v[114:115], v[86:87] neg_lo:[0,1] neg_hi:[0,1]
	v_mov_b32_e32 v114, v85
	v_mov_b32_e32 v115, v86
	;; [unrolled: 1-line block ×3, first 2 shown]
	v_pk_add_f32 v[82:83], v[82:83], v[114:115] neg_lo:[0,1] neg_hi:[0,1]
	v_mov_b32_e32 v86, v113
	v_mov_b32_e32 v87, v84
	v_pk_add_f32 v[82:83], v[86:87], v[82:83] neg_lo:[0,1] neg_hi:[0,1]
	v_mov_b32_e32 v134, v132
	v_pk_add_f32 v[84:85], v[134:135], v[82:83]
	v_cmp_lt_f32_e64 s[10:11], |v101|, s9
	v_mov_b32_e32 v86, v85
	v_pk_add_f32 v[86:87], v[84:85], v[86:87]
	s_or_b64 vcc, vcc, s[10:11]
	v_pk_add_f32 v[112:113], v[80:81], v[86:87]
	v_mov_b32_e32 v83, v86
	v_mov_b32_e32 v85, v112
	v_pk_add_f32 v[114:115], v[84:85], v[132:133] neg_lo:[0,1] neg_hi:[0,1]
	s_nop 0
	v_sub_f32_e32 v80, v84, v114
	v_pk_add_f32 v[82:83], v[82:83], v[114:115] neg_lo:[0,1] neg_hi:[0,1]
	v_sub_f32_e32 v80, v132, v80
	v_add_f32_e32 v80, v82, v80
	v_add_f32_e32 v80, v80, v83
	;; [unrolled: 1-line block ×3, first 2 shown]
	v_cndmask_b32_e32 v80, v80, v101, vcc
	v_add_f32_e32 v80, v81, v80
.LBB161_252:
	s_or_b64 exec, exec, s[6:7]
	v_max_f32_e32 v81, v80, v80
	v_min_f32_e32 v82, v81, v116
	v_cmp_u_f32_e32 vcc, v80, v80
	v_max_f32_e32 v81, v81, v116
	s_nop 0
	v_cndmask_b32_e32 v82, v82, v80, vcc
	v_cndmask_b32_e32 v81, v81, v80, vcc
	v_cndmask_b32_e64 v83, v82, v25, s[40:41]
	v_cndmask_b32_e64 v82, v81, v25, s[40:41]
	v_cmp_neq_f32_e32 vcc, v83, v82
	v_cmp_class_f32_e64 s[6:7], v83, s8
	s_or_b64 s[8:9], vcc, s[6:7]
	v_mov_b32_e32 v81, v80
	s_and_saveexec_b64 s[6:7], s[8:9]
	s_cbranch_execz .LBB161_254
; %bb.253:
	v_sub_f32_e32 v81, v83, v82
	s_mov_b32 s8, 0x3fb8aa3b
	v_mul_f32_e32 v83, 0x3fb8aa3b, v81
	v_fma_f32 v84, v81, s8, -v83
	v_rndne_f32_e32 v85, v83
	v_fmamk_f32 v84, v81, 0x32a5705f, v84
	v_sub_f32_e32 v83, v83, v85
	v_add_f32_e32 v83, v83, v84
	v_exp_f32_e32 v83, v83
	v_cvt_i32_f32_e32 v84, v85
	s_mov_b32 s8, 0xc2ce8ed0
	v_cmp_ngt_f32_e32 vcc, s8, v81
	s_mov_b32 s8, 0x42b17218
	v_ldexp_f32 v83, v83, v84
	v_cndmask_b32_e32 v83, 0, v83, vcc
	v_mov_b32_e32 v84, 0x7f800000
	v_cmp_nlt_f32_e32 vcc, s8, v81
	s_mov_b32 s8, 0x3f2aaaab
	s_mov_b32 s9, 0x7f800000
	v_cndmask_b32_e32 v83, v84, v83, vcc
	v_add_f32_e32 v81, 1.0, v83
	v_add_f32_e32 v84, -1.0, v81
	v_sub_f32_e32 v85, v84, v81
	v_add_f32_e32 v85, 1.0, v85
	v_sub_f32_e32 v84, v83, v84
	v_add_f32_e32 v86, v84, v85
	v_frexp_mant_f32_e32 v87, v81
	v_cvt_f64_f32_e32 v[84:85], v81
	v_frexp_exp_i32_f64_e32 v84, v[84:85]
	v_cmp_gt_f32_e32 vcc, s8, v87
	s_mov_b32 s8, 0x3f317218
	s_nop 0
	v_subbrev_co_u32_e32 v101, vcc, 0, v84, vcc
	v_sub_u32_e32 v84, 0, v101
	v_ldexp_f32 v81, v81, v84
	v_ldexp_f32 v84, v86, v84
	v_add_f32_e32 v86, -1.0, v81
	v_add_f32_e32 v85, 1.0, v86
	v_sub_f32_e32 v85, v81, v85
	v_add_f32_e32 v87, v84, v85
	v_add_f32_e32 v85, 1.0, v81
	v_add_f32_e32 v112, -1.0, v85
	v_sub_f32_e32 v81, v81, v112
	v_add_f32_e32 v81, v84, v81
	v_add_f32_e32 v116, v85, v81
	v_rcp_f32_e32 v131, v116
	v_sub_f32_e32 v84, v85, v116
	v_add_f32_e32 v85, v86, v87
	v_add_f32_e32 v81, v81, v84
	v_mul_f32_e32 v133, v85, v131
	v_sub_f32_e32 v84, v86, v85
	v_mul_f32_e32 v86, v116, v133
	v_fma_f32 v112, v133, v116, -v86
	v_fmac_f32_e32 v112, v133, v81
	v_add_f32_e32 v132, v87, v84
	v_add_f32_e32 v84, v86, v112
	v_sub_f32_e32 v87, v85, v84
	v_pk_add_f32 v[114:115], v[84:85], v[86:87] neg_lo:[0,1] neg_hi:[0,1]
	v_mov_b32_e32 v113, v84
	v_pk_add_f32 v[84:85], v[114:115], v[112:113] neg_lo:[0,1] neg_hi:[0,1]
	v_cmp_eq_f32_e32 vcc, s9, v83
	v_add_f32_e32 v85, v132, v85
	v_add_f32_e32 v84, v84, v85
	;; [unrolled: 1-line block ×3, first 2 shown]
	v_mul_f32_e32 v132, v131, v85
	v_mul_f32_e32 v86, v116, v132
	v_fma_f32 v112, v132, v116, -v86
	v_fmac_f32_e32 v112, v132, v81
	v_sub_f32_e32 v81, v87, v85
	v_add_f32_e32 v81, v84, v81
	v_add_f32_e32 v84, v86, v112
	v_sub_f32_e32 v87, v85, v84
	v_pk_add_f32 v[114:115], v[84:85], v[86:87] neg_lo:[0,1] neg_hi:[0,1]
	v_mov_b32_e32 v113, v84
	v_pk_add_f32 v[84:85], v[114:115], v[112:113] neg_lo:[0,1] neg_hi:[0,1]
	v_cvt_f32_i32_e32 v86, v101
	v_add_f32_e32 v81, v81, v85
	v_add_f32_e32 v81, v84, v81
	;; [unrolled: 1-line block ×4, first 2 shown]
	v_sub_f32_e32 v85, v84, v133
	v_mul_f32_e32 v81, v131, v81
	v_sub_f32_e32 v85, v132, v85
	v_add_f32_e32 v81, v85, v81
	v_add_f32_e32 v87, v84, v81
	v_mul_f32_e32 v112, v87, v87
	v_mov_b32_e32 v85, 0x3ecc95a3
	v_fmac_f32_e32 v85, 0x3e9b6dac, v112
	v_sub_f32_e32 v84, v87, v84
	v_fmaak_f32 v85, v112, v85, 0x3f2aaada
	v_sub_f32_e32 v81, v81, v84
	v_ldexp_f32 v113, v87, 1
	v_mul_f32_e32 v87, v87, v112
	v_mov_b32_e32 v84, 0x3f317218
	v_pk_mul_f32 v[84:85], v[86:87], v[84:85]
	v_ldexp_f32 v81, v81, 1
	v_fma_f32 v87, v86, s8, -v84
	v_fmamk_f32 v112, v86, 0xb102e308, v87
	v_pk_add_f32 v[86:87], v[84:85], v[112:113]
	v_mov_b32_e32 v114, v84
	v_sub_f32_e32 v101, v87, v113
	v_sub_f32_e32 v101, v85, v101
	v_add_f32_e32 v115, v81, v101
	v_pk_add_f32 v[84:85], v[86:87], v[84:85] neg_lo:[0,1] neg_hi:[0,1]
	v_pk_add_f32 v[132:133], v[86:87], v[114:115]
	v_mov_b32_e32 v113, v86
	v_mov_b32_e32 v85, v133
	v_pk_add_f32 v[134:135], v[112:113], v[84:85] neg_lo:[0,1] neg_hi:[0,1]
	v_pk_add_f32 v[84:85], v[112:113], v[84:85]
	v_mov_b32_e32 v114, v115
	v_mov_b32_e32 v112, v85
	v_pk_add_f32 v[144:145], v[112:113], v[86:87] neg_lo:[0,1] neg_hi:[0,1]
	v_mov_b32_e32 v84, v133
	v_mov_b32_e32 v81, v144
	v_pk_add_f32 v[146:147], v[132:133], v[80:81] neg_lo:[0,1] neg_hi:[0,1]
	v_mov_b32_e32 v132, v87
	v_mov_b32_e32 v133, v144
	;; [unrolled: 1-line block ×3, first 2 shown]
	v_pk_add_f32 v[84:85], v[84:85], v[132:133] neg_lo:[0,1] neg_hi:[0,1]
	v_mov_b32_e32 v115, v86
	v_pk_add_f32 v[84:85], v[114:115], v[84:85] neg_lo:[0,1] neg_hi:[0,1]
	v_mov_b32_e32 v146, v134
	v_pk_add_f32 v[86:87], v[146:147], v[84:85]
	s_mov_b32 s8, 0x33800000
	v_mov_b32_e32 v114, v87
	v_pk_add_f32 v[114:115], v[86:87], v[114:115]
	v_cmp_lt_f32_e64 s[8:9], |v83|, s8
	v_pk_add_f32 v[112:113], v[112:113], v[114:115]
	v_mov_b32_e32 v85, v114
	v_mov_b32_e32 v87, v112
	v_pk_add_f32 v[132:133], v[86:87], v[134:135] neg_lo:[0,1] neg_hi:[0,1]
	s_or_b64 vcc, vcc, s[8:9]
	v_sub_f32_e32 v81, v86, v132
	v_pk_add_f32 v[84:85], v[84:85], v[132:133] neg_lo:[0,1] neg_hi:[0,1]
	v_sub_f32_e32 v81, v134, v81
	v_add_f32_e32 v81, v84, v81
	v_add_f32_e32 v81, v81, v85
	v_add_f32_e32 v81, v112, v81
	v_cndmask_b32_e32 v81, v81, v83, vcc
	v_add_f32_e32 v81, v82, v81
.LBB161_254:
	s_or_b64 exec, exec, s[6:7]
	v_max_f32_e32 v82, v81, v81
	v_min_f32_e32 v83, v82, v117
	v_cmp_u_f32_e32 vcc, v81, v81
	v_max_f32_e32 v82, v82, v117
	s_movk_i32 s8, 0x1f8
	v_cndmask_b32_e32 v83, v83, v81, vcc
	v_cndmask_b32_e32 v82, v82, v81, vcc
	v_cndmask_b32_e64 v84, v83, v26, s[42:43]
	v_cndmask_b32_e64 v83, v82, v26, s[42:43]
	v_cmp_neq_f32_e32 vcc, v84, v83
	v_cmp_class_f32_e64 s[6:7], v84, s8
	s_or_b64 s[10:11], vcc, s[6:7]
	v_mov_b32_e32 v82, v81
	s_and_saveexec_b64 s[6:7], s[10:11]
	s_cbranch_execz .LBB161_256
; %bb.255:
	v_sub_f32_e32 v82, v84, v83
	s_mov_b32 s9, 0x3fb8aa3b
	v_mul_f32_e32 v84, 0x3fb8aa3b, v82
	v_fma_f32 v85, v82, s9, -v84
	v_rndne_f32_e32 v86, v84
	v_fmamk_f32 v85, v82, 0x32a5705f, v85
	v_sub_f32_e32 v84, v84, v86
	v_add_f32_e32 v84, v84, v85
	v_exp_f32_e32 v84, v84
	v_cvt_i32_f32_e32 v85, v86
	s_mov_b32 s9, 0xc2ce8ed0
	v_cmp_ngt_f32_e32 vcc, s9, v82
	s_mov_b32 s9, 0x42b17218
	v_ldexp_f32 v84, v84, v85
	v_cndmask_b32_e32 v84, 0, v84, vcc
	v_mov_b32_e32 v85, 0x7f800000
	v_cmp_nlt_f32_e32 vcc, s9, v82
	s_mov_b32 s9, 0x3f2aaaab
	s_mov_b32 s10, 0x7f800000
	v_cndmask_b32_e32 v131, v85, v84, vcc
	v_add_f32_e32 v82, 1.0, v131
	v_add_f32_e32 v84, -1.0, v82
	v_sub_f32_e32 v85, v84, v82
	v_add_f32_e32 v85, 1.0, v85
	v_sub_f32_e32 v84, v131, v84
	v_add_f32_e32 v86, v84, v85
	v_frexp_mant_f32_e32 v87, v82
	v_cvt_f64_f32_e32 v[84:85], v82
	v_frexp_exp_i32_f64_e32 v84, v[84:85]
	v_cmp_gt_f32_e32 vcc, s9, v87
	s_mov_b32 s9, 0x3f317218
	s_nop 0
	v_subbrev_co_u32_e32 v101, vcc, 0, v84, vcc
	v_sub_u32_e32 v84, 0, v101
	v_ldexp_f32 v82, v82, v84
	v_ldexp_f32 v84, v86, v84
	v_add_f32_e32 v86, -1.0, v82
	v_add_f32_e32 v85, 1.0, v86
	v_sub_f32_e32 v85, v82, v85
	v_add_f32_e32 v87, v84, v85
	v_add_f32_e32 v85, 1.0, v82
	v_add_f32_e32 v112, -1.0, v85
	v_sub_f32_e32 v82, v82, v112
	v_add_f32_e32 v82, v84, v82
	v_add_f32_e32 v116, v85, v82
	v_rcp_f32_e32 v117, v116
	v_sub_f32_e32 v84, v85, v116
	v_add_f32_e32 v85, v86, v87
	v_add_f32_e32 v82, v82, v84
	v_mul_f32_e32 v133, v85, v117
	v_sub_f32_e32 v84, v86, v85
	v_mul_f32_e32 v86, v116, v133
	v_fma_f32 v112, v133, v116, -v86
	v_fmac_f32_e32 v112, v133, v82
	v_add_f32_e32 v132, v87, v84
	v_add_f32_e32 v84, v86, v112
	v_sub_f32_e32 v87, v85, v84
	v_pk_add_f32 v[114:115], v[84:85], v[86:87] neg_lo:[0,1] neg_hi:[0,1]
	v_mov_b32_e32 v113, v84
	v_pk_add_f32 v[84:85], v[114:115], v[112:113] neg_lo:[0,1] neg_hi:[0,1]
	v_cmp_eq_f32_e32 vcc, s10, v131
	v_add_f32_e32 v85, v132, v85
	v_add_f32_e32 v84, v84, v85
	;; [unrolled: 1-line block ×3, first 2 shown]
	v_mul_f32_e32 v132, v117, v85
	v_mul_f32_e32 v86, v116, v132
	v_fma_f32 v112, v132, v116, -v86
	v_fmac_f32_e32 v112, v132, v82
	v_sub_f32_e32 v82, v87, v85
	v_add_f32_e32 v82, v84, v82
	v_add_f32_e32 v84, v86, v112
	v_sub_f32_e32 v87, v85, v84
	v_pk_add_f32 v[114:115], v[84:85], v[86:87] neg_lo:[0,1] neg_hi:[0,1]
	v_mov_b32_e32 v113, v84
	v_pk_add_f32 v[84:85], v[114:115], v[112:113] neg_lo:[0,1] neg_hi:[0,1]
	v_cvt_f32_i32_e32 v86, v101
	v_add_f32_e32 v82, v82, v85
	v_add_f32_e32 v82, v84, v82
	;; [unrolled: 1-line block ×4, first 2 shown]
	v_sub_f32_e32 v85, v84, v133
	v_mul_f32_e32 v82, v117, v82
	v_sub_f32_e32 v85, v132, v85
	v_add_f32_e32 v82, v85, v82
	v_add_f32_e32 v87, v84, v82
	v_mul_f32_e32 v112, v87, v87
	v_mov_b32_e32 v85, 0x3ecc95a3
	v_fmac_f32_e32 v85, 0x3e9b6dac, v112
	v_sub_f32_e32 v84, v87, v84
	v_fmaak_f32 v85, v112, v85, 0x3f2aaada
	v_sub_f32_e32 v82, v82, v84
	v_ldexp_f32 v113, v87, 1
	v_mul_f32_e32 v87, v87, v112
	v_mov_b32_e32 v84, 0x3f317218
	v_pk_mul_f32 v[84:85], v[86:87], v[84:85]
	v_ldexp_f32 v82, v82, 1
	v_fma_f32 v87, v86, s9, -v84
	v_fmamk_f32 v112, v86, 0xb102e308, v87
	v_pk_add_f32 v[86:87], v[84:85], v[112:113]
	v_mov_b32_e32 v114, v84
	v_sub_f32_e32 v101, v87, v113
	v_sub_f32_e32 v101, v85, v101
	v_add_f32_e32 v115, v82, v101
	v_pk_add_f32 v[84:85], v[86:87], v[84:85] neg_lo:[0,1] neg_hi:[0,1]
	v_pk_add_f32 v[116:117], v[86:87], v[114:115]
	v_mov_b32_e32 v113, v86
	v_mov_b32_e32 v85, v117
	v_pk_add_f32 v[132:133], v[112:113], v[84:85] neg_lo:[0,1] neg_hi:[0,1]
	v_pk_add_f32 v[84:85], v[112:113], v[84:85]
	s_mov_b32 s9, 0x33800000
	v_mov_b32_e32 v82, v85
	v_pk_add_f32 v[112:113], v[82:83], v[86:87] neg_lo:[0,1] neg_hi:[0,1]
	v_mov_b32_e32 v84, v117
	v_mov_b32_e32 v101, v112
	v_pk_add_f32 v[134:135], v[116:117], v[100:101] neg_lo:[0,1] neg_hi:[0,1]
	v_mov_b32_e32 v116, v87
	v_mov_b32_e32 v117, v112
	;; [unrolled: 1-line block ×3, first 2 shown]
	v_pk_add_f32 v[84:85], v[84:85], v[116:117] neg_lo:[0,1] neg_hi:[0,1]
	v_mov_b32_e32 v112, v115
	v_mov_b32_e32 v113, v86
	v_pk_add_f32 v[84:85], v[112:113], v[84:85] neg_lo:[0,1] neg_hi:[0,1]
	v_mov_b32_e32 v134, v132
	v_pk_add_f32 v[86:87], v[134:135], v[84:85]
	v_cmp_lt_f32_e64 s[10:11], |v131|, s9
	v_mov_b32_e32 v112, v87
	v_pk_add_f32 v[112:113], v[86:87], v[112:113]
	s_or_b64 vcc, vcc, s[10:11]
	v_pk_add_f32 v[114:115], v[82:83], v[112:113]
	v_mov_b32_e32 v85, v112
	v_mov_b32_e32 v87, v114
	v_pk_add_f32 v[116:117], v[86:87], v[132:133] neg_lo:[0,1] neg_hi:[0,1]
	s_nop 0
	v_sub_f32_e32 v82, v86, v116
	v_pk_add_f32 v[84:85], v[84:85], v[116:117] neg_lo:[0,1] neg_hi:[0,1]
	v_sub_f32_e32 v82, v132, v82
	v_add_f32_e32 v82, v84, v82
	v_add_f32_e32 v82, v82, v85
	;; [unrolled: 1-line block ×3, first 2 shown]
	v_cndmask_b32_e32 v82, v82, v131, vcc
	v_add_f32_e32 v82, v83, v82
.LBB161_256:
	s_or_b64 exec, exec, s[6:7]
	v_max_f32_e32 v83, v82, v82
	v_min_f32_e32 v84, v83, v118
	v_cmp_u_f32_e32 vcc, v82, v82
	v_max_f32_e32 v83, v83, v118
	s_nop 0
	v_cndmask_b32_e32 v84, v84, v82, vcc
	v_cndmask_b32_e32 v83, v83, v82, vcc
	v_cndmask_b32_e64 v85, v84, v27, s[44:45]
	v_cndmask_b32_e64 v84, v83, v27, s[44:45]
	v_cmp_neq_f32_e32 vcc, v85, v84
	v_cmp_class_f32_e64 s[6:7], v85, s8
	s_or_b64 s[8:9], vcc, s[6:7]
	v_mov_b32_e32 v83, v82
	s_and_saveexec_b64 s[6:7], s[8:9]
	s_cbranch_execz .LBB161_258
; %bb.257:
	v_sub_f32_e32 v83, v85, v84
	s_mov_b32 s8, 0x3fb8aa3b
	v_mul_f32_e32 v85, 0x3fb8aa3b, v83
	v_fma_f32 v86, v83, s8, -v85
	v_rndne_f32_e32 v87, v85
	v_fmamk_f32 v86, v83, 0x32a5705f, v86
	v_sub_f32_e32 v85, v85, v87
	v_add_f32_e32 v85, v85, v86
	v_exp_f32_e32 v85, v85
	v_cvt_i32_f32_e32 v86, v87
	s_mov_b32 s8, 0xc2ce8ed0
	v_cmp_ngt_f32_e32 vcc, s8, v83
	s_mov_b32 s8, 0x42b17218
	v_ldexp_f32 v85, v85, v86
	v_cndmask_b32_e32 v85, 0, v85, vcc
	v_mov_b32_e32 v86, 0x7f800000
	v_cmp_nlt_f32_e32 vcc, s8, v83
	s_mov_b32 s8, 0x3f2aaaab
	s_mov_b32 s9, 0x7f800000
	v_cndmask_b32_e32 v85, v86, v85, vcc
	v_add_f32_e32 v83, 1.0, v85
	v_add_f32_e32 v86, -1.0, v83
	v_sub_f32_e32 v87, v86, v83
	v_add_f32_e32 v87, 1.0, v87
	v_sub_f32_e32 v86, v85, v86
	v_add_f32_e32 v101, v86, v87
	v_frexp_mant_f32_e32 v112, v83
	v_cvt_f64_f32_e32 v[86:87], v83
	v_frexp_exp_i32_f64_e32 v86, v[86:87]
	v_cmp_gt_f32_e32 vcc, s8, v112
	s_mov_b32 s8, 0x3f317218
	s_nop 0
	v_subbrev_co_u32_e32 v118, vcc, 0, v86, vcc
	v_sub_u32_e32 v86, 0, v118
	v_ldexp_f32 v83, v83, v86
	v_ldexp_f32 v86, v101, v86
	v_add_f32_e32 v101, -1.0, v83
	v_add_f32_e32 v87, 1.0, v101
	v_sub_f32_e32 v87, v83, v87
	v_add_f32_e32 v112, v86, v87
	v_add_f32_e32 v87, 1.0, v83
	v_add_f32_e32 v113, -1.0, v87
	v_sub_f32_e32 v83, v83, v113
	v_add_f32_e32 v83, v86, v83
	v_add_f32_e32 v131, v87, v83
	v_rcp_f32_e32 v132, v131
	v_sub_f32_e32 v86, v87, v131
	v_add_f32_e32 v87, v101, v112
	v_add_f32_e32 v83, v83, v86
	v_sub_f32_e32 v86, v101, v87
	v_mul_f32_e32 v133, v87, v132
	v_add_f32_e32 v101, v112, v86
	v_mul_f32_e32 v112, v131, v133
	v_fma_f32 v114, v133, v131, -v112
	v_fmac_f32_e32 v114, v133, v83
	v_add_f32_e32 v86, v112, v114
	v_sub_f32_e32 v113, v87, v86
	v_pk_add_f32 v[116:117], v[86:87], v[112:113] neg_lo:[0,1] neg_hi:[0,1]
	v_mov_b32_e32 v115, v86
	v_pk_add_f32 v[86:87], v[116:117], v[114:115] neg_lo:[0,1] neg_hi:[0,1]
	v_cmp_eq_f32_e32 vcc, s9, v85
	v_add_f32_e32 v87, v101, v87
	v_add_f32_e32 v86, v86, v87
	v_add_f32_e32 v87, v113, v86
	v_mul_f32_e32 v101, v132, v87
	v_mul_f32_e32 v112, v131, v101
	v_fma_f32 v114, v101, v131, -v112
	v_fmac_f32_e32 v114, v101, v83
	v_sub_f32_e32 v83, v113, v87
	v_add_f32_e32 v83, v86, v83
	v_add_f32_e32 v86, v112, v114
	v_sub_f32_e32 v113, v87, v86
	v_pk_add_f32 v[116:117], v[86:87], v[112:113] neg_lo:[0,1] neg_hi:[0,1]
	v_mov_b32_e32 v115, v86
	v_pk_add_f32 v[86:87], v[116:117], v[114:115] neg_lo:[0,1] neg_hi:[0,1]
	v_cvt_f32_i32_e32 v112, v118
	v_add_f32_e32 v83, v83, v87
	v_add_f32_e32 v83, v86, v83
	;; [unrolled: 1-line block ×4, first 2 shown]
	v_sub_f32_e32 v87, v86, v133
	v_mul_f32_e32 v83, v132, v83
	v_sub_f32_e32 v87, v101, v87
	v_add_f32_e32 v83, v87, v83
	v_add_f32_e32 v101, v86, v83
	v_mul_f32_e32 v113, v101, v101
	v_mov_b32_e32 v87, 0x3ecc95a3
	v_fmac_f32_e32 v87, 0x3e9b6dac, v113
	v_sub_f32_e32 v86, v101, v86
	v_fmaak_f32 v87, v113, v87, 0x3f2aaada
	v_sub_f32_e32 v83, v83, v86
	v_mul_f32_e32 v113, v101, v113
	v_mov_b32_e32 v86, 0x3f317218
	v_pk_mul_f32 v[86:87], v[112:113], v[86:87]
	v_ldexp_f32 v115, v101, 1
	v_fma_f32 v101, v112, s8, -v86
	v_fmamk_f32 v114, v112, 0xb102e308, v101
	v_pk_add_f32 v[112:113], v[86:87], v[114:115]
	v_ldexp_f32 v83, v83, 1
	v_sub_f32_e32 v101, v113, v115
	v_sub_f32_e32 v101, v87, v101
	v_add_f32_e32 v117, v83, v101
	v_mov_b32_e32 v116, v86
	v_pk_add_f32 v[86:87], v[112:113], v[86:87] neg_lo:[0,1] neg_hi:[0,1]
	v_pk_add_f32 v[132:133], v[112:113], v[116:117]
	v_mov_b32_e32 v115, v112
	v_mov_b32_e32 v87, v133
	v_pk_add_f32 v[134:135], v[114:115], v[86:87] neg_lo:[0,1] neg_hi:[0,1]
	v_pk_add_f32 v[86:87], v[114:115], v[86:87]
	v_mov_b32_e32 v116, v117
	v_mov_b32_e32 v114, v87
	v_pk_add_f32 v[144:145], v[114:115], v[112:113] neg_lo:[0,1] neg_hi:[0,1]
	v_mov_b32_e32 v86, v133
	v_mov_b32_e32 v83, v144
	v_pk_add_f32 v[146:147], v[132:133], v[82:83] neg_lo:[0,1] neg_hi:[0,1]
	v_mov_b32_e32 v132, v113
	v_mov_b32_e32 v133, v144
	;; [unrolled: 1-line block ×3, first 2 shown]
	v_pk_add_f32 v[86:87], v[86:87], v[132:133] neg_lo:[0,1] neg_hi:[0,1]
	v_mov_b32_e32 v117, v112
	v_pk_add_f32 v[86:87], v[116:117], v[86:87] neg_lo:[0,1] neg_hi:[0,1]
	v_mov_b32_e32 v146, v134
	v_pk_add_f32 v[112:113], v[146:147], v[86:87]
	s_mov_b32 s8, 0x33800000
	v_mov_b32_e32 v116, v113
	v_pk_add_f32 v[116:117], v[112:113], v[116:117]
	v_cmp_lt_f32_e64 s[8:9], |v85|, s8
	v_pk_add_f32 v[114:115], v[114:115], v[116:117]
	v_mov_b32_e32 v87, v116
	v_mov_b32_e32 v113, v114
	v_pk_add_f32 v[132:133], v[112:113], v[134:135] neg_lo:[0,1] neg_hi:[0,1]
	s_or_b64 vcc, vcc, s[8:9]
	v_sub_f32_e32 v83, v112, v132
	v_pk_add_f32 v[86:87], v[86:87], v[132:133] neg_lo:[0,1] neg_hi:[0,1]
	v_sub_f32_e32 v83, v134, v83
	v_add_f32_e32 v83, v86, v83
	v_add_f32_e32 v83, v83, v87
	;; [unrolled: 1-line block ×3, first 2 shown]
	v_cndmask_b32_e32 v83, v83, v85, vcc
	v_add_f32_e32 v83, v84, v83
.LBB161_258:
	s_or_b64 exec, exec, s[6:7]
	v_max_f32_e32 v84, v83, v83
	v_min_f32_e32 v85, v84, v119
	v_cmp_u_f32_e32 vcc, v83, v83
	v_max_f32_e32 v84, v84, v119
	s_movk_i32 s8, 0x1f8
	v_cndmask_b32_e32 v85, v85, v83, vcc
	v_cndmask_b32_e32 v84, v84, v83, vcc
	v_cndmask_b32_e64 v86, v85, v20, s[46:47]
	v_cndmask_b32_e64 v85, v84, v20, s[46:47]
	v_cmp_neq_f32_e32 vcc, v86, v85
	v_cmp_class_f32_e64 s[6:7], v86, s8
	s_or_b64 s[10:11], vcc, s[6:7]
	v_mov_b32_e32 v84, v83
	s_and_saveexec_b64 s[6:7], s[10:11]
	s_cbranch_execz .LBB161_260
; %bb.259:
	v_sub_f32_e32 v84, v86, v85
	s_mov_b32 s9, 0x3fb8aa3b
	v_mul_f32_e32 v86, 0x3fb8aa3b, v84
	v_fma_f32 v87, v84, s9, -v86
	v_rndne_f32_e32 v101, v86
	v_fmamk_f32 v87, v84, 0x32a5705f, v87
	v_sub_f32_e32 v86, v86, v101
	v_add_f32_e32 v86, v86, v87
	v_exp_f32_e32 v86, v86
	v_cvt_i32_f32_e32 v87, v101
	s_mov_b32 s9, 0xc2ce8ed0
	v_cmp_ngt_f32_e32 vcc, s9, v84
	s_mov_b32 s9, 0x42b17218
	v_ldexp_f32 v86, v86, v87
	v_cndmask_b32_e32 v86, 0, v86, vcc
	v_mov_b32_e32 v87, 0x7f800000
	v_cmp_nlt_f32_e32 vcc, s9, v84
	s_mov_b32 s9, 0x3f2aaaab
	s_mov_b32 s10, 0x7f800000
	v_cndmask_b32_e32 v131, v87, v86, vcc
	v_add_f32_e32 v84, 1.0, v131
	v_add_f32_e32 v86, -1.0, v84
	v_sub_f32_e32 v87, v86, v84
	v_add_f32_e32 v87, 1.0, v87
	v_sub_f32_e32 v86, v131, v86
	v_add_f32_e32 v101, v86, v87
	v_frexp_mant_f32_e32 v112, v84
	v_cvt_f64_f32_e32 v[86:87], v84
	v_frexp_exp_i32_f64_e32 v86, v[86:87]
	v_cmp_gt_f32_e32 vcc, s9, v112
	s_mov_b32 s9, 0x3f317218
	s_nop 0
	v_subbrev_co_u32_e32 v118, vcc, 0, v86, vcc
	v_sub_u32_e32 v86, 0, v118
	v_ldexp_f32 v84, v84, v86
	v_ldexp_f32 v86, v101, v86
	v_add_f32_e32 v101, -1.0, v84
	v_add_f32_e32 v87, 1.0, v101
	v_sub_f32_e32 v87, v84, v87
	v_add_f32_e32 v112, v86, v87
	v_add_f32_e32 v87, 1.0, v84
	v_add_f32_e32 v113, -1.0, v87
	v_sub_f32_e32 v84, v84, v113
	v_add_f32_e32 v84, v86, v84
	v_add_f32_e32 v119, v87, v84
	v_rcp_f32_e32 v132, v119
	v_sub_f32_e32 v86, v87, v119
	v_add_f32_e32 v87, v101, v112
	v_add_f32_e32 v84, v84, v86
	v_sub_f32_e32 v86, v101, v87
	v_mul_f32_e32 v133, v87, v132
	v_add_f32_e32 v101, v112, v86
	v_mul_f32_e32 v112, v119, v133
	v_fma_f32 v114, v133, v119, -v112
	v_fmac_f32_e32 v114, v133, v84
	v_add_f32_e32 v86, v112, v114
	v_sub_f32_e32 v113, v87, v86
	v_pk_add_f32 v[116:117], v[86:87], v[112:113] neg_lo:[0,1] neg_hi:[0,1]
	v_mov_b32_e32 v115, v86
	v_pk_add_f32 v[86:87], v[116:117], v[114:115] neg_lo:[0,1] neg_hi:[0,1]
	v_cmp_eq_f32_e32 vcc, s10, v131
	v_add_f32_e32 v87, v101, v87
	v_add_f32_e32 v86, v86, v87
	v_add_f32_e32 v87, v113, v86
	v_mul_f32_e32 v101, v132, v87
	v_mul_f32_e32 v112, v119, v101
	v_fma_f32 v114, v101, v119, -v112
	v_fmac_f32_e32 v114, v101, v84
	v_sub_f32_e32 v84, v113, v87
	v_add_f32_e32 v84, v86, v84
	v_add_f32_e32 v86, v112, v114
	v_sub_f32_e32 v113, v87, v86
	v_pk_add_f32 v[116:117], v[86:87], v[112:113] neg_lo:[0,1] neg_hi:[0,1]
	v_mov_b32_e32 v115, v86
	v_pk_add_f32 v[86:87], v[116:117], v[114:115] neg_lo:[0,1] neg_hi:[0,1]
	v_cvt_f32_i32_e32 v112, v118
	v_add_f32_e32 v84, v84, v87
	v_add_f32_e32 v84, v86, v84
	;; [unrolled: 1-line block ×4, first 2 shown]
	v_sub_f32_e32 v87, v86, v133
	v_mul_f32_e32 v84, v132, v84
	v_sub_f32_e32 v87, v101, v87
	v_add_f32_e32 v84, v87, v84
	v_add_f32_e32 v101, v86, v84
	v_mul_f32_e32 v113, v101, v101
	v_mov_b32_e32 v87, 0x3ecc95a3
	v_fmac_f32_e32 v87, 0x3e9b6dac, v113
	v_sub_f32_e32 v86, v101, v86
	v_fmaak_f32 v87, v113, v87, 0x3f2aaada
	v_sub_f32_e32 v84, v84, v86
	v_mul_f32_e32 v113, v101, v113
	v_mov_b32_e32 v86, 0x3f317218
	v_pk_mul_f32 v[86:87], v[112:113], v[86:87]
	v_ldexp_f32 v115, v101, 1
	v_fma_f32 v101, v112, s9, -v86
	v_fmamk_f32 v114, v112, 0xb102e308, v101
	v_pk_add_f32 v[112:113], v[86:87], v[114:115]
	v_ldexp_f32 v84, v84, 1
	v_sub_f32_e32 v101, v113, v115
	v_sub_f32_e32 v101, v87, v101
	v_add_f32_e32 v117, v84, v101
	v_mov_b32_e32 v116, v86
	v_pk_add_f32 v[86:87], v[112:113], v[86:87] neg_lo:[0,1] neg_hi:[0,1]
	v_pk_add_f32 v[118:119], v[112:113], v[116:117]
	v_mov_b32_e32 v115, v112
	v_mov_b32_e32 v87, v119
	v_pk_add_f32 v[132:133], v[114:115], v[86:87] neg_lo:[0,1] neg_hi:[0,1]
	v_pk_add_f32 v[86:87], v[114:115], v[86:87]
	s_mov_b32 s9, 0x33800000
	v_mov_b32_e32 v84, v87
	v_pk_add_f32 v[114:115], v[84:85], v[112:113] neg_lo:[0,1] neg_hi:[0,1]
	v_mov_b32_e32 v86, v119
	v_mov_b32_e32 v101, v114
	v_pk_add_f32 v[134:135], v[118:119], v[100:101] neg_lo:[0,1] neg_hi:[0,1]
	v_mov_b32_e32 v118, v113
	v_mov_b32_e32 v119, v114
	;; [unrolled: 1-line block ×3, first 2 shown]
	v_pk_add_f32 v[86:87], v[86:87], v[118:119] neg_lo:[0,1] neg_hi:[0,1]
	v_mov_b32_e32 v114, v117
	v_mov_b32_e32 v115, v112
	v_pk_add_f32 v[86:87], v[114:115], v[86:87] neg_lo:[0,1] neg_hi:[0,1]
	v_mov_b32_e32 v134, v132
	v_pk_add_f32 v[112:113], v[134:135], v[86:87]
	v_cmp_lt_f32_e64 s[10:11], |v131|, s9
	v_mov_b32_e32 v114, v113
	v_pk_add_f32 v[114:115], v[112:113], v[114:115]
	s_or_b64 vcc, vcc, s[10:11]
	v_pk_add_f32 v[116:117], v[84:85], v[114:115]
	v_mov_b32_e32 v87, v114
	v_mov_b32_e32 v113, v116
	v_pk_add_f32 v[118:119], v[112:113], v[132:133] neg_lo:[0,1] neg_hi:[0,1]
	s_nop 0
	v_sub_f32_e32 v84, v112, v118
	v_pk_add_f32 v[86:87], v[86:87], v[118:119] neg_lo:[0,1] neg_hi:[0,1]
	v_sub_f32_e32 v84, v132, v84
	v_add_f32_e32 v84, v86, v84
	v_add_f32_e32 v84, v84, v87
	;; [unrolled: 1-line block ×3, first 2 shown]
	v_cndmask_b32_e32 v84, v84, v131, vcc
	v_add_f32_e32 v84, v85, v84
.LBB161_260:
	s_or_b64 exec, exec, s[6:7]
	v_max_f32_e32 v85, v84, v84
	v_min_f32_e32 v86, v85, v128
	v_cmp_u_f32_e32 vcc, v84, v84
	v_max_f32_e32 v85, v85, v128
	s_nop 0
	v_cndmask_b32_e32 v86, v86, v84, vcc
	v_cndmask_b32_e32 v85, v85, v84, vcc
	v_cndmask_b32_e64 v87, v86, v21, s[48:49]
	v_cndmask_b32_e64 v86, v85, v21, s[48:49]
	v_cmp_neq_f32_e32 vcc, v87, v86
	v_cmp_class_f32_e64 s[6:7], v87, s8
	s_or_b64 s[8:9], vcc, s[6:7]
	v_mov_b32_e32 v85, v84
	s_and_saveexec_b64 s[6:7], s[8:9]
	s_cbranch_execz .LBB161_262
; %bb.261:
	v_sub_f32_e32 v85, v87, v86
	s_mov_b32 s8, 0x3fb8aa3b
	v_mul_f32_e32 v87, 0x3fb8aa3b, v85
	v_fma_f32 v101, v85, s8, -v87
	v_rndne_f32_e32 v112, v87
	v_fmamk_f32 v101, v85, 0x32a5705f, v101
	v_sub_f32_e32 v87, v87, v112
	v_add_f32_e32 v87, v87, v101
	v_exp_f32_e32 v87, v87
	v_cvt_i32_f32_e32 v101, v112
	s_mov_b32 s8, 0xc2ce8ed0
	v_cmp_ngt_f32_e32 vcc, s8, v85
	s_mov_b32 s8, 0x42b17218
	v_ldexp_f32 v87, v87, v101
	v_cndmask_b32_e32 v87, 0, v87, vcc
	v_mov_b32_e32 v101, 0x7f800000
	v_cmp_nlt_f32_e32 vcc, s8, v85
	s_mov_b32 s8, 0x3f2aaaab
	s_mov_b32 s9, 0x7f800000
	v_cndmask_b32_e32 v87, v101, v87, vcc
	v_add_f32_e32 v85, 1.0, v87
	v_add_f32_e32 v101, -1.0, v85
	v_sub_f32_e32 v112, v101, v85
	v_add_f32_e32 v112, 1.0, v112
	v_sub_f32_e32 v101, v87, v101
	v_add_f32_e32 v101, v101, v112
	v_frexp_mant_f32_e32 v114, v85
	v_cvt_f64_f32_e32 v[112:113], v85
	v_frexp_exp_i32_f64_e32 v112, v[112:113]
	v_cmp_gt_f32_e32 vcc, s8, v114
	s_mov_b32 s8, 0x3f317218
	s_nop 0
	v_subbrev_co_u32_e32 v128, vcc, 0, v112, vcc
	v_sub_u32_e32 v112, 0, v128
	v_ldexp_f32 v85, v85, v112
	v_ldexp_f32 v101, v101, v112
	v_add_f32_e32 v112, -1.0, v85
	v_add_f32_e32 v113, 1.0, v112
	v_sub_f32_e32 v113, v85, v113
	v_add_f32_e32 v114, v101, v113
	v_add_f32_e32 v113, 1.0, v85
	v_add_f32_e32 v115, -1.0, v113
	v_sub_f32_e32 v85, v85, v115
	v_add_f32_e32 v85, v101, v85
	v_add_f32_e32 v101, v113, v85
	v_rcp_f32_e32 v131, v101
	v_sub_f32_e32 v113, v113, v101
	v_add_f32_e32 v85, v85, v113
	v_add_f32_e32 v113, v112, v114
	v_sub_f32_e32 v112, v112, v113
	v_mul_f32_e32 v133, v113, v131
	v_add_f32_e32 v132, v114, v112
	v_mul_f32_e32 v114, v101, v133
	v_fma_f32 v116, v133, v101, -v114
	v_fmac_f32_e32 v116, v133, v85
	v_add_f32_e32 v112, v114, v116
	v_sub_f32_e32 v115, v113, v112
	v_pk_add_f32 v[118:119], v[112:113], v[114:115] neg_lo:[0,1] neg_hi:[0,1]
	v_mov_b32_e32 v117, v112
	v_pk_add_f32 v[112:113], v[118:119], v[116:117] neg_lo:[0,1] neg_hi:[0,1]
	v_cmp_eq_f32_e32 vcc, s9, v87
	v_add_f32_e32 v113, v132, v113
	v_add_f32_e32 v112, v112, v113
	;; [unrolled: 1-line block ×3, first 2 shown]
	v_mul_f32_e32 v132, v131, v113
	v_mul_f32_e32 v114, v101, v132
	v_fma_f32 v116, v132, v101, -v114
	v_fmac_f32_e32 v116, v132, v85
	v_sub_f32_e32 v85, v115, v113
	v_add_f32_e32 v85, v112, v85
	v_add_f32_e32 v112, v114, v116
	v_sub_f32_e32 v115, v113, v112
	v_pk_add_f32 v[118:119], v[112:113], v[114:115] neg_lo:[0,1] neg_hi:[0,1]
	v_mov_b32_e32 v117, v112
	v_pk_add_f32 v[112:113], v[118:119], v[116:117] neg_lo:[0,1] neg_hi:[0,1]
	v_add_f32_e32 v101, v133, v132
	v_add_f32_e32 v85, v85, v113
	v_add_f32_e32 v85, v112, v85
	v_add_f32_e32 v85, v115, v85
	v_sub_f32_e32 v112, v101, v133
	v_mul_f32_e32 v85, v131, v85
	v_sub_f32_e32 v112, v132, v112
	v_add_f32_e32 v85, v112, v85
	v_add_f32_e32 v112, v101, v85
	v_cvt_f32_i32_e32 v114, v128
	v_mul_f32_e32 v115, v112, v112
	v_mov_b32_e32 v113, 0x3ecc95a3
	v_fmac_f32_e32 v113, 0x3e9b6dac, v115
	v_fmaak_f32 v113, v115, v113, 0x3f2aaada
	v_sub_f32_e32 v101, v112, v101
	v_ldexp_f32 v117, v112, 1
	v_mul_f32_e32 v115, v112, v115
	v_mov_b32_e32 v112, 0x3f317218
	v_pk_mul_f32 v[112:113], v[114:115], v[112:113]
	v_sub_f32_e32 v85, v85, v101
	v_fma_f32 v101, v114, s8, -v112
	v_fmamk_f32 v116, v114, 0xb102e308, v101
	v_pk_add_f32 v[114:115], v[112:113], v[116:117]
	v_ldexp_f32 v85, v85, 1
	v_sub_f32_e32 v101, v115, v117
	v_sub_f32_e32 v101, v113, v101
	v_add_f32_e32 v119, v85, v101
	v_mov_b32_e32 v118, v112
	v_pk_add_f32 v[112:113], v[114:115], v[112:113] neg_lo:[0,1] neg_hi:[0,1]
	v_pk_add_f32 v[132:133], v[114:115], v[118:119]
	v_mov_b32_e32 v117, v114
	v_mov_b32_e32 v113, v133
	v_pk_add_f32 v[134:135], v[116:117], v[112:113] neg_lo:[0,1] neg_hi:[0,1]
	v_pk_add_f32 v[112:113], v[116:117], v[112:113]
	v_mov_b32_e32 v118, v119
	v_mov_b32_e32 v116, v113
	v_pk_add_f32 v[144:145], v[116:117], v[114:115] neg_lo:[0,1] neg_hi:[0,1]
	v_mov_b32_e32 v112, v133
	v_mov_b32_e32 v85, v144
	v_pk_add_f32 v[146:147], v[132:133], v[84:85] neg_lo:[0,1] neg_hi:[0,1]
	v_mov_b32_e32 v132, v115
	v_mov_b32_e32 v133, v144
	v_mov_b32_e32 v135, v113
	v_pk_add_f32 v[112:113], v[112:113], v[132:133] neg_lo:[0,1] neg_hi:[0,1]
	v_mov_b32_e32 v119, v114
	v_pk_add_f32 v[112:113], v[118:119], v[112:113] neg_lo:[0,1] neg_hi:[0,1]
	v_mov_b32_e32 v146, v134
	v_pk_add_f32 v[114:115], v[146:147], v[112:113]
	s_mov_b32 s8, 0x33800000
	v_mov_b32_e32 v118, v115
	v_pk_add_f32 v[118:119], v[114:115], v[118:119]
	v_cmp_lt_f32_e64 s[8:9], |v87|, s8
	v_pk_add_f32 v[116:117], v[116:117], v[118:119]
	v_mov_b32_e32 v113, v118
	v_mov_b32_e32 v115, v116
	v_pk_add_f32 v[132:133], v[114:115], v[134:135] neg_lo:[0,1] neg_hi:[0,1]
	s_or_b64 vcc, vcc, s[8:9]
	v_sub_f32_e32 v85, v114, v132
	v_pk_add_f32 v[112:113], v[112:113], v[132:133] neg_lo:[0,1] neg_hi:[0,1]
	v_sub_f32_e32 v85, v134, v85
	v_add_f32_e32 v85, v112, v85
	v_add_f32_e32 v85, v85, v113
	;; [unrolled: 1-line block ×3, first 2 shown]
	v_cndmask_b32_e32 v85, v85, v87, vcc
	v_add_f32_e32 v85, v86, v85
.LBB161_262:
	s_or_b64 exec, exec, s[6:7]
	v_max_f32_e32 v86, v85, v85
	v_min_f32_e32 v87, v86, v129
	v_cmp_u_f32_e32 vcc, v85, v85
	v_max_f32_e32 v86, v86, v129
	s_movk_i32 s8, 0x1f8
	v_cndmask_b32_e32 v87, v87, v85, vcc
	v_cndmask_b32_e32 v86, v86, v85, vcc
	v_cndmask_b32_e64 v101, v87, v22, s[50:51]
	v_cndmask_b32_e64 v87, v86, v22, s[50:51]
	v_cmp_neq_f32_e32 vcc, v101, v87
	v_cmp_class_f32_e64 s[6:7], v101, s8
	s_or_b64 s[10:11], vcc, s[6:7]
	v_mov_b32_e32 v86, v85
	s_and_saveexec_b64 s[6:7], s[10:11]
	s_cbranch_execz .LBB161_264
; %bb.263:
	v_sub_f32_e32 v86, v101, v87
	s_mov_b32 s9, 0x3fb8aa3b
	v_mul_f32_e32 v101, 0x3fb8aa3b, v86
	v_fma_f32 v112, v86, s9, -v101
	v_rndne_f32_e32 v113, v101
	v_fmamk_f32 v112, v86, 0x32a5705f, v112
	v_sub_f32_e32 v101, v101, v113
	v_add_f32_e32 v101, v101, v112
	v_exp_f32_e32 v101, v101
	v_cvt_i32_f32_e32 v112, v113
	s_mov_b32 s9, 0xc2ce8ed0
	v_cmp_ngt_f32_e32 vcc, s9, v86
	s_mov_b32 s9, 0x42b17218
	v_ldexp_f32 v101, v101, v112
	v_cndmask_b32_e32 v101, 0, v101, vcc
	v_mov_b32_e32 v112, 0x7f800000
	v_cmp_nlt_f32_e32 vcc, s9, v86
	s_mov_b32 s9, 0x3f2aaaab
	s_mov_b32 s10, 0x7f800000
	v_cndmask_b32_e32 v131, v112, v101, vcc
	v_add_f32_e32 v86, 1.0, v131
	v_add_f32_e32 v101, -1.0, v86
	v_sub_f32_e32 v112, v101, v86
	v_add_f32_e32 v112, 1.0, v112
	v_sub_f32_e32 v101, v131, v101
	v_add_f32_e32 v101, v101, v112
	v_frexp_mant_f32_e32 v114, v86
	v_cvt_f64_f32_e32 v[112:113], v86
	v_frexp_exp_i32_f64_e32 v112, v[112:113]
	v_cmp_gt_f32_e32 vcc, s9, v114
	s_mov_b32 s9, 0x3f317218
	s_nop 0
	v_subbrev_co_u32_e32 v128, vcc, 0, v112, vcc
	v_sub_u32_e32 v112, 0, v128
	v_ldexp_f32 v86, v86, v112
	v_ldexp_f32 v101, v101, v112
	v_add_f32_e32 v112, -1.0, v86
	v_add_f32_e32 v113, 1.0, v112
	v_sub_f32_e32 v113, v86, v113
	v_add_f32_e32 v114, v101, v113
	v_add_f32_e32 v113, 1.0, v86
	v_add_f32_e32 v115, -1.0, v113
	v_sub_f32_e32 v86, v86, v115
	v_add_f32_e32 v86, v101, v86
	v_add_f32_e32 v101, v113, v86
	v_rcp_f32_e32 v129, v101
	v_sub_f32_e32 v113, v113, v101
	v_add_f32_e32 v86, v86, v113
	v_add_f32_e32 v113, v112, v114
	v_sub_f32_e32 v112, v112, v113
	v_mul_f32_e32 v133, v113, v129
	v_add_f32_e32 v132, v114, v112
	v_mul_f32_e32 v114, v101, v133
	v_fma_f32 v116, v133, v101, -v114
	v_fmac_f32_e32 v116, v133, v86
	v_add_f32_e32 v112, v114, v116
	v_sub_f32_e32 v115, v113, v112
	v_pk_add_f32 v[118:119], v[112:113], v[114:115] neg_lo:[0,1] neg_hi:[0,1]
	v_mov_b32_e32 v117, v112
	v_pk_add_f32 v[112:113], v[118:119], v[116:117] neg_lo:[0,1] neg_hi:[0,1]
	v_cmp_eq_f32_e32 vcc, s10, v131
	v_add_f32_e32 v113, v132, v113
	v_add_f32_e32 v112, v112, v113
	;; [unrolled: 1-line block ×3, first 2 shown]
	v_mul_f32_e32 v132, v129, v113
	v_mul_f32_e32 v114, v101, v132
	v_fma_f32 v116, v132, v101, -v114
	v_fmac_f32_e32 v116, v132, v86
	v_sub_f32_e32 v86, v115, v113
	v_add_f32_e32 v86, v112, v86
	v_add_f32_e32 v112, v114, v116
	v_sub_f32_e32 v115, v113, v112
	v_pk_add_f32 v[118:119], v[112:113], v[114:115] neg_lo:[0,1] neg_hi:[0,1]
	v_mov_b32_e32 v117, v112
	v_pk_add_f32 v[112:113], v[118:119], v[116:117] neg_lo:[0,1] neg_hi:[0,1]
	v_add_f32_e32 v101, v133, v132
	v_add_f32_e32 v86, v86, v113
	;; [unrolled: 1-line block ×4, first 2 shown]
	v_sub_f32_e32 v112, v101, v133
	v_mul_f32_e32 v86, v129, v86
	v_sub_f32_e32 v112, v132, v112
	v_add_f32_e32 v86, v112, v86
	v_add_f32_e32 v112, v101, v86
	v_cvt_f32_i32_e32 v114, v128
	v_mul_f32_e32 v115, v112, v112
	v_mov_b32_e32 v113, 0x3ecc95a3
	v_fmac_f32_e32 v113, 0x3e9b6dac, v115
	v_fmaak_f32 v113, v115, v113, 0x3f2aaada
	v_sub_f32_e32 v101, v112, v101
	v_ldexp_f32 v117, v112, 1
	v_mul_f32_e32 v115, v112, v115
	v_mov_b32_e32 v112, 0x3f317218
	v_pk_mul_f32 v[112:113], v[114:115], v[112:113]
	v_sub_f32_e32 v86, v86, v101
	v_fma_f32 v101, v114, s9, -v112
	v_fmamk_f32 v116, v114, 0xb102e308, v101
	v_pk_add_f32 v[114:115], v[112:113], v[116:117]
	v_ldexp_f32 v86, v86, 1
	v_sub_f32_e32 v101, v115, v117
	v_sub_f32_e32 v101, v113, v101
	v_add_f32_e32 v119, v86, v101
	v_mov_b32_e32 v118, v112
	v_pk_add_f32 v[112:113], v[114:115], v[112:113] neg_lo:[0,1] neg_hi:[0,1]
	v_pk_add_f32 v[128:129], v[114:115], v[118:119]
	v_mov_b32_e32 v117, v114
	v_mov_b32_e32 v113, v129
	v_pk_add_f32 v[132:133], v[116:117], v[112:113] neg_lo:[0,1] neg_hi:[0,1]
	v_pk_add_f32 v[112:113], v[116:117], v[112:113]
	s_mov_b32 s9, 0x33800000
	v_mov_b32_e32 v86, v113
	v_pk_add_f32 v[116:117], v[86:87], v[114:115] neg_lo:[0,1] neg_hi:[0,1]
	v_mov_b32_e32 v112, v129
	v_mov_b32_e32 v101, v116
	v_pk_add_f32 v[134:135], v[128:129], v[100:101] neg_lo:[0,1] neg_hi:[0,1]
	v_mov_b32_e32 v128, v115
	v_mov_b32_e32 v129, v116
	;; [unrolled: 1-line block ×3, first 2 shown]
	v_pk_add_f32 v[112:113], v[112:113], v[128:129] neg_lo:[0,1] neg_hi:[0,1]
	v_mov_b32_e32 v116, v119
	v_mov_b32_e32 v117, v114
	v_pk_add_f32 v[112:113], v[116:117], v[112:113] neg_lo:[0,1] neg_hi:[0,1]
	v_mov_b32_e32 v134, v132
	v_pk_add_f32 v[114:115], v[134:135], v[112:113]
	v_cmp_lt_f32_e64 s[10:11], |v131|, s9
	v_mov_b32_e32 v116, v115
	v_pk_add_f32 v[116:117], v[114:115], v[116:117]
	s_or_b64 vcc, vcc, s[10:11]
	v_pk_add_f32 v[118:119], v[86:87], v[116:117]
	v_mov_b32_e32 v113, v116
	v_mov_b32_e32 v115, v118
	v_pk_add_f32 v[128:129], v[114:115], v[132:133] neg_lo:[0,1] neg_hi:[0,1]
	s_nop 0
	v_sub_f32_e32 v86, v114, v128
	v_pk_add_f32 v[112:113], v[112:113], v[128:129] neg_lo:[0,1] neg_hi:[0,1]
	v_sub_f32_e32 v86, v132, v86
	v_add_f32_e32 v86, v112, v86
	v_add_f32_e32 v86, v86, v113
	;; [unrolled: 1-line block ×3, first 2 shown]
	v_cndmask_b32_e32 v86, v86, v131, vcc
	v_add_f32_e32 v86, v87, v86
.LBB161_264:
	s_or_b64 exec, exec, s[6:7]
	v_max_f32_e32 v87, v86, v86
	v_min_f32_e32 v101, v87, v130
	v_cmp_u_f32_e32 vcc, v86, v86
	v_max_f32_e32 v87, v87, v130
	s_nop 0
	v_cndmask_b32_e32 v101, v101, v86, vcc
	v_cndmask_b32_e32 v87, v87, v86, vcc
	v_cndmask_b32_e64 v112, v101, v23, s[52:53]
	v_cndmask_b32_e64 v101, v87, v23, s[52:53]
	v_cmp_neq_f32_e32 vcc, v112, v101
	v_cmp_class_f32_e64 s[6:7], v112, s8
	s_or_b64 s[8:9], vcc, s[6:7]
	v_mov_b32_e32 v87, v86
	s_and_saveexec_b64 s[6:7], s[8:9]
	s_cbranch_execz .LBB161_266
; %bb.265:
	v_sub_f32_e32 v87, v112, v101
	s_mov_b32 s8, 0x3fb8aa3b
	v_mul_f32_e32 v112, 0x3fb8aa3b, v87
	v_fma_f32 v113, v87, s8, -v112
	v_rndne_f32_e32 v114, v112
	v_fmamk_f32 v113, v87, 0x32a5705f, v113
	v_sub_f32_e32 v112, v112, v114
	v_add_f32_e32 v112, v112, v113
	v_exp_f32_e32 v112, v112
	v_cvt_i32_f32_e32 v113, v114
	s_mov_b32 s8, 0xc2ce8ed0
	v_cmp_ngt_f32_e32 vcc, s8, v87
	s_mov_b32 s8, 0x42b17218
	v_ldexp_f32 v112, v112, v113
	v_cndmask_b32_e32 v112, 0, v112, vcc
	v_mov_b32_e32 v113, 0x7f800000
	v_cmp_nlt_f32_e32 vcc, s8, v87
	s_mov_b32 s8, 0x3f2aaaab
	s_mov_b32 s9, 0x7f800000
	v_cndmask_b32_e32 v144, v113, v112, vcc
	v_add_f32_e32 v87, 1.0, v144
	v_add_f32_e32 v112, -1.0, v87
	v_sub_f32_e32 v113, v112, v87
	v_add_f32_e32 v113, 1.0, v113
	v_sub_f32_e32 v112, v144, v112
	v_add_f32_e32 v114, v112, v113
	v_frexp_mant_f32_e32 v115, v87
	v_cvt_f64_f32_e32 v[112:113], v87
	v_frexp_exp_i32_f64_e32 v112, v[112:113]
	v_cmp_gt_f32_e32 vcc, s8, v115
	s_mov_b32 s8, 0x3f317218
	s_nop 0
	v_subbrev_co_u32_e32 v128, vcc, 0, v112, vcc
	v_sub_u32_e32 v112, 0, v128
	v_ldexp_f32 v87, v87, v112
	v_ldexp_f32 v112, v114, v112
	v_add_f32_e32 v114, -1.0, v87
	v_add_f32_e32 v113, 1.0, v114
	v_sub_f32_e32 v113, v87, v113
	v_add_f32_e32 v115, v112, v113
	v_add_f32_e32 v113, 1.0, v87
	v_add_f32_e32 v116, -1.0, v113
	v_sub_f32_e32 v87, v87, v116
	v_add_f32_e32 v87, v112, v87
	v_add_f32_e32 v129, v113, v87
	v_rcp_f32_e32 v130, v129
	v_sub_f32_e32 v112, v113, v129
	v_add_f32_e32 v113, v114, v115
	v_add_f32_e32 v87, v87, v112
	v_mul_f32_e32 v132, v113, v130
	v_sub_f32_e32 v112, v114, v113
	v_mul_f32_e32 v114, v129, v132
	v_fma_f32 v116, v132, v129, -v114
	v_fmac_f32_e32 v116, v132, v87
	v_add_f32_e32 v131, v115, v112
	v_add_f32_e32 v112, v114, v116
	v_sub_f32_e32 v115, v113, v112
	v_pk_add_f32 v[118:119], v[112:113], v[114:115] neg_lo:[0,1] neg_hi:[0,1]
	v_mov_b32_e32 v117, v112
	v_pk_add_f32 v[112:113], v[118:119], v[116:117] neg_lo:[0,1] neg_hi:[0,1]
	v_cmp_eq_f32_e32 vcc, s9, v144
	v_add_f32_e32 v113, v131, v113
	v_add_f32_e32 v112, v112, v113
	v_add_f32_e32 v113, v115, v112
	v_mul_f32_e32 v131, v130, v113
	v_mul_f32_e32 v114, v129, v131
	v_fma_f32 v116, v131, v129, -v114
	v_fmac_f32_e32 v116, v131, v87
	v_sub_f32_e32 v87, v115, v113
	v_add_f32_e32 v87, v112, v87
	v_add_f32_e32 v112, v114, v116
	v_sub_f32_e32 v115, v113, v112
	v_pk_add_f32 v[118:119], v[112:113], v[114:115] neg_lo:[0,1] neg_hi:[0,1]
	v_mov_b32_e32 v117, v112
	v_pk_add_f32 v[112:113], v[118:119], v[116:117] neg_lo:[0,1] neg_hi:[0,1]
	v_cvt_f32_i32_e32 v114, v128
	v_add_f32_e32 v87, v87, v113
	v_add_f32_e32 v87, v112, v87
	;; [unrolled: 1-line block ×4, first 2 shown]
	v_sub_f32_e32 v113, v112, v132
	v_mul_f32_e32 v87, v130, v87
	v_sub_f32_e32 v113, v131, v113
	v_add_f32_e32 v87, v113, v87
	v_add_f32_e32 v115, v112, v87
	v_mul_f32_e32 v116, v115, v115
	v_mov_b32_e32 v113, 0x3ecc95a3
	v_fmac_f32_e32 v113, 0x3e9b6dac, v116
	v_sub_f32_e32 v112, v115, v112
	v_fmaak_f32 v113, v116, v113, 0x3f2aaada
	v_sub_f32_e32 v87, v87, v112
	v_ldexp_f32 v117, v115, 1
	v_mul_f32_e32 v115, v115, v116
	v_mov_b32_e32 v112, 0x3f317218
	v_pk_mul_f32 v[112:113], v[114:115], v[112:113]
	v_ldexp_f32 v87, v87, 1
	v_fma_f32 v115, v114, s8, -v112
	v_fmamk_f32 v116, v114, 0xb102e308, v115
	v_pk_add_f32 v[114:115], v[112:113], v[116:117]
	v_mov_b32_e32 v118, v112
	v_sub_f32_e32 v117, v115, v117
	v_sub_f32_e32 v117, v113, v117
	v_add_f32_e32 v119, v87, v117
	v_pk_add_f32 v[112:113], v[114:115], v[112:113] neg_lo:[0,1] neg_hi:[0,1]
	v_pk_add_f32 v[128:129], v[114:115], v[118:119]
	v_mov_b32_e32 v117, v114
	v_mov_b32_e32 v113, v129
	v_pk_add_f32 v[130:131], v[116:117], v[112:113] neg_lo:[0,1] neg_hi:[0,1]
	v_pk_add_f32 v[112:113], v[116:117], v[112:113]
	v_mov_b32_e32 v118, v119
	v_mov_b32_e32 v116, v113
	v_pk_add_f32 v[132:133], v[116:117], v[114:115] neg_lo:[0,1] neg_hi:[0,1]
	v_mov_b32_e32 v112, v129
	v_mov_b32_e32 v87, v132
	v_pk_add_f32 v[134:135], v[128:129], v[86:87] neg_lo:[0,1] neg_hi:[0,1]
	v_mov_b32_e32 v128, v115
	v_mov_b32_e32 v129, v132
	;; [unrolled: 1-line block ×3, first 2 shown]
	v_pk_add_f32 v[112:113], v[112:113], v[128:129] neg_lo:[0,1] neg_hi:[0,1]
	v_mov_b32_e32 v119, v114
	v_pk_add_f32 v[112:113], v[118:119], v[112:113] neg_lo:[0,1] neg_hi:[0,1]
	v_mov_b32_e32 v134, v130
	v_pk_add_f32 v[114:115], v[134:135], v[112:113]
	s_mov_b32 s8, 0x33800000
	v_mov_b32_e32 v118, v115
	v_pk_add_f32 v[118:119], v[114:115], v[118:119]
	v_cmp_lt_f32_e64 s[8:9], |v144|, s8
	v_pk_add_f32 v[116:117], v[116:117], v[118:119]
	v_mov_b32_e32 v113, v118
	v_mov_b32_e32 v115, v116
	v_pk_add_f32 v[128:129], v[114:115], v[130:131] neg_lo:[0,1] neg_hi:[0,1]
	s_or_b64 vcc, vcc, s[8:9]
	v_sub_f32_e32 v87, v114, v128
	v_pk_add_f32 v[112:113], v[112:113], v[128:129] neg_lo:[0,1] neg_hi:[0,1]
	v_sub_f32_e32 v87, v130, v87
	v_add_f32_e32 v87, v112, v87
	v_add_f32_e32 v87, v87, v113
	;; [unrolled: 1-line block ×3, first 2 shown]
	v_cndmask_b32_e32 v87, v87, v144, vcc
	v_add_f32_e32 v87, v101, v87
.LBB161_266:
	s_or_b64 exec, exec, s[6:7]
	s_branch .LBB161_413
.LBB161_267:
                                        ; implicit-def: $vgpr87
                                        ; implicit-def: $vgpr82_vgpr83
                                        ; implicit-def: $vgpr70_vgpr71
                                        ; implicit-def: $vgpr66_vgpr67
                                        ; implicit-def: $vgpr54_vgpr55
                                        ; implicit-def: $vgpr50_vgpr51
	s_cbranch_execz .LBB161_413
; %bb.268:
	v_cmp_ne_u64_e32 vcc, 0, v[6:7]
	s_and_b64 s[8:9], s[4:5], vcc
	s_and_saveexec_b64 s[6:7], s[8:9]
	s_cbranch_execz .LBB161_272
; %bb.269:
	flat_load_dword v3, v[2:3]
	v_max_f32_e32 v2, v16, v16
	s_movk_i32 s8, 0x1f8
	s_waitcnt vmcnt(0) lgkmcnt(0)
	v_max_f32_e32 v6, v3, v3
	v_min_f32_e32 v7, v6, v2
	v_max_f32_e32 v2, v6, v2
	v_cmp_u_f32_e32 vcc, v3, v3
	s_nop 1
	v_cndmask_b32_e32 v6, v7, v3, vcc
	v_cndmask_b32_e32 v2, v2, v3, vcc
	v_cmp_u_f32_e32 vcc, v16, v16
	s_nop 1
	v_cndmask_b32_e32 v6, v6, v16, vcc
	v_cndmask_b32_e32 v2, v2, v16, vcc
	v_cmp_neq_f32_e32 vcc, v6, v2
	v_cmp_class_f32_e64 s[8:9], v6, s8
	s_or_b64 s[10:11], vcc, s[8:9]
	s_and_saveexec_b64 s[8:9], s[10:11]
	s_cbranch_execz .LBB161_271
; %bb.270:
	v_sub_f32_e32 v3, v6, v2
	s_mov_b32 s10, 0x3fb8aa3b
	v_mul_f32_e32 v6, 0x3fb8aa3b, v3
	v_fma_f32 v7, v3, s10, -v6
	v_rndne_f32_e32 v16, v6
	v_fmamk_f32 v7, v3, 0x32a5705f, v7
	v_sub_f32_e32 v6, v6, v16
	v_add_f32_e32 v6, v6, v7
	v_exp_f32_e32 v6, v6
	v_cvt_i32_f32_e32 v7, v16
	s_mov_b32 s10, 0xc2ce8ed0
	v_cmp_ngt_f32_e32 vcc, s10, v3
	s_mov_b32 s10, 0x42b17218
	v_ldexp_f32 v6, v6, v7
	v_cndmask_b32_e32 v6, 0, v6, vcc
	v_mov_b32_e32 v7, 0x7f800000
	v_cmp_nlt_f32_e32 vcc, s10, v3
	s_mov_b32 s10, 0x3f2aaaab
	s_mov_b32 s11, 0x7f800000
	v_cndmask_b32_e32 v68, v7, v6, vcc
	v_add_f32_e32 v3, 1.0, v68
	v_add_f32_e32 v6, -1.0, v3
	v_sub_f32_e32 v7, v6, v3
	v_add_f32_e32 v7, 1.0, v7
	v_sub_f32_e32 v6, v68, v6
	v_add_f32_e32 v16, v6, v7
	v_frexp_mant_f32_e32 v48, v3
	v_cvt_f64_f32_e32 v[6:7], v3
	v_frexp_exp_i32_f64_e32 v6, v[6:7]
	v_cmp_gt_f32_e32 vcc, s10, v48
	s_mov_b32 s10, 0x3f317218
	s_nop 0
	v_subbrev_co_u32_e32 v54, vcc, 0, v6, vcc
	v_sub_u32_e32 v6, 0, v54
	v_ldexp_f32 v3, v3, v6
	v_ldexp_f32 v6, v16, v6
	v_add_f32_e32 v16, -1.0, v3
	v_add_f32_e32 v7, 1.0, v16
	v_sub_f32_e32 v7, v3, v7
	v_add_f32_e32 v48, v6, v7
	v_add_f32_e32 v7, 1.0, v3
	v_add_f32_e32 v49, -1.0, v7
	v_sub_f32_e32 v3, v3, v49
	v_add_f32_e32 v3, v6, v3
	v_add_f32_e32 v55, v7, v3
	v_rcp_f32_e32 v64, v55
	v_sub_f32_e32 v6, v7, v55
	v_add_f32_e32 v7, v16, v48
	v_add_f32_e32 v3, v3, v6
	v_sub_f32_e32 v6, v16, v7
	v_mul_f32_e32 v65, v7, v64
	v_add_f32_e32 v16, v48, v6
	v_mul_f32_e32 v48, v55, v65
	v_fma_f32 v50, v65, v55, -v48
	v_fmac_f32_e32 v50, v65, v3
	v_add_f32_e32 v6, v48, v50
	v_sub_f32_e32 v49, v7, v6
	v_pk_add_f32 v[52:53], v[6:7], v[48:49] neg_lo:[0,1] neg_hi:[0,1]
	v_mov_b32_e32 v51, v6
	v_pk_add_f32 v[6:7], v[52:53], v[50:51] neg_lo:[0,1] neg_hi:[0,1]
	v_cmp_eq_f32_e32 vcc, s11, v68
	v_add_f32_e32 v7, v16, v7
	v_add_f32_e32 v6, v6, v7
	;; [unrolled: 1-line block ×3, first 2 shown]
	v_mul_f32_e32 v16, v64, v7
	v_mul_f32_e32 v48, v55, v16
	v_fma_f32 v50, v16, v55, -v48
	v_fmac_f32_e32 v50, v16, v3
	v_sub_f32_e32 v3, v49, v7
	v_add_f32_e32 v3, v6, v3
	v_add_f32_e32 v6, v48, v50
	v_sub_f32_e32 v49, v7, v6
	v_pk_add_f32 v[52:53], v[6:7], v[48:49] neg_lo:[0,1] neg_hi:[0,1]
	v_mov_b32_e32 v51, v6
	v_pk_add_f32 v[6:7], v[52:53], v[50:51] neg_lo:[0,1] neg_hi:[0,1]
	v_cvt_f32_i32_e32 v48, v54
	v_add_f32_e32 v3, v3, v7
	v_add_f32_e32 v3, v6, v3
	;; [unrolled: 1-line block ×4, first 2 shown]
	v_sub_f32_e32 v7, v6, v65
	v_mul_f32_e32 v3, v64, v3
	v_sub_f32_e32 v7, v16, v7
	v_add_f32_e32 v3, v7, v3
	v_add_f32_e32 v16, v6, v3
	v_mul_f32_e32 v49, v16, v16
	v_mov_b32_e32 v7, 0x3ecc95a3
	v_fmac_f32_e32 v7, 0x3e9b6dac, v49
	v_sub_f32_e32 v6, v16, v6
	v_fmaak_f32 v7, v49, v7, 0x3f2aaada
	v_sub_f32_e32 v3, v3, v6
	v_mul_f32_e32 v49, v16, v49
	v_mov_b32_e32 v6, 0x3f317218
	v_pk_mul_f32 v[6:7], v[48:49], v[6:7]
	v_ldexp_f32 v51, v16, 1
	v_fma_f32 v16, v48, s10, -v6
	v_fmamk_f32 v50, v48, 0xb102e308, v16
	v_pk_add_f32 v[48:49], v[6:7], v[50:51]
	v_ldexp_f32 v3, v3, 1
	v_sub_f32_e32 v16, v49, v51
	v_sub_f32_e32 v16, v7, v16
	v_add_f32_e32 v53, v3, v16
	v_mov_b32_e32 v52, v6
	v_pk_add_f32 v[6:7], v[48:49], v[6:7] neg_lo:[0,1] neg_hi:[0,1]
	v_pk_add_f32 v[54:55], v[48:49], v[52:53]
	v_mov_b32_e32 v51, v48
	v_mov_b32_e32 v7, v55
	v_pk_add_f32 v[64:65], v[50:51], v[6:7] neg_lo:[0,1] neg_hi:[0,1]
	v_pk_add_f32 v[6:7], v[50:51], v[6:7]
	s_mov_b32 s10, 0x33800000
	v_mov_b32_e32 v16, v7
	v_pk_add_f32 v[50:51], v[16:17], v[48:49] neg_lo:[0,1] neg_hi:[0,1]
	v_mov_b32_e32 v6, v55
	v_mov_b32_e32 v3, v50
	v_pk_add_f32 v[66:67], v[54:55], v[2:3] neg_lo:[0,1] neg_hi:[0,1]
	v_mov_b32_e32 v54, v49
	v_mov_b32_e32 v55, v50
	;; [unrolled: 1-line block ×3, first 2 shown]
	v_pk_add_f32 v[6:7], v[6:7], v[54:55] neg_lo:[0,1] neg_hi:[0,1]
	v_mov_b32_e32 v50, v53
	v_mov_b32_e32 v51, v48
	v_pk_add_f32 v[6:7], v[50:51], v[6:7] neg_lo:[0,1] neg_hi:[0,1]
	v_mov_b32_e32 v66, v64
	v_pk_add_f32 v[48:49], v[66:67], v[6:7]
	v_cmp_lt_f32_e64 s[10:11], |v68|, s10
	v_mov_b32_e32 v50, v49
	v_pk_add_f32 v[50:51], v[48:49], v[50:51]
	s_or_b64 vcc, vcc, s[10:11]
	v_pk_add_f32 v[52:53], v[16:17], v[50:51]
	v_mov_b32_e32 v7, v50
	v_mov_b32_e32 v49, v52
	v_pk_add_f32 v[54:55], v[48:49], v[64:65] neg_lo:[0,1] neg_hi:[0,1]
	s_nop 0
	v_sub_f32_e32 v3, v48, v54
	v_pk_add_f32 v[6:7], v[6:7], v[54:55] neg_lo:[0,1] neg_hi:[0,1]
	v_sub_f32_e32 v3, v64, v3
	v_add_f32_e32 v3, v6, v3
	v_add_f32_e32 v3, v3, v7
	;; [unrolled: 1-line block ×3, first 2 shown]
	v_cndmask_b32_e32 v3, v3, v68, vcc
	v_add_f32_e32 v3, v2, v3
.LBB161_271:
	s_or_b64 exec, exec, s[8:9]
	v_mov_b32_e32 v16, v3
.LBB161_272:
	s_or_b64 exec, exec, s[6:7]
	v_max_f32_e32 v51, v16, v16
	v_min_f32_e32 v50, v51, v99
	v_cmp_u_f32_e64 s[52:53], v16, v16
	v_cmp_u_f32_e32 vcc, v17, v17
	v_max_f32_e32 v52, v51, v99
	v_cndmask_b32_e64 v2, v50, v16, s[52:53]
	v_cndmask_b32_e32 v3, v2, v17, vcc
	v_cndmask_b32_e64 v2, v52, v16, s[52:53]
	v_cndmask_b32_e32 v2, v2, v17, vcc
	s_movk_i32 s10, 0x1f8
	v_cmp_neq_f32_e64 s[6:7], v3, v2
	v_cmp_class_f32_e64 s[8:9], v3, s10
	s_or_b64 s[6:7], s[6:7], s[8:9]
	v_mov_b32_e32 v53, v16
	s_and_saveexec_b64 s[8:9], s[6:7]
	s_cbranch_execz .LBB161_274
; %bb.273:
	v_sub_f32_e32 v3, v3, v2
	s_mov_b32 s6, 0x3fb8aa3b
	v_mul_f32_e32 v6, 0x3fb8aa3b, v3
	v_fma_f32 v7, v3, s6, -v6
	v_rndne_f32_e32 v48, v6
	v_fmamk_f32 v7, v3, 0x32a5705f, v7
	v_sub_f32_e32 v6, v6, v48
	v_add_f32_e32 v6, v6, v7
	v_exp_f32_e32 v6, v6
	v_cvt_i32_f32_e32 v7, v48
	s_mov_b32 s6, 0xc2ce8ed0
	v_cmp_ngt_f32_e64 s[6:7], s6, v3
	s_mov_b32 s11, 0x7f800000
	v_ldexp_f32 v6, v6, v7
	v_cndmask_b32_e64 v6, 0, v6, s[6:7]
	s_mov_b32 s6, 0x42b17218
	v_mov_b32_e32 v7, 0x7f800000
	v_cmp_nlt_f32_e64 s[6:7], s6, v3
	s_nop 1
	v_cndmask_b32_e64 v53, v7, v6, s[6:7]
	v_add_f32_e32 v3, 1.0, v53
	v_add_f32_e32 v6, -1.0, v3
	v_sub_f32_e32 v7, v6, v3
	v_add_f32_e32 v7, 1.0, v7
	v_sub_f32_e32 v6, v53, v6
	v_add_f32_e32 v48, v6, v7
	v_frexp_mant_f32_e32 v49, v3
	s_mov_b32 s6, 0x3f2aaaab
	v_cvt_f64_f32_e32 v[6:7], v3
	v_frexp_exp_i32_f64_e32 v6, v[6:7]
	v_cmp_gt_f32_e64 s[6:7], s6, v49
	s_nop 1
	v_subbrev_co_u32_e64 v66, s[6:7], 0, v6, s[6:7]
	v_sub_u32_e32 v6, 0, v66
	v_ldexp_f32 v3, v3, v6
	v_ldexp_f32 v6, v48, v6
	v_add_f32_e32 v48, -1.0, v3
	v_add_f32_e32 v7, 1.0, v48
	v_sub_f32_e32 v7, v3, v7
	v_add_f32_e32 v49, v6, v7
	v_add_f32_e32 v7, 1.0, v3
	v_add_f32_e32 v54, -1.0, v7
	v_sub_f32_e32 v3, v3, v54
	v_add_f32_e32 v3, v6, v3
	v_add_f32_e32 v67, v7, v3
	v_rcp_f32_e32 v68, v67
	v_sub_f32_e32 v6, v7, v67
	v_add_f32_e32 v7, v48, v49
	v_add_f32_e32 v3, v3, v6
	v_mul_f32_e32 v70, v7, v68
	v_sub_f32_e32 v6, v48, v7
	v_mul_f32_e32 v48, v67, v70
	v_fma_f32 v54, v70, v67, -v48
	v_fmac_f32_e32 v54, v70, v3
	v_add_f32_e32 v69, v49, v6
	v_add_f32_e32 v6, v48, v54
	v_sub_f32_e32 v49, v7, v6
	v_pk_add_f32 v[64:65], v[6:7], v[48:49] neg_lo:[0,1] neg_hi:[0,1]
	v_mov_b32_e32 v55, v6
	v_pk_add_f32 v[6:7], v[64:65], v[54:55] neg_lo:[0,1] neg_hi:[0,1]
	s_mov_b32 s6, 0x3f317218
	v_add_f32_e32 v7, v69, v7
	v_add_f32_e32 v6, v6, v7
	;; [unrolled: 1-line block ×3, first 2 shown]
	v_mul_f32_e32 v69, v68, v7
	v_mul_f32_e32 v48, v67, v69
	v_fma_f32 v54, v69, v67, -v48
	v_fmac_f32_e32 v54, v69, v3
	v_sub_f32_e32 v3, v49, v7
	v_add_f32_e32 v3, v6, v3
	v_add_f32_e32 v6, v48, v54
	v_sub_f32_e32 v49, v7, v6
	v_pk_add_f32 v[64:65], v[6:7], v[48:49] neg_lo:[0,1] neg_hi:[0,1]
	v_mov_b32_e32 v55, v6
	v_pk_add_f32 v[6:7], v[64:65], v[54:55] neg_lo:[0,1] neg_hi:[0,1]
	v_cvt_f32_i32_e32 v48, v66
	v_add_f32_e32 v3, v3, v7
	v_add_f32_e32 v3, v6, v3
	;; [unrolled: 1-line block ×4, first 2 shown]
	v_sub_f32_e32 v7, v6, v70
	v_mul_f32_e32 v3, v68, v3
	v_sub_f32_e32 v7, v69, v7
	v_add_f32_e32 v3, v7, v3
	v_add_f32_e32 v49, v6, v3
	v_mul_f32_e32 v54, v49, v49
	v_mov_b32_e32 v7, 0x3ecc95a3
	v_fmac_f32_e32 v7, 0x3e9b6dac, v54
	v_sub_f32_e32 v6, v49, v6
	v_fmaak_f32 v7, v54, v7, 0x3f2aaada
	v_sub_f32_e32 v3, v3, v6
	v_ldexp_f32 v55, v49, 1
	v_mul_f32_e32 v49, v49, v54
	v_mov_b32_e32 v6, 0x3f317218
	v_pk_mul_f32 v[6:7], v[48:49], v[6:7]
	v_ldexp_f32 v3, v3, 1
	v_fma_f32 v49, v48, s6, -v6
	v_fmamk_f32 v54, v48, 0xb102e308, v49
	v_pk_add_f32 v[48:49], v[6:7], v[54:55]
	v_mov_b32_e32 v64, v6
	v_sub_f32_e32 v55, v49, v55
	v_sub_f32_e32 v55, v7, v55
	v_add_f32_e32 v65, v3, v55
	v_pk_add_f32 v[6:7], v[48:49], v[6:7] neg_lo:[0,1] neg_hi:[0,1]
	v_pk_add_f32 v[66:67], v[48:49], v[64:65]
	v_mov_b32_e32 v55, v48
	v_mov_b32_e32 v7, v67
	v_pk_add_f32 v[68:69], v[54:55], v[6:7] neg_lo:[0,1] neg_hi:[0,1]
	v_pk_add_f32 v[6:7], v[54:55], v[6:7]
	v_mov_b32_e32 v64, v65
	v_mov_b32_e32 v54, v7
	v_pk_add_f32 v[70:71], v[54:55], v[48:49] neg_lo:[0,1] neg_hi:[0,1]
	v_mov_b32_e32 v6, v67
	v_mov_b32_e32 v3, v70
	v_pk_add_f32 v[80:81], v[66:67], v[2:3] neg_lo:[0,1] neg_hi:[0,1]
	v_mov_b32_e32 v66, v49
	v_mov_b32_e32 v67, v70
	;; [unrolled: 1-line block ×3, first 2 shown]
	v_pk_add_f32 v[6:7], v[6:7], v[66:67] neg_lo:[0,1] neg_hi:[0,1]
	v_mov_b32_e32 v65, v48
	v_pk_add_f32 v[6:7], v[64:65], v[6:7] neg_lo:[0,1] neg_hi:[0,1]
	v_mov_b32_e32 v80, v68
	v_pk_add_f32 v[48:49], v[80:81], v[6:7]
	v_cmp_eq_f32_e64 s[6:7], s11, v53
	v_mov_b32_e32 v64, v49
	v_pk_add_f32 v[64:65], v[48:49], v[64:65]
	s_mov_b32 s11, 0x33800000
	v_pk_add_f32 v[54:55], v[54:55], v[64:65]
	v_mov_b32_e32 v7, v64
	v_mov_b32_e32 v49, v54
	v_pk_add_f32 v[66:67], v[48:49], v[68:69] neg_lo:[0,1] neg_hi:[0,1]
	v_cmp_lt_f32_e64 s[12:13], |v53|, s11
	v_sub_f32_e32 v3, v48, v66
	v_pk_add_f32 v[6:7], v[6:7], v[66:67] neg_lo:[0,1] neg_hi:[0,1]
	v_sub_f32_e32 v3, v68, v3
	v_add_f32_e32 v3, v6, v3
	v_add_f32_e32 v3, v3, v7
	;; [unrolled: 1-line block ×3, first 2 shown]
	s_or_b64 s[6:7], s[6:7], s[12:13]
	v_cndmask_b32_e64 v3, v3, v53, s[6:7]
	v_add_f32_e32 v53, v2, v3
.LBB161_274:
	s_or_b64 exec, exec, s[8:9]
	v_max_f32_e32 v6, v18, v18
	v_max_f32_e32 v2, v53, v53
	v_min_f32_e32 v3, v2, v6
	v_cmp_u_f32_e64 s[8:9], v53, v53
	v_max_f32_e32 v2, v2, v6
	v_cmp_u_f32_e64 s[6:7], v18, v18
	v_cndmask_b32_e64 v3, v3, v53, s[8:9]
	v_cndmask_b32_e64 v2, v2, v53, s[8:9]
	;; [unrolled: 1-line block ×4, first 2 shown]
	v_cmp_neq_f32_e64 s[8:9], v3, v2
	v_cmp_class_f32_e64 s[10:11], v3, s10
	s_or_b64 s[8:9], s[8:9], s[10:11]
	s_and_saveexec_b64 s[10:11], s[8:9]
	s_cbranch_execz .LBB161_276
; %bb.275:
	v_sub_f32_e32 v3, v3, v2
	s_mov_b32 s8, 0x3fb8aa3b
	v_mul_f32_e32 v7, 0x3fb8aa3b, v3
	v_fma_f32 v48, v3, s8, -v7
	v_rndne_f32_e32 v49, v7
	v_fmamk_f32 v48, v3, 0x32a5705f, v48
	v_sub_f32_e32 v7, v7, v49
	v_add_f32_e32 v7, v7, v48
	v_exp_f32_e32 v7, v7
	v_cvt_i32_f32_e32 v48, v49
	s_mov_b32 s8, 0xc2ce8ed0
	v_cmp_ngt_f32_e64 s[8:9], s8, v3
	s_mov_b32 s12, 0x7f800000
	v_ldexp_f32 v7, v7, v48
	v_cndmask_b32_e64 v7, 0, v7, s[8:9]
	s_mov_b32 s8, 0x42b17218
	v_mov_b32_e32 v48, 0x7f800000
	v_cmp_nlt_f32_e64 s[8:9], s8, v3
	s_nop 1
	v_cndmask_b32_e64 v7, v48, v7, s[8:9]
	v_add_f32_e32 v3, 1.0, v7
	v_add_f32_e32 v48, -1.0, v3
	v_sub_f32_e32 v49, v48, v3
	v_add_f32_e32 v49, 1.0, v49
	v_sub_f32_e32 v48, v7, v48
	v_add_f32_e32 v53, v48, v49
	v_frexp_mant_f32_e32 v54, v3
	s_mov_b32 s8, 0x3f2aaaab
	v_cvt_f64_f32_e32 v[48:49], v3
	v_frexp_exp_i32_f64_e32 v48, v[48:49]
	v_cmp_gt_f32_e64 s[8:9], s8, v54
	s_nop 1
	v_subbrev_co_u32_e64 v68, s[8:9], 0, v48, s[8:9]
	v_sub_u32_e32 v48, 0, v68
	v_ldexp_f32 v3, v3, v48
	v_ldexp_f32 v48, v53, v48
	v_add_f32_e32 v53, -1.0, v3
	v_add_f32_e32 v49, 1.0, v53
	v_sub_f32_e32 v49, v3, v49
	v_add_f32_e32 v54, v48, v49
	v_add_f32_e32 v49, 1.0, v3
	v_add_f32_e32 v55, -1.0, v49
	v_sub_f32_e32 v3, v3, v55
	v_add_f32_e32 v3, v48, v3
	v_add_f32_e32 v69, v49, v3
	v_rcp_f32_e32 v70, v69
	v_sub_f32_e32 v48, v49, v69
	v_add_f32_e32 v49, v53, v54
	v_add_f32_e32 v3, v3, v48
	v_sub_f32_e32 v48, v53, v49
	v_mul_f32_e32 v71, v49, v70
	v_add_f32_e32 v53, v54, v48
	v_mul_f32_e32 v54, v69, v71
	v_fma_f32 v64, v71, v69, -v54
	v_fmac_f32_e32 v64, v71, v3
	v_add_f32_e32 v48, v54, v64
	v_sub_f32_e32 v55, v49, v48
	v_pk_add_f32 v[66:67], v[48:49], v[54:55] neg_lo:[0,1] neg_hi:[0,1]
	v_mov_b32_e32 v65, v48
	v_pk_add_f32 v[48:49], v[66:67], v[64:65] neg_lo:[0,1] neg_hi:[0,1]
	s_mov_b32 s8, 0x3f317218
	v_add_f32_e32 v49, v53, v49
	v_add_f32_e32 v48, v48, v49
	;; [unrolled: 1-line block ×3, first 2 shown]
	v_mul_f32_e32 v53, v70, v49
	v_mul_f32_e32 v54, v69, v53
	v_fma_f32 v64, v53, v69, -v54
	v_fmac_f32_e32 v64, v53, v3
	v_sub_f32_e32 v3, v55, v49
	v_add_f32_e32 v3, v48, v3
	v_add_f32_e32 v48, v54, v64
	v_sub_f32_e32 v55, v49, v48
	v_pk_add_f32 v[66:67], v[48:49], v[54:55] neg_lo:[0,1] neg_hi:[0,1]
	v_mov_b32_e32 v65, v48
	v_pk_add_f32 v[48:49], v[66:67], v[64:65] neg_lo:[0,1] neg_hi:[0,1]
	v_cvt_f32_i32_e32 v54, v68
	v_add_f32_e32 v3, v3, v49
	v_add_f32_e32 v3, v48, v3
	;; [unrolled: 1-line block ×4, first 2 shown]
	v_sub_f32_e32 v49, v48, v71
	v_mul_f32_e32 v3, v70, v3
	v_sub_f32_e32 v49, v53, v49
	v_add_f32_e32 v3, v49, v3
	v_add_f32_e32 v53, v48, v3
	v_mul_f32_e32 v55, v53, v53
	v_mov_b32_e32 v49, 0x3ecc95a3
	v_fmac_f32_e32 v49, 0x3e9b6dac, v55
	v_sub_f32_e32 v48, v53, v48
	v_fmaak_f32 v49, v55, v49, 0x3f2aaada
	v_sub_f32_e32 v3, v3, v48
	v_mul_f32_e32 v55, v53, v55
	v_mov_b32_e32 v48, 0x3f317218
	v_pk_mul_f32 v[48:49], v[54:55], v[48:49]
	v_ldexp_f32 v65, v53, 1
	v_fma_f32 v53, v54, s8, -v48
	v_fmamk_f32 v64, v54, 0xb102e308, v53
	v_pk_add_f32 v[54:55], v[48:49], v[64:65]
	v_ldexp_f32 v3, v3, 1
	v_sub_f32_e32 v53, v55, v65
	v_sub_f32_e32 v53, v49, v53
	v_add_f32_e32 v67, v3, v53
	v_mov_b32_e32 v66, v48
	v_pk_add_f32 v[48:49], v[54:55], v[48:49] neg_lo:[0,1] neg_hi:[0,1]
	v_pk_add_f32 v[68:69], v[54:55], v[66:67]
	v_mov_b32_e32 v65, v54
	v_mov_b32_e32 v49, v69
	v_pk_add_f32 v[70:71], v[64:65], v[48:49] neg_lo:[0,1] neg_hi:[0,1]
	v_pk_add_f32 v[48:49], v[64:65], v[48:49]
	v_mov_b32_e32 v66, v67
	v_mov_b32_e32 v64, v49
	v_pk_add_f32 v[80:81], v[64:65], v[54:55] neg_lo:[0,1] neg_hi:[0,1]
	v_mov_b32_e32 v48, v69
	v_mov_b32_e32 v3, v80
	v_pk_add_f32 v[82:83], v[68:69], v[2:3] neg_lo:[0,1] neg_hi:[0,1]
	v_mov_b32_e32 v68, v55
	v_mov_b32_e32 v69, v80
	;; [unrolled: 1-line block ×3, first 2 shown]
	v_pk_add_f32 v[48:49], v[48:49], v[68:69] neg_lo:[0,1] neg_hi:[0,1]
	v_mov_b32_e32 v67, v54
	v_pk_add_f32 v[48:49], v[66:67], v[48:49] neg_lo:[0,1] neg_hi:[0,1]
	v_mov_b32_e32 v82, v70
	v_pk_add_f32 v[54:55], v[82:83], v[48:49]
	v_cmp_eq_f32_e64 s[8:9], s12, v7
	v_mov_b32_e32 v66, v55
	v_pk_add_f32 v[66:67], v[54:55], v[66:67]
	s_mov_b32 s12, 0x33800000
	v_pk_add_f32 v[64:65], v[64:65], v[66:67]
	v_mov_b32_e32 v49, v66
	v_mov_b32_e32 v55, v64
	v_pk_add_f32 v[68:69], v[54:55], v[70:71] neg_lo:[0,1] neg_hi:[0,1]
	v_cmp_lt_f32_e64 s[12:13], |v7|, s12
	v_sub_f32_e32 v3, v54, v68
	v_pk_add_f32 v[48:49], v[48:49], v[68:69] neg_lo:[0,1] neg_hi:[0,1]
	v_sub_f32_e32 v3, v70, v3
	v_add_f32_e32 v3, v48, v3
	v_add_f32_e32 v3, v3, v49
	;; [unrolled: 1-line block ×3, first 2 shown]
	s_or_b64 s[8:9], s[8:9], s[12:13]
	v_cndmask_b32_e64 v3, v3, v7, s[8:9]
	v_add_f32_e32 v53, v2, v3
.LBB161_276:
	s_or_b64 exec, exec, s[10:11]
	v_max_f32_e32 v7, v19, v19
	v_max_f32_e32 v2, v53, v53
	v_min_f32_e32 v3, v2, v7
	v_cmp_u_f32_e64 s[10:11], v53, v53
	v_max_f32_e32 v2, v2, v7
	v_cmp_u_f32_e64 s[8:9], v19, v19
	v_cndmask_b32_e64 v3, v3, v53, s[10:11]
	v_cndmask_b32_e64 v2, v2, v53, s[10:11]
	;; [unrolled: 1-line block ×4, first 2 shown]
	s_movk_i32 s14, 0x1f8
	v_cmp_neq_f32_e64 s[10:11], v3, v2
	v_cmp_class_f32_e64 s[12:13], v3, s14
	s_or_b64 s[10:11], s[10:11], s[12:13]
	s_and_saveexec_b64 s[12:13], s[10:11]
	s_cbranch_execz .LBB161_278
; %bb.277:
	v_sub_f32_e32 v3, v3, v2
	s_mov_b32 s10, 0x3fb8aa3b
	v_mul_f32_e32 v48, 0x3fb8aa3b, v3
	v_fma_f32 v49, v3, s10, -v48
	v_rndne_f32_e32 v53, v48
	v_fmamk_f32 v49, v3, 0x32a5705f, v49
	v_sub_f32_e32 v48, v48, v53
	v_add_f32_e32 v48, v48, v49
	v_exp_f32_e32 v48, v48
	v_cvt_i32_f32_e32 v49, v53
	s_mov_b32 s10, 0xc2ce8ed0
	v_cmp_ngt_f32_e64 s[10:11], s10, v3
	s_mov_b32 s15, 0x7f800000
	v_ldexp_f32 v48, v48, v49
	v_cndmask_b32_e64 v48, 0, v48, s[10:11]
	s_mov_b32 s10, 0x42b17218
	v_mov_b32_e32 v49, 0x7f800000
	v_cmp_nlt_f32_e64 s[10:11], s10, v3
	s_nop 1
	v_cndmask_b32_e64 v53, v49, v48, s[10:11]
	v_add_f32_e32 v3, 1.0, v53
	v_add_f32_e32 v48, -1.0, v3
	v_sub_f32_e32 v49, v48, v3
	v_add_f32_e32 v49, 1.0, v49
	v_sub_f32_e32 v48, v53, v48
	v_add_f32_e32 v54, v48, v49
	v_frexp_mant_f32_e32 v55, v3
	s_mov_b32 s10, 0x3f2aaaab
	v_cvt_f64_f32_e32 v[48:49], v3
	v_frexp_exp_i32_f64_e32 v48, v[48:49]
	v_cmp_gt_f32_e64 s[10:11], s10, v55
	s_nop 1
	v_subbrev_co_u32_e64 v68, s[10:11], 0, v48, s[10:11]
	v_sub_u32_e32 v48, 0, v68
	v_ldexp_f32 v3, v3, v48
	v_ldexp_f32 v48, v54, v48
	v_add_f32_e32 v54, -1.0, v3
	v_add_f32_e32 v49, 1.0, v54
	v_sub_f32_e32 v49, v3, v49
	v_add_f32_e32 v55, v48, v49
	v_add_f32_e32 v49, 1.0, v3
	v_add_f32_e32 v64, -1.0, v49
	v_sub_f32_e32 v3, v3, v64
	v_add_f32_e32 v3, v48, v3
	v_add_f32_e32 v69, v49, v3
	v_rcp_f32_e32 v70, v69
	v_sub_f32_e32 v48, v49, v69
	v_add_f32_e32 v49, v54, v55
	v_add_f32_e32 v3, v3, v48
	v_mul_f32_e32 v80, v49, v70
	v_sub_f32_e32 v48, v54, v49
	v_mul_f32_e32 v54, v69, v80
	v_fma_f32 v64, v80, v69, -v54
	v_fmac_f32_e32 v64, v80, v3
	v_add_f32_e32 v71, v55, v48
	v_add_f32_e32 v48, v54, v64
	v_sub_f32_e32 v55, v49, v48
	v_pk_add_f32 v[66:67], v[48:49], v[54:55] neg_lo:[0,1] neg_hi:[0,1]
	v_mov_b32_e32 v65, v48
	v_pk_add_f32 v[48:49], v[66:67], v[64:65] neg_lo:[0,1] neg_hi:[0,1]
	s_mov_b32 s10, 0x3f317218
	v_add_f32_e32 v49, v71, v49
	v_add_f32_e32 v48, v48, v49
	;; [unrolled: 1-line block ×3, first 2 shown]
	v_mul_f32_e32 v71, v70, v49
	v_mul_f32_e32 v54, v69, v71
	v_fma_f32 v64, v71, v69, -v54
	v_fmac_f32_e32 v64, v71, v3
	v_sub_f32_e32 v3, v55, v49
	v_add_f32_e32 v3, v48, v3
	v_add_f32_e32 v48, v54, v64
	v_sub_f32_e32 v55, v49, v48
	v_pk_add_f32 v[66:67], v[48:49], v[54:55] neg_lo:[0,1] neg_hi:[0,1]
	v_mov_b32_e32 v65, v48
	v_pk_add_f32 v[48:49], v[66:67], v[64:65] neg_lo:[0,1] neg_hi:[0,1]
	v_cvt_f32_i32_e32 v54, v68
	v_add_f32_e32 v3, v3, v49
	v_add_f32_e32 v3, v48, v3
	;; [unrolled: 1-line block ×4, first 2 shown]
	v_sub_f32_e32 v49, v48, v80
	v_mul_f32_e32 v3, v70, v3
	v_sub_f32_e32 v49, v71, v49
	v_add_f32_e32 v3, v49, v3
	v_add_f32_e32 v55, v48, v3
	v_mul_f32_e32 v64, v55, v55
	v_mov_b32_e32 v49, 0x3ecc95a3
	v_fmac_f32_e32 v49, 0x3e9b6dac, v64
	v_sub_f32_e32 v48, v55, v48
	v_fmaak_f32 v49, v64, v49, 0x3f2aaada
	v_sub_f32_e32 v3, v3, v48
	v_ldexp_f32 v65, v55, 1
	v_mul_f32_e32 v55, v55, v64
	v_mov_b32_e32 v48, 0x3f317218
	v_pk_mul_f32 v[48:49], v[54:55], v[48:49]
	v_ldexp_f32 v3, v3, 1
	v_fma_f32 v55, v54, s10, -v48
	v_fmamk_f32 v64, v54, 0xb102e308, v55
	v_pk_add_f32 v[54:55], v[48:49], v[64:65]
	v_mov_b32_e32 v66, v48
	v_sub_f32_e32 v65, v55, v65
	v_sub_f32_e32 v65, v49, v65
	v_add_f32_e32 v67, v3, v65
	v_pk_add_f32 v[48:49], v[54:55], v[48:49] neg_lo:[0,1] neg_hi:[0,1]
	v_pk_add_f32 v[68:69], v[54:55], v[66:67]
	v_mov_b32_e32 v65, v54
	v_mov_b32_e32 v49, v69
	v_pk_add_f32 v[70:71], v[64:65], v[48:49] neg_lo:[0,1] neg_hi:[0,1]
	v_pk_add_f32 v[48:49], v[64:65], v[48:49]
	v_mov_b32_e32 v66, v67
	v_mov_b32_e32 v64, v49
	v_pk_add_f32 v[80:81], v[64:65], v[54:55] neg_lo:[0,1] neg_hi:[0,1]
	v_mov_b32_e32 v48, v69
	v_mov_b32_e32 v3, v80
	v_pk_add_f32 v[82:83], v[68:69], v[2:3] neg_lo:[0,1] neg_hi:[0,1]
	v_mov_b32_e32 v68, v55
	v_mov_b32_e32 v69, v80
	v_mov_b32_e32 v71, v49
	v_pk_add_f32 v[48:49], v[48:49], v[68:69] neg_lo:[0,1] neg_hi:[0,1]
	v_mov_b32_e32 v67, v54
	v_pk_add_f32 v[48:49], v[66:67], v[48:49] neg_lo:[0,1] neg_hi:[0,1]
	v_mov_b32_e32 v82, v70
	v_pk_add_f32 v[54:55], v[82:83], v[48:49]
	v_cmp_eq_f32_e64 s[10:11], s15, v53
	v_mov_b32_e32 v66, v55
	v_pk_add_f32 v[66:67], v[54:55], v[66:67]
	s_mov_b32 s15, 0x33800000
	v_pk_add_f32 v[64:65], v[64:65], v[66:67]
	v_mov_b32_e32 v49, v66
	v_mov_b32_e32 v55, v64
	v_pk_add_f32 v[68:69], v[54:55], v[70:71] neg_lo:[0,1] neg_hi:[0,1]
	v_cmp_lt_f32_e64 s[16:17], |v53|, s15
	v_sub_f32_e32 v3, v54, v68
	v_pk_add_f32 v[48:49], v[48:49], v[68:69] neg_lo:[0,1] neg_hi:[0,1]
	v_sub_f32_e32 v3, v70, v3
	v_add_f32_e32 v3, v48, v3
	v_add_f32_e32 v3, v3, v49
	;; [unrolled: 1-line block ×3, first 2 shown]
	s_or_b64 s[10:11], s[10:11], s[16:17]
	v_cndmask_b32_e64 v3, v3, v53, s[10:11]
	v_add_f32_e32 v53, v2, v3
.LBB161_278:
	s_or_b64 exec, exec, s[12:13]
	v_max_f32_e32 v48, v36, v36
	v_max_f32_e32 v2, v53, v53
	v_min_f32_e32 v3, v2, v48
	v_cmp_u_f32_e64 s[12:13], v53, v53
	v_max_f32_e32 v2, v2, v48
	v_cmp_u_f32_e64 s[10:11], v36, v36
	v_cndmask_b32_e64 v3, v3, v53, s[12:13]
	v_cndmask_b32_e64 v2, v2, v53, s[12:13]
	;; [unrolled: 1-line block ×4, first 2 shown]
	v_cmp_neq_f32_e64 s[12:13], v3, v2
	v_cmp_class_f32_e64 s[14:15], v3, s14
	s_or_b64 s[12:13], s[12:13], s[14:15]
	s_and_saveexec_b64 s[14:15], s[12:13]
	s_cbranch_execz .LBB161_280
; %bb.279:
	v_sub_f32_e32 v3, v3, v2
	s_mov_b32 s12, 0x3fb8aa3b
	v_mul_f32_e32 v49, 0x3fb8aa3b, v3
	v_fma_f32 v53, v3, s12, -v49
	v_rndne_f32_e32 v54, v49
	v_fmamk_f32 v53, v3, 0x32a5705f, v53
	v_sub_f32_e32 v49, v49, v54
	v_add_f32_e32 v49, v49, v53
	v_exp_f32_e32 v49, v49
	v_cvt_i32_f32_e32 v53, v54
	s_mov_b32 s12, 0xc2ce8ed0
	v_cmp_ngt_f32_e64 s[12:13], s12, v3
	s_mov_b32 s16, 0x7f800000
	v_ldexp_f32 v49, v49, v53
	v_cndmask_b32_e64 v49, 0, v49, s[12:13]
	s_mov_b32 s12, 0x42b17218
	v_mov_b32_e32 v53, 0x7f800000
	v_cmp_nlt_f32_e64 s[12:13], s12, v3
	s_nop 1
	v_cndmask_b32_e64 v49, v53, v49, s[12:13]
	v_add_f32_e32 v3, 1.0, v49
	v_add_f32_e32 v53, -1.0, v3
	v_sub_f32_e32 v54, v53, v3
	v_add_f32_e32 v54, 1.0, v54
	v_sub_f32_e32 v53, v49, v53
	v_add_f32_e32 v53, v53, v54
	v_frexp_mant_f32_e32 v64, v3
	s_mov_b32 s12, 0x3f2aaaab
	v_cvt_f64_f32_e32 v[54:55], v3
	v_frexp_exp_i32_f64_e32 v54, v[54:55]
	v_cmp_gt_f32_e64 s[12:13], s12, v64
	s_nop 1
	v_subbrev_co_u32_e64 v70, s[12:13], 0, v54, s[12:13]
	v_sub_u32_e32 v54, 0, v70
	v_ldexp_f32 v3, v3, v54
	v_ldexp_f32 v53, v53, v54
	v_add_f32_e32 v54, -1.0, v3
	v_add_f32_e32 v55, 1.0, v54
	v_sub_f32_e32 v55, v3, v55
	v_add_f32_e32 v64, v53, v55
	v_add_f32_e32 v55, 1.0, v3
	v_add_f32_e32 v65, -1.0, v55
	v_sub_f32_e32 v3, v3, v65
	v_add_f32_e32 v3, v53, v3
	v_add_f32_e32 v53, v55, v3
	v_rcp_f32_e32 v71, v53
	v_sub_f32_e32 v55, v55, v53
	v_add_f32_e32 v3, v3, v55
	v_add_f32_e32 v55, v54, v64
	v_sub_f32_e32 v54, v54, v55
	v_mul_f32_e32 v81, v55, v71
	v_add_f32_e32 v80, v64, v54
	v_mul_f32_e32 v64, v53, v81
	v_fma_f32 v66, v81, v53, -v64
	v_fmac_f32_e32 v66, v81, v3
	v_add_f32_e32 v54, v64, v66
	v_sub_f32_e32 v65, v55, v54
	v_pk_add_f32 v[68:69], v[54:55], v[64:65] neg_lo:[0,1] neg_hi:[0,1]
	v_mov_b32_e32 v67, v54
	v_pk_add_f32 v[54:55], v[68:69], v[66:67] neg_lo:[0,1] neg_hi:[0,1]
	s_mov_b32 s12, 0x3f317218
	v_add_f32_e32 v55, v80, v55
	v_add_f32_e32 v54, v54, v55
	;; [unrolled: 1-line block ×3, first 2 shown]
	v_mul_f32_e32 v80, v71, v55
	v_mul_f32_e32 v64, v53, v80
	v_fma_f32 v66, v80, v53, -v64
	v_fmac_f32_e32 v66, v80, v3
	v_sub_f32_e32 v3, v65, v55
	v_add_f32_e32 v3, v54, v3
	v_add_f32_e32 v54, v64, v66
	v_sub_f32_e32 v65, v55, v54
	v_pk_add_f32 v[68:69], v[54:55], v[64:65] neg_lo:[0,1] neg_hi:[0,1]
	v_mov_b32_e32 v67, v54
	v_pk_add_f32 v[54:55], v[68:69], v[66:67] neg_lo:[0,1] neg_hi:[0,1]
	v_add_f32_e32 v53, v81, v80
	v_add_f32_e32 v3, v3, v55
	;; [unrolled: 1-line block ×4, first 2 shown]
	v_sub_f32_e32 v54, v53, v81
	v_mul_f32_e32 v3, v71, v3
	v_sub_f32_e32 v54, v80, v54
	v_add_f32_e32 v3, v54, v3
	v_add_f32_e32 v54, v53, v3
	v_cvt_f32_i32_e32 v64, v70
	v_mul_f32_e32 v65, v54, v54
	v_mov_b32_e32 v55, 0x3ecc95a3
	v_fmac_f32_e32 v55, 0x3e9b6dac, v65
	v_fmaak_f32 v55, v65, v55, 0x3f2aaada
	v_sub_f32_e32 v53, v54, v53
	v_ldexp_f32 v67, v54, 1
	v_mul_f32_e32 v65, v54, v65
	v_mov_b32_e32 v54, 0x3f317218
	v_pk_mul_f32 v[54:55], v[64:65], v[54:55]
	v_sub_f32_e32 v3, v3, v53
	v_fma_f32 v53, v64, s12, -v54
	v_fmamk_f32 v66, v64, 0xb102e308, v53
	v_pk_add_f32 v[64:65], v[54:55], v[66:67]
	v_ldexp_f32 v3, v3, 1
	v_sub_f32_e32 v53, v65, v67
	v_sub_f32_e32 v53, v55, v53
	v_add_f32_e32 v69, v3, v53
	v_mov_b32_e32 v68, v54
	v_pk_add_f32 v[54:55], v[64:65], v[54:55] neg_lo:[0,1] neg_hi:[0,1]
	v_pk_add_f32 v[70:71], v[64:65], v[68:69]
	v_mov_b32_e32 v67, v64
	v_mov_b32_e32 v55, v71
	v_pk_add_f32 v[80:81], v[66:67], v[54:55] neg_lo:[0,1] neg_hi:[0,1]
	v_pk_add_f32 v[54:55], v[66:67], v[54:55]
	v_mov_b32_e32 v68, v69
	v_mov_b32_e32 v66, v55
	v_pk_add_f32 v[82:83], v[66:67], v[64:65] neg_lo:[0,1] neg_hi:[0,1]
	v_mov_b32_e32 v54, v71
	v_mov_b32_e32 v3, v82
	v_pk_add_f32 v[84:85], v[70:71], v[2:3] neg_lo:[0,1] neg_hi:[0,1]
	v_mov_b32_e32 v70, v65
	v_mov_b32_e32 v71, v82
	;; [unrolled: 1-line block ×3, first 2 shown]
	v_pk_add_f32 v[54:55], v[54:55], v[70:71] neg_lo:[0,1] neg_hi:[0,1]
	v_mov_b32_e32 v69, v64
	v_pk_add_f32 v[54:55], v[68:69], v[54:55] neg_lo:[0,1] neg_hi:[0,1]
	v_mov_b32_e32 v84, v80
	v_pk_add_f32 v[64:65], v[84:85], v[54:55]
	v_cmp_eq_f32_e64 s[12:13], s16, v49
	v_mov_b32_e32 v68, v65
	v_pk_add_f32 v[68:69], v[64:65], v[68:69]
	s_mov_b32 s16, 0x33800000
	v_pk_add_f32 v[66:67], v[66:67], v[68:69]
	v_mov_b32_e32 v55, v68
	v_mov_b32_e32 v65, v66
	v_pk_add_f32 v[70:71], v[64:65], v[80:81] neg_lo:[0,1] neg_hi:[0,1]
	v_cmp_lt_f32_e64 s[16:17], |v49|, s16
	v_sub_f32_e32 v3, v64, v70
	v_pk_add_f32 v[54:55], v[54:55], v[70:71] neg_lo:[0,1] neg_hi:[0,1]
	v_sub_f32_e32 v3, v80, v3
	v_add_f32_e32 v3, v54, v3
	v_add_f32_e32 v3, v3, v55
	;; [unrolled: 1-line block ×3, first 2 shown]
	s_or_b64 s[12:13], s[12:13], s[16:17]
	v_cndmask_b32_e64 v3, v3, v49, s[12:13]
	v_add_f32_e32 v53, v2, v3
.LBB161_280:
	s_or_b64 exec, exec, s[14:15]
	v_max_f32_e32 v49, v37, v37
	v_max_f32_e32 v2, v53, v53
	v_min_f32_e32 v3, v2, v49
	v_cmp_u_f32_e64 s[14:15], v53, v53
	v_max_f32_e32 v2, v2, v49
	v_cmp_u_f32_e64 s[12:13], v37, v37
	v_cndmask_b32_e64 v3, v3, v53, s[14:15]
	v_cndmask_b32_e64 v2, v2, v53, s[14:15]
	;; [unrolled: 1-line block ×4, first 2 shown]
	s_movk_i32 s18, 0x1f8
	v_cmp_neq_f32_e64 s[14:15], v3, v2
	v_cmp_class_f32_e64 s[16:17], v3, s18
	s_or_b64 s[14:15], s[14:15], s[16:17]
	s_and_saveexec_b64 s[16:17], s[14:15]
	s_cbranch_execz .LBB161_282
; %bb.281:
	v_sub_f32_e32 v3, v3, v2
	s_mov_b32 s14, 0x3fb8aa3b
	v_mul_f32_e32 v53, 0x3fb8aa3b, v3
	v_fma_f32 v54, v3, s14, -v53
	v_rndne_f32_e32 v55, v53
	v_fmamk_f32 v54, v3, 0x32a5705f, v54
	v_sub_f32_e32 v53, v53, v55
	v_add_f32_e32 v53, v53, v54
	v_exp_f32_e32 v53, v53
	v_cvt_i32_f32_e32 v54, v55
	s_mov_b32 s14, 0xc2ce8ed0
	v_cmp_ngt_f32_e64 s[14:15], s14, v3
	s_mov_b32 s19, 0x7f800000
	v_ldexp_f32 v53, v53, v54
	v_cndmask_b32_e64 v53, 0, v53, s[14:15]
	s_mov_b32 s14, 0x42b17218
	v_mov_b32_e32 v54, 0x7f800000
	v_cmp_nlt_f32_e64 s[14:15], s14, v3
	s_nop 1
	v_cndmask_b32_e64 v53, v54, v53, s[14:15]
	v_add_f32_e32 v3, 1.0, v53
	v_add_f32_e32 v54, -1.0, v3
	v_sub_f32_e32 v55, v54, v3
	v_add_f32_e32 v55, 1.0, v55
	v_sub_f32_e32 v54, v53, v54
	v_add_f32_e32 v64, v54, v55
	v_frexp_mant_f32_e32 v65, v3
	s_mov_b32 s14, 0x3f2aaaab
	v_cvt_f64_f32_e32 v[54:55], v3
	v_frexp_exp_i32_f64_e32 v54, v[54:55]
	v_cmp_gt_f32_e64 s[14:15], s14, v65
	s_nop 1
	v_subbrev_co_u32_e64 v70, s[14:15], 0, v54, s[14:15]
	v_sub_u32_e32 v54, 0, v70
	v_ldexp_f32 v3, v3, v54
	v_ldexp_f32 v54, v64, v54
	v_add_f32_e32 v64, -1.0, v3
	v_add_f32_e32 v55, 1.0, v64
	v_sub_f32_e32 v55, v3, v55
	v_add_f32_e32 v65, v54, v55
	v_add_f32_e32 v55, 1.0, v3
	v_add_f32_e32 v66, -1.0, v55
	v_sub_f32_e32 v3, v3, v66
	v_add_f32_e32 v3, v54, v3
	v_add_f32_e32 v71, v55, v3
	v_rcp_f32_e32 v80, v71
	v_sub_f32_e32 v54, v55, v71
	v_add_f32_e32 v55, v64, v65
	v_add_f32_e32 v3, v3, v54
	v_mul_f32_e32 v82, v55, v80
	v_sub_f32_e32 v54, v64, v55
	v_mul_f32_e32 v64, v71, v82
	v_fma_f32 v66, v82, v71, -v64
	v_fmac_f32_e32 v66, v82, v3
	v_add_f32_e32 v81, v65, v54
	v_add_f32_e32 v54, v64, v66
	v_sub_f32_e32 v65, v55, v54
	v_pk_add_f32 v[68:69], v[54:55], v[64:65] neg_lo:[0,1] neg_hi:[0,1]
	v_mov_b32_e32 v67, v54
	v_pk_add_f32 v[54:55], v[68:69], v[66:67] neg_lo:[0,1] neg_hi:[0,1]
	s_mov_b32 s14, 0x3f317218
	v_add_f32_e32 v55, v81, v55
	v_add_f32_e32 v54, v54, v55
	;; [unrolled: 1-line block ×3, first 2 shown]
	v_mul_f32_e32 v81, v80, v55
	v_mul_f32_e32 v64, v71, v81
	v_fma_f32 v66, v81, v71, -v64
	v_fmac_f32_e32 v66, v81, v3
	v_sub_f32_e32 v3, v65, v55
	v_add_f32_e32 v3, v54, v3
	v_add_f32_e32 v54, v64, v66
	v_sub_f32_e32 v65, v55, v54
	v_pk_add_f32 v[68:69], v[54:55], v[64:65] neg_lo:[0,1] neg_hi:[0,1]
	v_mov_b32_e32 v67, v54
	v_pk_add_f32 v[54:55], v[68:69], v[66:67] neg_lo:[0,1] neg_hi:[0,1]
	v_cvt_f32_i32_e32 v64, v70
	v_add_f32_e32 v3, v3, v55
	v_add_f32_e32 v3, v54, v3
	;; [unrolled: 1-line block ×4, first 2 shown]
	v_sub_f32_e32 v55, v54, v82
	v_mul_f32_e32 v3, v80, v3
	v_sub_f32_e32 v55, v81, v55
	v_add_f32_e32 v3, v55, v3
	v_add_f32_e32 v65, v54, v3
	v_mul_f32_e32 v66, v65, v65
	v_mov_b32_e32 v55, 0x3ecc95a3
	v_fmac_f32_e32 v55, 0x3e9b6dac, v66
	v_sub_f32_e32 v54, v65, v54
	v_fmaak_f32 v55, v66, v55, 0x3f2aaada
	v_sub_f32_e32 v3, v3, v54
	v_ldexp_f32 v67, v65, 1
	v_mul_f32_e32 v65, v65, v66
	v_mov_b32_e32 v54, 0x3f317218
	v_pk_mul_f32 v[54:55], v[64:65], v[54:55]
	v_ldexp_f32 v3, v3, 1
	v_fma_f32 v65, v64, s14, -v54
	v_fmamk_f32 v66, v64, 0xb102e308, v65
	v_pk_add_f32 v[64:65], v[54:55], v[66:67]
	v_mov_b32_e32 v68, v54
	v_sub_f32_e32 v67, v65, v67
	v_sub_f32_e32 v67, v55, v67
	v_add_f32_e32 v69, v3, v67
	v_pk_add_f32 v[54:55], v[64:65], v[54:55] neg_lo:[0,1] neg_hi:[0,1]
	v_pk_add_f32 v[70:71], v[64:65], v[68:69]
	v_mov_b32_e32 v67, v64
	v_mov_b32_e32 v55, v71
	v_pk_add_f32 v[80:81], v[66:67], v[54:55] neg_lo:[0,1] neg_hi:[0,1]
	v_pk_add_f32 v[54:55], v[66:67], v[54:55]
	v_mov_b32_e32 v68, v69
	v_mov_b32_e32 v66, v55
	v_pk_add_f32 v[82:83], v[66:67], v[64:65] neg_lo:[0,1] neg_hi:[0,1]
	v_mov_b32_e32 v54, v71
	v_mov_b32_e32 v3, v82
	v_pk_add_f32 v[84:85], v[70:71], v[2:3] neg_lo:[0,1] neg_hi:[0,1]
	v_mov_b32_e32 v70, v65
	v_mov_b32_e32 v71, v82
	;; [unrolled: 1-line block ×3, first 2 shown]
	v_pk_add_f32 v[54:55], v[54:55], v[70:71] neg_lo:[0,1] neg_hi:[0,1]
	v_mov_b32_e32 v69, v64
	v_pk_add_f32 v[54:55], v[68:69], v[54:55] neg_lo:[0,1] neg_hi:[0,1]
	v_mov_b32_e32 v84, v80
	v_pk_add_f32 v[64:65], v[84:85], v[54:55]
	v_cmp_eq_f32_e64 s[14:15], s19, v53
	v_mov_b32_e32 v68, v65
	v_pk_add_f32 v[68:69], v[64:65], v[68:69]
	s_mov_b32 s19, 0x33800000
	v_pk_add_f32 v[66:67], v[66:67], v[68:69]
	v_mov_b32_e32 v55, v68
	v_mov_b32_e32 v65, v66
	v_pk_add_f32 v[70:71], v[64:65], v[80:81] neg_lo:[0,1] neg_hi:[0,1]
	v_cmp_lt_f32_e64 s[20:21], |v53|, s19
	v_sub_f32_e32 v3, v64, v70
	v_pk_add_f32 v[54:55], v[54:55], v[70:71] neg_lo:[0,1] neg_hi:[0,1]
	v_sub_f32_e32 v3, v80, v3
	v_add_f32_e32 v3, v54, v3
	v_add_f32_e32 v3, v3, v55
	;; [unrolled: 1-line block ×3, first 2 shown]
	s_or_b64 s[14:15], s[14:15], s[20:21]
	v_cndmask_b32_e64 v3, v3, v53, s[14:15]
	v_add_f32_e32 v53, v2, v3
.LBB161_282:
	s_or_b64 exec, exec, s[16:17]
	v_max_f32_e32 v54, v38, v38
	v_max_f32_e32 v2, v53, v53
	v_min_f32_e32 v3, v2, v54
	v_cmp_u_f32_e64 s[16:17], v53, v53
	v_max_f32_e32 v2, v2, v54
	v_cmp_u_f32_e64 s[14:15], v38, v38
	v_cndmask_b32_e64 v3, v3, v53, s[16:17]
	v_cndmask_b32_e64 v2, v2, v53, s[16:17]
	;; [unrolled: 1-line block ×4, first 2 shown]
	v_cmp_neq_f32_e64 s[16:17], v3, v2
	v_cmp_class_f32_e64 s[18:19], v3, s18
	s_or_b64 s[16:17], s[16:17], s[18:19]
	s_and_saveexec_b64 s[18:19], s[16:17]
	s_cbranch_execz .LBB161_284
; %bb.283:
	v_sub_f32_e32 v3, v3, v2
	s_mov_b32 s16, 0x3fb8aa3b
	v_mul_f32_e32 v53, 0x3fb8aa3b, v3
	v_fma_f32 v55, v3, s16, -v53
	v_rndne_f32_e32 v64, v53
	v_fmamk_f32 v55, v3, 0x32a5705f, v55
	v_sub_f32_e32 v53, v53, v64
	v_add_f32_e32 v53, v53, v55
	v_exp_f32_e32 v53, v53
	v_cvt_i32_f32_e32 v55, v64
	s_mov_b32 s16, 0xc2ce8ed0
	v_cmp_ngt_f32_e64 s[16:17], s16, v3
	s_mov_b32 s20, 0x7f800000
	v_ldexp_f32 v53, v53, v55
	v_cndmask_b32_e64 v53, 0, v53, s[16:17]
	s_mov_b32 s16, 0x42b17218
	v_mov_b32_e32 v55, 0x7f800000
	v_cmp_nlt_f32_e64 s[16:17], s16, v3
	s_nop 1
	v_cndmask_b32_e64 v53, v55, v53, s[16:17]
	v_add_f32_e32 v3, 1.0, v53
	v_add_f32_e32 v55, -1.0, v3
	v_sub_f32_e32 v64, v55, v3
	v_add_f32_e32 v64, 1.0, v64
	v_sub_f32_e32 v55, v53, v55
	v_add_f32_e32 v55, v55, v64
	v_frexp_mant_f32_e32 v66, v3
	s_mov_b32 s16, 0x3f2aaaab
	v_cvt_f64_f32_e32 v[64:65], v3
	v_frexp_exp_i32_f64_e32 v64, v[64:65]
	v_cmp_gt_f32_e64 s[16:17], s16, v66
	s_nop 1
	v_subbrev_co_u32_e64 v80, s[16:17], 0, v64, s[16:17]
	v_sub_u32_e32 v64, 0, v80
	v_ldexp_f32 v3, v3, v64
	v_ldexp_f32 v55, v55, v64
	v_add_f32_e32 v64, -1.0, v3
	v_add_f32_e32 v65, 1.0, v64
	v_sub_f32_e32 v65, v3, v65
	v_add_f32_e32 v66, v55, v65
	v_add_f32_e32 v65, 1.0, v3
	v_add_f32_e32 v67, -1.0, v65
	v_sub_f32_e32 v3, v3, v67
	v_add_f32_e32 v3, v55, v3
	v_add_f32_e32 v55, v65, v3
	v_rcp_f32_e32 v81, v55
	v_sub_f32_e32 v65, v65, v55
	v_add_f32_e32 v3, v3, v65
	v_add_f32_e32 v65, v64, v66
	v_sub_f32_e32 v64, v64, v65
	v_mul_f32_e32 v83, v65, v81
	v_add_f32_e32 v82, v66, v64
	v_mul_f32_e32 v66, v55, v83
	v_fma_f32 v68, v83, v55, -v66
	v_fmac_f32_e32 v68, v83, v3
	v_add_f32_e32 v64, v66, v68
	v_sub_f32_e32 v67, v65, v64
	v_pk_add_f32 v[70:71], v[64:65], v[66:67] neg_lo:[0,1] neg_hi:[0,1]
	v_mov_b32_e32 v69, v64
	v_pk_add_f32 v[64:65], v[70:71], v[68:69] neg_lo:[0,1] neg_hi:[0,1]
	s_mov_b32 s16, 0x3f317218
	v_add_f32_e32 v65, v82, v65
	v_add_f32_e32 v64, v64, v65
	;; [unrolled: 1-line block ×3, first 2 shown]
	v_mul_f32_e32 v82, v81, v65
	v_mul_f32_e32 v66, v55, v82
	v_fma_f32 v68, v82, v55, -v66
	v_fmac_f32_e32 v68, v82, v3
	v_sub_f32_e32 v3, v67, v65
	v_add_f32_e32 v3, v64, v3
	v_add_f32_e32 v64, v66, v68
	v_sub_f32_e32 v67, v65, v64
	v_pk_add_f32 v[70:71], v[64:65], v[66:67] neg_lo:[0,1] neg_hi:[0,1]
	v_mov_b32_e32 v69, v64
	v_pk_add_f32 v[64:65], v[70:71], v[68:69] neg_lo:[0,1] neg_hi:[0,1]
	v_add_f32_e32 v55, v83, v82
	v_add_f32_e32 v3, v3, v65
	v_add_f32_e32 v3, v64, v3
	v_add_f32_e32 v3, v67, v3
	v_sub_f32_e32 v64, v55, v83
	v_mul_f32_e32 v3, v81, v3
	v_sub_f32_e32 v64, v82, v64
	v_add_f32_e32 v3, v64, v3
	v_add_f32_e32 v64, v55, v3
	v_cvt_f32_i32_e32 v66, v80
	v_mul_f32_e32 v67, v64, v64
	v_mov_b32_e32 v65, 0x3ecc95a3
	v_fmac_f32_e32 v65, 0x3e9b6dac, v67
	v_fmaak_f32 v65, v67, v65, 0x3f2aaada
	v_sub_f32_e32 v55, v64, v55
	v_ldexp_f32 v69, v64, 1
	v_mul_f32_e32 v67, v64, v67
	v_mov_b32_e32 v64, 0x3f317218
	v_pk_mul_f32 v[64:65], v[66:67], v[64:65]
	v_sub_f32_e32 v3, v3, v55
	v_fma_f32 v55, v66, s16, -v64
	v_fmamk_f32 v68, v66, 0xb102e308, v55
	v_pk_add_f32 v[66:67], v[64:65], v[68:69]
	v_ldexp_f32 v3, v3, 1
	v_sub_f32_e32 v55, v67, v69
	v_sub_f32_e32 v55, v65, v55
	v_add_f32_e32 v71, v3, v55
	v_mov_b32_e32 v70, v64
	v_pk_add_f32 v[64:65], v[66:67], v[64:65] neg_lo:[0,1] neg_hi:[0,1]
	v_pk_add_f32 v[80:81], v[66:67], v[70:71]
	v_mov_b32_e32 v69, v66
	v_mov_b32_e32 v65, v81
	v_pk_add_f32 v[82:83], v[68:69], v[64:65] neg_lo:[0,1] neg_hi:[0,1]
	v_pk_add_f32 v[64:65], v[68:69], v[64:65]
	v_mov_b32_e32 v70, v71
	v_mov_b32_e32 v68, v65
	v_pk_add_f32 v[84:85], v[68:69], v[66:67] neg_lo:[0,1] neg_hi:[0,1]
	v_mov_b32_e32 v64, v81
	v_mov_b32_e32 v3, v84
	v_pk_add_f32 v[86:87], v[80:81], v[2:3] neg_lo:[0,1] neg_hi:[0,1]
	v_mov_b32_e32 v80, v67
	v_mov_b32_e32 v81, v84
	;; [unrolled: 1-line block ×3, first 2 shown]
	v_pk_add_f32 v[64:65], v[64:65], v[80:81] neg_lo:[0,1] neg_hi:[0,1]
	v_mov_b32_e32 v71, v66
	v_pk_add_f32 v[64:65], v[70:71], v[64:65] neg_lo:[0,1] neg_hi:[0,1]
	v_mov_b32_e32 v86, v82
	v_pk_add_f32 v[66:67], v[86:87], v[64:65]
	v_cmp_eq_f32_e64 s[16:17], s20, v53
	v_mov_b32_e32 v70, v67
	v_pk_add_f32 v[70:71], v[66:67], v[70:71]
	s_mov_b32 s20, 0x33800000
	v_pk_add_f32 v[68:69], v[68:69], v[70:71]
	v_mov_b32_e32 v65, v70
	v_mov_b32_e32 v67, v68
	v_pk_add_f32 v[80:81], v[66:67], v[82:83] neg_lo:[0,1] neg_hi:[0,1]
	v_cmp_lt_f32_e64 s[20:21], |v53|, s20
	v_sub_f32_e32 v3, v66, v80
	v_pk_add_f32 v[64:65], v[64:65], v[80:81] neg_lo:[0,1] neg_hi:[0,1]
	v_sub_f32_e32 v3, v82, v3
	v_add_f32_e32 v3, v64, v3
	v_add_f32_e32 v3, v3, v65
	v_add_f32_e32 v3, v68, v3
	s_or_b64 s[16:17], s[16:17], s[20:21]
	v_cndmask_b32_e64 v3, v3, v53, s[16:17]
	v_add_f32_e32 v53, v2, v3
.LBB161_284:
	s_or_b64 exec, exec, s[18:19]
	v_max_f32_e32 v55, v39, v39
	v_max_f32_e32 v2, v53, v53
	v_min_f32_e32 v3, v2, v55
	v_cmp_u_f32_e64 s[18:19], v53, v53
	v_max_f32_e32 v2, v2, v55
	v_cmp_u_f32_e64 s[16:17], v39, v39
	v_cndmask_b32_e64 v3, v3, v53, s[18:19]
	v_cndmask_b32_e64 v2, v2, v53, s[18:19]
	;; [unrolled: 1-line block ×4, first 2 shown]
	s_movk_i32 s22, 0x1f8
	v_cmp_neq_f32_e64 s[18:19], v3, v2
	v_cmp_class_f32_e64 s[20:21], v3, s22
	s_or_b64 s[18:19], s[18:19], s[20:21]
	s_and_saveexec_b64 s[20:21], s[18:19]
	s_cbranch_execz .LBB161_286
; %bb.285:
	v_sub_f32_e32 v3, v3, v2
	s_mov_b32 s18, 0x3fb8aa3b
	v_mul_f32_e32 v53, 0x3fb8aa3b, v3
	v_fma_f32 v64, v3, s18, -v53
	v_rndne_f32_e32 v65, v53
	v_fmamk_f32 v64, v3, 0x32a5705f, v64
	v_sub_f32_e32 v53, v53, v65
	v_add_f32_e32 v53, v53, v64
	v_exp_f32_e32 v53, v53
	v_cvt_i32_f32_e32 v64, v65
	s_mov_b32 s18, 0xc2ce8ed0
	v_cmp_ngt_f32_e64 s[18:19], s18, v3
	s_mov_b32 s23, 0x7f800000
	v_ldexp_f32 v53, v53, v64
	v_cndmask_b32_e64 v53, 0, v53, s[18:19]
	s_mov_b32 s18, 0x42b17218
	v_mov_b32_e32 v64, 0x7f800000
	v_cmp_nlt_f32_e64 s[18:19], s18, v3
	s_nop 1
	v_cndmask_b32_e64 v53, v64, v53, s[18:19]
	v_add_f32_e32 v3, 1.0, v53
	v_add_f32_e32 v64, -1.0, v3
	v_sub_f32_e32 v65, v64, v3
	v_add_f32_e32 v65, 1.0, v65
	v_sub_f32_e32 v64, v53, v64
	v_add_f32_e32 v66, v64, v65
	v_frexp_mant_f32_e32 v67, v3
	s_mov_b32 s18, 0x3f2aaaab
	v_cvt_f64_f32_e32 v[64:65], v3
	v_frexp_exp_i32_f64_e32 v64, v[64:65]
	v_cmp_gt_f32_e64 s[18:19], s18, v67
	s_nop 1
	v_subbrev_co_u32_e64 v80, s[18:19], 0, v64, s[18:19]
	v_sub_u32_e32 v64, 0, v80
	v_ldexp_f32 v3, v3, v64
	v_ldexp_f32 v64, v66, v64
	v_add_f32_e32 v66, -1.0, v3
	v_add_f32_e32 v65, 1.0, v66
	v_sub_f32_e32 v65, v3, v65
	v_add_f32_e32 v67, v64, v65
	v_add_f32_e32 v65, 1.0, v3
	v_add_f32_e32 v68, -1.0, v65
	v_sub_f32_e32 v3, v3, v68
	v_add_f32_e32 v3, v64, v3
	v_add_f32_e32 v81, v65, v3
	v_rcp_f32_e32 v82, v81
	v_sub_f32_e32 v64, v65, v81
	v_add_f32_e32 v65, v66, v67
	v_add_f32_e32 v3, v3, v64
	v_mul_f32_e32 v84, v65, v82
	v_sub_f32_e32 v64, v66, v65
	v_mul_f32_e32 v66, v81, v84
	v_fma_f32 v68, v84, v81, -v66
	v_fmac_f32_e32 v68, v84, v3
	v_add_f32_e32 v83, v67, v64
	v_add_f32_e32 v64, v66, v68
	v_sub_f32_e32 v67, v65, v64
	v_pk_add_f32 v[70:71], v[64:65], v[66:67] neg_lo:[0,1] neg_hi:[0,1]
	v_mov_b32_e32 v69, v64
	v_pk_add_f32 v[64:65], v[70:71], v[68:69] neg_lo:[0,1] neg_hi:[0,1]
	s_mov_b32 s18, 0x3f317218
	v_add_f32_e32 v65, v83, v65
	v_add_f32_e32 v64, v64, v65
	;; [unrolled: 1-line block ×3, first 2 shown]
	v_mul_f32_e32 v83, v82, v65
	v_mul_f32_e32 v66, v81, v83
	v_fma_f32 v68, v83, v81, -v66
	v_fmac_f32_e32 v68, v83, v3
	v_sub_f32_e32 v3, v67, v65
	v_add_f32_e32 v3, v64, v3
	v_add_f32_e32 v64, v66, v68
	v_sub_f32_e32 v67, v65, v64
	v_pk_add_f32 v[70:71], v[64:65], v[66:67] neg_lo:[0,1] neg_hi:[0,1]
	v_mov_b32_e32 v69, v64
	v_pk_add_f32 v[64:65], v[70:71], v[68:69] neg_lo:[0,1] neg_hi:[0,1]
	v_cvt_f32_i32_e32 v66, v80
	v_add_f32_e32 v3, v3, v65
	v_add_f32_e32 v3, v64, v3
	;; [unrolled: 1-line block ×4, first 2 shown]
	v_sub_f32_e32 v65, v64, v84
	v_mul_f32_e32 v3, v82, v3
	v_sub_f32_e32 v65, v83, v65
	v_add_f32_e32 v3, v65, v3
	v_add_f32_e32 v67, v64, v3
	v_mul_f32_e32 v68, v67, v67
	v_mov_b32_e32 v65, 0x3ecc95a3
	v_fmac_f32_e32 v65, 0x3e9b6dac, v68
	v_sub_f32_e32 v64, v67, v64
	v_fmaak_f32 v65, v68, v65, 0x3f2aaada
	v_sub_f32_e32 v3, v3, v64
	v_ldexp_f32 v69, v67, 1
	v_mul_f32_e32 v67, v67, v68
	v_mov_b32_e32 v64, 0x3f317218
	v_pk_mul_f32 v[64:65], v[66:67], v[64:65]
	v_ldexp_f32 v3, v3, 1
	v_fma_f32 v67, v66, s18, -v64
	v_fmamk_f32 v68, v66, 0xb102e308, v67
	v_pk_add_f32 v[66:67], v[64:65], v[68:69]
	v_mov_b32_e32 v70, v64
	v_sub_f32_e32 v69, v67, v69
	v_sub_f32_e32 v69, v65, v69
	v_add_f32_e32 v71, v3, v69
	v_pk_add_f32 v[64:65], v[66:67], v[64:65] neg_lo:[0,1] neg_hi:[0,1]
	v_pk_add_f32 v[80:81], v[66:67], v[70:71]
	v_mov_b32_e32 v69, v66
	v_mov_b32_e32 v65, v81
	v_pk_add_f32 v[82:83], v[68:69], v[64:65] neg_lo:[0,1] neg_hi:[0,1]
	v_pk_add_f32 v[64:65], v[68:69], v[64:65]
	v_mov_b32_e32 v70, v71
	v_mov_b32_e32 v68, v65
	v_pk_add_f32 v[84:85], v[68:69], v[66:67] neg_lo:[0,1] neg_hi:[0,1]
	v_mov_b32_e32 v64, v81
	v_mov_b32_e32 v3, v84
	v_pk_add_f32 v[86:87], v[80:81], v[2:3] neg_lo:[0,1] neg_hi:[0,1]
	v_mov_b32_e32 v80, v67
	v_mov_b32_e32 v81, v84
	;; [unrolled: 1-line block ×3, first 2 shown]
	v_pk_add_f32 v[64:65], v[64:65], v[80:81] neg_lo:[0,1] neg_hi:[0,1]
	v_mov_b32_e32 v71, v66
	v_pk_add_f32 v[64:65], v[70:71], v[64:65] neg_lo:[0,1] neg_hi:[0,1]
	v_mov_b32_e32 v86, v82
	v_pk_add_f32 v[66:67], v[86:87], v[64:65]
	v_cmp_eq_f32_e64 s[18:19], s23, v53
	v_mov_b32_e32 v70, v67
	v_pk_add_f32 v[70:71], v[66:67], v[70:71]
	s_mov_b32 s23, 0x33800000
	v_pk_add_f32 v[68:69], v[68:69], v[70:71]
	v_mov_b32_e32 v65, v70
	v_mov_b32_e32 v67, v68
	v_pk_add_f32 v[80:81], v[66:67], v[82:83] neg_lo:[0,1] neg_hi:[0,1]
	v_cmp_lt_f32_e64 s[24:25], |v53|, s23
	v_sub_f32_e32 v3, v66, v80
	v_pk_add_f32 v[64:65], v[64:65], v[80:81] neg_lo:[0,1] neg_hi:[0,1]
	v_sub_f32_e32 v3, v82, v3
	v_add_f32_e32 v3, v64, v3
	v_add_f32_e32 v3, v3, v65
	;; [unrolled: 1-line block ×3, first 2 shown]
	s_or_b64 s[18:19], s[18:19], s[24:25]
	v_cndmask_b32_e64 v3, v3, v53, s[18:19]
	v_add_f32_e32 v53, v2, v3
.LBB161_286:
	s_or_b64 exec, exec, s[20:21]
	v_max_f32_e32 v64, v32, v32
	v_max_f32_e32 v2, v53, v53
	v_min_f32_e32 v3, v2, v64
	v_cmp_u_f32_e64 s[20:21], v53, v53
	v_max_f32_e32 v2, v2, v64
	v_cmp_u_f32_e64 s[18:19], v32, v32
	v_cndmask_b32_e64 v3, v3, v53, s[20:21]
	v_cndmask_b32_e64 v2, v2, v53, s[20:21]
	v_cndmask_b32_e64 v3, v3, v32, s[18:19]
	v_cndmask_b32_e64 v2, v2, v32, s[18:19]
	v_cmp_neq_f32_e64 s[20:21], v3, v2
	v_cmp_class_f32_e64 s[22:23], v3, s22
	s_or_b64 s[20:21], s[20:21], s[22:23]
	s_and_saveexec_b64 s[22:23], s[20:21]
	s_cbranch_execz .LBB161_288
; %bb.287:
	v_sub_f32_e32 v3, v3, v2
	s_mov_b32 s20, 0x3fb8aa3b
	v_mul_f32_e32 v53, 0x3fb8aa3b, v3
	v_fma_f32 v65, v3, s20, -v53
	v_rndne_f32_e32 v66, v53
	v_fmamk_f32 v65, v3, 0x32a5705f, v65
	v_sub_f32_e32 v53, v53, v66
	v_add_f32_e32 v53, v53, v65
	v_exp_f32_e32 v53, v53
	v_cvt_i32_f32_e32 v65, v66
	s_mov_b32 s20, 0xc2ce8ed0
	v_cmp_ngt_f32_e64 s[20:21], s20, v3
	s_mov_b32 s24, 0x7f800000
	v_ldexp_f32 v53, v53, v65
	v_cndmask_b32_e64 v53, 0, v53, s[20:21]
	s_mov_b32 s20, 0x42b17218
	v_mov_b32_e32 v65, 0x7f800000
	v_cmp_nlt_f32_e64 s[20:21], s20, v3
	s_nop 1
	v_cndmask_b32_e64 v53, v65, v53, s[20:21]
	v_add_f32_e32 v3, 1.0, v53
	v_add_f32_e32 v65, -1.0, v3
	v_sub_f32_e32 v66, v65, v3
	v_add_f32_e32 v66, 1.0, v66
	v_sub_f32_e32 v65, v53, v65
	v_add_f32_e32 v65, v65, v66
	v_frexp_mant_f32_e32 v68, v3
	s_mov_b32 s20, 0x3f2aaaab
	v_cvt_f64_f32_e32 v[66:67], v3
	v_frexp_exp_i32_f64_e32 v66, v[66:67]
	v_cmp_gt_f32_e64 s[20:21], s20, v68
	s_nop 1
	v_subbrev_co_u32_e64 v82, s[20:21], 0, v66, s[20:21]
	v_sub_u32_e32 v66, 0, v82
	v_ldexp_f32 v3, v3, v66
	v_ldexp_f32 v65, v65, v66
	v_add_f32_e32 v66, -1.0, v3
	v_add_f32_e32 v67, 1.0, v66
	v_sub_f32_e32 v67, v3, v67
	v_add_f32_e32 v68, v65, v67
	v_add_f32_e32 v67, 1.0, v3
	v_add_f32_e32 v69, -1.0, v67
	v_sub_f32_e32 v3, v3, v69
	v_add_f32_e32 v3, v65, v3
	v_add_f32_e32 v65, v67, v3
	v_rcp_f32_e32 v83, v65
	v_sub_f32_e32 v67, v67, v65
	v_add_f32_e32 v3, v3, v67
	v_add_f32_e32 v67, v66, v68
	v_sub_f32_e32 v66, v66, v67
	v_mul_f32_e32 v85, v67, v83
	v_add_f32_e32 v84, v68, v66
	v_mul_f32_e32 v68, v65, v85
	v_fma_f32 v70, v85, v65, -v68
	v_fmac_f32_e32 v70, v85, v3
	v_add_f32_e32 v66, v68, v70
	v_sub_f32_e32 v69, v67, v66
	v_pk_add_f32 v[80:81], v[66:67], v[68:69] neg_lo:[0,1] neg_hi:[0,1]
	v_mov_b32_e32 v71, v66
	v_pk_add_f32 v[66:67], v[80:81], v[70:71] neg_lo:[0,1] neg_hi:[0,1]
	s_mov_b32 s20, 0x3f317218
	v_add_f32_e32 v67, v84, v67
	v_add_f32_e32 v66, v66, v67
	;; [unrolled: 1-line block ×3, first 2 shown]
	v_mul_f32_e32 v84, v83, v67
	v_mul_f32_e32 v68, v65, v84
	v_fma_f32 v70, v84, v65, -v68
	v_fmac_f32_e32 v70, v84, v3
	v_sub_f32_e32 v3, v69, v67
	v_add_f32_e32 v3, v66, v3
	v_add_f32_e32 v66, v68, v70
	v_sub_f32_e32 v69, v67, v66
	v_pk_add_f32 v[80:81], v[66:67], v[68:69] neg_lo:[0,1] neg_hi:[0,1]
	v_mov_b32_e32 v71, v66
	v_pk_add_f32 v[66:67], v[80:81], v[70:71] neg_lo:[0,1] neg_hi:[0,1]
	v_add_f32_e32 v65, v85, v84
	v_add_f32_e32 v3, v3, v67
	v_add_f32_e32 v3, v66, v3
	v_add_f32_e32 v3, v69, v3
	v_sub_f32_e32 v66, v65, v85
	v_mul_f32_e32 v3, v83, v3
	v_sub_f32_e32 v66, v84, v66
	v_add_f32_e32 v3, v66, v3
	v_add_f32_e32 v66, v65, v3
	v_cvt_f32_i32_e32 v68, v82
	v_mul_f32_e32 v69, v66, v66
	v_mov_b32_e32 v67, 0x3ecc95a3
	v_fmac_f32_e32 v67, 0x3e9b6dac, v69
	v_fmaak_f32 v67, v69, v67, 0x3f2aaada
	v_sub_f32_e32 v65, v66, v65
	v_ldexp_f32 v71, v66, 1
	v_mul_f32_e32 v69, v66, v69
	v_mov_b32_e32 v66, 0x3f317218
	v_pk_mul_f32 v[66:67], v[68:69], v[66:67]
	v_sub_f32_e32 v3, v3, v65
	v_fma_f32 v65, v68, s20, -v66
	v_fmamk_f32 v70, v68, 0xb102e308, v65
	v_pk_add_f32 v[68:69], v[66:67], v[70:71]
	v_ldexp_f32 v3, v3, 1
	v_sub_f32_e32 v65, v69, v71
	v_sub_f32_e32 v65, v67, v65
	v_add_f32_e32 v81, v3, v65
	v_mov_b32_e32 v80, v66
	v_pk_add_f32 v[66:67], v[68:69], v[66:67] neg_lo:[0,1] neg_hi:[0,1]
	v_pk_add_f32 v[82:83], v[68:69], v[80:81]
	v_mov_b32_e32 v71, v68
	v_mov_b32_e32 v67, v83
	v_pk_add_f32 v[84:85], v[70:71], v[66:67] neg_lo:[0,1] neg_hi:[0,1]
	v_pk_add_f32 v[66:67], v[70:71], v[66:67]
	v_mov_b32_e32 v80, v81
	v_mov_b32_e32 v70, v67
	v_pk_add_f32 v[86:87], v[70:71], v[68:69] neg_lo:[0,1] neg_hi:[0,1]
	v_mov_b32_e32 v66, v83
	v_mov_b32_e32 v3, v86
	v_pk_add_f32 v[112:113], v[82:83], v[2:3] neg_lo:[0,1] neg_hi:[0,1]
	v_mov_b32_e32 v82, v69
	v_mov_b32_e32 v83, v86
	;; [unrolled: 1-line block ×3, first 2 shown]
	v_pk_add_f32 v[66:67], v[66:67], v[82:83] neg_lo:[0,1] neg_hi:[0,1]
	v_mov_b32_e32 v81, v68
	v_pk_add_f32 v[66:67], v[80:81], v[66:67] neg_lo:[0,1] neg_hi:[0,1]
	v_mov_b32_e32 v112, v84
	v_pk_add_f32 v[68:69], v[112:113], v[66:67]
	v_cmp_eq_f32_e64 s[20:21], s24, v53
	v_mov_b32_e32 v80, v69
	v_pk_add_f32 v[80:81], v[68:69], v[80:81]
	s_mov_b32 s24, 0x33800000
	v_pk_add_f32 v[70:71], v[70:71], v[80:81]
	v_mov_b32_e32 v67, v80
	v_mov_b32_e32 v69, v70
	v_pk_add_f32 v[82:83], v[68:69], v[84:85] neg_lo:[0,1] neg_hi:[0,1]
	v_cmp_lt_f32_e64 s[24:25], |v53|, s24
	v_sub_f32_e32 v3, v68, v82
	v_pk_add_f32 v[66:67], v[66:67], v[82:83] neg_lo:[0,1] neg_hi:[0,1]
	v_sub_f32_e32 v3, v84, v3
	v_add_f32_e32 v3, v66, v3
	v_add_f32_e32 v3, v3, v67
	;; [unrolled: 1-line block ×3, first 2 shown]
	s_or_b64 s[20:21], s[20:21], s[24:25]
	v_cndmask_b32_e64 v3, v3, v53, s[20:21]
	v_add_f32_e32 v53, v2, v3
.LBB161_288:
	s_or_b64 exec, exec, s[22:23]
	v_max_f32_e32 v65, v33, v33
	v_max_f32_e32 v2, v53, v53
	v_min_f32_e32 v3, v2, v65
	v_cmp_u_f32_e64 s[22:23], v53, v53
	v_max_f32_e32 v2, v2, v65
	v_cmp_u_f32_e64 s[20:21], v33, v33
	v_cndmask_b32_e64 v3, v3, v53, s[22:23]
	v_cndmask_b32_e64 v2, v2, v53, s[22:23]
	;; [unrolled: 1-line block ×4, first 2 shown]
	s_movk_i32 s26, 0x1f8
	v_cmp_neq_f32_e64 s[22:23], v3, v2
	v_cmp_class_f32_e64 s[24:25], v3, s26
	s_or_b64 s[22:23], s[22:23], s[24:25]
	s_and_saveexec_b64 s[24:25], s[22:23]
	s_cbranch_execz .LBB161_290
; %bb.289:
	v_sub_f32_e32 v3, v3, v2
	s_mov_b32 s22, 0x3fb8aa3b
	v_mul_f32_e32 v53, 0x3fb8aa3b, v3
	v_fma_f32 v66, v3, s22, -v53
	v_rndne_f32_e32 v67, v53
	v_fmamk_f32 v66, v3, 0x32a5705f, v66
	v_sub_f32_e32 v53, v53, v67
	v_add_f32_e32 v53, v53, v66
	v_exp_f32_e32 v53, v53
	v_cvt_i32_f32_e32 v66, v67
	s_mov_b32 s22, 0xc2ce8ed0
	v_cmp_ngt_f32_e64 s[22:23], s22, v3
	s_mov_b32 s27, 0x7f800000
	v_ldexp_f32 v53, v53, v66
	v_cndmask_b32_e64 v53, 0, v53, s[22:23]
	s_mov_b32 s22, 0x42b17218
	v_mov_b32_e32 v66, 0x7f800000
	v_cmp_nlt_f32_e64 s[22:23], s22, v3
	s_nop 1
	v_cndmask_b32_e64 v53, v66, v53, s[22:23]
	v_add_f32_e32 v3, 1.0, v53
	v_add_f32_e32 v66, -1.0, v3
	v_sub_f32_e32 v67, v66, v3
	v_add_f32_e32 v67, 1.0, v67
	v_sub_f32_e32 v66, v53, v66
	v_add_f32_e32 v68, v66, v67
	v_frexp_mant_f32_e32 v69, v3
	s_mov_b32 s22, 0x3f2aaaab
	v_cvt_f64_f32_e32 v[66:67], v3
	v_frexp_exp_i32_f64_e32 v66, v[66:67]
	v_cmp_gt_f32_e64 s[22:23], s22, v69
	s_nop 1
	v_subbrev_co_u32_e64 v82, s[22:23], 0, v66, s[22:23]
	v_sub_u32_e32 v66, 0, v82
	v_ldexp_f32 v3, v3, v66
	v_ldexp_f32 v66, v68, v66
	v_add_f32_e32 v68, -1.0, v3
	v_add_f32_e32 v67, 1.0, v68
	v_sub_f32_e32 v67, v3, v67
	v_add_f32_e32 v69, v66, v67
	v_add_f32_e32 v67, 1.0, v3
	v_add_f32_e32 v70, -1.0, v67
	v_sub_f32_e32 v3, v3, v70
	v_add_f32_e32 v3, v66, v3
	v_add_f32_e32 v83, v67, v3
	v_rcp_f32_e32 v84, v83
	v_sub_f32_e32 v66, v67, v83
	v_add_f32_e32 v67, v68, v69
	v_add_f32_e32 v3, v3, v66
	v_mul_f32_e32 v86, v67, v84
	v_sub_f32_e32 v66, v68, v67
	v_mul_f32_e32 v68, v83, v86
	v_fma_f32 v70, v86, v83, -v68
	v_fmac_f32_e32 v70, v86, v3
	v_add_f32_e32 v85, v69, v66
	v_add_f32_e32 v66, v68, v70
	v_sub_f32_e32 v69, v67, v66
	v_pk_add_f32 v[80:81], v[66:67], v[68:69] neg_lo:[0,1] neg_hi:[0,1]
	v_mov_b32_e32 v71, v66
	v_pk_add_f32 v[66:67], v[80:81], v[70:71] neg_lo:[0,1] neg_hi:[0,1]
	s_mov_b32 s22, 0x3f317218
	v_add_f32_e32 v67, v85, v67
	v_add_f32_e32 v66, v66, v67
	;; [unrolled: 1-line block ×3, first 2 shown]
	v_mul_f32_e32 v85, v84, v67
	v_mul_f32_e32 v68, v83, v85
	v_fma_f32 v70, v85, v83, -v68
	v_fmac_f32_e32 v70, v85, v3
	v_sub_f32_e32 v3, v69, v67
	v_add_f32_e32 v3, v66, v3
	v_add_f32_e32 v66, v68, v70
	v_sub_f32_e32 v69, v67, v66
	v_pk_add_f32 v[80:81], v[66:67], v[68:69] neg_lo:[0,1] neg_hi:[0,1]
	v_mov_b32_e32 v71, v66
	v_pk_add_f32 v[66:67], v[80:81], v[70:71] neg_lo:[0,1] neg_hi:[0,1]
	v_cvt_f32_i32_e32 v68, v82
	v_add_f32_e32 v3, v3, v67
	v_add_f32_e32 v3, v66, v3
	;; [unrolled: 1-line block ×4, first 2 shown]
	v_sub_f32_e32 v67, v66, v86
	v_mul_f32_e32 v3, v84, v3
	v_sub_f32_e32 v67, v85, v67
	v_add_f32_e32 v3, v67, v3
	v_add_f32_e32 v69, v66, v3
	v_mul_f32_e32 v70, v69, v69
	v_mov_b32_e32 v67, 0x3ecc95a3
	v_fmac_f32_e32 v67, 0x3e9b6dac, v70
	v_sub_f32_e32 v66, v69, v66
	v_fmaak_f32 v67, v70, v67, 0x3f2aaada
	v_sub_f32_e32 v3, v3, v66
	v_ldexp_f32 v71, v69, 1
	v_mul_f32_e32 v69, v69, v70
	v_mov_b32_e32 v66, 0x3f317218
	v_pk_mul_f32 v[66:67], v[68:69], v[66:67]
	v_ldexp_f32 v3, v3, 1
	v_fma_f32 v69, v68, s22, -v66
	v_fmamk_f32 v70, v68, 0xb102e308, v69
	v_pk_add_f32 v[68:69], v[66:67], v[70:71]
	v_mov_b32_e32 v80, v66
	v_sub_f32_e32 v71, v69, v71
	v_sub_f32_e32 v71, v67, v71
	v_add_f32_e32 v81, v3, v71
	v_pk_add_f32 v[66:67], v[68:69], v[66:67] neg_lo:[0,1] neg_hi:[0,1]
	v_pk_add_f32 v[82:83], v[68:69], v[80:81]
	v_mov_b32_e32 v71, v68
	v_mov_b32_e32 v67, v83
	v_pk_add_f32 v[84:85], v[70:71], v[66:67] neg_lo:[0,1] neg_hi:[0,1]
	v_pk_add_f32 v[66:67], v[70:71], v[66:67]
	v_mov_b32_e32 v80, v81
	v_mov_b32_e32 v70, v67
	v_pk_add_f32 v[86:87], v[70:71], v[68:69] neg_lo:[0,1] neg_hi:[0,1]
	v_mov_b32_e32 v66, v83
	v_mov_b32_e32 v3, v86
	v_pk_add_f32 v[112:113], v[82:83], v[2:3] neg_lo:[0,1] neg_hi:[0,1]
	v_mov_b32_e32 v82, v69
	v_mov_b32_e32 v83, v86
	;; [unrolled: 1-line block ×3, first 2 shown]
	v_pk_add_f32 v[66:67], v[66:67], v[82:83] neg_lo:[0,1] neg_hi:[0,1]
	v_mov_b32_e32 v81, v68
	v_pk_add_f32 v[66:67], v[80:81], v[66:67] neg_lo:[0,1] neg_hi:[0,1]
	v_mov_b32_e32 v112, v84
	v_pk_add_f32 v[68:69], v[112:113], v[66:67]
	v_cmp_eq_f32_e64 s[22:23], s27, v53
	v_mov_b32_e32 v80, v69
	v_pk_add_f32 v[80:81], v[68:69], v[80:81]
	s_mov_b32 s27, 0x33800000
	v_pk_add_f32 v[70:71], v[70:71], v[80:81]
	v_mov_b32_e32 v67, v80
	v_mov_b32_e32 v69, v70
	v_pk_add_f32 v[82:83], v[68:69], v[84:85] neg_lo:[0,1] neg_hi:[0,1]
	v_cmp_lt_f32_e64 s[28:29], |v53|, s27
	v_sub_f32_e32 v3, v68, v82
	v_pk_add_f32 v[66:67], v[66:67], v[82:83] neg_lo:[0,1] neg_hi:[0,1]
	v_sub_f32_e32 v3, v84, v3
	v_add_f32_e32 v3, v66, v3
	v_add_f32_e32 v3, v3, v67
	;; [unrolled: 1-line block ×3, first 2 shown]
	s_or_b64 s[22:23], s[22:23], s[28:29]
	v_cndmask_b32_e64 v3, v3, v53, s[22:23]
	v_add_f32_e32 v53, v2, v3
.LBB161_290:
	s_or_b64 exec, exec, s[24:25]
	v_max_f32_e32 v66, v34, v34
	v_max_f32_e32 v2, v53, v53
	v_min_f32_e32 v3, v2, v66
	v_cmp_u_f32_e64 s[24:25], v53, v53
	v_max_f32_e32 v2, v2, v66
	v_cmp_u_f32_e64 s[22:23], v34, v34
	v_cndmask_b32_e64 v3, v3, v53, s[24:25]
	v_cndmask_b32_e64 v2, v2, v53, s[24:25]
	;; [unrolled: 1-line block ×4, first 2 shown]
	v_cmp_neq_f32_e64 s[24:25], v3, v2
	v_cmp_class_f32_e64 s[26:27], v3, s26
	s_or_b64 s[24:25], s[24:25], s[26:27]
	s_and_saveexec_b64 s[26:27], s[24:25]
	s_cbranch_execz .LBB161_292
; %bb.291:
	v_sub_f32_e32 v3, v3, v2
	s_mov_b32 s24, 0x3fb8aa3b
	v_mul_f32_e32 v53, 0x3fb8aa3b, v3
	v_fma_f32 v67, v3, s24, -v53
	v_rndne_f32_e32 v68, v53
	v_fmamk_f32 v67, v3, 0x32a5705f, v67
	v_sub_f32_e32 v53, v53, v68
	v_add_f32_e32 v53, v53, v67
	v_exp_f32_e32 v53, v53
	v_cvt_i32_f32_e32 v67, v68
	s_mov_b32 s24, 0xc2ce8ed0
	v_cmp_ngt_f32_e64 s[24:25], s24, v3
	s_mov_b32 s28, 0x7f800000
	v_ldexp_f32 v53, v53, v67
	v_cndmask_b32_e64 v53, 0, v53, s[24:25]
	s_mov_b32 s24, 0x42b17218
	v_mov_b32_e32 v67, 0x7f800000
	v_cmp_nlt_f32_e64 s[24:25], s24, v3
	s_nop 1
	v_cndmask_b32_e64 v53, v67, v53, s[24:25]
	v_add_f32_e32 v3, 1.0, v53
	v_add_f32_e32 v67, -1.0, v3
	v_sub_f32_e32 v68, v67, v3
	v_add_f32_e32 v68, 1.0, v68
	v_sub_f32_e32 v67, v53, v67
	v_add_f32_e32 v67, v67, v68
	v_frexp_mant_f32_e32 v70, v3
	s_mov_b32 s24, 0x3f2aaaab
	v_cvt_f64_f32_e32 v[68:69], v3
	v_frexp_exp_i32_f64_e32 v68, v[68:69]
	v_cmp_gt_f32_e64 s[24:25], s24, v70
	s_nop 1
	v_subbrev_co_u32_e64 v84, s[24:25], 0, v68, s[24:25]
	v_sub_u32_e32 v68, 0, v84
	v_ldexp_f32 v3, v3, v68
	v_ldexp_f32 v67, v67, v68
	v_add_f32_e32 v68, -1.0, v3
	v_add_f32_e32 v69, 1.0, v68
	v_sub_f32_e32 v69, v3, v69
	v_add_f32_e32 v70, v67, v69
	v_add_f32_e32 v69, 1.0, v3
	v_add_f32_e32 v71, -1.0, v69
	v_sub_f32_e32 v3, v3, v71
	v_add_f32_e32 v3, v67, v3
	v_add_f32_e32 v67, v69, v3
	v_rcp_f32_e32 v85, v67
	v_sub_f32_e32 v69, v69, v67
	v_add_f32_e32 v3, v3, v69
	v_add_f32_e32 v69, v68, v70
	v_sub_f32_e32 v68, v68, v69
	v_mul_f32_e32 v87, v69, v85
	v_add_f32_e32 v86, v70, v68
	v_mul_f32_e32 v70, v67, v87
	v_fma_f32 v80, v87, v67, -v70
	v_fmac_f32_e32 v80, v87, v3
	v_add_f32_e32 v68, v70, v80
	v_sub_f32_e32 v71, v69, v68
	v_pk_add_f32 v[82:83], v[68:69], v[70:71] neg_lo:[0,1] neg_hi:[0,1]
	v_mov_b32_e32 v81, v68
	v_pk_add_f32 v[68:69], v[82:83], v[80:81] neg_lo:[0,1] neg_hi:[0,1]
	s_mov_b32 s24, 0x3f317218
	v_add_f32_e32 v69, v86, v69
	v_add_f32_e32 v68, v68, v69
	;; [unrolled: 1-line block ×3, first 2 shown]
	v_mul_f32_e32 v86, v85, v69
	v_mul_f32_e32 v70, v67, v86
	v_fma_f32 v80, v86, v67, -v70
	v_fmac_f32_e32 v80, v86, v3
	v_sub_f32_e32 v3, v71, v69
	v_add_f32_e32 v3, v68, v3
	v_add_f32_e32 v68, v70, v80
	v_sub_f32_e32 v71, v69, v68
	v_pk_add_f32 v[82:83], v[68:69], v[70:71] neg_lo:[0,1] neg_hi:[0,1]
	v_mov_b32_e32 v81, v68
	v_pk_add_f32 v[68:69], v[82:83], v[80:81] neg_lo:[0,1] neg_hi:[0,1]
	v_add_f32_e32 v67, v87, v86
	v_add_f32_e32 v3, v3, v69
	;; [unrolled: 1-line block ×4, first 2 shown]
	v_sub_f32_e32 v68, v67, v87
	v_mul_f32_e32 v3, v85, v3
	v_sub_f32_e32 v68, v86, v68
	v_add_f32_e32 v3, v68, v3
	v_add_f32_e32 v68, v67, v3
	v_cvt_f32_i32_e32 v70, v84
	v_mul_f32_e32 v71, v68, v68
	v_mov_b32_e32 v69, 0x3ecc95a3
	v_fmac_f32_e32 v69, 0x3e9b6dac, v71
	v_fmaak_f32 v69, v71, v69, 0x3f2aaada
	v_sub_f32_e32 v67, v68, v67
	v_ldexp_f32 v81, v68, 1
	v_mul_f32_e32 v71, v68, v71
	v_mov_b32_e32 v68, 0x3f317218
	v_pk_mul_f32 v[68:69], v[70:71], v[68:69]
	v_sub_f32_e32 v3, v3, v67
	v_fma_f32 v67, v70, s24, -v68
	v_fmamk_f32 v80, v70, 0xb102e308, v67
	v_pk_add_f32 v[70:71], v[68:69], v[80:81]
	v_ldexp_f32 v3, v3, 1
	v_sub_f32_e32 v67, v71, v81
	v_sub_f32_e32 v67, v69, v67
	v_add_f32_e32 v83, v3, v67
	v_mov_b32_e32 v82, v68
	v_pk_add_f32 v[68:69], v[70:71], v[68:69] neg_lo:[0,1] neg_hi:[0,1]
	v_pk_add_f32 v[84:85], v[70:71], v[82:83]
	v_mov_b32_e32 v81, v70
	v_mov_b32_e32 v69, v85
	v_pk_add_f32 v[86:87], v[80:81], v[68:69] neg_lo:[0,1] neg_hi:[0,1]
	v_pk_add_f32 v[68:69], v[80:81], v[68:69]
	v_mov_b32_e32 v82, v83
	v_mov_b32_e32 v80, v69
	v_pk_add_f32 v[112:113], v[80:81], v[70:71] neg_lo:[0,1] neg_hi:[0,1]
	v_mov_b32_e32 v68, v85
	v_mov_b32_e32 v3, v112
	v_pk_add_f32 v[114:115], v[84:85], v[2:3] neg_lo:[0,1] neg_hi:[0,1]
	v_mov_b32_e32 v84, v71
	v_mov_b32_e32 v85, v112
	;; [unrolled: 1-line block ×3, first 2 shown]
	v_pk_add_f32 v[68:69], v[68:69], v[84:85] neg_lo:[0,1] neg_hi:[0,1]
	v_mov_b32_e32 v83, v70
	v_pk_add_f32 v[68:69], v[82:83], v[68:69] neg_lo:[0,1] neg_hi:[0,1]
	v_mov_b32_e32 v114, v86
	v_pk_add_f32 v[70:71], v[114:115], v[68:69]
	v_cmp_eq_f32_e64 s[24:25], s28, v53
	v_mov_b32_e32 v82, v71
	v_pk_add_f32 v[82:83], v[70:71], v[82:83]
	s_mov_b32 s28, 0x33800000
	v_pk_add_f32 v[80:81], v[80:81], v[82:83]
	v_mov_b32_e32 v69, v82
	v_mov_b32_e32 v71, v80
	v_pk_add_f32 v[84:85], v[70:71], v[86:87] neg_lo:[0,1] neg_hi:[0,1]
	v_cmp_lt_f32_e64 s[28:29], |v53|, s28
	v_sub_f32_e32 v3, v70, v84
	v_pk_add_f32 v[68:69], v[68:69], v[84:85] neg_lo:[0,1] neg_hi:[0,1]
	v_sub_f32_e32 v3, v86, v3
	v_add_f32_e32 v3, v68, v3
	v_add_f32_e32 v3, v3, v69
	;; [unrolled: 1-line block ×3, first 2 shown]
	s_or_b64 s[24:25], s[24:25], s[28:29]
	v_cndmask_b32_e64 v3, v3, v53, s[24:25]
	v_add_f32_e32 v53, v2, v3
.LBB161_292:
	s_or_b64 exec, exec, s[26:27]
	v_max_f32_e32 v67, v35, v35
	v_max_f32_e32 v2, v53, v53
	v_min_f32_e32 v3, v2, v67
	v_cmp_u_f32_e64 s[26:27], v53, v53
	v_max_f32_e32 v2, v2, v67
	v_cmp_u_f32_e64 s[24:25], v35, v35
	v_cndmask_b32_e64 v3, v3, v53, s[26:27]
	v_cndmask_b32_e64 v2, v2, v53, s[26:27]
	;; [unrolled: 1-line block ×4, first 2 shown]
	s_movk_i32 s30, 0x1f8
	v_cmp_neq_f32_e64 s[26:27], v3, v2
	v_cmp_class_f32_e64 s[28:29], v3, s30
	s_or_b64 s[26:27], s[26:27], s[28:29]
	s_and_saveexec_b64 s[28:29], s[26:27]
	s_cbranch_execz .LBB161_294
; %bb.293:
	v_sub_f32_e32 v3, v3, v2
	s_mov_b32 s26, 0x3fb8aa3b
	v_mul_f32_e32 v53, 0x3fb8aa3b, v3
	v_fma_f32 v68, v3, s26, -v53
	v_rndne_f32_e32 v69, v53
	v_fmamk_f32 v68, v3, 0x32a5705f, v68
	v_sub_f32_e32 v53, v53, v69
	v_add_f32_e32 v53, v53, v68
	v_exp_f32_e32 v53, v53
	v_cvt_i32_f32_e32 v68, v69
	s_mov_b32 s26, 0xc2ce8ed0
	v_cmp_ngt_f32_e64 s[26:27], s26, v3
	s_mov_b32 s31, 0x7f800000
	v_ldexp_f32 v53, v53, v68
	v_cndmask_b32_e64 v53, 0, v53, s[26:27]
	s_mov_b32 s26, 0x42b17218
	v_mov_b32_e32 v68, 0x7f800000
	v_cmp_nlt_f32_e64 s[26:27], s26, v3
	s_nop 1
	v_cndmask_b32_e64 v53, v68, v53, s[26:27]
	v_add_f32_e32 v3, 1.0, v53
	v_add_f32_e32 v68, -1.0, v3
	v_sub_f32_e32 v69, v68, v3
	v_add_f32_e32 v69, 1.0, v69
	v_sub_f32_e32 v68, v53, v68
	v_add_f32_e32 v70, v68, v69
	v_frexp_mant_f32_e32 v71, v3
	s_mov_b32 s26, 0x3f2aaaab
	v_cvt_f64_f32_e32 v[68:69], v3
	v_frexp_exp_i32_f64_e32 v68, v[68:69]
	v_cmp_gt_f32_e64 s[26:27], s26, v71
	s_nop 1
	v_subbrev_co_u32_e64 v84, s[26:27], 0, v68, s[26:27]
	v_sub_u32_e32 v68, 0, v84
	v_ldexp_f32 v3, v3, v68
	v_ldexp_f32 v68, v70, v68
	v_add_f32_e32 v70, -1.0, v3
	v_add_f32_e32 v69, 1.0, v70
	v_sub_f32_e32 v69, v3, v69
	v_add_f32_e32 v71, v68, v69
	v_add_f32_e32 v69, 1.0, v3
	v_add_f32_e32 v80, -1.0, v69
	v_sub_f32_e32 v3, v3, v80
	v_add_f32_e32 v3, v68, v3
	v_add_f32_e32 v85, v69, v3
	v_rcp_f32_e32 v86, v85
	v_sub_f32_e32 v68, v69, v85
	v_add_f32_e32 v69, v70, v71
	v_add_f32_e32 v3, v3, v68
	v_mul_f32_e32 v101, v69, v86
	v_sub_f32_e32 v68, v70, v69
	v_mul_f32_e32 v70, v85, v101
	v_fma_f32 v80, v101, v85, -v70
	v_fmac_f32_e32 v80, v101, v3
	v_add_f32_e32 v87, v71, v68
	v_add_f32_e32 v68, v70, v80
	v_sub_f32_e32 v71, v69, v68
	v_pk_add_f32 v[82:83], v[68:69], v[70:71] neg_lo:[0,1] neg_hi:[0,1]
	v_mov_b32_e32 v81, v68
	v_pk_add_f32 v[68:69], v[82:83], v[80:81] neg_lo:[0,1] neg_hi:[0,1]
	s_mov_b32 s26, 0x3f317218
	v_add_f32_e32 v69, v87, v69
	v_add_f32_e32 v68, v68, v69
	v_add_f32_e32 v69, v71, v68
	v_mul_f32_e32 v87, v86, v69
	v_mul_f32_e32 v70, v85, v87
	v_fma_f32 v80, v87, v85, -v70
	v_fmac_f32_e32 v80, v87, v3
	v_sub_f32_e32 v3, v71, v69
	v_add_f32_e32 v3, v68, v3
	v_add_f32_e32 v68, v70, v80
	v_sub_f32_e32 v71, v69, v68
	v_pk_add_f32 v[82:83], v[68:69], v[70:71] neg_lo:[0,1] neg_hi:[0,1]
	v_mov_b32_e32 v81, v68
	v_pk_add_f32 v[68:69], v[82:83], v[80:81] neg_lo:[0,1] neg_hi:[0,1]
	v_cvt_f32_i32_e32 v70, v84
	v_add_f32_e32 v3, v3, v69
	v_add_f32_e32 v3, v68, v3
	;; [unrolled: 1-line block ×4, first 2 shown]
	v_sub_f32_e32 v69, v68, v101
	v_mul_f32_e32 v3, v86, v3
	v_sub_f32_e32 v69, v87, v69
	v_add_f32_e32 v3, v69, v3
	v_add_f32_e32 v71, v68, v3
	v_mul_f32_e32 v80, v71, v71
	v_mov_b32_e32 v69, 0x3ecc95a3
	v_fmac_f32_e32 v69, 0x3e9b6dac, v80
	v_sub_f32_e32 v68, v71, v68
	v_fmaak_f32 v69, v80, v69, 0x3f2aaada
	v_sub_f32_e32 v3, v3, v68
	v_ldexp_f32 v81, v71, 1
	v_mul_f32_e32 v71, v71, v80
	v_mov_b32_e32 v68, 0x3f317218
	v_pk_mul_f32 v[68:69], v[70:71], v[68:69]
	v_ldexp_f32 v3, v3, 1
	v_fma_f32 v71, v70, s26, -v68
	v_fmamk_f32 v80, v70, 0xb102e308, v71
	v_pk_add_f32 v[70:71], v[68:69], v[80:81]
	v_mov_b32_e32 v82, v68
	v_sub_f32_e32 v81, v71, v81
	v_sub_f32_e32 v81, v69, v81
	v_add_f32_e32 v83, v3, v81
	v_pk_add_f32 v[68:69], v[70:71], v[68:69] neg_lo:[0,1] neg_hi:[0,1]
	v_pk_add_f32 v[84:85], v[70:71], v[82:83]
	v_mov_b32_e32 v81, v70
	v_mov_b32_e32 v69, v85
	v_pk_add_f32 v[86:87], v[80:81], v[68:69] neg_lo:[0,1] neg_hi:[0,1]
	v_pk_add_f32 v[68:69], v[80:81], v[68:69]
	v_mov_b32_e32 v82, v83
	v_mov_b32_e32 v80, v69
	v_pk_add_f32 v[112:113], v[80:81], v[70:71] neg_lo:[0,1] neg_hi:[0,1]
	v_mov_b32_e32 v68, v85
	v_mov_b32_e32 v3, v112
	v_pk_add_f32 v[114:115], v[84:85], v[2:3] neg_lo:[0,1] neg_hi:[0,1]
	v_mov_b32_e32 v84, v71
	v_mov_b32_e32 v85, v112
	;; [unrolled: 1-line block ×3, first 2 shown]
	v_pk_add_f32 v[68:69], v[68:69], v[84:85] neg_lo:[0,1] neg_hi:[0,1]
	v_mov_b32_e32 v83, v70
	v_pk_add_f32 v[68:69], v[82:83], v[68:69] neg_lo:[0,1] neg_hi:[0,1]
	v_mov_b32_e32 v114, v86
	v_pk_add_f32 v[70:71], v[114:115], v[68:69]
	v_cmp_eq_f32_e64 s[26:27], s31, v53
	v_mov_b32_e32 v82, v71
	v_pk_add_f32 v[82:83], v[70:71], v[82:83]
	s_mov_b32 s31, 0x33800000
	v_pk_add_f32 v[80:81], v[80:81], v[82:83]
	v_mov_b32_e32 v69, v82
	v_mov_b32_e32 v71, v80
	v_pk_add_f32 v[84:85], v[70:71], v[86:87] neg_lo:[0,1] neg_hi:[0,1]
	v_cmp_lt_f32_e64 s[34:35], |v53|, s31
	v_sub_f32_e32 v3, v70, v84
	v_pk_add_f32 v[68:69], v[68:69], v[84:85] neg_lo:[0,1] neg_hi:[0,1]
	v_sub_f32_e32 v3, v86, v3
	v_add_f32_e32 v3, v68, v3
	v_add_f32_e32 v3, v3, v69
	;; [unrolled: 1-line block ×3, first 2 shown]
	s_or_b64 s[26:27], s[26:27], s[34:35]
	v_cndmask_b32_e64 v3, v3, v53, s[26:27]
	v_add_f32_e32 v53, v2, v3
.LBB161_294:
	s_or_b64 exec, exec, s[28:29]
	v_max_f32_e32 v68, v28, v28
	v_max_f32_e32 v2, v53, v53
	v_min_f32_e32 v3, v2, v68
	v_cmp_u_f32_e64 s[28:29], v53, v53
	v_max_f32_e32 v2, v2, v68
	v_cmp_u_f32_e64 s[26:27], v28, v28
	v_cndmask_b32_e64 v3, v3, v53, s[28:29]
	v_cndmask_b32_e64 v2, v2, v53, s[28:29]
	;; [unrolled: 1-line block ×4, first 2 shown]
	v_cmp_neq_f32_e64 s[28:29], v3, v2
	v_cmp_class_f32_e64 s[30:31], v3, s30
	s_or_b64 s[28:29], s[28:29], s[30:31]
	s_and_saveexec_b64 s[30:31], s[28:29]
	s_cbranch_execz .LBB161_296
; %bb.295:
	v_sub_f32_e32 v3, v3, v2
	s_mov_b32 s28, 0x3fb8aa3b
	v_mul_f32_e32 v53, 0x3fb8aa3b, v3
	v_fma_f32 v69, v3, s28, -v53
	v_rndne_f32_e32 v70, v53
	v_fmamk_f32 v69, v3, 0x32a5705f, v69
	v_sub_f32_e32 v53, v53, v70
	v_add_f32_e32 v53, v53, v69
	v_exp_f32_e32 v53, v53
	v_cvt_i32_f32_e32 v69, v70
	s_mov_b32 s28, 0xc2ce8ed0
	v_cmp_ngt_f32_e64 s[28:29], s28, v3
	s_mov_b32 s34, 0x7f800000
	v_ldexp_f32 v53, v53, v69
	v_cndmask_b32_e64 v53, 0, v53, s[28:29]
	s_mov_b32 s28, 0x42b17218
	v_mov_b32_e32 v69, 0x7f800000
	v_cmp_nlt_f32_e64 s[28:29], s28, v3
	s_nop 1
	v_cndmask_b32_e64 v53, v69, v53, s[28:29]
	v_add_f32_e32 v3, 1.0, v53
	v_add_f32_e32 v69, -1.0, v3
	v_sub_f32_e32 v70, v69, v3
	v_add_f32_e32 v70, 1.0, v70
	v_sub_f32_e32 v69, v53, v69
	v_add_f32_e32 v69, v69, v70
	v_frexp_mant_f32_e32 v80, v3
	s_mov_b32 s28, 0x3f2aaaab
	v_cvt_f64_f32_e32 v[70:71], v3
	v_frexp_exp_i32_f64_e32 v70, v[70:71]
	v_cmp_gt_f32_e64 s[28:29], s28, v80
	s_nop 1
	v_subbrev_co_u32_e64 v86, s[28:29], 0, v70, s[28:29]
	v_sub_u32_e32 v70, 0, v86
	v_ldexp_f32 v3, v3, v70
	v_ldexp_f32 v69, v69, v70
	v_add_f32_e32 v70, -1.0, v3
	v_add_f32_e32 v71, 1.0, v70
	v_sub_f32_e32 v71, v3, v71
	v_add_f32_e32 v80, v69, v71
	v_add_f32_e32 v71, 1.0, v3
	v_add_f32_e32 v81, -1.0, v71
	v_sub_f32_e32 v3, v3, v81
	v_add_f32_e32 v3, v69, v3
	v_add_f32_e32 v69, v71, v3
	v_rcp_f32_e32 v87, v69
	v_sub_f32_e32 v71, v71, v69
	v_add_f32_e32 v3, v3, v71
	v_add_f32_e32 v71, v70, v80
	v_sub_f32_e32 v70, v70, v71
	v_mul_f32_e32 v112, v71, v87
	v_add_f32_e32 v101, v80, v70
	v_mul_f32_e32 v80, v69, v112
	v_fma_f32 v82, v112, v69, -v80
	v_fmac_f32_e32 v82, v112, v3
	v_add_f32_e32 v70, v80, v82
	v_sub_f32_e32 v81, v71, v70
	v_pk_add_f32 v[84:85], v[70:71], v[80:81] neg_lo:[0,1] neg_hi:[0,1]
	v_mov_b32_e32 v83, v70
	v_pk_add_f32 v[70:71], v[84:85], v[82:83] neg_lo:[0,1] neg_hi:[0,1]
	s_mov_b32 s28, 0x3f317218
	v_add_f32_e32 v71, v101, v71
	v_add_f32_e32 v70, v70, v71
	v_add_f32_e32 v71, v81, v70
	v_mul_f32_e32 v101, v87, v71
	v_mul_f32_e32 v80, v69, v101
	v_fma_f32 v82, v101, v69, -v80
	v_fmac_f32_e32 v82, v101, v3
	v_sub_f32_e32 v3, v81, v71
	v_add_f32_e32 v3, v70, v3
	v_add_f32_e32 v70, v80, v82
	v_sub_f32_e32 v81, v71, v70
	v_pk_add_f32 v[84:85], v[70:71], v[80:81] neg_lo:[0,1] neg_hi:[0,1]
	v_mov_b32_e32 v83, v70
	v_pk_add_f32 v[70:71], v[84:85], v[82:83] neg_lo:[0,1] neg_hi:[0,1]
	v_add_f32_e32 v69, v112, v101
	v_add_f32_e32 v3, v3, v71
	;; [unrolled: 1-line block ×4, first 2 shown]
	v_sub_f32_e32 v70, v69, v112
	v_mul_f32_e32 v3, v87, v3
	v_sub_f32_e32 v70, v101, v70
	v_add_f32_e32 v3, v70, v3
	v_add_f32_e32 v70, v69, v3
	v_cvt_f32_i32_e32 v80, v86
	v_mul_f32_e32 v81, v70, v70
	v_mov_b32_e32 v71, 0x3ecc95a3
	v_fmac_f32_e32 v71, 0x3e9b6dac, v81
	v_fmaak_f32 v71, v81, v71, 0x3f2aaada
	v_sub_f32_e32 v69, v70, v69
	v_ldexp_f32 v83, v70, 1
	v_mul_f32_e32 v81, v70, v81
	v_mov_b32_e32 v70, 0x3f317218
	v_pk_mul_f32 v[70:71], v[80:81], v[70:71]
	v_sub_f32_e32 v3, v3, v69
	v_fma_f32 v69, v80, s28, -v70
	v_fmamk_f32 v82, v80, 0xb102e308, v69
	v_pk_add_f32 v[80:81], v[70:71], v[82:83]
	v_ldexp_f32 v3, v3, 1
	v_sub_f32_e32 v69, v81, v83
	v_sub_f32_e32 v69, v71, v69
	v_add_f32_e32 v85, v3, v69
	v_mov_b32_e32 v84, v70
	v_pk_add_f32 v[70:71], v[80:81], v[70:71] neg_lo:[0,1] neg_hi:[0,1]
	v_pk_add_f32 v[86:87], v[80:81], v[84:85]
	v_mov_b32_e32 v83, v80
	v_mov_b32_e32 v71, v87
	v_pk_add_f32 v[112:113], v[82:83], v[70:71] neg_lo:[0,1] neg_hi:[0,1]
	v_pk_add_f32 v[70:71], v[82:83], v[70:71]
	v_mov_b32_e32 v84, v85
	v_mov_b32_e32 v82, v71
	v_pk_add_f32 v[114:115], v[82:83], v[80:81] neg_lo:[0,1] neg_hi:[0,1]
	v_mov_b32_e32 v70, v87
	v_mov_b32_e32 v3, v114
	v_pk_add_f32 v[116:117], v[86:87], v[2:3] neg_lo:[0,1] neg_hi:[0,1]
	v_mov_b32_e32 v86, v81
	v_mov_b32_e32 v87, v114
	;; [unrolled: 1-line block ×3, first 2 shown]
	v_pk_add_f32 v[70:71], v[70:71], v[86:87] neg_lo:[0,1] neg_hi:[0,1]
	v_mov_b32_e32 v85, v80
	v_pk_add_f32 v[70:71], v[84:85], v[70:71] neg_lo:[0,1] neg_hi:[0,1]
	v_mov_b32_e32 v116, v112
	v_pk_add_f32 v[80:81], v[116:117], v[70:71]
	v_cmp_eq_f32_e64 s[28:29], s34, v53
	v_mov_b32_e32 v84, v81
	v_pk_add_f32 v[84:85], v[80:81], v[84:85]
	s_mov_b32 s34, 0x33800000
	v_pk_add_f32 v[82:83], v[82:83], v[84:85]
	v_mov_b32_e32 v71, v84
	v_mov_b32_e32 v81, v82
	v_pk_add_f32 v[86:87], v[80:81], v[112:113] neg_lo:[0,1] neg_hi:[0,1]
	v_cmp_lt_f32_e64 s[34:35], |v53|, s34
	v_sub_f32_e32 v3, v80, v86
	v_pk_add_f32 v[70:71], v[70:71], v[86:87] neg_lo:[0,1] neg_hi:[0,1]
	v_sub_f32_e32 v3, v112, v3
	v_add_f32_e32 v3, v70, v3
	v_add_f32_e32 v3, v3, v71
	;; [unrolled: 1-line block ×3, first 2 shown]
	s_or_b64 s[28:29], s[28:29], s[34:35]
	v_cndmask_b32_e64 v3, v3, v53, s[28:29]
	v_add_f32_e32 v53, v2, v3
.LBB161_296:
	s_or_b64 exec, exec, s[30:31]
	v_max_f32_e32 v69, v29, v29
	v_max_f32_e32 v2, v53, v53
	v_min_f32_e32 v3, v2, v69
	v_cmp_u_f32_e64 s[30:31], v53, v53
	v_max_f32_e32 v2, v2, v69
	v_cmp_u_f32_e64 s[28:29], v29, v29
	v_cndmask_b32_e64 v3, v3, v53, s[30:31]
	v_cndmask_b32_e64 v2, v2, v53, s[30:31]
	;; [unrolled: 1-line block ×4, first 2 shown]
	s_movk_i32 s36, 0x1f8
	v_cmp_neq_f32_e64 s[30:31], v3, v2
	v_cmp_class_f32_e64 s[34:35], v3, s36
	s_or_b64 s[30:31], s[30:31], s[34:35]
	s_and_saveexec_b64 s[34:35], s[30:31]
	s_cbranch_execz .LBB161_298
; %bb.297:
	v_sub_f32_e32 v3, v3, v2
	s_mov_b32 s30, 0x3fb8aa3b
	v_mul_f32_e32 v53, 0x3fb8aa3b, v3
	v_fma_f32 v70, v3, s30, -v53
	v_rndne_f32_e32 v71, v53
	v_fmamk_f32 v70, v3, 0x32a5705f, v70
	v_sub_f32_e32 v53, v53, v71
	v_add_f32_e32 v53, v53, v70
	v_exp_f32_e32 v53, v53
	v_cvt_i32_f32_e32 v70, v71
	s_mov_b32 s30, 0xc2ce8ed0
	v_cmp_ngt_f32_e64 s[30:31], s30, v3
	s_mov_b32 s37, 0x7f800000
	v_ldexp_f32 v53, v53, v70
	v_cndmask_b32_e64 v53, 0, v53, s[30:31]
	s_mov_b32 s30, 0x42b17218
	v_mov_b32_e32 v70, 0x7f800000
	v_cmp_nlt_f32_e64 s[30:31], s30, v3
	s_nop 1
	v_cndmask_b32_e64 v53, v70, v53, s[30:31]
	v_add_f32_e32 v3, 1.0, v53
	v_add_f32_e32 v70, -1.0, v3
	v_sub_f32_e32 v71, v70, v3
	v_add_f32_e32 v71, 1.0, v71
	v_sub_f32_e32 v70, v53, v70
	v_add_f32_e32 v80, v70, v71
	v_frexp_mant_f32_e32 v81, v3
	s_mov_b32 s30, 0x3f2aaaab
	v_cvt_f64_f32_e32 v[70:71], v3
	v_frexp_exp_i32_f64_e32 v70, v[70:71]
	v_cmp_gt_f32_e64 s[30:31], s30, v81
	s_nop 1
	v_subbrev_co_u32_e64 v86, s[30:31], 0, v70, s[30:31]
	v_sub_u32_e32 v70, 0, v86
	v_ldexp_f32 v3, v3, v70
	v_ldexp_f32 v70, v80, v70
	v_add_f32_e32 v80, -1.0, v3
	v_add_f32_e32 v71, 1.0, v80
	v_sub_f32_e32 v71, v3, v71
	v_add_f32_e32 v81, v70, v71
	v_add_f32_e32 v71, 1.0, v3
	v_add_f32_e32 v82, -1.0, v71
	v_sub_f32_e32 v3, v3, v82
	v_add_f32_e32 v3, v70, v3
	v_add_f32_e32 v87, v71, v3
	v_rcp_f32_e32 v101, v87
	v_sub_f32_e32 v70, v71, v87
	v_add_f32_e32 v71, v80, v81
	v_add_f32_e32 v3, v3, v70
	v_mul_f32_e32 v113, v71, v101
	v_sub_f32_e32 v70, v80, v71
	v_mul_f32_e32 v80, v87, v113
	v_fma_f32 v82, v113, v87, -v80
	v_fmac_f32_e32 v82, v113, v3
	v_add_f32_e32 v112, v81, v70
	v_add_f32_e32 v70, v80, v82
	v_sub_f32_e32 v81, v71, v70
	v_pk_add_f32 v[84:85], v[70:71], v[80:81] neg_lo:[0,1] neg_hi:[0,1]
	v_mov_b32_e32 v83, v70
	v_pk_add_f32 v[70:71], v[84:85], v[82:83] neg_lo:[0,1] neg_hi:[0,1]
	s_mov_b32 s30, 0x3f317218
	v_add_f32_e32 v71, v112, v71
	v_add_f32_e32 v70, v70, v71
	;; [unrolled: 1-line block ×3, first 2 shown]
	v_mul_f32_e32 v112, v101, v71
	v_mul_f32_e32 v80, v87, v112
	v_fma_f32 v82, v112, v87, -v80
	v_fmac_f32_e32 v82, v112, v3
	v_sub_f32_e32 v3, v81, v71
	v_add_f32_e32 v3, v70, v3
	v_add_f32_e32 v70, v80, v82
	v_sub_f32_e32 v81, v71, v70
	v_pk_add_f32 v[84:85], v[70:71], v[80:81] neg_lo:[0,1] neg_hi:[0,1]
	v_mov_b32_e32 v83, v70
	v_pk_add_f32 v[70:71], v[84:85], v[82:83] neg_lo:[0,1] neg_hi:[0,1]
	v_cvt_f32_i32_e32 v80, v86
	v_add_f32_e32 v3, v3, v71
	v_add_f32_e32 v3, v70, v3
	;; [unrolled: 1-line block ×4, first 2 shown]
	v_sub_f32_e32 v71, v70, v113
	v_mul_f32_e32 v3, v101, v3
	v_sub_f32_e32 v71, v112, v71
	v_add_f32_e32 v3, v71, v3
	v_add_f32_e32 v81, v70, v3
	v_mul_f32_e32 v82, v81, v81
	v_mov_b32_e32 v71, 0x3ecc95a3
	v_fmac_f32_e32 v71, 0x3e9b6dac, v82
	v_sub_f32_e32 v70, v81, v70
	v_fmaak_f32 v71, v82, v71, 0x3f2aaada
	v_sub_f32_e32 v3, v3, v70
	v_ldexp_f32 v83, v81, 1
	v_mul_f32_e32 v81, v81, v82
	v_mov_b32_e32 v70, 0x3f317218
	v_pk_mul_f32 v[70:71], v[80:81], v[70:71]
	v_ldexp_f32 v3, v3, 1
	v_fma_f32 v81, v80, s30, -v70
	v_fmamk_f32 v82, v80, 0xb102e308, v81
	v_pk_add_f32 v[80:81], v[70:71], v[82:83]
	v_mov_b32_e32 v84, v70
	v_sub_f32_e32 v83, v81, v83
	v_sub_f32_e32 v83, v71, v83
	v_add_f32_e32 v85, v3, v83
	v_pk_add_f32 v[70:71], v[80:81], v[70:71] neg_lo:[0,1] neg_hi:[0,1]
	v_pk_add_f32 v[86:87], v[80:81], v[84:85]
	v_mov_b32_e32 v83, v80
	v_mov_b32_e32 v71, v87
	v_pk_add_f32 v[112:113], v[82:83], v[70:71] neg_lo:[0,1] neg_hi:[0,1]
	v_pk_add_f32 v[70:71], v[82:83], v[70:71]
	v_mov_b32_e32 v84, v85
	v_mov_b32_e32 v82, v71
	v_pk_add_f32 v[114:115], v[82:83], v[80:81] neg_lo:[0,1] neg_hi:[0,1]
	v_mov_b32_e32 v70, v87
	v_mov_b32_e32 v3, v114
	v_pk_add_f32 v[116:117], v[86:87], v[2:3] neg_lo:[0,1] neg_hi:[0,1]
	v_mov_b32_e32 v86, v81
	v_mov_b32_e32 v87, v114
	;; [unrolled: 1-line block ×3, first 2 shown]
	v_pk_add_f32 v[70:71], v[70:71], v[86:87] neg_lo:[0,1] neg_hi:[0,1]
	v_mov_b32_e32 v85, v80
	v_pk_add_f32 v[70:71], v[84:85], v[70:71] neg_lo:[0,1] neg_hi:[0,1]
	v_mov_b32_e32 v116, v112
	v_pk_add_f32 v[80:81], v[116:117], v[70:71]
	v_cmp_eq_f32_e64 s[30:31], s37, v53
	v_mov_b32_e32 v84, v81
	v_pk_add_f32 v[84:85], v[80:81], v[84:85]
	s_mov_b32 s37, 0x33800000
	v_pk_add_f32 v[82:83], v[82:83], v[84:85]
	v_mov_b32_e32 v71, v84
	v_mov_b32_e32 v81, v82
	v_pk_add_f32 v[86:87], v[80:81], v[112:113] neg_lo:[0,1] neg_hi:[0,1]
	v_cmp_lt_f32_e64 s[38:39], |v53|, s37
	v_sub_f32_e32 v3, v80, v86
	v_pk_add_f32 v[70:71], v[70:71], v[86:87] neg_lo:[0,1] neg_hi:[0,1]
	v_sub_f32_e32 v3, v112, v3
	v_add_f32_e32 v3, v70, v3
	v_add_f32_e32 v3, v3, v71
	v_add_f32_e32 v3, v82, v3
	s_or_b64 s[30:31], s[30:31], s[38:39]
	v_cndmask_b32_e64 v3, v3, v53, s[30:31]
	v_add_f32_e32 v53, v2, v3
.LBB161_298:
	s_or_b64 exec, exec, s[34:35]
	v_max_f32_e32 v70, v30, v30
	v_max_f32_e32 v2, v53, v53
	v_min_f32_e32 v3, v2, v70
	v_cmp_u_f32_e64 s[34:35], v53, v53
	v_max_f32_e32 v2, v2, v70
	v_cmp_u_f32_e64 s[30:31], v30, v30
	v_cndmask_b32_e64 v3, v3, v53, s[34:35]
	v_cndmask_b32_e64 v2, v2, v53, s[34:35]
	;; [unrolled: 1-line block ×4, first 2 shown]
	v_cmp_neq_f32_e64 s[34:35], v3, v2
	v_cmp_class_f32_e64 s[36:37], v3, s36
	s_or_b64 s[34:35], s[34:35], s[36:37]
	s_and_saveexec_b64 s[36:37], s[34:35]
	s_cbranch_execz .LBB161_300
; %bb.299:
	v_sub_f32_e32 v3, v3, v2
	s_mov_b32 s34, 0x3fb8aa3b
	v_mul_f32_e32 v53, 0x3fb8aa3b, v3
	v_fma_f32 v71, v3, s34, -v53
	v_rndne_f32_e32 v80, v53
	v_fmamk_f32 v71, v3, 0x32a5705f, v71
	v_sub_f32_e32 v53, v53, v80
	v_add_f32_e32 v53, v53, v71
	v_exp_f32_e32 v53, v53
	v_cvt_i32_f32_e32 v71, v80
	s_mov_b32 s34, 0xc2ce8ed0
	v_cmp_ngt_f32_e64 s[34:35], s34, v3
	s_mov_b32 s38, 0x7f800000
	v_ldexp_f32 v53, v53, v71
	v_cndmask_b32_e64 v53, 0, v53, s[34:35]
	s_mov_b32 s34, 0x42b17218
	v_mov_b32_e32 v71, 0x7f800000
	v_cmp_nlt_f32_e64 s[34:35], s34, v3
	s_nop 1
	v_cndmask_b32_e64 v53, v71, v53, s[34:35]
	v_add_f32_e32 v3, 1.0, v53
	v_add_f32_e32 v71, -1.0, v3
	v_sub_f32_e32 v80, v71, v3
	v_add_f32_e32 v80, 1.0, v80
	v_sub_f32_e32 v71, v53, v71
	v_add_f32_e32 v71, v71, v80
	v_frexp_mant_f32_e32 v82, v3
	s_mov_b32 s34, 0x3f2aaaab
	v_cvt_f64_f32_e32 v[80:81], v3
	v_frexp_exp_i32_f64_e32 v80, v[80:81]
	v_cmp_gt_f32_e64 s[34:35], s34, v82
	s_nop 1
	v_subbrev_co_u32_e64 v101, s[34:35], 0, v80, s[34:35]
	v_sub_u32_e32 v80, 0, v101
	v_ldexp_f32 v3, v3, v80
	v_ldexp_f32 v71, v71, v80
	v_add_f32_e32 v80, -1.0, v3
	v_add_f32_e32 v81, 1.0, v80
	v_sub_f32_e32 v81, v3, v81
	v_add_f32_e32 v82, v71, v81
	v_add_f32_e32 v81, 1.0, v3
	v_add_f32_e32 v83, -1.0, v81
	v_sub_f32_e32 v3, v3, v83
	v_add_f32_e32 v3, v71, v3
	v_add_f32_e32 v71, v81, v3
	v_rcp_f32_e32 v112, v71
	v_sub_f32_e32 v81, v81, v71
	v_add_f32_e32 v3, v3, v81
	v_add_f32_e32 v81, v80, v82
	v_sub_f32_e32 v80, v80, v81
	v_mul_f32_e32 v114, v81, v112
	v_add_f32_e32 v113, v82, v80
	v_mul_f32_e32 v82, v71, v114
	v_fma_f32 v84, v114, v71, -v82
	v_fmac_f32_e32 v84, v114, v3
	v_add_f32_e32 v80, v82, v84
	v_sub_f32_e32 v83, v81, v80
	v_pk_add_f32 v[86:87], v[80:81], v[82:83] neg_lo:[0,1] neg_hi:[0,1]
	v_mov_b32_e32 v85, v80
	v_pk_add_f32 v[80:81], v[86:87], v[84:85] neg_lo:[0,1] neg_hi:[0,1]
	s_mov_b32 s34, 0x3f317218
	v_add_f32_e32 v81, v113, v81
	v_add_f32_e32 v80, v80, v81
	;; [unrolled: 1-line block ×3, first 2 shown]
	v_mul_f32_e32 v113, v112, v81
	v_mul_f32_e32 v82, v71, v113
	v_fma_f32 v84, v113, v71, -v82
	v_fmac_f32_e32 v84, v113, v3
	v_sub_f32_e32 v3, v83, v81
	v_add_f32_e32 v3, v80, v3
	v_add_f32_e32 v80, v82, v84
	v_sub_f32_e32 v83, v81, v80
	v_pk_add_f32 v[86:87], v[80:81], v[82:83] neg_lo:[0,1] neg_hi:[0,1]
	v_mov_b32_e32 v85, v80
	v_pk_add_f32 v[80:81], v[86:87], v[84:85] neg_lo:[0,1] neg_hi:[0,1]
	v_add_f32_e32 v71, v114, v113
	v_add_f32_e32 v3, v3, v81
	;; [unrolled: 1-line block ×4, first 2 shown]
	v_sub_f32_e32 v80, v71, v114
	v_mul_f32_e32 v3, v112, v3
	v_sub_f32_e32 v80, v113, v80
	v_add_f32_e32 v3, v80, v3
	v_add_f32_e32 v80, v71, v3
	v_cvt_f32_i32_e32 v82, v101
	v_mul_f32_e32 v83, v80, v80
	v_mov_b32_e32 v81, 0x3ecc95a3
	v_fmac_f32_e32 v81, 0x3e9b6dac, v83
	v_fmaak_f32 v81, v83, v81, 0x3f2aaada
	v_sub_f32_e32 v71, v80, v71
	v_ldexp_f32 v85, v80, 1
	v_mul_f32_e32 v83, v80, v83
	v_mov_b32_e32 v80, 0x3f317218
	v_pk_mul_f32 v[80:81], v[82:83], v[80:81]
	v_sub_f32_e32 v3, v3, v71
	v_fma_f32 v71, v82, s34, -v80
	v_fmamk_f32 v84, v82, 0xb102e308, v71
	v_pk_add_f32 v[82:83], v[80:81], v[84:85]
	v_ldexp_f32 v3, v3, 1
	v_sub_f32_e32 v71, v83, v85
	v_sub_f32_e32 v71, v81, v71
	v_add_f32_e32 v87, v3, v71
	v_mov_b32_e32 v86, v80
	v_pk_add_f32 v[80:81], v[82:83], v[80:81] neg_lo:[0,1] neg_hi:[0,1]
	v_pk_add_f32 v[112:113], v[82:83], v[86:87]
	v_mov_b32_e32 v85, v82
	v_mov_b32_e32 v81, v113
	v_pk_add_f32 v[114:115], v[84:85], v[80:81] neg_lo:[0,1] neg_hi:[0,1]
	v_pk_add_f32 v[80:81], v[84:85], v[80:81]
	v_mov_b32_e32 v86, v87
	v_mov_b32_e32 v84, v81
	v_pk_add_f32 v[116:117], v[84:85], v[82:83] neg_lo:[0,1] neg_hi:[0,1]
	v_mov_b32_e32 v80, v113
	v_mov_b32_e32 v3, v116
	v_pk_add_f32 v[118:119], v[112:113], v[2:3] neg_lo:[0,1] neg_hi:[0,1]
	v_mov_b32_e32 v112, v83
	v_mov_b32_e32 v113, v116
	;; [unrolled: 1-line block ×3, first 2 shown]
	v_pk_add_f32 v[80:81], v[80:81], v[112:113] neg_lo:[0,1] neg_hi:[0,1]
	v_mov_b32_e32 v87, v82
	v_pk_add_f32 v[80:81], v[86:87], v[80:81] neg_lo:[0,1] neg_hi:[0,1]
	v_mov_b32_e32 v118, v114
	v_pk_add_f32 v[82:83], v[118:119], v[80:81]
	v_cmp_eq_f32_e64 s[34:35], s38, v53
	v_mov_b32_e32 v86, v83
	v_pk_add_f32 v[86:87], v[82:83], v[86:87]
	s_mov_b32 s38, 0x33800000
	v_pk_add_f32 v[84:85], v[84:85], v[86:87]
	v_mov_b32_e32 v81, v86
	v_mov_b32_e32 v83, v84
	v_pk_add_f32 v[112:113], v[82:83], v[114:115] neg_lo:[0,1] neg_hi:[0,1]
	v_cmp_lt_f32_e64 s[38:39], |v53|, s38
	v_sub_f32_e32 v3, v82, v112
	v_pk_add_f32 v[80:81], v[80:81], v[112:113] neg_lo:[0,1] neg_hi:[0,1]
	v_sub_f32_e32 v3, v114, v3
	v_add_f32_e32 v3, v80, v3
	v_add_f32_e32 v3, v3, v81
	;; [unrolled: 1-line block ×3, first 2 shown]
	s_or_b64 s[34:35], s[34:35], s[38:39]
	v_cndmask_b32_e64 v3, v3, v53, s[34:35]
	v_add_f32_e32 v53, v2, v3
.LBB161_300:
	s_or_b64 exec, exec, s[36:37]
	v_max_f32_e32 v71, v31, v31
	v_max_f32_e32 v2, v53, v53
	v_min_f32_e32 v3, v2, v71
	v_cmp_u_f32_e64 s[36:37], v53, v53
	v_max_f32_e32 v2, v2, v71
	v_cmp_u_f32_e64 s[34:35], v31, v31
	v_cndmask_b32_e64 v3, v3, v53, s[36:37]
	v_cndmask_b32_e64 v2, v2, v53, s[36:37]
	;; [unrolled: 1-line block ×4, first 2 shown]
	s_movk_i32 s40, 0x1f8
	v_cmp_neq_f32_e64 s[36:37], v3, v2
	v_cmp_class_f32_e64 s[38:39], v3, s40
	s_or_b64 s[36:37], s[36:37], s[38:39]
	s_and_saveexec_b64 s[38:39], s[36:37]
	s_cbranch_execz .LBB161_302
; %bb.301:
	v_sub_f32_e32 v3, v3, v2
	s_mov_b32 s36, 0x3fb8aa3b
	v_mul_f32_e32 v53, 0x3fb8aa3b, v3
	v_fma_f32 v80, v3, s36, -v53
	v_rndne_f32_e32 v81, v53
	v_fmamk_f32 v80, v3, 0x32a5705f, v80
	v_sub_f32_e32 v53, v53, v81
	v_add_f32_e32 v53, v53, v80
	v_exp_f32_e32 v53, v53
	v_cvt_i32_f32_e32 v80, v81
	s_mov_b32 s36, 0xc2ce8ed0
	v_cmp_ngt_f32_e64 s[36:37], s36, v3
	s_mov_b32 s41, 0x7f800000
	v_ldexp_f32 v53, v53, v80
	v_cndmask_b32_e64 v53, 0, v53, s[36:37]
	s_mov_b32 s36, 0x42b17218
	v_mov_b32_e32 v80, 0x7f800000
	v_cmp_nlt_f32_e64 s[36:37], s36, v3
	s_nop 1
	v_cndmask_b32_e64 v53, v80, v53, s[36:37]
	v_add_f32_e32 v3, 1.0, v53
	v_add_f32_e32 v80, -1.0, v3
	v_sub_f32_e32 v81, v80, v3
	v_add_f32_e32 v81, 1.0, v81
	v_sub_f32_e32 v80, v53, v80
	v_add_f32_e32 v82, v80, v81
	v_frexp_mant_f32_e32 v83, v3
	s_mov_b32 s36, 0x3f2aaaab
	v_cvt_f64_f32_e32 v[80:81], v3
	v_frexp_exp_i32_f64_e32 v80, v[80:81]
	v_cmp_gt_f32_e64 s[36:37], s36, v83
	s_nop 1
	v_subbrev_co_u32_e64 v101, s[36:37], 0, v80, s[36:37]
	v_sub_u32_e32 v80, 0, v101
	v_ldexp_f32 v3, v3, v80
	v_ldexp_f32 v80, v82, v80
	v_add_f32_e32 v82, -1.0, v3
	v_add_f32_e32 v81, 1.0, v82
	v_sub_f32_e32 v81, v3, v81
	v_add_f32_e32 v83, v80, v81
	v_add_f32_e32 v81, 1.0, v3
	v_add_f32_e32 v84, -1.0, v81
	v_sub_f32_e32 v3, v3, v84
	v_add_f32_e32 v3, v80, v3
	v_add_f32_e32 v112, v81, v3
	v_rcp_f32_e32 v113, v112
	v_sub_f32_e32 v80, v81, v112
	v_add_f32_e32 v81, v82, v83
	v_add_f32_e32 v3, v3, v80
	v_mul_f32_e32 v115, v81, v113
	v_sub_f32_e32 v80, v82, v81
	v_mul_f32_e32 v82, v112, v115
	v_fma_f32 v84, v115, v112, -v82
	v_fmac_f32_e32 v84, v115, v3
	v_add_f32_e32 v114, v83, v80
	v_add_f32_e32 v80, v82, v84
	v_sub_f32_e32 v83, v81, v80
	v_pk_add_f32 v[86:87], v[80:81], v[82:83] neg_lo:[0,1] neg_hi:[0,1]
	v_mov_b32_e32 v85, v80
	v_pk_add_f32 v[80:81], v[86:87], v[84:85] neg_lo:[0,1] neg_hi:[0,1]
	s_mov_b32 s36, 0x3f317218
	v_add_f32_e32 v81, v114, v81
	v_add_f32_e32 v80, v80, v81
	;; [unrolled: 1-line block ×3, first 2 shown]
	v_mul_f32_e32 v114, v113, v81
	v_mul_f32_e32 v82, v112, v114
	v_fma_f32 v84, v114, v112, -v82
	v_fmac_f32_e32 v84, v114, v3
	v_sub_f32_e32 v3, v83, v81
	v_add_f32_e32 v3, v80, v3
	v_add_f32_e32 v80, v82, v84
	v_sub_f32_e32 v83, v81, v80
	v_pk_add_f32 v[86:87], v[80:81], v[82:83] neg_lo:[0,1] neg_hi:[0,1]
	v_mov_b32_e32 v85, v80
	v_pk_add_f32 v[80:81], v[86:87], v[84:85] neg_lo:[0,1] neg_hi:[0,1]
	v_cvt_f32_i32_e32 v82, v101
	v_add_f32_e32 v3, v3, v81
	v_add_f32_e32 v3, v80, v3
	;; [unrolled: 1-line block ×4, first 2 shown]
	v_sub_f32_e32 v81, v80, v115
	v_mul_f32_e32 v3, v113, v3
	v_sub_f32_e32 v81, v114, v81
	v_add_f32_e32 v3, v81, v3
	v_add_f32_e32 v83, v80, v3
	v_mul_f32_e32 v84, v83, v83
	v_mov_b32_e32 v81, 0x3ecc95a3
	v_fmac_f32_e32 v81, 0x3e9b6dac, v84
	v_sub_f32_e32 v80, v83, v80
	v_fmaak_f32 v81, v84, v81, 0x3f2aaada
	v_sub_f32_e32 v3, v3, v80
	v_ldexp_f32 v85, v83, 1
	v_mul_f32_e32 v83, v83, v84
	v_mov_b32_e32 v80, 0x3f317218
	v_pk_mul_f32 v[80:81], v[82:83], v[80:81]
	v_ldexp_f32 v3, v3, 1
	v_fma_f32 v83, v82, s36, -v80
	v_fmamk_f32 v84, v82, 0xb102e308, v83
	v_pk_add_f32 v[82:83], v[80:81], v[84:85]
	v_mov_b32_e32 v86, v80
	v_sub_f32_e32 v85, v83, v85
	v_sub_f32_e32 v85, v81, v85
	v_add_f32_e32 v87, v3, v85
	v_pk_add_f32 v[80:81], v[82:83], v[80:81] neg_lo:[0,1] neg_hi:[0,1]
	v_pk_add_f32 v[112:113], v[82:83], v[86:87]
	v_mov_b32_e32 v85, v82
	v_mov_b32_e32 v81, v113
	v_pk_add_f32 v[114:115], v[84:85], v[80:81] neg_lo:[0,1] neg_hi:[0,1]
	v_pk_add_f32 v[80:81], v[84:85], v[80:81]
	v_mov_b32_e32 v86, v87
	v_mov_b32_e32 v84, v81
	v_pk_add_f32 v[116:117], v[84:85], v[82:83] neg_lo:[0,1] neg_hi:[0,1]
	v_mov_b32_e32 v80, v113
	v_mov_b32_e32 v3, v116
	v_pk_add_f32 v[118:119], v[112:113], v[2:3] neg_lo:[0,1] neg_hi:[0,1]
	v_mov_b32_e32 v112, v83
	v_mov_b32_e32 v113, v116
	;; [unrolled: 1-line block ×3, first 2 shown]
	v_pk_add_f32 v[80:81], v[80:81], v[112:113] neg_lo:[0,1] neg_hi:[0,1]
	v_mov_b32_e32 v87, v82
	v_pk_add_f32 v[80:81], v[86:87], v[80:81] neg_lo:[0,1] neg_hi:[0,1]
	v_mov_b32_e32 v118, v114
	v_pk_add_f32 v[82:83], v[118:119], v[80:81]
	v_cmp_eq_f32_e64 s[36:37], s41, v53
	v_mov_b32_e32 v86, v83
	v_pk_add_f32 v[86:87], v[82:83], v[86:87]
	s_mov_b32 s41, 0x33800000
	v_pk_add_f32 v[84:85], v[84:85], v[86:87]
	v_mov_b32_e32 v81, v86
	v_mov_b32_e32 v83, v84
	v_pk_add_f32 v[112:113], v[82:83], v[114:115] neg_lo:[0,1] neg_hi:[0,1]
	v_cmp_lt_f32_e64 s[42:43], |v53|, s41
	v_sub_f32_e32 v3, v82, v112
	v_pk_add_f32 v[80:81], v[80:81], v[112:113] neg_lo:[0,1] neg_hi:[0,1]
	v_sub_f32_e32 v3, v114, v3
	v_add_f32_e32 v3, v80, v3
	v_add_f32_e32 v3, v3, v81
	v_add_f32_e32 v3, v84, v3
	s_or_b64 s[36:37], s[36:37], s[42:43]
	v_cndmask_b32_e64 v3, v3, v53, s[36:37]
	v_add_f32_e32 v53, v2, v3
.LBB161_302:
	s_or_b64 exec, exec, s[38:39]
	v_max_f32_e32 v80, v24, v24
	v_max_f32_e32 v2, v53, v53
	v_min_f32_e32 v3, v2, v80
	v_cmp_u_f32_e64 s[38:39], v53, v53
	v_max_f32_e32 v2, v2, v80
	v_cmp_u_f32_e64 s[36:37], v24, v24
	v_cndmask_b32_e64 v3, v3, v53, s[38:39]
	v_cndmask_b32_e64 v2, v2, v53, s[38:39]
	;; [unrolled: 1-line block ×4, first 2 shown]
	v_cmp_neq_f32_e64 s[38:39], v3, v2
	v_cmp_class_f32_e64 s[40:41], v3, s40
	s_or_b64 s[38:39], s[38:39], s[40:41]
	s_and_saveexec_b64 s[40:41], s[38:39]
	s_cbranch_execz .LBB161_304
; %bb.303:
	v_sub_f32_e32 v3, v3, v2
	s_mov_b32 s38, 0x3fb8aa3b
	v_mul_f32_e32 v53, 0x3fb8aa3b, v3
	v_fma_f32 v81, v3, s38, -v53
	v_rndne_f32_e32 v82, v53
	v_fmamk_f32 v81, v3, 0x32a5705f, v81
	v_sub_f32_e32 v53, v53, v82
	v_add_f32_e32 v53, v53, v81
	v_exp_f32_e32 v53, v53
	v_cvt_i32_f32_e32 v81, v82
	s_mov_b32 s38, 0xc2ce8ed0
	v_cmp_ngt_f32_e64 s[38:39], s38, v3
	s_mov_b32 s42, 0x7f800000
	v_ldexp_f32 v53, v53, v81
	v_cndmask_b32_e64 v53, 0, v53, s[38:39]
	s_mov_b32 s38, 0x42b17218
	v_mov_b32_e32 v81, 0x7f800000
	v_cmp_nlt_f32_e64 s[38:39], s38, v3
	s_nop 1
	v_cndmask_b32_e64 v53, v81, v53, s[38:39]
	v_add_f32_e32 v3, 1.0, v53
	v_add_f32_e32 v81, -1.0, v3
	v_sub_f32_e32 v82, v81, v3
	v_add_f32_e32 v82, 1.0, v82
	v_sub_f32_e32 v81, v53, v81
	v_add_f32_e32 v81, v81, v82
	v_frexp_mant_f32_e32 v84, v3
	s_mov_b32 s38, 0x3f2aaaab
	v_cvt_f64_f32_e32 v[82:83], v3
	v_frexp_exp_i32_f64_e32 v82, v[82:83]
	v_cmp_gt_f32_e64 s[38:39], s38, v84
	s_nop 1
	v_subbrev_co_u32_e64 v101, s[38:39], 0, v82, s[38:39]
	v_sub_u32_e32 v82, 0, v101
	v_ldexp_f32 v3, v3, v82
	v_ldexp_f32 v81, v81, v82
	v_add_f32_e32 v82, -1.0, v3
	v_add_f32_e32 v83, 1.0, v82
	v_sub_f32_e32 v83, v3, v83
	v_add_f32_e32 v84, v81, v83
	v_add_f32_e32 v83, 1.0, v3
	v_add_f32_e32 v85, -1.0, v83
	v_sub_f32_e32 v3, v3, v85
	v_add_f32_e32 v3, v81, v3
	v_add_f32_e32 v81, v83, v3
	v_rcp_f32_e32 v114, v81
	v_sub_f32_e32 v83, v83, v81
	v_add_f32_e32 v3, v3, v83
	v_add_f32_e32 v83, v82, v84
	v_sub_f32_e32 v82, v82, v83
	v_mul_f32_e32 v116, v83, v114
	v_add_f32_e32 v115, v84, v82
	v_mul_f32_e32 v84, v81, v116
	v_fma_f32 v86, v116, v81, -v84
	v_fmac_f32_e32 v86, v116, v3
	v_add_f32_e32 v82, v84, v86
	v_sub_f32_e32 v85, v83, v82
	v_pk_add_f32 v[112:113], v[82:83], v[84:85] neg_lo:[0,1] neg_hi:[0,1]
	v_mov_b32_e32 v87, v82
	v_pk_add_f32 v[82:83], v[112:113], v[86:87] neg_lo:[0,1] neg_hi:[0,1]
	s_mov_b32 s38, 0x3f317218
	v_add_f32_e32 v83, v115, v83
	v_add_f32_e32 v82, v82, v83
	;; [unrolled: 1-line block ×3, first 2 shown]
	v_mul_f32_e32 v115, v114, v83
	v_mul_f32_e32 v84, v81, v115
	v_fma_f32 v86, v115, v81, -v84
	v_fmac_f32_e32 v86, v115, v3
	v_sub_f32_e32 v3, v85, v83
	v_add_f32_e32 v3, v82, v3
	v_add_f32_e32 v82, v84, v86
	v_sub_f32_e32 v85, v83, v82
	v_pk_add_f32 v[112:113], v[82:83], v[84:85] neg_lo:[0,1] neg_hi:[0,1]
	v_mov_b32_e32 v87, v82
	v_pk_add_f32 v[82:83], v[112:113], v[86:87] neg_lo:[0,1] neg_hi:[0,1]
	v_add_f32_e32 v81, v116, v115
	v_add_f32_e32 v3, v3, v83
	;; [unrolled: 1-line block ×4, first 2 shown]
	v_sub_f32_e32 v82, v81, v116
	v_mul_f32_e32 v3, v114, v3
	v_sub_f32_e32 v82, v115, v82
	v_add_f32_e32 v3, v82, v3
	v_add_f32_e32 v82, v81, v3
	v_cvt_f32_i32_e32 v84, v101
	v_mul_f32_e32 v85, v82, v82
	v_mov_b32_e32 v83, 0x3ecc95a3
	v_fmac_f32_e32 v83, 0x3e9b6dac, v85
	v_fmaak_f32 v83, v85, v83, 0x3f2aaada
	v_sub_f32_e32 v81, v82, v81
	v_ldexp_f32 v87, v82, 1
	v_mul_f32_e32 v85, v82, v85
	v_mov_b32_e32 v82, 0x3f317218
	v_pk_mul_f32 v[82:83], v[84:85], v[82:83]
	v_sub_f32_e32 v3, v3, v81
	v_fma_f32 v81, v84, s38, -v82
	v_fmamk_f32 v86, v84, 0xb102e308, v81
	v_pk_add_f32 v[84:85], v[82:83], v[86:87]
	v_ldexp_f32 v3, v3, 1
	v_sub_f32_e32 v81, v85, v87
	v_sub_f32_e32 v81, v83, v81
	v_add_f32_e32 v113, v3, v81
	v_mov_b32_e32 v112, v82
	v_pk_add_f32 v[82:83], v[84:85], v[82:83] neg_lo:[0,1] neg_hi:[0,1]
	v_pk_add_f32 v[114:115], v[84:85], v[112:113]
	v_mov_b32_e32 v87, v84
	v_mov_b32_e32 v83, v115
	v_pk_add_f32 v[116:117], v[86:87], v[82:83] neg_lo:[0,1] neg_hi:[0,1]
	v_pk_add_f32 v[82:83], v[86:87], v[82:83]
	v_mov_b32_e32 v112, v113
	v_mov_b32_e32 v86, v83
	v_pk_add_f32 v[118:119], v[86:87], v[84:85] neg_lo:[0,1] neg_hi:[0,1]
	v_mov_b32_e32 v82, v115
	v_mov_b32_e32 v3, v118
	v_pk_add_f32 v[128:129], v[114:115], v[2:3] neg_lo:[0,1] neg_hi:[0,1]
	v_mov_b32_e32 v114, v85
	v_mov_b32_e32 v115, v118
	;; [unrolled: 1-line block ×3, first 2 shown]
	v_pk_add_f32 v[82:83], v[82:83], v[114:115] neg_lo:[0,1] neg_hi:[0,1]
	v_mov_b32_e32 v113, v84
	v_pk_add_f32 v[82:83], v[112:113], v[82:83] neg_lo:[0,1] neg_hi:[0,1]
	v_mov_b32_e32 v128, v116
	v_pk_add_f32 v[84:85], v[128:129], v[82:83]
	v_cmp_eq_f32_e64 s[38:39], s42, v53
	v_mov_b32_e32 v112, v85
	v_pk_add_f32 v[112:113], v[84:85], v[112:113]
	s_mov_b32 s42, 0x33800000
	v_pk_add_f32 v[86:87], v[86:87], v[112:113]
	v_mov_b32_e32 v83, v112
	v_mov_b32_e32 v85, v86
	v_pk_add_f32 v[114:115], v[84:85], v[116:117] neg_lo:[0,1] neg_hi:[0,1]
	v_cmp_lt_f32_e64 s[42:43], |v53|, s42
	v_sub_f32_e32 v3, v84, v114
	v_pk_add_f32 v[82:83], v[82:83], v[114:115] neg_lo:[0,1] neg_hi:[0,1]
	v_sub_f32_e32 v3, v116, v3
	v_add_f32_e32 v3, v82, v3
	v_add_f32_e32 v3, v3, v83
	;; [unrolled: 1-line block ×3, first 2 shown]
	s_or_b64 s[38:39], s[38:39], s[42:43]
	v_cndmask_b32_e64 v3, v3, v53, s[38:39]
	v_add_f32_e32 v53, v2, v3
.LBB161_304:
	s_or_b64 exec, exec, s[40:41]
	v_max_f32_e32 v81, v25, v25
	v_max_f32_e32 v2, v53, v53
	v_min_f32_e32 v3, v2, v81
	v_cmp_u_f32_e64 s[40:41], v53, v53
	v_max_f32_e32 v2, v2, v81
	v_cmp_u_f32_e64 s[38:39], v25, v25
	v_cndmask_b32_e64 v3, v3, v53, s[40:41]
	v_cndmask_b32_e64 v2, v2, v53, s[40:41]
	;; [unrolled: 1-line block ×4, first 2 shown]
	s_movk_i32 s44, 0x1f8
	v_cmp_neq_f32_e64 s[40:41], v3, v2
	v_cmp_class_f32_e64 s[42:43], v3, s44
	s_or_b64 s[40:41], s[40:41], s[42:43]
	s_and_saveexec_b64 s[42:43], s[40:41]
	s_cbranch_execz .LBB161_306
; %bb.305:
	v_sub_f32_e32 v3, v3, v2
	s_mov_b32 s40, 0x3fb8aa3b
	v_mul_f32_e32 v53, 0x3fb8aa3b, v3
	v_fma_f32 v82, v3, s40, -v53
	v_rndne_f32_e32 v83, v53
	v_fmamk_f32 v82, v3, 0x32a5705f, v82
	v_sub_f32_e32 v53, v53, v83
	v_add_f32_e32 v53, v53, v82
	v_exp_f32_e32 v53, v53
	v_cvt_i32_f32_e32 v82, v83
	s_mov_b32 s40, 0xc2ce8ed0
	v_cmp_ngt_f32_e64 s[40:41], s40, v3
	s_mov_b32 s45, 0x7f800000
	v_ldexp_f32 v53, v53, v82
	v_cndmask_b32_e64 v53, 0, v53, s[40:41]
	s_mov_b32 s40, 0x42b17218
	v_mov_b32_e32 v82, 0x7f800000
	v_cmp_nlt_f32_e64 s[40:41], s40, v3
	s_nop 1
	v_cndmask_b32_e64 v53, v82, v53, s[40:41]
	v_add_f32_e32 v3, 1.0, v53
	v_add_f32_e32 v82, -1.0, v3
	v_sub_f32_e32 v83, v82, v3
	v_add_f32_e32 v83, 1.0, v83
	v_sub_f32_e32 v82, v53, v82
	v_add_f32_e32 v84, v82, v83
	v_frexp_mant_f32_e32 v85, v3
	s_mov_b32 s40, 0x3f2aaaab
	v_cvt_f64_f32_e32 v[82:83], v3
	v_frexp_exp_i32_f64_e32 v82, v[82:83]
	v_cmp_gt_f32_e64 s[40:41], s40, v85
	s_nop 1
	v_subbrev_co_u32_e64 v101, s[40:41], 0, v82, s[40:41]
	v_sub_u32_e32 v82, 0, v101
	v_ldexp_f32 v3, v3, v82
	v_ldexp_f32 v82, v84, v82
	v_add_f32_e32 v84, -1.0, v3
	v_add_f32_e32 v83, 1.0, v84
	v_sub_f32_e32 v83, v3, v83
	v_add_f32_e32 v85, v82, v83
	v_add_f32_e32 v83, 1.0, v3
	v_add_f32_e32 v86, -1.0, v83
	v_sub_f32_e32 v3, v3, v86
	v_add_f32_e32 v3, v82, v3
	v_add_f32_e32 v114, v83, v3
	v_rcp_f32_e32 v115, v114
	v_sub_f32_e32 v82, v83, v114
	v_add_f32_e32 v83, v84, v85
	v_add_f32_e32 v3, v3, v82
	v_mul_f32_e32 v117, v83, v115
	v_sub_f32_e32 v82, v84, v83
	v_mul_f32_e32 v84, v114, v117
	v_fma_f32 v86, v117, v114, -v84
	v_fmac_f32_e32 v86, v117, v3
	v_add_f32_e32 v116, v85, v82
	v_add_f32_e32 v82, v84, v86
	v_sub_f32_e32 v85, v83, v82
	v_pk_add_f32 v[112:113], v[82:83], v[84:85] neg_lo:[0,1] neg_hi:[0,1]
	v_mov_b32_e32 v87, v82
	v_pk_add_f32 v[82:83], v[112:113], v[86:87] neg_lo:[0,1] neg_hi:[0,1]
	s_mov_b32 s40, 0x3f317218
	v_add_f32_e32 v83, v116, v83
	v_add_f32_e32 v82, v82, v83
	;; [unrolled: 1-line block ×3, first 2 shown]
	v_mul_f32_e32 v116, v115, v83
	v_mul_f32_e32 v84, v114, v116
	v_fma_f32 v86, v116, v114, -v84
	v_fmac_f32_e32 v86, v116, v3
	v_sub_f32_e32 v3, v85, v83
	v_add_f32_e32 v3, v82, v3
	v_add_f32_e32 v82, v84, v86
	v_sub_f32_e32 v85, v83, v82
	v_pk_add_f32 v[112:113], v[82:83], v[84:85] neg_lo:[0,1] neg_hi:[0,1]
	v_mov_b32_e32 v87, v82
	v_pk_add_f32 v[82:83], v[112:113], v[86:87] neg_lo:[0,1] neg_hi:[0,1]
	v_cvt_f32_i32_e32 v84, v101
	v_add_f32_e32 v3, v3, v83
	v_add_f32_e32 v3, v82, v3
	v_add_f32_e32 v82, v117, v116
	v_add_f32_e32 v3, v85, v3
	v_sub_f32_e32 v83, v82, v117
	v_mul_f32_e32 v3, v115, v3
	v_sub_f32_e32 v83, v116, v83
	v_add_f32_e32 v3, v83, v3
	v_add_f32_e32 v85, v82, v3
	v_mul_f32_e32 v86, v85, v85
	v_mov_b32_e32 v83, 0x3ecc95a3
	v_fmac_f32_e32 v83, 0x3e9b6dac, v86
	v_sub_f32_e32 v82, v85, v82
	v_fmaak_f32 v83, v86, v83, 0x3f2aaada
	v_sub_f32_e32 v3, v3, v82
	v_ldexp_f32 v87, v85, 1
	v_mul_f32_e32 v85, v85, v86
	v_mov_b32_e32 v82, 0x3f317218
	v_pk_mul_f32 v[82:83], v[84:85], v[82:83]
	v_ldexp_f32 v3, v3, 1
	v_fma_f32 v85, v84, s40, -v82
	v_fmamk_f32 v86, v84, 0xb102e308, v85
	v_pk_add_f32 v[84:85], v[82:83], v[86:87]
	v_mov_b32_e32 v112, v82
	v_sub_f32_e32 v87, v85, v87
	v_sub_f32_e32 v87, v83, v87
	v_add_f32_e32 v113, v3, v87
	v_pk_add_f32 v[82:83], v[84:85], v[82:83] neg_lo:[0,1] neg_hi:[0,1]
	v_pk_add_f32 v[114:115], v[84:85], v[112:113]
	v_mov_b32_e32 v87, v84
	v_mov_b32_e32 v83, v115
	v_pk_add_f32 v[116:117], v[86:87], v[82:83] neg_lo:[0,1] neg_hi:[0,1]
	v_pk_add_f32 v[82:83], v[86:87], v[82:83]
	v_mov_b32_e32 v112, v113
	v_mov_b32_e32 v86, v83
	v_pk_add_f32 v[118:119], v[86:87], v[84:85] neg_lo:[0,1] neg_hi:[0,1]
	v_mov_b32_e32 v82, v115
	v_mov_b32_e32 v3, v118
	v_pk_add_f32 v[128:129], v[114:115], v[2:3] neg_lo:[0,1] neg_hi:[0,1]
	v_mov_b32_e32 v114, v85
	v_mov_b32_e32 v115, v118
	;; [unrolled: 1-line block ×3, first 2 shown]
	v_pk_add_f32 v[82:83], v[82:83], v[114:115] neg_lo:[0,1] neg_hi:[0,1]
	v_mov_b32_e32 v113, v84
	v_pk_add_f32 v[82:83], v[112:113], v[82:83] neg_lo:[0,1] neg_hi:[0,1]
	v_mov_b32_e32 v128, v116
	v_pk_add_f32 v[84:85], v[128:129], v[82:83]
	v_cmp_eq_f32_e64 s[40:41], s45, v53
	v_mov_b32_e32 v112, v85
	v_pk_add_f32 v[112:113], v[84:85], v[112:113]
	s_mov_b32 s45, 0x33800000
	v_pk_add_f32 v[86:87], v[86:87], v[112:113]
	v_mov_b32_e32 v83, v112
	v_mov_b32_e32 v85, v86
	v_pk_add_f32 v[114:115], v[84:85], v[116:117] neg_lo:[0,1] neg_hi:[0,1]
	v_cmp_lt_f32_e64 s[46:47], |v53|, s45
	v_sub_f32_e32 v3, v84, v114
	v_pk_add_f32 v[82:83], v[82:83], v[114:115] neg_lo:[0,1] neg_hi:[0,1]
	v_sub_f32_e32 v3, v116, v3
	v_add_f32_e32 v3, v82, v3
	v_add_f32_e32 v3, v3, v83
	;; [unrolled: 1-line block ×3, first 2 shown]
	s_or_b64 s[40:41], s[40:41], s[46:47]
	v_cndmask_b32_e64 v3, v3, v53, s[40:41]
	v_add_f32_e32 v53, v2, v3
.LBB161_306:
	s_or_b64 exec, exec, s[42:43]
	v_max_f32_e32 v82, v26, v26
	v_max_f32_e32 v2, v53, v53
	v_min_f32_e32 v3, v2, v82
	v_cmp_u_f32_e64 s[42:43], v53, v53
	v_max_f32_e32 v2, v2, v82
	v_cmp_u_f32_e64 s[40:41], v26, v26
	v_cndmask_b32_e64 v3, v3, v53, s[42:43]
	v_cndmask_b32_e64 v2, v2, v53, s[42:43]
	;; [unrolled: 1-line block ×4, first 2 shown]
	v_cmp_neq_f32_e64 s[42:43], v3, v2
	v_cmp_class_f32_e64 s[44:45], v3, s44
	s_or_b64 s[42:43], s[42:43], s[44:45]
	s_and_saveexec_b64 s[44:45], s[42:43]
	s_cbranch_execz .LBB161_308
; %bb.307:
	v_sub_f32_e32 v3, v3, v2
	s_mov_b32 s42, 0x3fb8aa3b
	v_mul_f32_e32 v53, 0x3fb8aa3b, v3
	v_fma_f32 v83, v3, s42, -v53
	v_rndne_f32_e32 v84, v53
	v_fmamk_f32 v83, v3, 0x32a5705f, v83
	v_sub_f32_e32 v53, v53, v84
	v_add_f32_e32 v53, v53, v83
	v_exp_f32_e32 v53, v53
	v_cvt_i32_f32_e32 v83, v84
	s_mov_b32 s42, 0xc2ce8ed0
	v_cmp_ngt_f32_e64 s[42:43], s42, v3
	s_mov_b32 s46, 0x7f800000
	v_ldexp_f32 v53, v53, v83
	v_cndmask_b32_e64 v53, 0, v53, s[42:43]
	s_mov_b32 s42, 0x42b17218
	v_mov_b32_e32 v83, 0x7f800000
	v_cmp_nlt_f32_e64 s[42:43], s42, v3
	s_nop 1
	v_cndmask_b32_e64 v53, v83, v53, s[42:43]
	v_add_f32_e32 v3, 1.0, v53
	v_add_f32_e32 v83, -1.0, v3
	v_sub_f32_e32 v84, v83, v3
	v_add_f32_e32 v84, 1.0, v84
	v_sub_f32_e32 v83, v53, v83
	v_add_f32_e32 v83, v83, v84
	v_frexp_mant_f32_e32 v86, v3
	s_mov_b32 s42, 0x3f2aaaab
	v_cvt_f64_f32_e32 v[84:85], v3
	v_frexp_exp_i32_f64_e32 v84, v[84:85]
	v_cmp_gt_f32_e64 s[42:43], s42, v86
	s_nop 1
	v_subbrev_co_u32_e64 v101, s[42:43], 0, v84, s[42:43]
	v_sub_u32_e32 v84, 0, v101
	v_ldexp_f32 v3, v3, v84
	v_ldexp_f32 v83, v83, v84
	v_add_f32_e32 v84, -1.0, v3
	v_add_f32_e32 v85, 1.0, v84
	v_sub_f32_e32 v85, v3, v85
	v_add_f32_e32 v86, v83, v85
	v_add_f32_e32 v85, 1.0, v3
	v_add_f32_e32 v87, -1.0, v85
	v_sub_f32_e32 v3, v3, v87
	v_add_f32_e32 v3, v83, v3
	v_add_f32_e32 v83, v85, v3
	v_rcp_f32_e32 v116, v83
	v_sub_f32_e32 v85, v85, v83
	v_add_f32_e32 v3, v3, v85
	v_add_f32_e32 v85, v84, v86
	v_sub_f32_e32 v84, v84, v85
	v_mul_f32_e32 v118, v85, v116
	v_add_f32_e32 v117, v86, v84
	v_mul_f32_e32 v86, v83, v118
	v_fma_f32 v112, v118, v83, -v86
	v_fmac_f32_e32 v112, v118, v3
	v_add_f32_e32 v84, v86, v112
	v_sub_f32_e32 v87, v85, v84
	v_pk_add_f32 v[114:115], v[84:85], v[86:87] neg_lo:[0,1] neg_hi:[0,1]
	v_mov_b32_e32 v113, v84
	v_pk_add_f32 v[84:85], v[114:115], v[112:113] neg_lo:[0,1] neg_hi:[0,1]
	s_mov_b32 s42, 0x3f317218
	v_add_f32_e32 v85, v117, v85
	v_add_f32_e32 v84, v84, v85
	;; [unrolled: 1-line block ×3, first 2 shown]
	v_mul_f32_e32 v117, v116, v85
	v_mul_f32_e32 v86, v83, v117
	v_fma_f32 v112, v117, v83, -v86
	v_fmac_f32_e32 v112, v117, v3
	v_sub_f32_e32 v3, v87, v85
	v_add_f32_e32 v3, v84, v3
	v_add_f32_e32 v84, v86, v112
	v_sub_f32_e32 v87, v85, v84
	v_pk_add_f32 v[114:115], v[84:85], v[86:87] neg_lo:[0,1] neg_hi:[0,1]
	v_mov_b32_e32 v113, v84
	v_pk_add_f32 v[84:85], v[114:115], v[112:113] neg_lo:[0,1] neg_hi:[0,1]
	v_add_f32_e32 v83, v118, v117
	v_add_f32_e32 v3, v3, v85
	;; [unrolled: 1-line block ×4, first 2 shown]
	v_sub_f32_e32 v84, v83, v118
	v_mul_f32_e32 v3, v116, v3
	v_sub_f32_e32 v84, v117, v84
	v_add_f32_e32 v3, v84, v3
	v_add_f32_e32 v84, v83, v3
	v_cvt_f32_i32_e32 v86, v101
	v_mul_f32_e32 v87, v84, v84
	v_mov_b32_e32 v85, 0x3ecc95a3
	v_fmac_f32_e32 v85, 0x3e9b6dac, v87
	v_fmaak_f32 v85, v87, v85, 0x3f2aaada
	v_sub_f32_e32 v83, v84, v83
	v_ldexp_f32 v113, v84, 1
	v_mul_f32_e32 v87, v84, v87
	v_mov_b32_e32 v84, 0x3f317218
	v_pk_mul_f32 v[84:85], v[86:87], v[84:85]
	v_sub_f32_e32 v3, v3, v83
	v_fma_f32 v83, v86, s42, -v84
	v_fmamk_f32 v112, v86, 0xb102e308, v83
	v_pk_add_f32 v[86:87], v[84:85], v[112:113]
	v_ldexp_f32 v3, v3, 1
	v_sub_f32_e32 v83, v87, v113
	v_sub_f32_e32 v83, v85, v83
	v_add_f32_e32 v115, v3, v83
	v_mov_b32_e32 v114, v84
	v_pk_add_f32 v[84:85], v[86:87], v[84:85] neg_lo:[0,1] neg_hi:[0,1]
	v_pk_add_f32 v[116:117], v[86:87], v[114:115]
	v_mov_b32_e32 v113, v86
	v_mov_b32_e32 v85, v117
	v_pk_add_f32 v[118:119], v[112:113], v[84:85] neg_lo:[0,1] neg_hi:[0,1]
	v_pk_add_f32 v[84:85], v[112:113], v[84:85]
	v_mov_b32_e32 v114, v115
	v_mov_b32_e32 v112, v85
	v_pk_add_f32 v[128:129], v[112:113], v[86:87] neg_lo:[0,1] neg_hi:[0,1]
	v_mov_b32_e32 v84, v117
	v_mov_b32_e32 v3, v128
	v_pk_add_f32 v[130:131], v[116:117], v[2:3] neg_lo:[0,1] neg_hi:[0,1]
	v_mov_b32_e32 v116, v87
	v_mov_b32_e32 v117, v128
	;; [unrolled: 1-line block ×3, first 2 shown]
	v_pk_add_f32 v[84:85], v[84:85], v[116:117] neg_lo:[0,1] neg_hi:[0,1]
	v_mov_b32_e32 v115, v86
	v_pk_add_f32 v[84:85], v[114:115], v[84:85] neg_lo:[0,1] neg_hi:[0,1]
	v_mov_b32_e32 v130, v118
	v_pk_add_f32 v[86:87], v[130:131], v[84:85]
	v_cmp_eq_f32_e64 s[42:43], s46, v53
	v_mov_b32_e32 v114, v87
	v_pk_add_f32 v[114:115], v[86:87], v[114:115]
	s_mov_b32 s46, 0x33800000
	v_pk_add_f32 v[112:113], v[112:113], v[114:115]
	v_mov_b32_e32 v85, v114
	v_mov_b32_e32 v87, v112
	v_pk_add_f32 v[116:117], v[86:87], v[118:119] neg_lo:[0,1] neg_hi:[0,1]
	v_cmp_lt_f32_e64 s[46:47], |v53|, s46
	v_sub_f32_e32 v3, v86, v116
	v_pk_add_f32 v[84:85], v[84:85], v[116:117] neg_lo:[0,1] neg_hi:[0,1]
	v_sub_f32_e32 v3, v118, v3
	v_add_f32_e32 v3, v84, v3
	v_add_f32_e32 v3, v3, v85
	;; [unrolled: 1-line block ×3, first 2 shown]
	s_or_b64 s[42:43], s[42:43], s[46:47]
	v_cndmask_b32_e64 v3, v3, v53, s[42:43]
	v_add_f32_e32 v53, v2, v3
.LBB161_308:
	s_or_b64 exec, exec, s[44:45]
	v_max_f32_e32 v83, v27, v27
	v_max_f32_e32 v2, v53, v53
	v_min_f32_e32 v3, v2, v83
	v_cmp_u_f32_e64 s[44:45], v53, v53
	v_max_f32_e32 v2, v2, v83
	v_cmp_u_f32_e64 s[42:43], v27, v27
	v_cndmask_b32_e64 v3, v3, v53, s[44:45]
	v_cndmask_b32_e64 v2, v2, v53, s[44:45]
	;; [unrolled: 1-line block ×4, first 2 shown]
	s_movk_i32 s48, 0x1f8
	v_cmp_neq_f32_e64 s[44:45], v3, v2
	v_cmp_class_f32_e64 s[46:47], v3, s48
	s_or_b64 s[44:45], s[44:45], s[46:47]
	s_and_saveexec_b64 s[46:47], s[44:45]
	s_cbranch_execz .LBB161_310
; %bb.309:
	v_sub_f32_e32 v3, v3, v2
	s_mov_b32 s44, 0x3fb8aa3b
	v_mul_f32_e32 v53, 0x3fb8aa3b, v3
	v_fma_f32 v84, v3, s44, -v53
	v_rndne_f32_e32 v85, v53
	v_fmamk_f32 v84, v3, 0x32a5705f, v84
	v_sub_f32_e32 v53, v53, v85
	v_add_f32_e32 v53, v53, v84
	v_exp_f32_e32 v53, v53
	v_cvt_i32_f32_e32 v84, v85
	s_mov_b32 s44, 0xc2ce8ed0
	v_cmp_ngt_f32_e64 s[44:45], s44, v3
	s_mov_b32 s49, 0x7f800000
	v_ldexp_f32 v53, v53, v84
	v_cndmask_b32_e64 v53, 0, v53, s[44:45]
	s_mov_b32 s44, 0x42b17218
	v_mov_b32_e32 v84, 0x7f800000
	v_cmp_nlt_f32_e64 s[44:45], s44, v3
	s_nop 1
	v_cndmask_b32_e64 v53, v84, v53, s[44:45]
	v_add_f32_e32 v3, 1.0, v53
	v_add_f32_e32 v84, -1.0, v3
	v_sub_f32_e32 v85, v84, v3
	v_add_f32_e32 v85, 1.0, v85
	v_sub_f32_e32 v84, v53, v84
	v_add_f32_e32 v86, v84, v85
	v_frexp_mant_f32_e32 v87, v3
	s_mov_b32 s44, 0x3f2aaaab
	v_cvt_f64_f32_e32 v[84:85], v3
	v_frexp_exp_i32_f64_e32 v84, v[84:85]
	v_cmp_gt_f32_e64 s[44:45], s44, v87
	s_nop 1
	v_subbrev_co_u32_e64 v101, s[44:45], 0, v84, s[44:45]
	v_sub_u32_e32 v84, 0, v101
	v_ldexp_f32 v3, v3, v84
	v_ldexp_f32 v84, v86, v84
	v_add_f32_e32 v86, -1.0, v3
	v_add_f32_e32 v85, 1.0, v86
	v_sub_f32_e32 v85, v3, v85
	v_add_f32_e32 v87, v84, v85
	v_add_f32_e32 v85, 1.0, v3
	v_add_f32_e32 v112, -1.0, v85
	v_sub_f32_e32 v3, v3, v112
	v_add_f32_e32 v3, v84, v3
	v_add_f32_e32 v116, v85, v3
	v_rcp_f32_e32 v117, v116
	v_sub_f32_e32 v84, v85, v116
	v_add_f32_e32 v85, v86, v87
	v_add_f32_e32 v3, v3, v84
	v_mul_f32_e32 v119, v85, v117
	v_sub_f32_e32 v84, v86, v85
	v_mul_f32_e32 v86, v116, v119
	v_fma_f32 v112, v119, v116, -v86
	v_fmac_f32_e32 v112, v119, v3
	v_add_f32_e32 v118, v87, v84
	v_add_f32_e32 v84, v86, v112
	v_sub_f32_e32 v87, v85, v84
	v_pk_add_f32 v[114:115], v[84:85], v[86:87] neg_lo:[0,1] neg_hi:[0,1]
	v_mov_b32_e32 v113, v84
	v_pk_add_f32 v[84:85], v[114:115], v[112:113] neg_lo:[0,1] neg_hi:[0,1]
	s_mov_b32 s44, 0x3f317218
	v_add_f32_e32 v85, v118, v85
	v_add_f32_e32 v84, v84, v85
	;; [unrolled: 1-line block ×3, first 2 shown]
	v_mul_f32_e32 v118, v117, v85
	v_mul_f32_e32 v86, v116, v118
	v_fma_f32 v112, v118, v116, -v86
	v_fmac_f32_e32 v112, v118, v3
	v_sub_f32_e32 v3, v87, v85
	v_add_f32_e32 v3, v84, v3
	v_add_f32_e32 v84, v86, v112
	v_sub_f32_e32 v87, v85, v84
	v_pk_add_f32 v[114:115], v[84:85], v[86:87] neg_lo:[0,1] neg_hi:[0,1]
	v_mov_b32_e32 v113, v84
	v_pk_add_f32 v[84:85], v[114:115], v[112:113] neg_lo:[0,1] neg_hi:[0,1]
	v_cvt_f32_i32_e32 v86, v101
	v_add_f32_e32 v3, v3, v85
	v_add_f32_e32 v3, v84, v3
	;; [unrolled: 1-line block ×4, first 2 shown]
	v_sub_f32_e32 v85, v84, v119
	v_mul_f32_e32 v3, v117, v3
	v_sub_f32_e32 v85, v118, v85
	v_add_f32_e32 v3, v85, v3
	v_add_f32_e32 v87, v84, v3
	v_mul_f32_e32 v112, v87, v87
	v_mov_b32_e32 v85, 0x3ecc95a3
	v_fmac_f32_e32 v85, 0x3e9b6dac, v112
	v_sub_f32_e32 v84, v87, v84
	v_fmaak_f32 v85, v112, v85, 0x3f2aaada
	v_sub_f32_e32 v3, v3, v84
	v_ldexp_f32 v113, v87, 1
	v_mul_f32_e32 v87, v87, v112
	v_mov_b32_e32 v84, 0x3f317218
	v_pk_mul_f32 v[84:85], v[86:87], v[84:85]
	v_ldexp_f32 v3, v3, 1
	v_fma_f32 v87, v86, s44, -v84
	v_fmamk_f32 v112, v86, 0xb102e308, v87
	v_pk_add_f32 v[86:87], v[84:85], v[112:113]
	v_mov_b32_e32 v114, v84
	v_sub_f32_e32 v101, v87, v113
	v_sub_f32_e32 v101, v85, v101
	v_add_f32_e32 v115, v3, v101
	v_pk_add_f32 v[84:85], v[86:87], v[84:85] neg_lo:[0,1] neg_hi:[0,1]
	v_pk_add_f32 v[116:117], v[86:87], v[114:115]
	v_mov_b32_e32 v113, v86
	v_mov_b32_e32 v85, v117
	v_pk_add_f32 v[118:119], v[112:113], v[84:85] neg_lo:[0,1] neg_hi:[0,1]
	v_pk_add_f32 v[84:85], v[112:113], v[84:85]
	v_mov_b32_e32 v114, v115
	v_mov_b32_e32 v112, v85
	v_pk_add_f32 v[128:129], v[112:113], v[86:87] neg_lo:[0,1] neg_hi:[0,1]
	v_mov_b32_e32 v84, v117
	v_mov_b32_e32 v3, v128
	v_pk_add_f32 v[130:131], v[116:117], v[2:3] neg_lo:[0,1] neg_hi:[0,1]
	v_mov_b32_e32 v116, v87
	v_mov_b32_e32 v117, v128
	;; [unrolled: 1-line block ×3, first 2 shown]
	v_pk_add_f32 v[84:85], v[84:85], v[116:117] neg_lo:[0,1] neg_hi:[0,1]
	v_mov_b32_e32 v115, v86
	v_pk_add_f32 v[84:85], v[114:115], v[84:85] neg_lo:[0,1] neg_hi:[0,1]
	v_mov_b32_e32 v130, v118
	v_pk_add_f32 v[86:87], v[130:131], v[84:85]
	v_cmp_eq_f32_e64 s[44:45], s49, v53
	v_mov_b32_e32 v114, v87
	v_pk_add_f32 v[114:115], v[86:87], v[114:115]
	s_mov_b32 s49, 0x33800000
	v_pk_add_f32 v[112:113], v[112:113], v[114:115]
	v_mov_b32_e32 v85, v114
	v_mov_b32_e32 v87, v112
	v_pk_add_f32 v[116:117], v[86:87], v[118:119] neg_lo:[0,1] neg_hi:[0,1]
	v_cmp_lt_f32_e64 s[50:51], |v53|, s49
	v_sub_f32_e32 v3, v86, v116
	v_pk_add_f32 v[84:85], v[84:85], v[116:117] neg_lo:[0,1] neg_hi:[0,1]
	v_sub_f32_e32 v3, v118, v3
	v_add_f32_e32 v3, v84, v3
	v_add_f32_e32 v3, v3, v85
	;; [unrolled: 1-line block ×3, first 2 shown]
	s_or_b64 s[44:45], s[44:45], s[50:51]
	v_cndmask_b32_e64 v3, v3, v53, s[44:45]
	v_add_f32_e32 v53, v2, v3
.LBB161_310:
	s_or_b64 exec, exec, s[46:47]
	v_max_f32_e32 v84, v20, v20
	v_max_f32_e32 v2, v53, v53
	v_min_f32_e32 v3, v2, v84
	v_cmp_u_f32_e64 s[46:47], v53, v53
	v_max_f32_e32 v2, v2, v84
	v_cmp_u_f32_e64 s[44:45], v20, v20
	v_cndmask_b32_e64 v3, v3, v53, s[46:47]
	v_cndmask_b32_e64 v2, v2, v53, s[46:47]
	;; [unrolled: 1-line block ×4, first 2 shown]
	v_cmp_neq_f32_e64 s[46:47], v3, v2
	v_cmp_class_f32_e64 s[48:49], v3, s48
	s_or_b64 s[46:47], s[46:47], s[48:49]
	s_and_saveexec_b64 s[48:49], s[46:47]
	s_cbranch_execz .LBB161_312
; %bb.311:
	v_sub_f32_e32 v3, v3, v2
	s_mov_b32 s46, 0x3fb8aa3b
	v_mul_f32_e32 v53, 0x3fb8aa3b, v3
	v_fma_f32 v85, v3, s46, -v53
	v_rndne_f32_e32 v86, v53
	v_fmamk_f32 v85, v3, 0x32a5705f, v85
	v_sub_f32_e32 v53, v53, v86
	v_add_f32_e32 v53, v53, v85
	v_exp_f32_e32 v53, v53
	v_cvt_i32_f32_e32 v85, v86
	s_mov_b32 s46, 0xc2ce8ed0
	v_cmp_ngt_f32_e64 s[46:47], s46, v3
	s_mov_b32 s50, 0x7f800000
	v_ldexp_f32 v53, v53, v85
	v_cndmask_b32_e64 v53, 0, v53, s[46:47]
	s_mov_b32 s46, 0x42b17218
	v_mov_b32_e32 v85, 0x7f800000
	v_cmp_nlt_f32_e64 s[46:47], s46, v3
	s_nop 1
	v_cndmask_b32_e64 v53, v85, v53, s[46:47]
	v_add_f32_e32 v3, 1.0, v53
	v_add_f32_e32 v85, -1.0, v3
	v_sub_f32_e32 v86, v85, v3
	v_add_f32_e32 v86, 1.0, v86
	v_sub_f32_e32 v85, v53, v85
	v_add_f32_e32 v85, v85, v86
	v_frexp_mant_f32_e32 v101, v3
	s_mov_b32 s46, 0x3f2aaaab
	v_cvt_f64_f32_e32 v[86:87], v3
	v_frexp_exp_i32_f64_e32 v86, v[86:87]
	v_cmp_gt_f32_e64 s[46:47], s46, v101
	s_nop 1
	v_subbrev_co_u32_e64 v101, s[46:47], 0, v86, s[46:47]
	v_sub_u32_e32 v86, 0, v101
	v_ldexp_f32 v3, v3, v86
	v_ldexp_f32 v85, v85, v86
	v_add_f32_e32 v86, -1.0, v3
	v_add_f32_e32 v87, 1.0, v86
	v_sub_f32_e32 v87, v3, v87
	v_add_f32_e32 v112, v85, v87
	v_add_f32_e32 v87, 1.0, v3
	v_add_f32_e32 v113, -1.0, v87
	v_sub_f32_e32 v3, v3, v113
	v_add_f32_e32 v3, v85, v3
	v_add_f32_e32 v85, v87, v3
	v_rcp_f32_e32 v118, v85
	v_sub_f32_e32 v87, v87, v85
	v_add_f32_e32 v3, v3, v87
	v_add_f32_e32 v87, v86, v112
	v_sub_f32_e32 v86, v86, v87
	v_mul_f32_e32 v128, v87, v118
	v_add_f32_e32 v119, v112, v86
	v_mul_f32_e32 v112, v85, v128
	v_fma_f32 v114, v128, v85, -v112
	v_fmac_f32_e32 v114, v128, v3
	v_add_f32_e32 v86, v112, v114
	v_sub_f32_e32 v113, v87, v86
	v_pk_add_f32 v[116:117], v[86:87], v[112:113] neg_lo:[0,1] neg_hi:[0,1]
	v_mov_b32_e32 v115, v86
	v_pk_add_f32 v[86:87], v[116:117], v[114:115] neg_lo:[0,1] neg_hi:[0,1]
	s_mov_b32 s46, 0x3f317218
	v_add_f32_e32 v87, v119, v87
	v_add_f32_e32 v86, v86, v87
	;; [unrolled: 1-line block ×3, first 2 shown]
	v_mul_f32_e32 v119, v118, v87
	v_mul_f32_e32 v112, v85, v119
	v_fma_f32 v114, v119, v85, -v112
	v_fmac_f32_e32 v114, v119, v3
	v_sub_f32_e32 v3, v113, v87
	v_add_f32_e32 v3, v86, v3
	v_add_f32_e32 v86, v112, v114
	v_sub_f32_e32 v113, v87, v86
	v_pk_add_f32 v[116:117], v[86:87], v[112:113] neg_lo:[0,1] neg_hi:[0,1]
	v_mov_b32_e32 v115, v86
	v_pk_add_f32 v[86:87], v[116:117], v[114:115] neg_lo:[0,1] neg_hi:[0,1]
	v_add_f32_e32 v85, v128, v119
	v_add_f32_e32 v3, v3, v87
	;; [unrolled: 1-line block ×4, first 2 shown]
	v_sub_f32_e32 v86, v85, v128
	v_mul_f32_e32 v3, v118, v3
	v_sub_f32_e32 v86, v119, v86
	v_add_f32_e32 v3, v86, v3
	v_add_f32_e32 v86, v85, v3
	v_cvt_f32_i32_e32 v112, v101
	v_mul_f32_e32 v113, v86, v86
	v_mov_b32_e32 v87, 0x3ecc95a3
	v_fmac_f32_e32 v87, 0x3e9b6dac, v113
	v_fmaak_f32 v87, v113, v87, 0x3f2aaada
	v_sub_f32_e32 v85, v86, v85
	v_ldexp_f32 v115, v86, 1
	v_mul_f32_e32 v113, v86, v113
	v_mov_b32_e32 v86, 0x3f317218
	v_pk_mul_f32 v[86:87], v[112:113], v[86:87]
	v_sub_f32_e32 v3, v3, v85
	v_fma_f32 v85, v112, s46, -v86
	v_fmamk_f32 v114, v112, 0xb102e308, v85
	v_pk_add_f32 v[112:113], v[86:87], v[114:115]
	v_ldexp_f32 v3, v3, 1
	v_sub_f32_e32 v85, v113, v115
	v_sub_f32_e32 v85, v87, v85
	v_add_f32_e32 v117, v3, v85
	v_mov_b32_e32 v116, v86
	v_pk_add_f32 v[86:87], v[112:113], v[86:87] neg_lo:[0,1] neg_hi:[0,1]
	v_pk_add_f32 v[118:119], v[112:113], v[116:117]
	v_mov_b32_e32 v115, v112
	v_mov_b32_e32 v87, v119
	v_pk_add_f32 v[128:129], v[114:115], v[86:87] neg_lo:[0,1] neg_hi:[0,1]
	v_pk_add_f32 v[86:87], v[114:115], v[86:87]
	v_mov_b32_e32 v116, v117
	v_mov_b32_e32 v114, v87
	v_pk_add_f32 v[130:131], v[114:115], v[112:113] neg_lo:[0,1] neg_hi:[0,1]
	v_mov_b32_e32 v86, v119
	v_mov_b32_e32 v3, v130
	v_pk_add_f32 v[132:133], v[118:119], v[2:3] neg_lo:[0,1] neg_hi:[0,1]
	v_mov_b32_e32 v118, v113
	v_mov_b32_e32 v119, v130
	;; [unrolled: 1-line block ×3, first 2 shown]
	v_pk_add_f32 v[86:87], v[86:87], v[118:119] neg_lo:[0,1] neg_hi:[0,1]
	v_mov_b32_e32 v117, v112
	v_pk_add_f32 v[86:87], v[116:117], v[86:87] neg_lo:[0,1] neg_hi:[0,1]
	v_mov_b32_e32 v132, v128
	v_pk_add_f32 v[112:113], v[132:133], v[86:87]
	v_cmp_eq_f32_e64 s[46:47], s50, v53
	v_mov_b32_e32 v116, v113
	v_pk_add_f32 v[116:117], v[112:113], v[116:117]
	s_mov_b32 s50, 0x33800000
	v_pk_add_f32 v[114:115], v[114:115], v[116:117]
	v_mov_b32_e32 v87, v116
	v_mov_b32_e32 v113, v114
	v_pk_add_f32 v[118:119], v[112:113], v[128:129] neg_lo:[0,1] neg_hi:[0,1]
	v_cmp_lt_f32_e64 s[50:51], |v53|, s50
	v_sub_f32_e32 v3, v112, v118
	v_pk_add_f32 v[86:87], v[86:87], v[118:119] neg_lo:[0,1] neg_hi:[0,1]
	v_sub_f32_e32 v3, v128, v3
	v_add_f32_e32 v3, v86, v3
	v_add_f32_e32 v3, v3, v87
	;; [unrolled: 1-line block ×3, first 2 shown]
	s_or_b64 s[46:47], s[46:47], s[50:51]
	v_cndmask_b32_e64 v3, v3, v53, s[46:47]
	v_add_f32_e32 v53, v2, v3
.LBB161_312:
	s_or_b64 exec, exec, s[48:49]
	v_max_f32_e32 v85, v21, v21
	v_max_f32_e32 v2, v53, v53
	v_min_f32_e32 v3, v2, v85
	v_cmp_u_f32_e64 s[48:49], v53, v53
	v_max_f32_e32 v2, v2, v85
	v_cmp_u_f32_e64 s[46:47], v21, v21
	v_cndmask_b32_e64 v3, v3, v53, s[48:49]
	v_cndmask_b32_e64 v2, v2, v53, s[48:49]
	;; [unrolled: 1-line block ×4, first 2 shown]
	s_movk_i32 s54, 0x1f8
	v_cmp_neq_f32_e64 s[48:49], v3, v2
	v_cmp_class_f32_e64 s[50:51], v3, s54
	s_or_b64 s[48:49], s[48:49], s[50:51]
	s_and_saveexec_b64 s[50:51], s[48:49]
	s_cbranch_execz .LBB161_314
; %bb.313:
	v_sub_f32_e32 v3, v3, v2
	s_mov_b32 s48, 0x3fb8aa3b
	v_mul_f32_e32 v53, 0x3fb8aa3b, v3
	v_fma_f32 v86, v3, s48, -v53
	v_rndne_f32_e32 v87, v53
	v_fmamk_f32 v86, v3, 0x32a5705f, v86
	v_sub_f32_e32 v53, v53, v87
	v_add_f32_e32 v53, v53, v86
	v_exp_f32_e32 v53, v53
	v_cvt_i32_f32_e32 v86, v87
	s_mov_b32 s48, 0xc2ce8ed0
	v_cmp_ngt_f32_e64 s[48:49], s48, v3
	s_mov_b32 s55, 0x7f800000
	v_ldexp_f32 v53, v53, v86
	v_cndmask_b32_e64 v53, 0, v53, s[48:49]
	s_mov_b32 s48, 0x42b17218
	v_mov_b32_e32 v86, 0x7f800000
	v_cmp_nlt_f32_e64 s[48:49], s48, v3
	s_nop 1
	v_cndmask_b32_e64 v53, v86, v53, s[48:49]
	v_add_f32_e32 v3, 1.0, v53
	v_add_f32_e32 v86, -1.0, v3
	v_sub_f32_e32 v87, v86, v3
	v_add_f32_e32 v87, 1.0, v87
	v_sub_f32_e32 v86, v53, v86
	v_add_f32_e32 v101, v86, v87
	v_frexp_mant_f32_e32 v112, v3
	s_mov_b32 s48, 0x3f2aaaab
	v_cvt_f64_f32_e32 v[86:87], v3
	v_frexp_exp_i32_f64_e32 v86, v[86:87]
	v_cmp_gt_f32_e64 s[48:49], s48, v112
	s_nop 1
	v_subbrev_co_u32_e64 v118, s[48:49], 0, v86, s[48:49]
	v_sub_u32_e32 v86, 0, v118
	v_ldexp_f32 v3, v3, v86
	v_ldexp_f32 v86, v101, v86
	v_add_f32_e32 v101, -1.0, v3
	v_add_f32_e32 v87, 1.0, v101
	v_sub_f32_e32 v87, v3, v87
	v_add_f32_e32 v112, v86, v87
	v_add_f32_e32 v87, 1.0, v3
	v_add_f32_e32 v113, -1.0, v87
	v_sub_f32_e32 v3, v3, v113
	v_add_f32_e32 v3, v86, v3
	v_add_f32_e32 v119, v87, v3
	v_rcp_f32_e32 v128, v119
	v_sub_f32_e32 v86, v87, v119
	v_add_f32_e32 v87, v101, v112
	v_add_f32_e32 v3, v3, v86
	v_sub_f32_e32 v86, v101, v87
	v_mul_f32_e32 v129, v87, v128
	v_add_f32_e32 v101, v112, v86
	v_mul_f32_e32 v112, v119, v129
	v_fma_f32 v114, v129, v119, -v112
	v_fmac_f32_e32 v114, v129, v3
	v_add_f32_e32 v86, v112, v114
	v_sub_f32_e32 v113, v87, v86
	v_pk_add_f32 v[116:117], v[86:87], v[112:113] neg_lo:[0,1] neg_hi:[0,1]
	v_mov_b32_e32 v115, v86
	v_pk_add_f32 v[86:87], v[116:117], v[114:115] neg_lo:[0,1] neg_hi:[0,1]
	s_mov_b32 s48, 0x3f317218
	v_add_f32_e32 v87, v101, v87
	v_add_f32_e32 v86, v86, v87
	;; [unrolled: 1-line block ×3, first 2 shown]
	v_mul_f32_e32 v101, v128, v87
	v_mul_f32_e32 v112, v119, v101
	v_fma_f32 v114, v101, v119, -v112
	v_fmac_f32_e32 v114, v101, v3
	v_sub_f32_e32 v3, v113, v87
	v_add_f32_e32 v3, v86, v3
	v_add_f32_e32 v86, v112, v114
	v_sub_f32_e32 v113, v87, v86
	v_pk_add_f32 v[116:117], v[86:87], v[112:113] neg_lo:[0,1] neg_hi:[0,1]
	v_mov_b32_e32 v115, v86
	v_pk_add_f32 v[86:87], v[116:117], v[114:115] neg_lo:[0,1] neg_hi:[0,1]
	v_cvt_f32_i32_e32 v112, v118
	v_add_f32_e32 v3, v3, v87
	v_add_f32_e32 v3, v86, v3
	;; [unrolled: 1-line block ×4, first 2 shown]
	v_sub_f32_e32 v87, v86, v129
	v_mul_f32_e32 v3, v128, v3
	v_sub_f32_e32 v87, v101, v87
	v_add_f32_e32 v3, v87, v3
	v_add_f32_e32 v101, v86, v3
	v_mul_f32_e32 v113, v101, v101
	v_mov_b32_e32 v87, 0x3ecc95a3
	v_fmac_f32_e32 v87, 0x3e9b6dac, v113
	v_sub_f32_e32 v86, v101, v86
	v_fmaak_f32 v87, v113, v87, 0x3f2aaada
	v_sub_f32_e32 v3, v3, v86
	v_mul_f32_e32 v113, v101, v113
	v_mov_b32_e32 v86, 0x3f317218
	v_pk_mul_f32 v[86:87], v[112:113], v[86:87]
	v_ldexp_f32 v115, v101, 1
	v_fma_f32 v101, v112, s48, -v86
	v_fmamk_f32 v114, v112, 0xb102e308, v101
	v_pk_add_f32 v[112:113], v[86:87], v[114:115]
	v_ldexp_f32 v3, v3, 1
	v_sub_f32_e32 v101, v113, v115
	v_sub_f32_e32 v101, v87, v101
	v_add_f32_e32 v117, v3, v101
	v_mov_b32_e32 v116, v86
	v_pk_add_f32 v[86:87], v[112:113], v[86:87] neg_lo:[0,1] neg_hi:[0,1]
	v_pk_add_f32 v[118:119], v[112:113], v[116:117]
	v_mov_b32_e32 v115, v112
	v_mov_b32_e32 v87, v119
	v_pk_add_f32 v[128:129], v[114:115], v[86:87] neg_lo:[0,1] neg_hi:[0,1]
	v_pk_add_f32 v[86:87], v[114:115], v[86:87]
	v_mov_b32_e32 v116, v117
	v_mov_b32_e32 v114, v87
	v_pk_add_f32 v[130:131], v[114:115], v[112:113] neg_lo:[0,1] neg_hi:[0,1]
	v_mov_b32_e32 v86, v119
	v_mov_b32_e32 v3, v130
	v_pk_add_f32 v[132:133], v[118:119], v[2:3] neg_lo:[0,1] neg_hi:[0,1]
	v_mov_b32_e32 v118, v113
	v_mov_b32_e32 v119, v130
	;; [unrolled: 1-line block ×3, first 2 shown]
	v_pk_add_f32 v[86:87], v[86:87], v[118:119] neg_lo:[0,1] neg_hi:[0,1]
	v_mov_b32_e32 v117, v112
	v_pk_add_f32 v[86:87], v[116:117], v[86:87] neg_lo:[0,1] neg_hi:[0,1]
	v_mov_b32_e32 v132, v128
	v_pk_add_f32 v[112:113], v[132:133], v[86:87]
	v_cmp_eq_f32_e64 s[48:49], s55, v53
	v_mov_b32_e32 v116, v113
	v_pk_add_f32 v[116:117], v[112:113], v[116:117]
	s_mov_b32 s55, 0x33800000
	v_pk_add_f32 v[114:115], v[114:115], v[116:117]
	v_mov_b32_e32 v87, v116
	v_mov_b32_e32 v113, v114
	v_pk_add_f32 v[118:119], v[112:113], v[128:129] neg_lo:[0,1] neg_hi:[0,1]
	v_cmp_lt_f32_e64 s[56:57], |v53|, s55
	v_sub_f32_e32 v3, v112, v118
	v_pk_add_f32 v[86:87], v[86:87], v[118:119] neg_lo:[0,1] neg_hi:[0,1]
	v_sub_f32_e32 v3, v128, v3
	v_add_f32_e32 v3, v86, v3
	v_add_f32_e32 v3, v3, v87
	;; [unrolled: 1-line block ×3, first 2 shown]
	s_or_b64 s[48:49], s[48:49], s[56:57]
	v_cndmask_b32_e64 v3, v3, v53, s[48:49]
	v_add_f32_e32 v53, v2, v3
.LBB161_314:
	s_or_b64 exec, exec, s[50:51]
	v_max_f32_e32 v86, v22, v22
	v_max_f32_e32 v2, v53, v53
	v_min_f32_e32 v3, v2, v86
	v_cmp_u_f32_e64 s[50:51], v53, v53
	v_max_f32_e32 v2, v2, v86
	v_cmp_u_f32_e64 s[48:49], v22, v22
	v_cndmask_b32_e64 v3, v3, v53, s[50:51]
	v_cndmask_b32_e64 v2, v2, v53, s[50:51]
	;; [unrolled: 1-line block ×4, first 2 shown]
	v_cmp_neq_f32_e64 s[50:51], v3, v2
	v_cmp_class_f32_e64 s[54:55], v3, s54
	s_or_b64 s[50:51], s[50:51], s[54:55]
	s_and_saveexec_b64 s[54:55], s[50:51]
	s_cbranch_execz .LBB161_316
; %bb.315:
	v_sub_f32_e32 v3, v3, v2
	s_mov_b32 s50, 0x3fb8aa3b
	v_mul_f32_e32 v53, 0x3fb8aa3b, v3
	v_fma_f32 v87, v3, s50, -v53
	v_rndne_f32_e32 v101, v53
	v_fmamk_f32 v87, v3, 0x32a5705f, v87
	v_sub_f32_e32 v53, v53, v101
	v_add_f32_e32 v53, v53, v87
	v_exp_f32_e32 v53, v53
	v_cvt_i32_f32_e32 v87, v101
	s_mov_b32 s50, 0xc2ce8ed0
	v_cmp_ngt_f32_e64 s[50:51], s50, v3
	s_mov_b32 s56, 0x7f800000
	v_ldexp_f32 v53, v53, v87
	v_cndmask_b32_e64 v53, 0, v53, s[50:51]
	s_mov_b32 s50, 0x42b17218
	v_mov_b32_e32 v87, 0x7f800000
	v_cmp_nlt_f32_e64 s[50:51], s50, v3
	s_nop 1
	v_cndmask_b32_e64 v53, v87, v53, s[50:51]
	v_add_f32_e32 v3, 1.0, v53
	v_add_f32_e32 v87, -1.0, v3
	v_sub_f32_e32 v101, v87, v3
	v_add_f32_e32 v101, 1.0, v101
	v_sub_f32_e32 v87, v53, v87
	v_add_f32_e32 v87, v87, v101
	v_frexp_mant_f32_e32 v101, v3
	s_mov_b32 s50, 0x3f2aaaab
	v_cvt_f64_f32_e32 v[112:113], v3
	v_frexp_exp_i32_f64_e32 v112, v[112:113]
	v_cmp_gt_f32_e64 s[50:51], s50, v101
	s_nop 1
	v_subbrev_co_u32_e64 v101, s[50:51], 0, v112, s[50:51]
	v_sub_u32_e32 v112, 0, v101
	v_ldexp_f32 v3, v3, v112
	v_ldexp_f32 v87, v87, v112
	v_add_f32_e32 v112, -1.0, v3
	v_add_f32_e32 v113, 1.0, v112
	v_sub_f32_e32 v113, v3, v113
	v_add_f32_e32 v114, v87, v113
	v_add_f32_e32 v113, 1.0, v3
	v_add_f32_e32 v115, -1.0, v113
	v_sub_f32_e32 v3, v3, v115
	v_add_f32_e32 v3, v87, v3
	v_add_f32_e32 v87, v113, v3
	v_rcp_f32_e32 v128, v87
	v_sub_f32_e32 v113, v113, v87
	v_add_f32_e32 v3, v3, v113
	v_add_f32_e32 v113, v112, v114
	v_sub_f32_e32 v112, v112, v113
	v_mul_f32_e32 v130, v113, v128
	v_add_f32_e32 v129, v114, v112
	v_mul_f32_e32 v114, v87, v130
	v_fma_f32 v116, v130, v87, -v114
	v_fmac_f32_e32 v116, v130, v3
	v_add_f32_e32 v112, v114, v116
	v_sub_f32_e32 v115, v113, v112
	v_pk_add_f32 v[118:119], v[112:113], v[114:115] neg_lo:[0,1] neg_hi:[0,1]
	v_mov_b32_e32 v117, v112
	v_pk_add_f32 v[112:113], v[118:119], v[116:117] neg_lo:[0,1] neg_hi:[0,1]
	s_mov_b32 s50, 0x3f317218
	v_add_f32_e32 v113, v129, v113
	v_add_f32_e32 v112, v112, v113
	;; [unrolled: 1-line block ×3, first 2 shown]
	v_mul_f32_e32 v129, v128, v113
	v_mul_f32_e32 v114, v87, v129
	v_fma_f32 v116, v129, v87, -v114
	v_fmac_f32_e32 v116, v129, v3
	v_sub_f32_e32 v3, v115, v113
	v_add_f32_e32 v3, v112, v3
	v_add_f32_e32 v112, v114, v116
	v_sub_f32_e32 v115, v113, v112
	v_pk_add_f32 v[118:119], v[112:113], v[114:115] neg_lo:[0,1] neg_hi:[0,1]
	v_mov_b32_e32 v117, v112
	v_pk_add_f32 v[112:113], v[118:119], v[116:117] neg_lo:[0,1] neg_hi:[0,1]
	v_add_f32_e32 v87, v130, v129
	v_add_f32_e32 v3, v3, v113
	;; [unrolled: 1-line block ×4, first 2 shown]
	v_sub_f32_e32 v112, v87, v130
	v_mul_f32_e32 v3, v128, v3
	v_sub_f32_e32 v112, v129, v112
	v_add_f32_e32 v3, v112, v3
	v_add_f32_e32 v112, v87, v3
	v_cvt_f32_i32_e32 v114, v101
	v_mul_f32_e32 v115, v112, v112
	v_mov_b32_e32 v113, 0x3ecc95a3
	v_fmac_f32_e32 v113, 0x3e9b6dac, v115
	v_fmaak_f32 v113, v115, v113, 0x3f2aaada
	v_sub_f32_e32 v87, v112, v87
	v_ldexp_f32 v117, v112, 1
	v_mul_f32_e32 v115, v112, v115
	v_mov_b32_e32 v112, 0x3f317218
	v_pk_mul_f32 v[112:113], v[114:115], v[112:113]
	v_sub_f32_e32 v3, v3, v87
	v_fma_f32 v87, v114, s50, -v112
	v_fmamk_f32 v116, v114, 0xb102e308, v87
	v_pk_add_f32 v[114:115], v[112:113], v[116:117]
	v_ldexp_f32 v3, v3, 1
	v_sub_f32_e32 v87, v115, v117
	v_sub_f32_e32 v87, v113, v87
	v_add_f32_e32 v119, v3, v87
	v_mov_b32_e32 v118, v112
	v_pk_add_f32 v[112:113], v[114:115], v[112:113] neg_lo:[0,1] neg_hi:[0,1]
	v_pk_add_f32 v[128:129], v[114:115], v[118:119]
	v_mov_b32_e32 v117, v114
	v_mov_b32_e32 v113, v129
	v_pk_add_f32 v[130:131], v[116:117], v[112:113] neg_lo:[0,1] neg_hi:[0,1]
	v_pk_add_f32 v[112:113], v[116:117], v[112:113]
	v_mov_b32_e32 v118, v119
	v_mov_b32_e32 v116, v113
	v_pk_add_f32 v[132:133], v[116:117], v[114:115] neg_lo:[0,1] neg_hi:[0,1]
	v_mov_b32_e32 v112, v129
	v_mov_b32_e32 v3, v132
	v_pk_add_f32 v[134:135], v[128:129], v[2:3] neg_lo:[0,1] neg_hi:[0,1]
	v_mov_b32_e32 v128, v115
	v_mov_b32_e32 v129, v132
	v_mov_b32_e32 v131, v113
	v_pk_add_f32 v[112:113], v[112:113], v[128:129] neg_lo:[0,1] neg_hi:[0,1]
	v_mov_b32_e32 v119, v114
	v_pk_add_f32 v[112:113], v[118:119], v[112:113] neg_lo:[0,1] neg_hi:[0,1]
	v_mov_b32_e32 v134, v130
	v_pk_add_f32 v[114:115], v[134:135], v[112:113]
	v_cmp_eq_f32_e64 s[50:51], s56, v53
	v_mov_b32_e32 v118, v115
	v_pk_add_f32 v[118:119], v[114:115], v[118:119]
	s_mov_b32 s56, 0x33800000
	v_pk_add_f32 v[116:117], v[116:117], v[118:119]
	v_mov_b32_e32 v113, v118
	v_mov_b32_e32 v115, v116
	v_pk_add_f32 v[128:129], v[114:115], v[130:131] neg_lo:[0,1] neg_hi:[0,1]
	v_cmp_lt_f32_e64 s[56:57], |v53|, s56
	v_sub_f32_e32 v3, v114, v128
	v_pk_add_f32 v[112:113], v[112:113], v[128:129] neg_lo:[0,1] neg_hi:[0,1]
	v_sub_f32_e32 v3, v130, v3
	v_add_f32_e32 v3, v112, v3
	v_add_f32_e32 v3, v3, v113
	;; [unrolled: 1-line block ×3, first 2 shown]
	s_or_b64 s[50:51], s[50:51], s[56:57]
	v_cndmask_b32_e64 v3, v3, v53, s[50:51]
	v_add_f32_e32 v53, v2, v3
.LBB161_316:
	s_or_b64 exec, exec, s[54:55]
	v_max_f32_e32 v87, v23, v23
	v_max_f32_e32 v2, v53, v53
	v_min_f32_e32 v3, v2, v87
	v_cmp_u_f32_e64 s[54:55], v53, v53
	v_max_f32_e32 v2, v2, v87
	v_cmp_u_f32_e64 s[50:51], v23, v23
	v_cndmask_b32_e64 v3, v3, v53, s[54:55]
	v_cndmask_b32_e64 v2, v2, v53, s[54:55]
	;; [unrolled: 1-line block ×4, first 2 shown]
	s_movk_i32 s56, 0x1f8
	v_cmp_neq_f32_e64 s[54:55], v3, v2
	v_cmp_class_f32_e64 s[56:57], v3, s56
	s_or_b64 s[54:55], s[54:55], s[56:57]
	s_and_saveexec_b64 s[56:57], s[54:55]
	s_cbranch_execz .LBB161_318
; %bb.317:
	v_sub_f32_e32 v3, v3, v2
	s_mov_b32 s54, 0x3fb8aa3b
	v_mul_f32_e32 v53, 0x3fb8aa3b, v3
	v_fma_f32 v101, v3, s54, -v53
	v_rndne_f32_e32 v112, v53
	v_fmamk_f32 v101, v3, 0x32a5705f, v101
	v_sub_f32_e32 v53, v53, v112
	v_add_f32_e32 v53, v53, v101
	v_exp_f32_e32 v53, v53
	v_cvt_i32_f32_e32 v101, v112
	s_mov_b32 s54, 0xc2ce8ed0
	v_cmp_ngt_f32_e64 s[54:55], s54, v3
	s_mov_b32 s58, 0x7f800000
	v_ldexp_f32 v53, v53, v101
	v_cndmask_b32_e64 v53, 0, v53, s[54:55]
	s_mov_b32 s54, 0x42b17218
	v_mov_b32_e32 v101, 0x7f800000
	v_cmp_nlt_f32_e64 s[54:55], s54, v3
	s_nop 1
	v_cndmask_b32_e64 v53, v101, v53, s[54:55]
	v_add_f32_e32 v3, 1.0, v53
	v_add_f32_e32 v101, -1.0, v3
	v_sub_f32_e32 v112, v101, v3
	v_add_f32_e32 v112, 1.0, v112
	v_sub_f32_e32 v101, v53, v101
	v_add_f32_e32 v101, v101, v112
	v_frexp_mant_f32_e32 v114, v3
	s_mov_b32 s54, 0x3f2aaaab
	v_cvt_f64_f32_e32 v[112:113], v3
	v_frexp_exp_i32_f64_e32 v112, v[112:113]
	v_cmp_gt_f32_e64 s[54:55], s54, v114
	s_nop 1
	v_subbrev_co_u32_e64 v128, s[54:55], 0, v112, s[54:55]
	v_sub_u32_e32 v112, 0, v128
	v_ldexp_f32 v3, v3, v112
	v_ldexp_f32 v101, v101, v112
	v_add_f32_e32 v112, -1.0, v3
	v_add_f32_e32 v113, 1.0, v112
	v_sub_f32_e32 v113, v3, v113
	v_add_f32_e32 v114, v101, v113
	v_add_f32_e32 v113, 1.0, v3
	v_add_f32_e32 v115, -1.0, v113
	v_sub_f32_e32 v3, v3, v115
	v_add_f32_e32 v3, v101, v3
	v_add_f32_e32 v101, v113, v3
	v_rcp_f32_e32 v129, v101
	v_sub_f32_e32 v113, v113, v101
	v_add_f32_e32 v3, v3, v113
	v_add_f32_e32 v113, v112, v114
	v_sub_f32_e32 v112, v112, v113
	v_mul_f32_e32 v131, v113, v129
	v_add_f32_e32 v130, v114, v112
	v_mul_f32_e32 v114, v101, v131
	v_fma_f32 v116, v131, v101, -v114
	v_fmac_f32_e32 v116, v131, v3
	v_add_f32_e32 v112, v114, v116
	v_sub_f32_e32 v115, v113, v112
	v_pk_add_f32 v[118:119], v[112:113], v[114:115] neg_lo:[0,1] neg_hi:[0,1]
	v_mov_b32_e32 v117, v112
	v_pk_add_f32 v[112:113], v[118:119], v[116:117] neg_lo:[0,1] neg_hi:[0,1]
	s_mov_b32 s54, 0x3f317218
	v_add_f32_e32 v113, v130, v113
	v_add_f32_e32 v112, v112, v113
	;; [unrolled: 1-line block ×3, first 2 shown]
	v_mul_f32_e32 v130, v129, v113
	v_mul_f32_e32 v114, v101, v130
	v_fma_f32 v116, v130, v101, -v114
	v_fmac_f32_e32 v116, v130, v3
	v_sub_f32_e32 v3, v115, v113
	v_add_f32_e32 v3, v112, v3
	v_add_f32_e32 v112, v114, v116
	v_sub_f32_e32 v115, v113, v112
	v_pk_add_f32 v[118:119], v[112:113], v[114:115] neg_lo:[0,1] neg_hi:[0,1]
	v_mov_b32_e32 v117, v112
	v_pk_add_f32 v[112:113], v[118:119], v[116:117] neg_lo:[0,1] neg_hi:[0,1]
	v_add_f32_e32 v101, v131, v130
	v_add_f32_e32 v3, v3, v113
	;; [unrolled: 1-line block ×4, first 2 shown]
	v_sub_f32_e32 v112, v101, v131
	v_mul_f32_e32 v3, v129, v3
	v_sub_f32_e32 v112, v130, v112
	v_add_f32_e32 v3, v112, v3
	v_add_f32_e32 v112, v101, v3
	v_cvt_f32_i32_e32 v114, v128
	v_mul_f32_e32 v115, v112, v112
	v_mov_b32_e32 v113, 0x3ecc95a3
	v_fmac_f32_e32 v113, 0x3e9b6dac, v115
	v_fmaak_f32 v113, v115, v113, 0x3f2aaada
	v_sub_f32_e32 v101, v112, v101
	v_ldexp_f32 v117, v112, 1
	v_mul_f32_e32 v115, v112, v115
	v_mov_b32_e32 v112, 0x3f317218
	v_pk_mul_f32 v[112:113], v[114:115], v[112:113]
	v_sub_f32_e32 v3, v3, v101
	v_fma_f32 v101, v114, s54, -v112
	v_fmamk_f32 v116, v114, 0xb102e308, v101
	v_pk_add_f32 v[114:115], v[112:113], v[116:117]
	v_ldexp_f32 v3, v3, 1
	v_sub_f32_e32 v101, v115, v117
	v_sub_f32_e32 v101, v113, v101
	v_add_f32_e32 v119, v3, v101
	v_mov_b32_e32 v118, v112
	v_pk_add_f32 v[112:113], v[114:115], v[112:113] neg_lo:[0,1] neg_hi:[0,1]
	v_pk_add_f32 v[128:129], v[114:115], v[118:119]
	v_mov_b32_e32 v117, v114
	v_mov_b32_e32 v113, v129
	v_pk_add_f32 v[130:131], v[116:117], v[112:113] neg_lo:[0,1] neg_hi:[0,1]
	v_pk_add_f32 v[112:113], v[116:117], v[112:113]
	v_mov_b32_e32 v118, v119
	v_mov_b32_e32 v116, v113
	v_pk_add_f32 v[132:133], v[116:117], v[114:115] neg_lo:[0,1] neg_hi:[0,1]
	v_mov_b32_e32 v112, v129
	v_mov_b32_e32 v3, v132
	v_pk_add_f32 v[134:135], v[128:129], v[2:3] neg_lo:[0,1] neg_hi:[0,1]
	v_mov_b32_e32 v128, v115
	v_mov_b32_e32 v129, v132
	;; [unrolled: 1-line block ×3, first 2 shown]
	v_pk_add_f32 v[112:113], v[112:113], v[128:129] neg_lo:[0,1] neg_hi:[0,1]
	v_mov_b32_e32 v119, v114
	v_pk_add_f32 v[112:113], v[118:119], v[112:113] neg_lo:[0,1] neg_hi:[0,1]
	v_mov_b32_e32 v134, v130
	v_pk_add_f32 v[114:115], v[134:135], v[112:113]
	v_cmp_eq_f32_e64 s[54:55], s58, v53
	v_mov_b32_e32 v118, v115
	v_pk_add_f32 v[118:119], v[114:115], v[118:119]
	s_mov_b32 s58, 0x33800000
	v_pk_add_f32 v[116:117], v[116:117], v[118:119]
	v_mov_b32_e32 v113, v118
	v_mov_b32_e32 v115, v116
	v_pk_add_f32 v[128:129], v[114:115], v[130:131] neg_lo:[0,1] neg_hi:[0,1]
	v_cmp_lt_f32_e64 s[58:59], |v53|, s58
	v_sub_f32_e32 v3, v114, v128
	v_pk_add_f32 v[112:113], v[112:113], v[128:129] neg_lo:[0,1] neg_hi:[0,1]
	v_sub_f32_e32 v3, v130, v3
	v_add_f32_e32 v3, v112, v3
	v_add_f32_e32 v3, v3, v113
	;; [unrolled: 1-line block ×3, first 2 shown]
	s_or_b64 s[54:55], s[54:55], s[58:59]
	v_cndmask_b32_e64 v3, v3, v53, s[54:55]
	v_add_f32_e32 v53, v2, v3
.LBB161_318:
	s_or_b64 exec, exec, s[56:57]
	v_lshrrev_b32_e32 v2, 5, v100
	v_add_lshl_u32 v2, v2, v100, 2
	v_cmp_gt_u32_e64 s[54:55], 64, v100
	ds_write_b32 v2, v53
	s_waitcnt lgkmcnt(0)
	s_barrier
	s_and_saveexec_b64 s[60:61], s[54:55]
	s_cbranch_execz .LBB161_358
; %bb.319:
	v_lshrrev_b32_e32 v2, 3, v100
	v_add_lshl_u32 v101, v2, v0, 2
	ds_read2_b32 v[2:3], v101 offset1:1
	s_movk_i32 s62, 0x1f8
	s_waitcnt lgkmcnt(0)
	v_max_f32_e32 v113, v3, v3
	v_max_f32_e32 v112, v2, v2
	v_min_f32_e32 v114, v112, v113
	v_max_f32_e32 v115, v112, v113
	v_cmp_u_f32_e64 s[54:55], v2, v2
	v_cmp_u_f32_e64 s[56:57], v3, v3
	s_nop 0
	v_cndmask_b32_e64 v113, v114, v2, s[54:55]
	v_cndmask_b32_e64 v114, v115, v2, s[54:55]
	;; [unrolled: 1-line block ×4, first 2 shown]
	v_cmp_neq_f32_e64 s[56:57], v113, v3
	v_cmp_class_f32_e64 s[58:59], v113, s62
	s_or_b64 s[56:57], s[56:57], s[58:59]
	v_mov_b32_e32 v114, v2
	s_and_saveexec_b64 s[58:59], s[56:57]
	s_cbranch_execz .LBB161_321
; %bb.320:
	v_sub_f32_e32 v113, v113, v3
	s_mov_b32 s56, 0x3fb8aa3b
	v_mul_f32_e32 v114, 0x3fb8aa3b, v113
	v_fma_f32 v115, v113, s56, -v114
	v_rndne_f32_e32 v116, v114
	v_fmamk_f32 v115, v113, 0x32a5705f, v115
	v_sub_f32_e32 v114, v114, v116
	v_add_f32_e32 v114, v114, v115
	v_exp_f32_e32 v114, v114
	v_cvt_i32_f32_e32 v115, v116
	s_mov_b32 s56, 0xc2ce8ed0
	v_cmp_ngt_f32_e64 s[56:57], s56, v113
	s_mov_b32 s63, 0x7f800000
	v_ldexp_f32 v114, v114, v115
	v_cndmask_b32_e64 v114, 0, v114, s[56:57]
	s_mov_b32 s56, 0x42b17218
	v_mov_b32_e32 v115, 0x7f800000
	v_cmp_nlt_f32_e64 s[56:57], s56, v113
	s_nop 1
	v_cndmask_b32_e64 v146, v115, v114, s[56:57]
	v_add_f32_e32 v113, 1.0, v146
	v_add_f32_e32 v114, -1.0, v113
	v_sub_f32_e32 v115, v114, v113
	v_add_f32_e32 v115, 1.0, v115
	v_sub_f32_e32 v114, v146, v114
	v_add_f32_e32 v116, v114, v115
	v_frexp_mant_f32_e32 v117, v113
	s_mov_b32 s56, 0x3f2aaaab
	v_cvt_f64_f32_e32 v[114:115], v113
	v_frexp_exp_i32_f64_e32 v114, v[114:115]
	v_cmp_gt_f32_e64 s[56:57], s56, v117
	s_nop 1
	v_subbrev_co_u32_e64 v130, s[56:57], 0, v114, s[56:57]
	v_sub_u32_e32 v114, 0, v130
	v_ldexp_f32 v113, v113, v114
	v_ldexp_f32 v114, v116, v114
	v_add_f32_e32 v116, -1.0, v113
	v_add_f32_e32 v115, 1.0, v116
	v_sub_f32_e32 v115, v113, v115
	v_add_f32_e32 v117, v114, v115
	v_add_f32_e32 v115, 1.0, v113
	v_add_f32_e32 v118, -1.0, v115
	v_sub_f32_e32 v113, v113, v118
	v_add_f32_e32 v113, v114, v113
	v_add_f32_e32 v131, v115, v113
	v_rcp_f32_e32 v132, v131
	v_sub_f32_e32 v114, v115, v131
	v_add_f32_e32 v115, v116, v117
	v_add_f32_e32 v113, v113, v114
	v_mul_f32_e32 v134, v115, v132
	v_sub_f32_e32 v114, v116, v115
	v_mul_f32_e32 v116, v131, v134
	v_fma_f32 v118, v134, v131, -v116
	v_fmac_f32_e32 v118, v134, v113
	v_add_f32_e32 v133, v117, v114
	v_add_f32_e32 v114, v116, v118
	v_sub_f32_e32 v117, v115, v114
	v_pk_add_f32 v[128:129], v[114:115], v[116:117] neg_lo:[0,1] neg_hi:[0,1]
	v_mov_b32_e32 v119, v114
	v_pk_add_f32 v[114:115], v[128:129], v[118:119] neg_lo:[0,1] neg_hi:[0,1]
	s_mov_b32 s56, 0x3f317218
	v_add_f32_e32 v115, v133, v115
	v_add_f32_e32 v114, v114, v115
	;; [unrolled: 1-line block ×3, first 2 shown]
	v_mul_f32_e32 v133, v132, v115
	v_mul_f32_e32 v116, v131, v133
	v_fma_f32 v118, v133, v131, -v116
	v_fmac_f32_e32 v118, v133, v113
	v_sub_f32_e32 v113, v117, v115
	v_add_f32_e32 v113, v114, v113
	v_add_f32_e32 v114, v116, v118
	v_sub_f32_e32 v117, v115, v114
	v_pk_add_f32 v[128:129], v[114:115], v[116:117] neg_lo:[0,1] neg_hi:[0,1]
	v_mov_b32_e32 v119, v114
	v_pk_add_f32 v[114:115], v[128:129], v[118:119] neg_lo:[0,1] neg_hi:[0,1]
	v_cvt_f32_i32_e32 v116, v130
	v_add_f32_e32 v113, v113, v115
	v_add_f32_e32 v113, v114, v113
	;; [unrolled: 1-line block ×4, first 2 shown]
	v_sub_f32_e32 v115, v114, v134
	v_mul_f32_e32 v113, v132, v113
	v_sub_f32_e32 v115, v133, v115
	v_add_f32_e32 v113, v115, v113
	v_add_f32_e32 v117, v114, v113
	v_mul_f32_e32 v118, v117, v117
	v_mov_b32_e32 v115, 0x3ecc95a3
	v_fmac_f32_e32 v115, 0x3e9b6dac, v118
	v_sub_f32_e32 v114, v117, v114
	v_fmaak_f32 v115, v118, v115, 0x3f2aaada
	v_sub_f32_e32 v113, v113, v114
	v_ldexp_f32 v119, v117, 1
	v_mul_f32_e32 v117, v117, v118
	v_mov_b32_e32 v114, 0x3f317218
	v_pk_mul_f32 v[114:115], v[116:117], v[114:115]
	v_ldexp_f32 v113, v113, 1
	v_fma_f32 v117, v116, s56, -v114
	v_fmamk_f32 v118, v116, 0xb102e308, v117
	v_pk_add_f32 v[116:117], v[114:115], v[118:119]
	v_mov_b32_e32 v128, v114
	v_sub_f32_e32 v119, v117, v119
	v_sub_f32_e32 v119, v115, v119
	v_add_f32_e32 v129, v113, v119
	v_pk_add_f32 v[114:115], v[116:117], v[114:115] neg_lo:[0,1] neg_hi:[0,1]
	v_pk_add_f32 v[130:131], v[116:117], v[128:129]
	v_mov_b32_e32 v119, v116
	v_mov_b32_e32 v115, v131
	v_pk_add_f32 v[132:133], v[118:119], v[114:115] neg_lo:[0,1] neg_hi:[0,1]
	v_pk_add_f32 v[114:115], v[118:119], v[114:115]
	v_mov_b32_e32 v128, v129
	v_mov_b32_e32 v118, v115
	v_pk_add_f32 v[134:135], v[118:119], v[116:117] neg_lo:[0,1] neg_hi:[0,1]
	v_mov_b32_e32 v114, v131
	v_mov_b32_e32 v113, v134
	v_pk_add_f32 v[144:145], v[130:131], v[112:113] neg_lo:[0,1] neg_hi:[0,1]
	v_mov_b32_e32 v130, v117
	v_mov_b32_e32 v131, v134
	;; [unrolled: 1-line block ×3, first 2 shown]
	v_pk_add_f32 v[114:115], v[114:115], v[130:131] neg_lo:[0,1] neg_hi:[0,1]
	v_mov_b32_e32 v129, v116
	v_pk_add_f32 v[114:115], v[128:129], v[114:115] neg_lo:[0,1] neg_hi:[0,1]
	v_mov_b32_e32 v144, v132
	v_pk_add_f32 v[116:117], v[144:145], v[114:115]
	v_cmp_eq_f32_e64 s[56:57], s63, v146
	v_mov_b32_e32 v128, v117
	v_pk_add_f32 v[128:129], v[116:117], v[128:129]
	s_mov_b32 s63, 0x33800000
	v_pk_add_f32 v[118:119], v[118:119], v[128:129]
	v_mov_b32_e32 v115, v128
	v_mov_b32_e32 v117, v118
	v_pk_add_f32 v[130:131], v[116:117], v[132:133] neg_lo:[0,1] neg_hi:[0,1]
	v_cmp_lt_f32_e64 s[64:65], |v146|, s63
	v_sub_f32_e32 v113, v116, v130
	v_pk_add_f32 v[114:115], v[114:115], v[130:131] neg_lo:[0,1] neg_hi:[0,1]
	v_sub_f32_e32 v113, v132, v113
	v_add_f32_e32 v113, v114, v113
	v_add_f32_e32 v113, v113, v115
	;; [unrolled: 1-line block ×3, first 2 shown]
	s_or_b64 s[56:57], s[56:57], s[64:65]
	v_cndmask_b32_e64 v113, v113, v146, s[56:57]
	v_add_f32_e32 v114, v3, v113
.LBB161_321:
	s_or_b64 exec, exec, s[58:59]
	ds_read_b32 v3, v101 offset:8
	v_max_f32_e32 v113, v114, v114
	v_cmp_u_f32_e64 s[56:57], v114, v114
	s_waitcnt lgkmcnt(0)
	v_max_f32_e32 v115, v3, v3
	v_min_f32_e32 v116, v113, v115
	v_max_f32_e32 v115, v113, v115
	v_cndmask_b32_e64 v113, v116, v114, s[56:57]
	v_cmp_u_f32_e64 s[58:59], v3, v3
	v_cndmask_b32_e64 v115, v115, v114, s[56:57]
	s_nop 0
	v_cndmask_b32_e64 v113, v113, v3, s[58:59]
	v_cndmask_b32_e64 v3, v115, v3, s[58:59]
	v_cmp_neq_f32_e64 s[56:57], v113, v3
	v_cmp_class_f32_e64 s[58:59], v113, s62
	s_or_b64 s[56:57], s[56:57], s[58:59]
	s_and_saveexec_b64 s[58:59], s[56:57]
	s_cbranch_execz .LBB161_323
; %bb.322:
	v_sub_f32_e32 v113, v113, v3
	s_mov_b32 s56, 0x3fb8aa3b
	v_mul_f32_e32 v114, 0x3fb8aa3b, v113
	v_fma_f32 v115, v113, s56, -v114
	v_rndne_f32_e32 v116, v114
	v_fmamk_f32 v115, v113, 0x32a5705f, v115
	v_sub_f32_e32 v114, v114, v116
	v_add_f32_e32 v114, v114, v115
	v_exp_f32_e32 v114, v114
	v_cvt_i32_f32_e32 v115, v116
	s_mov_b32 s56, 0xc2ce8ed0
	v_cmp_ngt_f32_e64 s[56:57], s56, v113
	s_mov_b32 s62, 0x7f800000
	v_ldexp_f32 v114, v114, v115
	v_cndmask_b32_e64 v114, 0, v114, s[56:57]
	s_mov_b32 s56, 0x42b17218
	v_mov_b32_e32 v115, 0x7f800000
	v_cmp_nlt_f32_e64 s[56:57], s56, v113
	s_nop 1
	v_cndmask_b32_e64 v146, v115, v114, s[56:57]
	v_add_f32_e32 v113, 1.0, v146
	v_add_f32_e32 v114, -1.0, v113
	v_sub_f32_e32 v115, v114, v113
	v_add_f32_e32 v115, 1.0, v115
	v_sub_f32_e32 v114, v146, v114
	v_add_f32_e32 v116, v114, v115
	v_frexp_mant_f32_e32 v117, v113
	s_mov_b32 s56, 0x3f2aaaab
	v_cvt_f64_f32_e32 v[114:115], v113
	v_frexp_exp_i32_f64_e32 v114, v[114:115]
	v_cmp_gt_f32_e64 s[56:57], s56, v117
	s_nop 1
	v_subbrev_co_u32_e64 v130, s[56:57], 0, v114, s[56:57]
	v_sub_u32_e32 v114, 0, v130
	v_ldexp_f32 v113, v113, v114
	v_ldexp_f32 v114, v116, v114
	v_add_f32_e32 v116, -1.0, v113
	v_add_f32_e32 v115, 1.0, v116
	v_sub_f32_e32 v115, v113, v115
	v_add_f32_e32 v117, v114, v115
	v_add_f32_e32 v115, 1.0, v113
	v_add_f32_e32 v118, -1.0, v115
	v_sub_f32_e32 v113, v113, v118
	v_add_f32_e32 v113, v114, v113
	v_add_f32_e32 v131, v115, v113
	v_rcp_f32_e32 v132, v131
	v_sub_f32_e32 v114, v115, v131
	v_add_f32_e32 v115, v116, v117
	v_add_f32_e32 v113, v113, v114
	v_mul_f32_e32 v134, v115, v132
	v_sub_f32_e32 v114, v116, v115
	v_mul_f32_e32 v116, v131, v134
	v_fma_f32 v118, v134, v131, -v116
	v_fmac_f32_e32 v118, v134, v113
	v_add_f32_e32 v133, v117, v114
	v_add_f32_e32 v114, v116, v118
	v_sub_f32_e32 v117, v115, v114
	v_pk_add_f32 v[128:129], v[114:115], v[116:117] neg_lo:[0,1] neg_hi:[0,1]
	v_mov_b32_e32 v119, v114
	v_pk_add_f32 v[114:115], v[128:129], v[118:119] neg_lo:[0,1] neg_hi:[0,1]
	s_mov_b32 s56, 0x3f317218
	v_add_f32_e32 v115, v133, v115
	v_add_f32_e32 v114, v114, v115
	;; [unrolled: 1-line block ×3, first 2 shown]
	v_mul_f32_e32 v133, v132, v115
	v_mul_f32_e32 v116, v131, v133
	v_fma_f32 v118, v133, v131, -v116
	v_fmac_f32_e32 v118, v133, v113
	v_sub_f32_e32 v113, v117, v115
	v_add_f32_e32 v113, v114, v113
	v_add_f32_e32 v114, v116, v118
	v_sub_f32_e32 v117, v115, v114
	v_pk_add_f32 v[128:129], v[114:115], v[116:117] neg_lo:[0,1] neg_hi:[0,1]
	v_mov_b32_e32 v119, v114
	v_pk_add_f32 v[114:115], v[128:129], v[118:119] neg_lo:[0,1] neg_hi:[0,1]
	v_cvt_f32_i32_e32 v116, v130
	v_add_f32_e32 v113, v113, v115
	v_add_f32_e32 v113, v114, v113
	;; [unrolled: 1-line block ×4, first 2 shown]
	v_sub_f32_e32 v115, v114, v134
	v_mul_f32_e32 v113, v132, v113
	v_sub_f32_e32 v115, v133, v115
	v_add_f32_e32 v113, v115, v113
	v_add_f32_e32 v117, v114, v113
	v_mul_f32_e32 v118, v117, v117
	v_mov_b32_e32 v115, 0x3ecc95a3
	v_fmac_f32_e32 v115, 0x3e9b6dac, v118
	v_sub_f32_e32 v114, v117, v114
	v_fmaak_f32 v115, v118, v115, 0x3f2aaada
	v_sub_f32_e32 v113, v113, v114
	v_ldexp_f32 v119, v117, 1
	v_mul_f32_e32 v117, v117, v118
	v_mov_b32_e32 v114, 0x3f317218
	v_pk_mul_f32 v[114:115], v[116:117], v[114:115]
	v_ldexp_f32 v113, v113, 1
	v_fma_f32 v117, v116, s56, -v114
	v_fmamk_f32 v118, v116, 0xb102e308, v117
	v_pk_add_f32 v[116:117], v[114:115], v[118:119]
	v_mov_b32_e32 v128, v114
	v_sub_f32_e32 v119, v117, v119
	v_sub_f32_e32 v119, v115, v119
	v_add_f32_e32 v129, v113, v119
	v_pk_add_f32 v[114:115], v[116:117], v[114:115] neg_lo:[0,1] neg_hi:[0,1]
	v_pk_add_f32 v[130:131], v[116:117], v[128:129]
	v_mov_b32_e32 v119, v116
	v_mov_b32_e32 v115, v131
	v_pk_add_f32 v[132:133], v[118:119], v[114:115] neg_lo:[0,1] neg_hi:[0,1]
	v_pk_add_f32 v[114:115], v[118:119], v[114:115]
	v_mov_b32_e32 v128, v129
	v_mov_b32_e32 v118, v115
	v_pk_add_f32 v[134:135], v[118:119], v[116:117] neg_lo:[0,1] neg_hi:[0,1]
	v_mov_b32_e32 v114, v131
	v_mov_b32_e32 v113, v134
	v_pk_add_f32 v[144:145], v[130:131], v[112:113] neg_lo:[0,1] neg_hi:[0,1]
	v_mov_b32_e32 v130, v117
	v_mov_b32_e32 v131, v134
	;; [unrolled: 1-line block ×3, first 2 shown]
	v_pk_add_f32 v[114:115], v[114:115], v[130:131] neg_lo:[0,1] neg_hi:[0,1]
	v_mov_b32_e32 v129, v116
	v_pk_add_f32 v[114:115], v[128:129], v[114:115] neg_lo:[0,1] neg_hi:[0,1]
	v_mov_b32_e32 v144, v132
	v_pk_add_f32 v[116:117], v[144:145], v[114:115]
	v_cmp_eq_f32_e64 s[56:57], s62, v146
	v_mov_b32_e32 v128, v117
	v_pk_add_f32 v[128:129], v[116:117], v[128:129]
	s_mov_b32 s62, 0x33800000
	v_pk_add_f32 v[118:119], v[118:119], v[128:129]
	v_mov_b32_e32 v115, v128
	v_mov_b32_e32 v117, v118
	v_pk_add_f32 v[130:131], v[116:117], v[132:133] neg_lo:[0,1] neg_hi:[0,1]
	v_cmp_lt_f32_e64 s[62:63], |v146|, s62
	v_sub_f32_e32 v113, v116, v130
	v_pk_add_f32 v[114:115], v[114:115], v[130:131] neg_lo:[0,1] neg_hi:[0,1]
	v_sub_f32_e32 v113, v132, v113
	v_add_f32_e32 v113, v114, v113
	v_add_f32_e32 v113, v113, v115
	;; [unrolled: 1-line block ×3, first 2 shown]
	s_or_b64 s[56:57], s[56:57], s[62:63]
	v_cndmask_b32_e64 v113, v113, v146, s[56:57]
	v_add_f32_e32 v114, v3, v113
.LBB161_323:
	s_or_b64 exec, exec, s[58:59]
	ds_read_b32 v3, v101 offset:12
	v_max_f32_e32 v113, v114, v114
	v_cmp_u_f32_e64 s[56:57], v114, v114
	s_waitcnt lgkmcnt(0)
	v_max_f32_e32 v115, v3, v3
	v_min_f32_e32 v116, v113, v115
	v_max_f32_e32 v115, v113, v115
	v_cndmask_b32_e64 v113, v116, v114, s[56:57]
	v_cmp_u_f32_e64 s[58:59], v3, v3
	v_cndmask_b32_e64 v115, v115, v114, s[56:57]
	s_nop 0
	v_cndmask_b32_e64 v113, v113, v3, s[58:59]
	v_cndmask_b32_e64 v3, v115, v3, s[58:59]
	s_movk_i32 s58, 0x1f8
	v_cmp_neq_f32_e64 s[56:57], v113, v3
	v_cmp_class_f32_e64 s[58:59], v113, s58
	s_or_b64 s[56:57], s[56:57], s[58:59]
	s_and_saveexec_b64 s[58:59], s[56:57]
	s_cbranch_execz .LBB161_325
; %bb.324:
	v_sub_f32_e32 v113, v113, v3
	s_mov_b32 s56, 0x3fb8aa3b
	v_mul_f32_e32 v114, 0x3fb8aa3b, v113
	v_fma_f32 v115, v113, s56, -v114
	v_rndne_f32_e32 v116, v114
	v_fmamk_f32 v115, v113, 0x32a5705f, v115
	v_sub_f32_e32 v114, v114, v116
	v_add_f32_e32 v114, v114, v115
	v_exp_f32_e32 v114, v114
	v_cvt_i32_f32_e32 v115, v116
	s_mov_b32 s56, 0xc2ce8ed0
	v_cmp_ngt_f32_e64 s[56:57], s56, v113
	s_mov_b32 s62, 0x7f800000
	v_ldexp_f32 v114, v114, v115
	v_cndmask_b32_e64 v114, 0, v114, s[56:57]
	s_mov_b32 s56, 0x42b17218
	v_mov_b32_e32 v115, 0x7f800000
	v_cmp_nlt_f32_e64 s[56:57], s56, v113
	s_nop 1
	v_cndmask_b32_e64 v146, v115, v114, s[56:57]
	v_add_f32_e32 v113, 1.0, v146
	v_add_f32_e32 v114, -1.0, v113
	v_sub_f32_e32 v115, v114, v113
	v_add_f32_e32 v115, 1.0, v115
	v_sub_f32_e32 v114, v146, v114
	v_add_f32_e32 v116, v114, v115
	v_frexp_mant_f32_e32 v117, v113
	s_mov_b32 s56, 0x3f2aaaab
	v_cvt_f64_f32_e32 v[114:115], v113
	v_frexp_exp_i32_f64_e32 v114, v[114:115]
	v_cmp_gt_f32_e64 s[56:57], s56, v117
	s_nop 1
	v_subbrev_co_u32_e64 v130, s[56:57], 0, v114, s[56:57]
	v_sub_u32_e32 v114, 0, v130
	v_ldexp_f32 v113, v113, v114
	v_ldexp_f32 v114, v116, v114
	v_add_f32_e32 v116, -1.0, v113
	v_add_f32_e32 v115, 1.0, v116
	v_sub_f32_e32 v115, v113, v115
	v_add_f32_e32 v117, v114, v115
	v_add_f32_e32 v115, 1.0, v113
	v_add_f32_e32 v118, -1.0, v115
	v_sub_f32_e32 v113, v113, v118
	v_add_f32_e32 v113, v114, v113
	v_add_f32_e32 v131, v115, v113
	v_rcp_f32_e32 v132, v131
	v_sub_f32_e32 v114, v115, v131
	v_add_f32_e32 v115, v116, v117
	v_add_f32_e32 v113, v113, v114
	v_mul_f32_e32 v134, v115, v132
	v_sub_f32_e32 v114, v116, v115
	v_mul_f32_e32 v116, v131, v134
	v_fma_f32 v118, v134, v131, -v116
	v_fmac_f32_e32 v118, v134, v113
	v_add_f32_e32 v133, v117, v114
	v_add_f32_e32 v114, v116, v118
	v_sub_f32_e32 v117, v115, v114
	v_pk_add_f32 v[128:129], v[114:115], v[116:117] neg_lo:[0,1] neg_hi:[0,1]
	v_mov_b32_e32 v119, v114
	v_pk_add_f32 v[114:115], v[128:129], v[118:119] neg_lo:[0,1] neg_hi:[0,1]
	s_mov_b32 s56, 0x3f317218
	v_add_f32_e32 v115, v133, v115
	v_add_f32_e32 v114, v114, v115
	v_add_f32_e32 v115, v117, v114
	v_mul_f32_e32 v133, v132, v115
	v_mul_f32_e32 v116, v131, v133
	v_fma_f32 v118, v133, v131, -v116
	v_fmac_f32_e32 v118, v133, v113
	v_sub_f32_e32 v113, v117, v115
	v_add_f32_e32 v113, v114, v113
	v_add_f32_e32 v114, v116, v118
	v_sub_f32_e32 v117, v115, v114
	v_pk_add_f32 v[128:129], v[114:115], v[116:117] neg_lo:[0,1] neg_hi:[0,1]
	v_mov_b32_e32 v119, v114
	v_pk_add_f32 v[114:115], v[128:129], v[118:119] neg_lo:[0,1] neg_hi:[0,1]
	v_cvt_f32_i32_e32 v116, v130
	v_add_f32_e32 v113, v113, v115
	v_add_f32_e32 v113, v114, v113
	;; [unrolled: 1-line block ×4, first 2 shown]
	v_sub_f32_e32 v115, v114, v134
	v_mul_f32_e32 v113, v132, v113
	v_sub_f32_e32 v115, v133, v115
	v_add_f32_e32 v113, v115, v113
	v_add_f32_e32 v117, v114, v113
	v_mul_f32_e32 v118, v117, v117
	v_mov_b32_e32 v115, 0x3ecc95a3
	v_fmac_f32_e32 v115, 0x3e9b6dac, v118
	v_sub_f32_e32 v114, v117, v114
	v_fmaak_f32 v115, v118, v115, 0x3f2aaada
	v_sub_f32_e32 v113, v113, v114
	v_ldexp_f32 v119, v117, 1
	v_mul_f32_e32 v117, v117, v118
	v_mov_b32_e32 v114, 0x3f317218
	v_pk_mul_f32 v[114:115], v[116:117], v[114:115]
	v_ldexp_f32 v113, v113, 1
	v_fma_f32 v117, v116, s56, -v114
	v_fmamk_f32 v118, v116, 0xb102e308, v117
	v_pk_add_f32 v[116:117], v[114:115], v[118:119]
	v_mov_b32_e32 v128, v114
	v_sub_f32_e32 v119, v117, v119
	v_sub_f32_e32 v119, v115, v119
	v_add_f32_e32 v129, v113, v119
	v_pk_add_f32 v[114:115], v[116:117], v[114:115] neg_lo:[0,1] neg_hi:[0,1]
	v_pk_add_f32 v[130:131], v[116:117], v[128:129]
	v_mov_b32_e32 v119, v116
	v_mov_b32_e32 v115, v131
	v_pk_add_f32 v[132:133], v[118:119], v[114:115] neg_lo:[0,1] neg_hi:[0,1]
	v_pk_add_f32 v[114:115], v[118:119], v[114:115]
	v_mov_b32_e32 v128, v129
	v_mov_b32_e32 v118, v115
	v_pk_add_f32 v[134:135], v[118:119], v[116:117] neg_lo:[0,1] neg_hi:[0,1]
	v_mov_b32_e32 v114, v131
	v_mov_b32_e32 v113, v134
	v_pk_add_f32 v[144:145], v[130:131], v[112:113] neg_lo:[0,1] neg_hi:[0,1]
	v_mov_b32_e32 v130, v117
	v_mov_b32_e32 v131, v134
	;; [unrolled: 1-line block ×3, first 2 shown]
	v_pk_add_f32 v[114:115], v[114:115], v[130:131] neg_lo:[0,1] neg_hi:[0,1]
	v_mov_b32_e32 v129, v116
	v_pk_add_f32 v[114:115], v[128:129], v[114:115] neg_lo:[0,1] neg_hi:[0,1]
	v_mov_b32_e32 v144, v132
	v_pk_add_f32 v[116:117], v[144:145], v[114:115]
	v_cmp_eq_f32_e64 s[56:57], s62, v146
	v_mov_b32_e32 v128, v117
	v_pk_add_f32 v[128:129], v[116:117], v[128:129]
	s_mov_b32 s62, 0x33800000
	v_pk_add_f32 v[118:119], v[118:119], v[128:129]
	v_mov_b32_e32 v115, v128
	v_mov_b32_e32 v117, v118
	v_pk_add_f32 v[130:131], v[116:117], v[132:133] neg_lo:[0,1] neg_hi:[0,1]
	v_cmp_lt_f32_e64 s[62:63], |v146|, s62
	v_sub_f32_e32 v113, v116, v130
	v_pk_add_f32 v[114:115], v[114:115], v[130:131] neg_lo:[0,1] neg_hi:[0,1]
	v_sub_f32_e32 v113, v132, v113
	v_add_f32_e32 v113, v114, v113
	v_add_f32_e32 v113, v113, v115
	;; [unrolled: 1-line block ×3, first 2 shown]
	s_or_b64 s[56:57], s[56:57], s[62:63]
	v_cndmask_b32_e64 v113, v113, v146, s[56:57]
	v_add_f32_e32 v114, v3, v113
.LBB161_325:
	s_or_b64 exec, exec, s[58:59]
	v_mbcnt_lo_u32_b32 v3, -1, 0
	v_mbcnt_hi_u32_b32 v3, -1, v3
	v_and_b32_e32 v113, 15, v3
	v_mov_b32_dpp v115, v114 row_shr:1 row_mask:0xf bank_mask:0xf
	v_cmp_ne_u32_e64 s[56:57], 0, v113
	s_and_saveexec_b64 s[58:59], s[56:57]
	s_xor_b64 s[62:63], exec, s[58:59]
	s_cbranch_execz .LBB161_329
; %bb.326:
	v_max_f32_e32 v117, v114, v114
	v_max_f32_e32 v118, v115, v115
	v_min_f32_e32 v116, v118, v117
	v_cmp_u_f32_e64 s[56:57], v115, v115
	v_max_f32_e32 v117, v118, v117
	v_cmp_u_f32_e64 s[58:59], v114, v114
	v_cndmask_b32_e64 v116, v116, v115, s[56:57]
	v_cndmask_b32_e64 v117, v117, v115, s[56:57]
	;; [unrolled: 1-line block ×4, first 2 shown]
	s_movk_i32 s58, 0x1f8
	v_cmp_neq_f32_e64 s[56:57], v116, v114
	v_cmp_class_f32_e64 s[58:59], v116, s58
	s_or_b64 s[56:57], s[56:57], s[58:59]
	s_and_saveexec_b64 s[58:59], s[56:57]
	s_cbranch_execz .LBB161_328
; %bb.327:
	v_sub_f32_e32 v115, v116, v114
	s_mov_b32 s56, 0x3fb8aa3b
	v_mul_f32_e32 v116, 0x3fb8aa3b, v115
	v_fma_f32 v117, v115, s56, -v116
	v_rndne_f32_e32 v118, v116
	v_fmamk_f32 v117, v115, 0x32a5705f, v117
	v_sub_f32_e32 v116, v116, v118
	v_add_f32_e32 v116, v116, v117
	v_exp_f32_e32 v116, v116
	v_cvt_i32_f32_e32 v117, v118
	s_mov_b32 s56, 0xc2ce8ed0
	v_cmp_ngt_f32_e64 s[56:57], s56, v115
	s_mov_b32 s64, 0x7f800000
	v_ldexp_f32 v116, v116, v117
	v_cndmask_b32_e64 v116, 0, v116, s[56:57]
	s_mov_b32 s56, 0x42b17218
	v_mov_b32_e32 v117, 0x7f800000
	v_cmp_nlt_f32_e64 s[56:57], s56, v115
	s_nop 1
	v_cndmask_b32_e64 v148, v117, v116, s[56:57]
	v_add_f32_e32 v115, 1.0, v148
	v_add_f32_e32 v116, -1.0, v115
	v_sub_f32_e32 v117, v116, v115
	v_add_f32_e32 v117, 1.0, v117
	v_sub_f32_e32 v116, v148, v116
	v_add_f32_e32 v118, v116, v117
	v_frexp_mant_f32_e32 v119, v115
	s_mov_b32 s56, 0x3f2aaaab
	v_cvt_f64_f32_e32 v[116:117], v115
	v_frexp_exp_i32_f64_e32 v116, v[116:117]
	v_cmp_gt_f32_e64 s[56:57], s56, v119
	s_nop 1
	v_subbrev_co_u32_e64 v132, s[56:57], 0, v116, s[56:57]
	v_sub_u32_e32 v116, 0, v132
	v_ldexp_f32 v115, v115, v116
	v_ldexp_f32 v116, v118, v116
	v_add_f32_e32 v118, -1.0, v115
	v_add_f32_e32 v117, 1.0, v118
	v_sub_f32_e32 v117, v115, v117
	v_add_f32_e32 v119, v116, v117
	v_add_f32_e32 v117, 1.0, v115
	v_add_f32_e32 v128, -1.0, v117
	v_sub_f32_e32 v115, v115, v128
	v_add_f32_e32 v115, v116, v115
	v_add_f32_e32 v133, v117, v115
	v_rcp_f32_e32 v134, v133
	v_sub_f32_e32 v116, v117, v133
	v_add_f32_e32 v117, v118, v119
	v_add_f32_e32 v115, v115, v116
	v_mul_f32_e32 v144, v117, v134
	v_sub_f32_e32 v116, v118, v117
	v_mul_f32_e32 v118, v133, v144
	v_fma_f32 v128, v144, v133, -v118
	v_fmac_f32_e32 v128, v144, v115
	v_add_f32_e32 v135, v119, v116
	v_add_f32_e32 v116, v118, v128
	v_sub_f32_e32 v119, v117, v116
	v_pk_add_f32 v[130:131], v[116:117], v[118:119] neg_lo:[0,1] neg_hi:[0,1]
	v_mov_b32_e32 v129, v116
	v_pk_add_f32 v[116:117], v[130:131], v[128:129] neg_lo:[0,1] neg_hi:[0,1]
	s_mov_b32 s56, 0x3f317218
	v_add_f32_e32 v117, v135, v117
	v_add_f32_e32 v116, v116, v117
	;; [unrolled: 1-line block ×3, first 2 shown]
	v_mul_f32_e32 v135, v134, v117
	v_mul_f32_e32 v118, v133, v135
	v_fma_f32 v128, v135, v133, -v118
	v_fmac_f32_e32 v128, v135, v115
	v_sub_f32_e32 v115, v119, v117
	v_add_f32_e32 v115, v116, v115
	v_add_f32_e32 v116, v118, v128
	v_sub_f32_e32 v119, v117, v116
	v_pk_add_f32 v[130:131], v[116:117], v[118:119] neg_lo:[0,1] neg_hi:[0,1]
	v_mov_b32_e32 v129, v116
	v_pk_add_f32 v[116:117], v[130:131], v[128:129] neg_lo:[0,1] neg_hi:[0,1]
	v_cvt_f32_i32_e32 v118, v132
	v_add_f32_e32 v115, v115, v117
	v_add_f32_e32 v115, v116, v115
	;; [unrolled: 1-line block ×4, first 2 shown]
	v_sub_f32_e32 v117, v116, v144
	v_mul_f32_e32 v115, v134, v115
	v_sub_f32_e32 v117, v135, v117
	v_add_f32_e32 v115, v117, v115
	v_add_f32_e32 v119, v116, v115
	v_mul_f32_e32 v128, v119, v119
	v_mov_b32_e32 v117, 0x3ecc95a3
	v_fmac_f32_e32 v117, 0x3e9b6dac, v128
	v_sub_f32_e32 v116, v119, v116
	v_fmaak_f32 v117, v128, v117, 0x3f2aaada
	v_sub_f32_e32 v115, v115, v116
	v_ldexp_f32 v129, v119, 1
	v_mul_f32_e32 v119, v119, v128
	v_mov_b32_e32 v116, 0x3f317218
	v_pk_mul_f32 v[116:117], v[118:119], v[116:117]
	v_ldexp_f32 v115, v115, 1
	v_fma_f32 v119, v118, s56, -v116
	v_fmamk_f32 v128, v118, 0xb102e308, v119
	v_pk_add_f32 v[118:119], v[116:117], v[128:129]
	v_mov_b32_e32 v130, v116
	v_sub_f32_e32 v129, v119, v129
	v_sub_f32_e32 v129, v117, v129
	v_add_f32_e32 v131, v115, v129
	v_pk_add_f32 v[116:117], v[118:119], v[116:117] neg_lo:[0,1] neg_hi:[0,1]
	v_pk_add_f32 v[132:133], v[118:119], v[130:131]
	v_mov_b32_e32 v129, v118
	v_mov_b32_e32 v117, v133
	v_pk_add_f32 v[134:135], v[128:129], v[116:117] neg_lo:[0,1] neg_hi:[0,1]
	v_pk_add_f32 v[116:117], v[128:129], v[116:117]
	v_mov_b32_e32 v130, v131
	v_mov_b32_e32 v128, v117
	v_pk_add_f32 v[144:145], v[128:129], v[118:119] neg_lo:[0,1] neg_hi:[0,1]
	v_mov_b32_e32 v116, v133
	v_mov_b32_e32 v115, v144
	v_pk_add_f32 v[146:147], v[132:133], v[114:115] neg_lo:[0,1] neg_hi:[0,1]
	v_mov_b32_e32 v132, v119
	v_mov_b32_e32 v133, v144
	;; [unrolled: 1-line block ×3, first 2 shown]
	v_pk_add_f32 v[116:117], v[116:117], v[132:133] neg_lo:[0,1] neg_hi:[0,1]
	v_mov_b32_e32 v131, v118
	v_pk_add_f32 v[116:117], v[130:131], v[116:117] neg_lo:[0,1] neg_hi:[0,1]
	v_mov_b32_e32 v146, v134
	v_pk_add_f32 v[118:119], v[146:147], v[116:117]
	v_cmp_eq_f32_e64 s[56:57], s64, v148
	v_mov_b32_e32 v130, v119
	v_pk_add_f32 v[130:131], v[118:119], v[130:131]
	s_mov_b32 s64, 0x33800000
	v_pk_add_f32 v[128:129], v[128:129], v[130:131]
	v_mov_b32_e32 v117, v130
	v_mov_b32_e32 v119, v128
	v_pk_add_f32 v[132:133], v[118:119], v[134:135] neg_lo:[0,1] neg_hi:[0,1]
	v_cmp_lt_f32_e64 s[64:65], |v148|, s64
	v_sub_f32_e32 v115, v118, v132
	v_pk_add_f32 v[116:117], v[116:117], v[132:133] neg_lo:[0,1] neg_hi:[0,1]
	v_sub_f32_e32 v115, v134, v115
	v_add_f32_e32 v115, v116, v115
	v_add_f32_e32 v115, v115, v117
	;; [unrolled: 1-line block ×3, first 2 shown]
	s_or_b64 s[56:57], s[56:57], s[64:65]
	v_cndmask_b32_e64 v115, v115, v148, s[56:57]
	v_add_f32_e32 v115, v114, v115
.LBB161_328:
	s_or_b64 exec, exec, s[58:59]
	v_mov_b32_e32 v114, v115
.LBB161_329:
	s_or_b64 exec, exec, s[62:63]
	s_nop 0
	v_mov_b32_dpp v115, v114 row_shr:2 row_mask:0xf bank_mask:0xf
	v_cmp_lt_u32_e64 s[56:57], 1, v113
	s_and_saveexec_b64 s[62:63], s[56:57]
	s_cbranch_execz .LBB161_333
; %bb.330:
	v_max_f32_e32 v117, v114, v114
	v_max_f32_e32 v118, v115, v115
	v_min_f32_e32 v116, v118, v117
	v_cmp_u_f32_e64 s[56:57], v115, v115
	v_max_f32_e32 v117, v118, v117
	v_cmp_u_f32_e64 s[58:59], v114, v114
	v_cndmask_b32_e64 v116, v116, v115, s[56:57]
	v_cndmask_b32_e64 v117, v117, v115, s[56:57]
	;; [unrolled: 1-line block ×4, first 2 shown]
	s_movk_i32 s58, 0x1f8
	v_cmp_neq_f32_e64 s[56:57], v116, v114
	v_cmp_class_f32_e64 s[58:59], v116, s58
	s_or_b64 s[56:57], s[56:57], s[58:59]
	s_and_saveexec_b64 s[58:59], s[56:57]
	s_cbranch_execz .LBB161_332
; %bb.331:
	v_sub_f32_e32 v115, v116, v114
	s_mov_b32 s56, 0x3fb8aa3b
	v_mul_f32_e32 v116, 0x3fb8aa3b, v115
	v_fma_f32 v117, v115, s56, -v116
	v_rndne_f32_e32 v118, v116
	v_fmamk_f32 v117, v115, 0x32a5705f, v117
	v_sub_f32_e32 v116, v116, v118
	v_add_f32_e32 v116, v116, v117
	v_exp_f32_e32 v116, v116
	v_cvt_i32_f32_e32 v117, v118
	s_mov_b32 s56, 0xc2ce8ed0
	v_cmp_ngt_f32_e64 s[56:57], s56, v115
	s_mov_b32 s64, 0x7f800000
	v_ldexp_f32 v116, v116, v117
	v_cndmask_b32_e64 v116, 0, v116, s[56:57]
	s_mov_b32 s56, 0x42b17218
	v_mov_b32_e32 v117, 0x7f800000
	v_cmp_nlt_f32_e64 s[56:57], s56, v115
	s_nop 1
	v_cndmask_b32_e64 v148, v117, v116, s[56:57]
	v_add_f32_e32 v115, 1.0, v148
	v_add_f32_e32 v116, -1.0, v115
	v_sub_f32_e32 v117, v116, v115
	v_add_f32_e32 v117, 1.0, v117
	v_sub_f32_e32 v116, v148, v116
	v_add_f32_e32 v118, v116, v117
	v_frexp_mant_f32_e32 v119, v115
	s_mov_b32 s56, 0x3f2aaaab
	v_cvt_f64_f32_e32 v[116:117], v115
	v_frexp_exp_i32_f64_e32 v116, v[116:117]
	v_cmp_gt_f32_e64 s[56:57], s56, v119
	s_nop 1
	v_subbrev_co_u32_e64 v132, s[56:57], 0, v116, s[56:57]
	v_sub_u32_e32 v116, 0, v132
	v_ldexp_f32 v115, v115, v116
	v_ldexp_f32 v116, v118, v116
	v_add_f32_e32 v118, -1.0, v115
	v_add_f32_e32 v117, 1.0, v118
	v_sub_f32_e32 v117, v115, v117
	v_add_f32_e32 v119, v116, v117
	v_add_f32_e32 v117, 1.0, v115
	v_add_f32_e32 v128, -1.0, v117
	v_sub_f32_e32 v115, v115, v128
	v_add_f32_e32 v115, v116, v115
	v_add_f32_e32 v133, v117, v115
	v_rcp_f32_e32 v134, v133
	v_sub_f32_e32 v116, v117, v133
	v_add_f32_e32 v117, v118, v119
	v_add_f32_e32 v115, v115, v116
	v_mul_f32_e32 v144, v117, v134
	v_sub_f32_e32 v116, v118, v117
	v_mul_f32_e32 v118, v133, v144
	v_fma_f32 v128, v144, v133, -v118
	v_fmac_f32_e32 v128, v144, v115
	v_add_f32_e32 v135, v119, v116
	v_add_f32_e32 v116, v118, v128
	v_sub_f32_e32 v119, v117, v116
	v_pk_add_f32 v[130:131], v[116:117], v[118:119] neg_lo:[0,1] neg_hi:[0,1]
	v_mov_b32_e32 v129, v116
	v_pk_add_f32 v[116:117], v[130:131], v[128:129] neg_lo:[0,1] neg_hi:[0,1]
	s_mov_b32 s56, 0x3f317218
	v_add_f32_e32 v117, v135, v117
	v_add_f32_e32 v116, v116, v117
	;; [unrolled: 1-line block ×3, first 2 shown]
	v_mul_f32_e32 v135, v134, v117
	v_mul_f32_e32 v118, v133, v135
	v_fma_f32 v128, v135, v133, -v118
	v_fmac_f32_e32 v128, v135, v115
	v_sub_f32_e32 v115, v119, v117
	v_add_f32_e32 v115, v116, v115
	v_add_f32_e32 v116, v118, v128
	v_sub_f32_e32 v119, v117, v116
	v_pk_add_f32 v[130:131], v[116:117], v[118:119] neg_lo:[0,1] neg_hi:[0,1]
	v_mov_b32_e32 v129, v116
	v_pk_add_f32 v[116:117], v[130:131], v[128:129] neg_lo:[0,1] neg_hi:[0,1]
	v_cvt_f32_i32_e32 v118, v132
	v_add_f32_e32 v115, v115, v117
	v_add_f32_e32 v115, v116, v115
	;; [unrolled: 1-line block ×4, first 2 shown]
	v_sub_f32_e32 v117, v116, v144
	v_mul_f32_e32 v115, v134, v115
	v_sub_f32_e32 v117, v135, v117
	v_add_f32_e32 v115, v117, v115
	v_add_f32_e32 v119, v116, v115
	v_mul_f32_e32 v128, v119, v119
	v_mov_b32_e32 v117, 0x3ecc95a3
	v_fmac_f32_e32 v117, 0x3e9b6dac, v128
	v_sub_f32_e32 v116, v119, v116
	v_fmaak_f32 v117, v128, v117, 0x3f2aaada
	v_sub_f32_e32 v115, v115, v116
	v_ldexp_f32 v129, v119, 1
	v_mul_f32_e32 v119, v119, v128
	v_mov_b32_e32 v116, 0x3f317218
	v_pk_mul_f32 v[116:117], v[118:119], v[116:117]
	v_ldexp_f32 v115, v115, 1
	v_fma_f32 v119, v118, s56, -v116
	v_fmamk_f32 v128, v118, 0xb102e308, v119
	v_pk_add_f32 v[118:119], v[116:117], v[128:129]
	v_mov_b32_e32 v130, v116
	v_sub_f32_e32 v129, v119, v129
	v_sub_f32_e32 v129, v117, v129
	v_add_f32_e32 v131, v115, v129
	v_pk_add_f32 v[116:117], v[118:119], v[116:117] neg_lo:[0,1] neg_hi:[0,1]
	v_pk_add_f32 v[132:133], v[118:119], v[130:131]
	v_mov_b32_e32 v129, v118
	v_mov_b32_e32 v117, v133
	v_pk_add_f32 v[134:135], v[128:129], v[116:117] neg_lo:[0,1] neg_hi:[0,1]
	v_pk_add_f32 v[116:117], v[128:129], v[116:117]
	v_mov_b32_e32 v130, v131
	v_mov_b32_e32 v128, v117
	v_pk_add_f32 v[144:145], v[128:129], v[118:119] neg_lo:[0,1] neg_hi:[0,1]
	v_mov_b32_e32 v116, v133
	v_mov_b32_e32 v115, v144
	v_pk_add_f32 v[146:147], v[132:133], v[114:115] neg_lo:[0,1] neg_hi:[0,1]
	v_mov_b32_e32 v132, v119
	v_mov_b32_e32 v133, v144
	;; [unrolled: 1-line block ×3, first 2 shown]
	v_pk_add_f32 v[116:117], v[116:117], v[132:133] neg_lo:[0,1] neg_hi:[0,1]
	v_mov_b32_e32 v131, v118
	v_pk_add_f32 v[116:117], v[130:131], v[116:117] neg_lo:[0,1] neg_hi:[0,1]
	v_mov_b32_e32 v146, v134
	v_pk_add_f32 v[118:119], v[146:147], v[116:117]
	v_cmp_eq_f32_e64 s[56:57], s64, v148
	v_mov_b32_e32 v130, v119
	v_pk_add_f32 v[130:131], v[118:119], v[130:131]
	s_mov_b32 s64, 0x33800000
	v_pk_add_f32 v[128:129], v[128:129], v[130:131]
	v_mov_b32_e32 v117, v130
	v_mov_b32_e32 v119, v128
	v_pk_add_f32 v[132:133], v[118:119], v[134:135] neg_lo:[0,1] neg_hi:[0,1]
	v_cmp_lt_f32_e64 s[64:65], |v148|, s64
	v_sub_f32_e32 v115, v118, v132
	v_pk_add_f32 v[116:117], v[116:117], v[132:133] neg_lo:[0,1] neg_hi:[0,1]
	v_sub_f32_e32 v115, v134, v115
	v_add_f32_e32 v115, v116, v115
	v_add_f32_e32 v115, v115, v117
	;; [unrolled: 1-line block ×3, first 2 shown]
	s_or_b64 s[56:57], s[56:57], s[64:65]
	v_cndmask_b32_e64 v115, v115, v148, s[56:57]
	v_add_f32_e32 v115, v114, v115
.LBB161_332:
	s_or_b64 exec, exec, s[58:59]
	v_mov_b32_e32 v114, v115
.LBB161_333:
	s_or_b64 exec, exec, s[62:63]
	s_nop 0
	v_mov_b32_dpp v115, v114 row_shr:4 row_mask:0xf bank_mask:0xf
	v_cmp_lt_u32_e64 s[56:57], 3, v113
	s_and_saveexec_b64 s[62:63], s[56:57]
	s_cbranch_execz .LBB161_337
; %bb.334:
	v_max_f32_e32 v117, v114, v114
	v_max_f32_e32 v118, v115, v115
	v_min_f32_e32 v116, v118, v117
	v_cmp_u_f32_e64 s[56:57], v115, v115
	v_max_f32_e32 v117, v118, v117
	v_cmp_u_f32_e64 s[58:59], v114, v114
	v_cndmask_b32_e64 v116, v116, v115, s[56:57]
	v_cndmask_b32_e64 v117, v117, v115, s[56:57]
	;; [unrolled: 1-line block ×4, first 2 shown]
	s_movk_i32 s58, 0x1f8
	v_cmp_neq_f32_e64 s[56:57], v116, v114
	v_cmp_class_f32_e64 s[58:59], v116, s58
	s_or_b64 s[56:57], s[56:57], s[58:59]
	s_and_saveexec_b64 s[58:59], s[56:57]
	s_cbranch_execz .LBB161_336
; %bb.335:
	v_sub_f32_e32 v115, v116, v114
	s_mov_b32 s56, 0x3fb8aa3b
	v_mul_f32_e32 v116, 0x3fb8aa3b, v115
	v_fma_f32 v117, v115, s56, -v116
	v_rndne_f32_e32 v118, v116
	v_fmamk_f32 v117, v115, 0x32a5705f, v117
	v_sub_f32_e32 v116, v116, v118
	v_add_f32_e32 v116, v116, v117
	v_exp_f32_e32 v116, v116
	v_cvt_i32_f32_e32 v117, v118
	s_mov_b32 s56, 0xc2ce8ed0
	v_cmp_ngt_f32_e64 s[56:57], s56, v115
	s_mov_b32 s64, 0x7f800000
	v_ldexp_f32 v116, v116, v117
	v_cndmask_b32_e64 v116, 0, v116, s[56:57]
	s_mov_b32 s56, 0x42b17218
	v_mov_b32_e32 v117, 0x7f800000
	v_cmp_nlt_f32_e64 s[56:57], s56, v115
	s_nop 1
	v_cndmask_b32_e64 v148, v117, v116, s[56:57]
	v_add_f32_e32 v115, 1.0, v148
	v_add_f32_e32 v116, -1.0, v115
	v_sub_f32_e32 v117, v116, v115
	v_add_f32_e32 v117, 1.0, v117
	v_sub_f32_e32 v116, v148, v116
	v_add_f32_e32 v118, v116, v117
	v_frexp_mant_f32_e32 v119, v115
	s_mov_b32 s56, 0x3f2aaaab
	v_cvt_f64_f32_e32 v[116:117], v115
	v_frexp_exp_i32_f64_e32 v116, v[116:117]
	v_cmp_gt_f32_e64 s[56:57], s56, v119
	s_nop 1
	v_subbrev_co_u32_e64 v132, s[56:57], 0, v116, s[56:57]
	v_sub_u32_e32 v116, 0, v132
	v_ldexp_f32 v115, v115, v116
	v_ldexp_f32 v116, v118, v116
	v_add_f32_e32 v118, -1.0, v115
	v_add_f32_e32 v117, 1.0, v118
	v_sub_f32_e32 v117, v115, v117
	v_add_f32_e32 v119, v116, v117
	v_add_f32_e32 v117, 1.0, v115
	v_add_f32_e32 v128, -1.0, v117
	v_sub_f32_e32 v115, v115, v128
	v_add_f32_e32 v115, v116, v115
	v_add_f32_e32 v133, v117, v115
	v_rcp_f32_e32 v134, v133
	v_sub_f32_e32 v116, v117, v133
	v_add_f32_e32 v117, v118, v119
	v_add_f32_e32 v115, v115, v116
	v_mul_f32_e32 v144, v117, v134
	v_sub_f32_e32 v116, v118, v117
	v_mul_f32_e32 v118, v133, v144
	v_fma_f32 v128, v144, v133, -v118
	v_fmac_f32_e32 v128, v144, v115
	v_add_f32_e32 v135, v119, v116
	v_add_f32_e32 v116, v118, v128
	v_sub_f32_e32 v119, v117, v116
	v_pk_add_f32 v[130:131], v[116:117], v[118:119] neg_lo:[0,1] neg_hi:[0,1]
	v_mov_b32_e32 v129, v116
	v_pk_add_f32 v[116:117], v[130:131], v[128:129] neg_lo:[0,1] neg_hi:[0,1]
	s_mov_b32 s56, 0x3f317218
	v_add_f32_e32 v117, v135, v117
	v_add_f32_e32 v116, v116, v117
	v_add_f32_e32 v117, v119, v116
	v_mul_f32_e32 v135, v134, v117
	v_mul_f32_e32 v118, v133, v135
	v_fma_f32 v128, v135, v133, -v118
	v_fmac_f32_e32 v128, v135, v115
	v_sub_f32_e32 v115, v119, v117
	v_add_f32_e32 v115, v116, v115
	v_add_f32_e32 v116, v118, v128
	v_sub_f32_e32 v119, v117, v116
	v_pk_add_f32 v[130:131], v[116:117], v[118:119] neg_lo:[0,1] neg_hi:[0,1]
	v_mov_b32_e32 v129, v116
	v_pk_add_f32 v[116:117], v[130:131], v[128:129] neg_lo:[0,1] neg_hi:[0,1]
	v_cvt_f32_i32_e32 v118, v132
	v_add_f32_e32 v115, v115, v117
	v_add_f32_e32 v115, v116, v115
	;; [unrolled: 1-line block ×4, first 2 shown]
	v_sub_f32_e32 v117, v116, v144
	v_mul_f32_e32 v115, v134, v115
	v_sub_f32_e32 v117, v135, v117
	v_add_f32_e32 v115, v117, v115
	v_add_f32_e32 v119, v116, v115
	v_mul_f32_e32 v128, v119, v119
	v_mov_b32_e32 v117, 0x3ecc95a3
	v_fmac_f32_e32 v117, 0x3e9b6dac, v128
	v_sub_f32_e32 v116, v119, v116
	v_fmaak_f32 v117, v128, v117, 0x3f2aaada
	v_sub_f32_e32 v115, v115, v116
	v_ldexp_f32 v129, v119, 1
	v_mul_f32_e32 v119, v119, v128
	v_mov_b32_e32 v116, 0x3f317218
	v_pk_mul_f32 v[116:117], v[118:119], v[116:117]
	v_ldexp_f32 v115, v115, 1
	v_fma_f32 v119, v118, s56, -v116
	v_fmamk_f32 v128, v118, 0xb102e308, v119
	v_pk_add_f32 v[118:119], v[116:117], v[128:129]
	v_mov_b32_e32 v130, v116
	v_sub_f32_e32 v129, v119, v129
	v_sub_f32_e32 v129, v117, v129
	v_add_f32_e32 v131, v115, v129
	v_pk_add_f32 v[116:117], v[118:119], v[116:117] neg_lo:[0,1] neg_hi:[0,1]
	v_pk_add_f32 v[132:133], v[118:119], v[130:131]
	v_mov_b32_e32 v129, v118
	v_mov_b32_e32 v117, v133
	v_pk_add_f32 v[134:135], v[128:129], v[116:117] neg_lo:[0,1] neg_hi:[0,1]
	v_pk_add_f32 v[116:117], v[128:129], v[116:117]
	v_mov_b32_e32 v130, v131
	v_mov_b32_e32 v128, v117
	v_pk_add_f32 v[144:145], v[128:129], v[118:119] neg_lo:[0,1] neg_hi:[0,1]
	v_mov_b32_e32 v116, v133
	v_mov_b32_e32 v115, v144
	v_pk_add_f32 v[146:147], v[132:133], v[114:115] neg_lo:[0,1] neg_hi:[0,1]
	v_mov_b32_e32 v132, v119
	v_mov_b32_e32 v133, v144
	;; [unrolled: 1-line block ×3, first 2 shown]
	v_pk_add_f32 v[116:117], v[116:117], v[132:133] neg_lo:[0,1] neg_hi:[0,1]
	v_mov_b32_e32 v131, v118
	v_pk_add_f32 v[116:117], v[130:131], v[116:117] neg_lo:[0,1] neg_hi:[0,1]
	v_mov_b32_e32 v146, v134
	v_pk_add_f32 v[118:119], v[146:147], v[116:117]
	v_cmp_eq_f32_e64 s[56:57], s64, v148
	v_mov_b32_e32 v130, v119
	v_pk_add_f32 v[130:131], v[118:119], v[130:131]
	s_mov_b32 s64, 0x33800000
	v_pk_add_f32 v[128:129], v[128:129], v[130:131]
	v_mov_b32_e32 v117, v130
	v_mov_b32_e32 v119, v128
	v_pk_add_f32 v[132:133], v[118:119], v[134:135] neg_lo:[0,1] neg_hi:[0,1]
	v_cmp_lt_f32_e64 s[64:65], |v148|, s64
	v_sub_f32_e32 v115, v118, v132
	v_pk_add_f32 v[116:117], v[116:117], v[132:133] neg_lo:[0,1] neg_hi:[0,1]
	v_sub_f32_e32 v115, v134, v115
	v_add_f32_e32 v115, v116, v115
	v_add_f32_e32 v115, v115, v117
	;; [unrolled: 1-line block ×3, first 2 shown]
	s_or_b64 s[56:57], s[56:57], s[64:65]
	v_cndmask_b32_e64 v115, v115, v148, s[56:57]
	v_add_f32_e32 v115, v114, v115
.LBB161_336:
	s_or_b64 exec, exec, s[58:59]
	v_mov_b32_e32 v114, v115
.LBB161_337:
	s_or_b64 exec, exec, s[62:63]
	s_nop 0
	v_mov_b32_dpp v115, v114 row_shr:8 row_mask:0xf bank_mask:0xf
	v_cmp_lt_u32_e64 s[56:57], 7, v113
	s_and_saveexec_b64 s[62:63], s[56:57]
	s_cbranch_execz .LBB161_341
; %bb.338:
	v_max_f32_e32 v113, v114, v114
	v_max_f32_e32 v117, v115, v115
	v_min_f32_e32 v116, v117, v113
	v_cmp_u_f32_e64 s[56:57], v115, v115
	v_max_f32_e32 v113, v117, v113
	v_cmp_u_f32_e64 s[58:59], v114, v114
	v_cndmask_b32_e64 v116, v116, v115, s[56:57]
	v_cndmask_b32_e64 v113, v113, v115, s[56:57]
	;; [unrolled: 1-line block ×4, first 2 shown]
	s_movk_i32 s58, 0x1f8
	v_cmp_neq_f32_e64 s[56:57], v116, v113
	v_cmp_class_f32_e64 s[58:59], v116, s58
	s_or_b64 s[56:57], s[56:57], s[58:59]
	s_and_saveexec_b64 s[58:59], s[56:57]
	s_cbranch_execz .LBB161_340
; %bb.339:
	v_sub_f32_e32 v114, v116, v113
	s_mov_b32 s56, 0x3fb8aa3b
	v_mul_f32_e32 v115, 0x3fb8aa3b, v114
	v_fma_f32 v116, v114, s56, -v115
	v_rndne_f32_e32 v117, v115
	v_fmamk_f32 v116, v114, 0x32a5705f, v116
	v_sub_f32_e32 v115, v115, v117
	v_add_f32_e32 v115, v115, v116
	v_exp_f32_e32 v115, v115
	v_cvt_i32_f32_e32 v116, v117
	s_mov_b32 s56, 0xc2ce8ed0
	v_cmp_ngt_f32_e64 s[56:57], s56, v114
	s_mov_b32 s64, 0x7f800000
	v_ldexp_f32 v115, v115, v116
	v_cndmask_b32_e64 v115, 0, v115, s[56:57]
	s_mov_b32 s56, 0x42b17218
	v_mov_b32_e32 v116, 0x7f800000
	v_cmp_nlt_f32_e64 s[56:57], s56, v114
	s_nop 1
	v_cndmask_b32_e64 v146, v116, v115, s[56:57]
	v_add_f32_e32 v116, 1.0, v146
	v_add_f32_e32 v114, -1.0, v116
	v_sub_f32_e32 v115, v114, v116
	v_add_f32_e32 v115, 1.0, v115
	v_sub_f32_e32 v114, v146, v114
	v_add_f32_e32 v117, v114, v115
	v_frexp_mant_f32_e32 v118, v116
	s_mov_b32 s56, 0x3f2aaaab
	v_cvt_f64_f32_e32 v[114:115], v116
	v_frexp_exp_i32_f64_e32 v114, v[114:115]
	v_cmp_gt_f32_e64 s[56:57], s56, v118
	s_nop 1
	v_subbrev_co_u32_e64 v130, s[56:57], 0, v114, s[56:57]
	v_sub_u32_e32 v114, 0, v130
	v_ldexp_f32 v115, v116, v114
	v_add_f32_e32 v116, -1.0, v115
	v_add_f32_e32 v118, 1.0, v115
	v_ldexp_f32 v114, v117, v114
	v_add_f32_e32 v117, 1.0, v116
	v_add_f32_e32 v119, -1.0, v118
	v_sub_f32_e32 v117, v115, v117
	v_sub_f32_e32 v115, v115, v119
	v_add_f32_e32 v117, v114, v117
	v_add_f32_e32 v114, v114, v115
	;; [unrolled: 1-line block ×3, first 2 shown]
	v_rcp_f32_e32 v133, v131
	v_sub_f32_e32 v115, v118, v131
	v_add_f32_e32 v132, v114, v115
	v_add_f32_e32 v115, v116, v117
	v_mul_f32_e32 v135, v115, v133
	v_sub_f32_e32 v114, v116, v115
	v_mul_f32_e32 v116, v131, v135
	v_fma_f32 v118, v135, v131, -v116
	v_fmac_f32_e32 v118, v135, v132
	v_add_f32_e32 v134, v117, v114
	v_add_f32_e32 v114, v116, v118
	v_sub_f32_e32 v117, v115, v114
	v_pk_add_f32 v[128:129], v[114:115], v[116:117] neg_lo:[0,1] neg_hi:[0,1]
	v_mov_b32_e32 v119, v114
	v_pk_add_f32 v[114:115], v[128:129], v[118:119] neg_lo:[0,1] neg_hi:[0,1]
	s_mov_b32 s56, 0x3f317218
	v_add_f32_e32 v115, v134, v115
	v_add_f32_e32 v114, v114, v115
	;; [unrolled: 1-line block ×3, first 2 shown]
	v_mul_f32_e32 v134, v133, v115
	v_mul_f32_e32 v116, v131, v134
	v_fma_f32 v118, v134, v131, -v116
	v_fmac_f32_e32 v118, v134, v132
	v_sub_f32_e32 v117, v117, v115
	v_add_f32_e32 v131, v114, v117
	v_add_f32_e32 v114, v116, v118
	v_sub_f32_e32 v117, v115, v114
	v_pk_add_f32 v[128:129], v[114:115], v[116:117] neg_lo:[0,1] neg_hi:[0,1]
	v_mov_b32_e32 v119, v114
	v_pk_add_f32 v[114:115], v[128:129], v[118:119] neg_lo:[0,1] neg_hi:[0,1]
	v_cvt_f32_i32_e32 v116, v130
	v_add_f32_e32 v115, v131, v115
	v_add_f32_e32 v114, v114, v115
	;; [unrolled: 1-line block ×4, first 2 shown]
	v_sub_f32_e32 v115, v117, v135
	v_mul_f32_e32 v114, v133, v114
	v_sub_f32_e32 v115, v134, v115
	v_add_f32_e32 v114, v115, v114
	v_add_f32_e32 v118, v117, v114
	v_mul_f32_e32 v128, v118, v118
	v_mov_b32_e32 v115, 0x3ecc95a3
	v_sub_f32_e32 v117, v118, v117
	v_fmac_f32_e32 v115, 0x3e9b6dac, v128
	v_sub_f32_e32 v114, v114, v117
	v_fmaak_f32 v115, v128, v115, 0x3f2aaada
	v_ldexp_f32 v129, v114, 1
	v_mul_f32_e32 v117, v118, v128
	v_mov_b32_e32 v114, 0x3f317218
	v_pk_mul_f32 v[114:115], v[116:117], v[114:115]
	v_ldexp_f32 v119, v118, 1
	v_fma_f32 v117, v116, s56, -v114
	v_fmamk_f32 v118, v116, 0xb102e308, v117
	v_pk_add_f32 v[116:117], v[114:115], v[118:119]
	v_mov_b32_e32 v128, v114
	v_sub_f32_e32 v119, v117, v119
	v_sub_f32_e32 v119, v115, v119
	v_add_f32_e32 v129, v129, v119
	v_pk_add_f32 v[114:115], v[116:117], v[114:115] neg_lo:[0,1] neg_hi:[0,1]
	v_pk_add_f32 v[130:131], v[116:117], v[128:129]
	v_mov_b32_e32 v119, v116
	v_mov_b32_e32 v115, v131
	v_pk_add_f32 v[132:133], v[118:119], v[114:115] neg_lo:[0,1] neg_hi:[0,1]
	v_pk_add_f32 v[114:115], v[118:119], v[114:115]
	v_mov_b32_e32 v128, v129
	v_mov_b32_e32 v118, v115
	v_pk_add_f32 v[134:135], v[118:119], v[116:117] neg_lo:[0,1] neg_hi:[0,1]
	v_mov_b32_e32 v114, v131
	v_mov_b32_e32 v119, v134
	v_pk_add_f32 v[144:145], v[130:131], v[118:119] neg_lo:[0,1] neg_hi:[0,1]
	v_mov_b32_e32 v130, v117
	v_mov_b32_e32 v131, v134
	v_mov_b32_e32 v133, v115
	v_pk_add_f32 v[114:115], v[114:115], v[130:131] neg_lo:[0,1] neg_hi:[0,1]
	v_mov_b32_e32 v129, v116
	v_pk_add_f32 v[114:115], v[128:129], v[114:115] neg_lo:[0,1] neg_hi:[0,1]
	v_mov_b32_e32 v144, v132
	v_pk_add_f32 v[116:117], v[144:145], v[114:115]
	v_cmp_eq_f32_e64 s[56:57], s64, v146
	v_mov_b32_e32 v128, v117
	v_pk_add_f32 v[128:129], v[116:117], v[128:129]
	s_mov_b32 s64, 0x33800000
	v_pk_add_f32 v[118:119], v[118:119], v[128:129]
	v_mov_b32_e32 v115, v128
	v_mov_b32_e32 v117, v118
	v_pk_add_f32 v[130:131], v[116:117], v[132:133] neg_lo:[0,1] neg_hi:[0,1]
	v_cmp_lt_f32_e64 s[64:65], |v146|, s64
	v_sub_f32_e32 v116, v116, v130
	v_pk_add_f32 v[114:115], v[114:115], v[130:131] neg_lo:[0,1] neg_hi:[0,1]
	v_sub_f32_e32 v116, v132, v116
	v_add_f32_e32 v114, v114, v116
	v_add_f32_e32 v114, v114, v115
	;; [unrolled: 1-line block ×3, first 2 shown]
	s_or_b64 s[56:57], s[56:57], s[64:65]
	v_cndmask_b32_e64 v114, v114, v146, s[56:57]
	v_add_f32_e32 v115, v113, v114
.LBB161_340:
	s_or_b64 exec, exec, s[58:59]
	v_mov_b32_e32 v114, v115
.LBB161_341:
	s_or_b64 exec, exec, s[62:63]
	v_and_b32_e32 v113, 16, v3
	v_mov_b32_dpp v115, v114 row_bcast:15 row_mask:0xf bank_mask:0xf
	v_cmp_ne_u32_e64 s[56:57], 0, v113
	s_and_saveexec_b64 s[62:63], s[56:57]
	s_cbranch_execz .LBB161_345
; %bb.342:
	v_max_f32_e32 v113, v114, v114
	v_max_f32_e32 v117, v115, v115
	v_min_f32_e32 v116, v117, v113
	v_cmp_u_f32_e64 s[56:57], v115, v115
	v_max_f32_e32 v113, v117, v113
	v_cmp_u_f32_e64 s[58:59], v114, v114
	v_cndmask_b32_e64 v116, v116, v115, s[56:57]
	v_cndmask_b32_e64 v113, v113, v115, s[56:57]
	;; [unrolled: 1-line block ×4, first 2 shown]
	s_movk_i32 s58, 0x1f8
	v_cmp_neq_f32_e64 s[56:57], v116, v113
	v_cmp_class_f32_e64 s[58:59], v116, s58
	s_or_b64 s[56:57], s[56:57], s[58:59]
	s_and_saveexec_b64 s[58:59], s[56:57]
	s_cbranch_execz .LBB161_344
; %bb.343:
	v_sub_f32_e32 v114, v116, v113
	s_mov_b32 s56, 0x3fb8aa3b
	v_mul_f32_e32 v115, 0x3fb8aa3b, v114
	v_fma_f32 v116, v114, s56, -v115
	v_rndne_f32_e32 v117, v115
	v_fmamk_f32 v116, v114, 0x32a5705f, v116
	v_sub_f32_e32 v115, v115, v117
	v_add_f32_e32 v115, v115, v116
	v_exp_f32_e32 v115, v115
	v_cvt_i32_f32_e32 v116, v117
	s_mov_b32 s56, 0xc2ce8ed0
	v_cmp_ngt_f32_e64 s[56:57], s56, v114
	s_mov_b32 s64, 0x7f800000
	v_ldexp_f32 v115, v115, v116
	v_cndmask_b32_e64 v115, 0, v115, s[56:57]
	s_mov_b32 s56, 0x42b17218
	v_mov_b32_e32 v116, 0x7f800000
	v_cmp_nlt_f32_e64 s[56:57], s56, v114
	s_nop 1
	v_cndmask_b32_e64 v146, v116, v115, s[56:57]
	v_add_f32_e32 v116, 1.0, v146
	v_add_f32_e32 v114, -1.0, v116
	v_sub_f32_e32 v115, v114, v116
	v_add_f32_e32 v115, 1.0, v115
	v_sub_f32_e32 v114, v146, v114
	v_add_f32_e32 v117, v114, v115
	v_frexp_mant_f32_e32 v118, v116
	s_mov_b32 s56, 0x3f2aaaab
	v_cvt_f64_f32_e32 v[114:115], v116
	v_frexp_exp_i32_f64_e32 v114, v[114:115]
	v_cmp_gt_f32_e64 s[56:57], s56, v118
	s_nop 1
	v_subbrev_co_u32_e64 v130, s[56:57], 0, v114, s[56:57]
	v_sub_u32_e32 v114, 0, v130
	v_ldexp_f32 v115, v116, v114
	v_add_f32_e32 v116, -1.0, v115
	v_add_f32_e32 v118, 1.0, v115
	v_ldexp_f32 v114, v117, v114
	v_add_f32_e32 v117, 1.0, v116
	v_add_f32_e32 v119, -1.0, v118
	v_sub_f32_e32 v117, v115, v117
	v_sub_f32_e32 v115, v115, v119
	v_add_f32_e32 v117, v114, v117
	v_add_f32_e32 v114, v114, v115
	;; [unrolled: 1-line block ×3, first 2 shown]
	v_rcp_f32_e32 v133, v131
	v_sub_f32_e32 v115, v118, v131
	v_add_f32_e32 v132, v114, v115
	v_add_f32_e32 v115, v116, v117
	v_mul_f32_e32 v135, v115, v133
	v_sub_f32_e32 v114, v116, v115
	v_mul_f32_e32 v116, v131, v135
	v_fma_f32 v118, v135, v131, -v116
	v_fmac_f32_e32 v118, v135, v132
	v_add_f32_e32 v134, v117, v114
	v_add_f32_e32 v114, v116, v118
	v_sub_f32_e32 v117, v115, v114
	v_pk_add_f32 v[128:129], v[114:115], v[116:117] neg_lo:[0,1] neg_hi:[0,1]
	v_mov_b32_e32 v119, v114
	v_pk_add_f32 v[114:115], v[128:129], v[118:119] neg_lo:[0,1] neg_hi:[0,1]
	s_mov_b32 s56, 0x3f317218
	v_add_f32_e32 v115, v134, v115
	v_add_f32_e32 v114, v114, v115
	;; [unrolled: 1-line block ×3, first 2 shown]
	v_mul_f32_e32 v134, v133, v115
	v_mul_f32_e32 v116, v131, v134
	v_fma_f32 v118, v134, v131, -v116
	v_fmac_f32_e32 v118, v134, v132
	v_sub_f32_e32 v117, v117, v115
	v_add_f32_e32 v131, v114, v117
	v_add_f32_e32 v114, v116, v118
	v_sub_f32_e32 v117, v115, v114
	v_pk_add_f32 v[128:129], v[114:115], v[116:117] neg_lo:[0,1] neg_hi:[0,1]
	v_mov_b32_e32 v119, v114
	v_pk_add_f32 v[114:115], v[128:129], v[118:119] neg_lo:[0,1] neg_hi:[0,1]
	v_cvt_f32_i32_e32 v116, v130
	v_add_f32_e32 v115, v131, v115
	v_add_f32_e32 v114, v114, v115
	;; [unrolled: 1-line block ×4, first 2 shown]
	v_sub_f32_e32 v115, v117, v135
	v_mul_f32_e32 v114, v133, v114
	v_sub_f32_e32 v115, v134, v115
	v_add_f32_e32 v114, v115, v114
	v_add_f32_e32 v118, v117, v114
	v_mul_f32_e32 v128, v118, v118
	v_mov_b32_e32 v115, 0x3ecc95a3
	v_sub_f32_e32 v117, v118, v117
	v_fmac_f32_e32 v115, 0x3e9b6dac, v128
	v_sub_f32_e32 v114, v114, v117
	v_fmaak_f32 v115, v128, v115, 0x3f2aaada
	v_ldexp_f32 v129, v114, 1
	v_mul_f32_e32 v117, v118, v128
	v_mov_b32_e32 v114, 0x3f317218
	v_pk_mul_f32 v[114:115], v[116:117], v[114:115]
	v_ldexp_f32 v119, v118, 1
	v_fma_f32 v117, v116, s56, -v114
	v_fmamk_f32 v118, v116, 0xb102e308, v117
	v_pk_add_f32 v[116:117], v[114:115], v[118:119]
	v_mov_b32_e32 v128, v114
	v_sub_f32_e32 v119, v117, v119
	v_sub_f32_e32 v119, v115, v119
	v_add_f32_e32 v129, v129, v119
	v_pk_add_f32 v[114:115], v[116:117], v[114:115] neg_lo:[0,1] neg_hi:[0,1]
	v_pk_add_f32 v[130:131], v[116:117], v[128:129]
	v_mov_b32_e32 v119, v116
	v_mov_b32_e32 v115, v131
	v_pk_add_f32 v[132:133], v[118:119], v[114:115] neg_lo:[0,1] neg_hi:[0,1]
	v_pk_add_f32 v[114:115], v[118:119], v[114:115]
	v_mov_b32_e32 v128, v129
	v_mov_b32_e32 v118, v115
	v_pk_add_f32 v[134:135], v[118:119], v[116:117] neg_lo:[0,1] neg_hi:[0,1]
	v_mov_b32_e32 v114, v131
	v_mov_b32_e32 v119, v134
	v_pk_add_f32 v[144:145], v[130:131], v[118:119] neg_lo:[0,1] neg_hi:[0,1]
	v_mov_b32_e32 v130, v117
	v_mov_b32_e32 v131, v134
	;; [unrolled: 1-line block ×3, first 2 shown]
	v_pk_add_f32 v[114:115], v[114:115], v[130:131] neg_lo:[0,1] neg_hi:[0,1]
	v_mov_b32_e32 v129, v116
	v_pk_add_f32 v[114:115], v[128:129], v[114:115] neg_lo:[0,1] neg_hi:[0,1]
	v_mov_b32_e32 v144, v132
	v_pk_add_f32 v[116:117], v[144:145], v[114:115]
	v_cmp_eq_f32_e64 s[56:57], s64, v146
	v_mov_b32_e32 v128, v117
	v_pk_add_f32 v[128:129], v[116:117], v[128:129]
	s_mov_b32 s64, 0x33800000
	v_pk_add_f32 v[118:119], v[118:119], v[128:129]
	v_mov_b32_e32 v115, v128
	v_mov_b32_e32 v117, v118
	v_pk_add_f32 v[130:131], v[116:117], v[132:133] neg_lo:[0,1] neg_hi:[0,1]
	v_cmp_lt_f32_e64 s[64:65], |v146|, s64
	v_sub_f32_e32 v116, v116, v130
	v_pk_add_f32 v[114:115], v[114:115], v[130:131] neg_lo:[0,1] neg_hi:[0,1]
	v_sub_f32_e32 v116, v132, v116
	v_add_f32_e32 v114, v114, v116
	v_add_f32_e32 v114, v114, v115
	v_add_f32_e32 v114, v118, v114
	s_or_b64 s[56:57], s[56:57], s[64:65]
	v_cndmask_b32_e64 v114, v114, v146, s[56:57]
	v_add_f32_e32 v115, v113, v114
.LBB161_344:
	s_or_b64 exec, exec, s[58:59]
	v_mov_b32_e32 v114, v115
.LBB161_345:
	s_or_b64 exec, exec, s[62:63]
	s_nop 0
	v_mov_b32_dpp v115, v114 row_bcast:31 row_mask:0xf bank_mask:0xf
	v_cmp_lt_u32_e64 s[56:57], 31, v3
	s_and_saveexec_b64 s[62:63], s[56:57]
	s_cbranch_execz .LBB161_349
; %bb.346:
	v_max_f32_e32 v113, v114, v114
	v_max_f32_e32 v117, v115, v115
	v_min_f32_e32 v116, v117, v113
	v_cmp_u_f32_e64 s[56:57], v115, v115
	v_max_f32_e32 v113, v117, v113
	v_cmp_u_f32_e64 s[58:59], v114, v114
	v_cndmask_b32_e64 v116, v116, v115, s[56:57]
	v_cndmask_b32_e64 v113, v113, v115, s[56:57]
	;; [unrolled: 1-line block ×4, first 2 shown]
	s_movk_i32 s58, 0x1f8
	v_cmp_neq_f32_e64 s[56:57], v116, v113
	v_cmp_class_f32_e64 s[58:59], v116, s58
	s_or_b64 s[56:57], s[56:57], s[58:59]
	s_and_saveexec_b64 s[58:59], s[56:57]
	s_cbranch_execz .LBB161_348
; %bb.347:
	v_sub_f32_e32 v114, v116, v113
	s_mov_b32 s56, 0x3fb8aa3b
	v_mul_f32_e32 v115, 0x3fb8aa3b, v114
	v_fma_f32 v116, v114, s56, -v115
	v_rndne_f32_e32 v117, v115
	v_fmamk_f32 v116, v114, 0x32a5705f, v116
	v_sub_f32_e32 v115, v115, v117
	v_add_f32_e32 v115, v115, v116
	v_exp_f32_e32 v115, v115
	v_cvt_i32_f32_e32 v116, v117
	s_mov_b32 s56, 0xc2ce8ed0
	v_cmp_ngt_f32_e64 s[56:57], s56, v114
	s_mov_b32 s64, 0x7f800000
	v_ldexp_f32 v115, v115, v116
	v_cndmask_b32_e64 v115, 0, v115, s[56:57]
	s_mov_b32 s56, 0x42b17218
	v_mov_b32_e32 v116, 0x7f800000
	v_cmp_nlt_f32_e64 s[56:57], s56, v114
	s_nop 1
	v_cndmask_b32_e64 v146, v116, v115, s[56:57]
	v_add_f32_e32 v116, 1.0, v146
	v_add_f32_e32 v114, -1.0, v116
	v_sub_f32_e32 v115, v114, v116
	v_add_f32_e32 v115, 1.0, v115
	v_sub_f32_e32 v114, v146, v114
	v_add_f32_e32 v117, v114, v115
	v_frexp_mant_f32_e32 v118, v116
	s_mov_b32 s56, 0x3f2aaaab
	v_cvt_f64_f32_e32 v[114:115], v116
	v_frexp_exp_i32_f64_e32 v114, v[114:115]
	v_cmp_gt_f32_e64 s[56:57], s56, v118
	s_nop 1
	v_subbrev_co_u32_e64 v130, s[56:57], 0, v114, s[56:57]
	v_sub_u32_e32 v114, 0, v130
	v_ldexp_f32 v115, v116, v114
	v_add_f32_e32 v116, -1.0, v115
	v_add_f32_e32 v118, 1.0, v115
	v_ldexp_f32 v114, v117, v114
	v_add_f32_e32 v117, 1.0, v116
	v_add_f32_e32 v119, -1.0, v118
	v_sub_f32_e32 v117, v115, v117
	v_sub_f32_e32 v115, v115, v119
	v_add_f32_e32 v117, v114, v117
	v_add_f32_e32 v114, v114, v115
	;; [unrolled: 1-line block ×3, first 2 shown]
	v_rcp_f32_e32 v133, v131
	v_sub_f32_e32 v115, v118, v131
	v_add_f32_e32 v132, v114, v115
	v_add_f32_e32 v115, v116, v117
	v_mul_f32_e32 v135, v115, v133
	v_sub_f32_e32 v114, v116, v115
	v_mul_f32_e32 v116, v131, v135
	v_fma_f32 v118, v135, v131, -v116
	v_fmac_f32_e32 v118, v135, v132
	v_add_f32_e32 v134, v117, v114
	v_add_f32_e32 v114, v116, v118
	v_sub_f32_e32 v117, v115, v114
	v_pk_add_f32 v[128:129], v[114:115], v[116:117] neg_lo:[0,1] neg_hi:[0,1]
	v_mov_b32_e32 v119, v114
	v_pk_add_f32 v[114:115], v[128:129], v[118:119] neg_lo:[0,1] neg_hi:[0,1]
	s_mov_b32 s56, 0x3f317218
	v_add_f32_e32 v115, v134, v115
	v_add_f32_e32 v114, v114, v115
	;; [unrolled: 1-line block ×3, first 2 shown]
	v_mul_f32_e32 v134, v133, v115
	v_mul_f32_e32 v116, v131, v134
	v_fma_f32 v118, v134, v131, -v116
	v_fmac_f32_e32 v118, v134, v132
	v_sub_f32_e32 v117, v117, v115
	v_add_f32_e32 v131, v114, v117
	v_add_f32_e32 v114, v116, v118
	v_sub_f32_e32 v117, v115, v114
	v_pk_add_f32 v[128:129], v[114:115], v[116:117] neg_lo:[0,1] neg_hi:[0,1]
	v_mov_b32_e32 v119, v114
	v_pk_add_f32 v[114:115], v[128:129], v[118:119] neg_lo:[0,1] neg_hi:[0,1]
	v_cvt_f32_i32_e32 v116, v130
	v_add_f32_e32 v115, v131, v115
	v_add_f32_e32 v114, v114, v115
	;; [unrolled: 1-line block ×4, first 2 shown]
	v_sub_f32_e32 v115, v117, v135
	v_mul_f32_e32 v114, v133, v114
	v_sub_f32_e32 v115, v134, v115
	v_add_f32_e32 v114, v115, v114
	v_add_f32_e32 v118, v117, v114
	v_mul_f32_e32 v128, v118, v118
	v_mov_b32_e32 v115, 0x3ecc95a3
	v_sub_f32_e32 v117, v118, v117
	v_fmac_f32_e32 v115, 0x3e9b6dac, v128
	v_sub_f32_e32 v114, v114, v117
	v_fmaak_f32 v115, v128, v115, 0x3f2aaada
	v_ldexp_f32 v129, v114, 1
	v_mul_f32_e32 v117, v118, v128
	v_mov_b32_e32 v114, 0x3f317218
	v_pk_mul_f32 v[114:115], v[116:117], v[114:115]
	v_ldexp_f32 v119, v118, 1
	v_fma_f32 v117, v116, s56, -v114
	v_fmamk_f32 v118, v116, 0xb102e308, v117
	v_pk_add_f32 v[116:117], v[114:115], v[118:119]
	v_mov_b32_e32 v128, v114
	v_sub_f32_e32 v119, v117, v119
	v_sub_f32_e32 v119, v115, v119
	v_add_f32_e32 v129, v129, v119
	v_pk_add_f32 v[114:115], v[116:117], v[114:115] neg_lo:[0,1] neg_hi:[0,1]
	v_pk_add_f32 v[130:131], v[116:117], v[128:129]
	v_mov_b32_e32 v119, v116
	v_mov_b32_e32 v115, v131
	v_pk_add_f32 v[132:133], v[118:119], v[114:115] neg_lo:[0,1] neg_hi:[0,1]
	v_pk_add_f32 v[114:115], v[118:119], v[114:115]
	v_mov_b32_e32 v128, v129
	v_mov_b32_e32 v118, v115
	v_pk_add_f32 v[134:135], v[118:119], v[116:117] neg_lo:[0,1] neg_hi:[0,1]
	v_mov_b32_e32 v114, v131
	v_mov_b32_e32 v119, v134
	v_pk_add_f32 v[144:145], v[130:131], v[118:119] neg_lo:[0,1] neg_hi:[0,1]
	v_mov_b32_e32 v130, v117
	v_mov_b32_e32 v131, v134
	;; [unrolled: 1-line block ×3, first 2 shown]
	v_pk_add_f32 v[114:115], v[114:115], v[130:131] neg_lo:[0,1] neg_hi:[0,1]
	v_mov_b32_e32 v129, v116
	v_pk_add_f32 v[114:115], v[128:129], v[114:115] neg_lo:[0,1] neg_hi:[0,1]
	v_mov_b32_e32 v144, v132
	v_pk_add_f32 v[116:117], v[144:145], v[114:115]
	v_cmp_eq_f32_e64 s[56:57], s64, v146
	v_mov_b32_e32 v128, v117
	v_pk_add_f32 v[128:129], v[116:117], v[128:129]
	s_mov_b32 s64, 0x33800000
	v_pk_add_f32 v[118:119], v[118:119], v[128:129]
	v_mov_b32_e32 v115, v128
	v_mov_b32_e32 v117, v118
	v_pk_add_f32 v[130:131], v[116:117], v[132:133] neg_lo:[0,1] neg_hi:[0,1]
	v_cmp_lt_f32_e64 s[64:65], |v146|, s64
	v_sub_f32_e32 v116, v116, v130
	v_pk_add_f32 v[114:115], v[114:115], v[130:131] neg_lo:[0,1] neg_hi:[0,1]
	v_sub_f32_e32 v116, v132, v116
	v_add_f32_e32 v114, v114, v116
	v_add_f32_e32 v114, v114, v115
	;; [unrolled: 1-line block ×3, first 2 shown]
	s_or_b64 s[56:57], s[56:57], s[64:65]
	v_cndmask_b32_e64 v114, v114, v146, s[56:57]
	v_add_f32_e32 v115, v113, v114
.LBB161_348:
	s_or_b64 exec, exec, s[58:59]
	v_mov_b32_e32 v114, v115
.LBB161_349:
	s_or_b64 exec, exec, s[62:63]
	v_add_u32_e32 v113, -1, v3
	v_and_b32_e32 v115, 64, v3
	v_cmp_lt_i32_e64 s[56:57], v113, v115
	s_movk_i32 s58, 0x1f8
	s_nop 0
	v_cndmask_b32_e64 v3, v113, v3, s[56:57]
	v_lshlrev_b32_e32 v3, 2, v3
	ds_bpermute_b32 v3, v3, v114
	s_waitcnt lgkmcnt(0)
	v_max_f32_e32 v113, v3, v3
	v_min_f32_e32 v114, v113, v112
	v_max_f32_e32 v113, v113, v112
	v_cmp_u_f32_e64 s[56:57], v3, v3
	s_nop 1
	v_cndmask_b32_e64 v112, v114, v3, s[56:57]
	v_cndmask_b32_e64 v113, v113, v3, s[56:57]
	;; [unrolled: 1-line block ×4, first 2 shown]
	v_cmp_neq_f32_e64 s[54:55], v112, v2
	v_cmp_class_f32_e64 s[56:57], v112, s58
	s_or_b64 s[54:55], s[54:55], s[56:57]
	s_and_saveexec_b64 s[56:57], s[54:55]
	s_cbranch_execz .LBB161_351
; %bb.350:
	v_sub_f32_e32 v3, v112, v2
	s_mov_b32 s54, 0x3fb8aa3b
	v_mul_f32_e32 v112, 0x3fb8aa3b, v3
	v_fma_f32 v113, v3, s54, -v112
	v_rndne_f32_e32 v114, v112
	v_fmamk_f32 v113, v3, 0x32a5705f, v113
	v_sub_f32_e32 v112, v112, v114
	v_add_f32_e32 v112, v112, v113
	v_exp_f32_e32 v112, v112
	v_cvt_i32_f32_e32 v113, v114
	s_mov_b32 s54, 0xc2ce8ed0
	v_cmp_ngt_f32_e64 s[54:55], s54, v3
	s_mov_b32 s59, 0x7f800000
	v_ldexp_f32 v112, v112, v113
	v_cndmask_b32_e64 v112, 0, v112, s[54:55]
	s_mov_b32 s54, 0x42b17218
	v_mov_b32_e32 v113, 0x7f800000
	v_cmp_nlt_f32_e64 s[54:55], s54, v3
	s_nop 1
	v_cndmask_b32_e64 v144, v113, v112, s[54:55]
	v_add_f32_e32 v3, 1.0, v144
	v_add_f32_e32 v112, -1.0, v3
	v_sub_f32_e32 v113, v112, v3
	v_add_f32_e32 v113, 1.0, v113
	v_sub_f32_e32 v112, v144, v112
	v_add_f32_e32 v114, v112, v113
	v_frexp_mant_f32_e32 v115, v3
	s_mov_b32 s54, 0x3f2aaaab
	v_cvt_f64_f32_e32 v[112:113], v3
	v_frexp_exp_i32_f64_e32 v112, v[112:113]
	v_cmp_gt_f32_e64 s[54:55], s54, v115
	s_nop 1
	v_subbrev_co_u32_e64 v128, s[54:55], 0, v112, s[54:55]
	v_sub_u32_e32 v112, 0, v128
	v_ldexp_f32 v3, v3, v112
	v_ldexp_f32 v112, v114, v112
	v_add_f32_e32 v114, -1.0, v3
	v_add_f32_e32 v113, 1.0, v114
	v_sub_f32_e32 v113, v3, v113
	v_add_f32_e32 v115, v112, v113
	v_add_f32_e32 v113, 1.0, v3
	v_add_f32_e32 v116, -1.0, v113
	v_sub_f32_e32 v3, v3, v116
	v_add_f32_e32 v3, v112, v3
	v_add_f32_e32 v129, v113, v3
	v_rcp_f32_e32 v130, v129
	v_sub_f32_e32 v112, v113, v129
	v_add_f32_e32 v113, v114, v115
	v_add_f32_e32 v3, v3, v112
	v_mul_f32_e32 v132, v113, v130
	v_sub_f32_e32 v112, v114, v113
	v_mul_f32_e32 v114, v129, v132
	v_fma_f32 v116, v132, v129, -v114
	v_fmac_f32_e32 v116, v132, v3
	v_add_f32_e32 v131, v115, v112
	v_add_f32_e32 v112, v114, v116
	v_sub_f32_e32 v115, v113, v112
	v_pk_add_f32 v[118:119], v[112:113], v[114:115] neg_lo:[0,1] neg_hi:[0,1]
	v_mov_b32_e32 v117, v112
	v_pk_add_f32 v[112:113], v[118:119], v[116:117] neg_lo:[0,1] neg_hi:[0,1]
	s_mov_b32 s54, 0x3f317218
	v_add_f32_e32 v113, v131, v113
	v_add_f32_e32 v112, v112, v113
	;; [unrolled: 1-line block ×3, first 2 shown]
	v_mul_f32_e32 v131, v130, v113
	v_mul_f32_e32 v114, v129, v131
	v_fma_f32 v116, v131, v129, -v114
	v_fmac_f32_e32 v116, v131, v3
	v_sub_f32_e32 v3, v115, v113
	v_add_f32_e32 v3, v112, v3
	v_add_f32_e32 v112, v114, v116
	v_sub_f32_e32 v115, v113, v112
	v_pk_add_f32 v[118:119], v[112:113], v[114:115] neg_lo:[0,1] neg_hi:[0,1]
	v_mov_b32_e32 v117, v112
	v_pk_add_f32 v[112:113], v[118:119], v[116:117] neg_lo:[0,1] neg_hi:[0,1]
	v_cvt_f32_i32_e32 v114, v128
	v_add_f32_e32 v3, v3, v113
	v_add_f32_e32 v3, v112, v3
	;; [unrolled: 1-line block ×4, first 2 shown]
	v_sub_f32_e32 v113, v112, v132
	v_mul_f32_e32 v3, v130, v3
	v_sub_f32_e32 v113, v131, v113
	v_add_f32_e32 v3, v113, v3
	v_add_f32_e32 v115, v112, v3
	v_mul_f32_e32 v116, v115, v115
	v_mov_b32_e32 v113, 0x3ecc95a3
	v_fmac_f32_e32 v113, 0x3e9b6dac, v116
	v_sub_f32_e32 v112, v115, v112
	v_fmaak_f32 v113, v116, v113, 0x3f2aaada
	v_sub_f32_e32 v3, v3, v112
	v_ldexp_f32 v117, v115, 1
	v_mul_f32_e32 v115, v115, v116
	v_mov_b32_e32 v112, 0x3f317218
	v_pk_mul_f32 v[112:113], v[114:115], v[112:113]
	v_ldexp_f32 v3, v3, 1
	v_fma_f32 v115, v114, s54, -v112
	v_fmamk_f32 v116, v114, 0xb102e308, v115
	v_pk_add_f32 v[114:115], v[112:113], v[116:117]
	v_mov_b32_e32 v118, v112
	v_sub_f32_e32 v117, v115, v117
	v_sub_f32_e32 v117, v113, v117
	v_add_f32_e32 v119, v3, v117
	v_pk_add_f32 v[112:113], v[114:115], v[112:113] neg_lo:[0,1] neg_hi:[0,1]
	v_pk_add_f32 v[128:129], v[114:115], v[118:119]
	v_mov_b32_e32 v117, v114
	v_mov_b32_e32 v113, v129
	v_pk_add_f32 v[130:131], v[116:117], v[112:113] neg_lo:[0,1] neg_hi:[0,1]
	v_pk_add_f32 v[112:113], v[116:117], v[112:113]
	v_mov_b32_e32 v118, v119
	v_mov_b32_e32 v116, v113
	v_pk_add_f32 v[132:133], v[116:117], v[114:115] neg_lo:[0,1] neg_hi:[0,1]
	v_mov_b32_e32 v112, v129
	v_mov_b32_e32 v3, v132
	v_pk_add_f32 v[134:135], v[128:129], v[2:3] neg_lo:[0,1] neg_hi:[0,1]
	v_mov_b32_e32 v128, v115
	v_mov_b32_e32 v129, v132
	;; [unrolled: 1-line block ×3, first 2 shown]
	v_pk_add_f32 v[112:113], v[112:113], v[128:129] neg_lo:[0,1] neg_hi:[0,1]
	v_mov_b32_e32 v119, v114
	v_pk_add_f32 v[112:113], v[118:119], v[112:113] neg_lo:[0,1] neg_hi:[0,1]
	v_mov_b32_e32 v134, v130
	v_pk_add_f32 v[114:115], v[134:135], v[112:113]
	v_cmp_eq_f32_e64 s[54:55], s59, v144
	v_mov_b32_e32 v118, v115
	v_pk_add_f32 v[118:119], v[114:115], v[118:119]
	s_mov_b32 s59, 0x33800000
	v_pk_add_f32 v[116:117], v[116:117], v[118:119]
	v_mov_b32_e32 v113, v118
	v_mov_b32_e32 v115, v116
	v_pk_add_f32 v[128:129], v[114:115], v[130:131] neg_lo:[0,1] neg_hi:[0,1]
	v_cmp_lt_f32_e64 s[62:63], |v144|, s59
	v_sub_f32_e32 v3, v114, v128
	v_pk_add_f32 v[112:113], v[112:113], v[128:129] neg_lo:[0,1] neg_hi:[0,1]
	v_sub_f32_e32 v3, v130, v3
	v_add_f32_e32 v3, v112, v3
	v_add_f32_e32 v3, v3, v113
	;; [unrolled: 1-line block ×3, first 2 shown]
	s_or_b64 s[54:55], s[54:55], s[62:63]
	v_cndmask_b32_e64 v3, v3, v144, s[54:55]
	v_add_f32_e32 v3, v2, v3
.LBB161_351:
	s_or_b64 exec, exec, s[56:57]
	v_cndmask_b32_e64 v3, v3, v53, s[4:5]
	; wave barrier
	ds_write_b32 v101, v3
	; wave barrier
	ds_read_b32 v2, v101 offset:4
	v_max_f32_e32 v113, v3, v3
	v_cmp_u_f32_e64 s[4:5], v3, v3
	s_waitcnt lgkmcnt(0)
	v_max_f32_e32 v114, v2, v2
	v_min_f32_e32 v112, v113, v114
	v_max_f32_e32 v113, v113, v114
	v_cndmask_b32_e64 v112, v112, v3, s[4:5]
	v_cmp_u_f32_e64 s[54:55], v2, v2
	v_cndmask_b32_e64 v113, v113, v3, s[4:5]
	s_nop 0
	v_cndmask_b32_e64 v112, v112, v2, s[54:55]
	v_cndmask_b32_e64 v2, v113, v2, s[54:55]
	v_cmp_neq_f32_e64 s[4:5], v112, v2
	v_cmp_class_f32_e64 s[54:55], v112, s58
	s_or_b64 s[4:5], s[4:5], s[54:55]
	s_and_saveexec_b64 s[54:55], s[4:5]
	s_cbranch_execz .LBB161_353
; %bb.352:
	v_sub_f32_e32 v3, v112, v2
	s_mov_b32 s4, 0x3fb8aa3b
	v_mul_f32_e32 v112, 0x3fb8aa3b, v3
	v_fma_f32 v113, v3, s4, -v112
	v_rndne_f32_e32 v114, v112
	v_fmamk_f32 v113, v3, 0x32a5705f, v113
	v_sub_f32_e32 v112, v112, v114
	v_add_f32_e32 v112, v112, v113
	v_exp_f32_e32 v112, v112
	v_cvt_i32_f32_e32 v113, v114
	s_mov_b32 s4, 0xc2ce8ed0
	v_cmp_ngt_f32_e64 s[4:5], s4, v3
	s_mov_b32 s56, 0x7f800000
	v_ldexp_f32 v112, v112, v113
	v_cndmask_b32_e64 v112, 0, v112, s[4:5]
	s_mov_b32 s4, 0x42b17218
	v_mov_b32_e32 v113, 0x7f800000
	v_cmp_nlt_f32_e64 s[4:5], s4, v3
	s_nop 1
	v_cndmask_b32_e64 v144, v113, v112, s[4:5]
	v_add_f32_e32 v3, 1.0, v144
	v_add_f32_e32 v112, -1.0, v3
	v_sub_f32_e32 v113, v112, v3
	v_add_f32_e32 v113, 1.0, v113
	v_sub_f32_e32 v112, v144, v112
	v_add_f32_e32 v114, v112, v113
	v_frexp_mant_f32_e32 v115, v3
	s_mov_b32 s4, 0x3f2aaaab
	v_cvt_f64_f32_e32 v[112:113], v3
	v_frexp_exp_i32_f64_e32 v112, v[112:113]
	v_cmp_gt_f32_e64 s[4:5], s4, v115
	s_nop 1
	v_subbrev_co_u32_e64 v128, s[4:5], 0, v112, s[4:5]
	v_sub_u32_e32 v112, 0, v128
	v_ldexp_f32 v3, v3, v112
	v_ldexp_f32 v112, v114, v112
	v_add_f32_e32 v114, -1.0, v3
	v_add_f32_e32 v113, 1.0, v114
	v_sub_f32_e32 v113, v3, v113
	v_add_f32_e32 v115, v112, v113
	v_add_f32_e32 v113, 1.0, v3
	v_add_f32_e32 v116, -1.0, v113
	v_sub_f32_e32 v3, v3, v116
	v_add_f32_e32 v3, v112, v3
	v_add_f32_e32 v129, v113, v3
	v_rcp_f32_e32 v130, v129
	v_sub_f32_e32 v112, v113, v129
	v_add_f32_e32 v113, v114, v115
	v_add_f32_e32 v3, v3, v112
	v_mul_f32_e32 v132, v113, v130
	v_sub_f32_e32 v112, v114, v113
	v_mul_f32_e32 v114, v129, v132
	v_fma_f32 v116, v132, v129, -v114
	v_fmac_f32_e32 v116, v132, v3
	v_add_f32_e32 v131, v115, v112
	v_add_f32_e32 v112, v114, v116
	v_sub_f32_e32 v115, v113, v112
	v_pk_add_f32 v[118:119], v[112:113], v[114:115] neg_lo:[0,1] neg_hi:[0,1]
	v_mov_b32_e32 v117, v112
	v_pk_add_f32 v[112:113], v[118:119], v[116:117] neg_lo:[0,1] neg_hi:[0,1]
	s_mov_b32 s4, 0x3f317218
	v_add_f32_e32 v113, v131, v113
	v_add_f32_e32 v112, v112, v113
	;; [unrolled: 1-line block ×3, first 2 shown]
	v_mul_f32_e32 v131, v130, v113
	v_mul_f32_e32 v114, v129, v131
	v_fma_f32 v116, v131, v129, -v114
	v_fmac_f32_e32 v116, v131, v3
	v_sub_f32_e32 v3, v115, v113
	v_add_f32_e32 v3, v112, v3
	v_add_f32_e32 v112, v114, v116
	v_sub_f32_e32 v115, v113, v112
	v_pk_add_f32 v[118:119], v[112:113], v[114:115] neg_lo:[0,1] neg_hi:[0,1]
	v_mov_b32_e32 v117, v112
	v_pk_add_f32 v[112:113], v[118:119], v[116:117] neg_lo:[0,1] neg_hi:[0,1]
	v_cvt_f32_i32_e32 v114, v128
	v_add_f32_e32 v3, v3, v113
	v_add_f32_e32 v3, v112, v3
	;; [unrolled: 1-line block ×4, first 2 shown]
	v_sub_f32_e32 v113, v112, v132
	v_mul_f32_e32 v3, v130, v3
	v_sub_f32_e32 v113, v131, v113
	v_add_f32_e32 v3, v113, v3
	v_add_f32_e32 v115, v112, v3
	v_mul_f32_e32 v116, v115, v115
	v_mov_b32_e32 v113, 0x3ecc95a3
	v_fmac_f32_e32 v113, 0x3e9b6dac, v116
	v_sub_f32_e32 v112, v115, v112
	v_fmaak_f32 v113, v116, v113, 0x3f2aaada
	v_sub_f32_e32 v3, v3, v112
	v_ldexp_f32 v117, v115, 1
	v_mul_f32_e32 v115, v115, v116
	v_mov_b32_e32 v112, 0x3f317218
	v_pk_mul_f32 v[112:113], v[114:115], v[112:113]
	v_ldexp_f32 v3, v3, 1
	v_fma_f32 v115, v114, s4, -v112
	v_fmamk_f32 v116, v114, 0xb102e308, v115
	v_pk_add_f32 v[114:115], v[112:113], v[116:117]
	v_mov_b32_e32 v118, v112
	v_sub_f32_e32 v117, v115, v117
	v_sub_f32_e32 v117, v113, v117
	v_add_f32_e32 v119, v3, v117
	v_pk_add_f32 v[112:113], v[114:115], v[112:113] neg_lo:[0,1] neg_hi:[0,1]
	v_pk_add_f32 v[128:129], v[114:115], v[118:119]
	v_mov_b32_e32 v117, v114
	v_mov_b32_e32 v113, v129
	v_pk_add_f32 v[130:131], v[116:117], v[112:113] neg_lo:[0,1] neg_hi:[0,1]
	v_pk_add_f32 v[112:113], v[116:117], v[112:113]
	v_mov_b32_e32 v118, v119
	v_mov_b32_e32 v116, v113
	v_pk_add_f32 v[132:133], v[116:117], v[114:115] neg_lo:[0,1] neg_hi:[0,1]
	v_mov_b32_e32 v112, v129
	v_mov_b32_e32 v3, v132
	v_pk_add_f32 v[134:135], v[128:129], v[2:3] neg_lo:[0,1] neg_hi:[0,1]
	v_mov_b32_e32 v128, v115
	v_mov_b32_e32 v129, v132
	;; [unrolled: 1-line block ×3, first 2 shown]
	v_pk_add_f32 v[112:113], v[112:113], v[128:129] neg_lo:[0,1] neg_hi:[0,1]
	v_mov_b32_e32 v119, v114
	v_pk_add_f32 v[112:113], v[118:119], v[112:113] neg_lo:[0,1] neg_hi:[0,1]
	v_mov_b32_e32 v134, v130
	v_pk_add_f32 v[114:115], v[134:135], v[112:113]
	v_cmp_eq_f32_e64 s[4:5], s56, v144
	v_mov_b32_e32 v118, v115
	v_pk_add_f32 v[118:119], v[114:115], v[118:119]
	s_mov_b32 s56, 0x33800000
	v_pk_add_f32 v[116:117], v[116:117], v[118:119]
	v_mov_b32_e32 v113, v118
	v_mov_b32_e32 v115, v116
	v_pk_add_f32 v[128:129], v[114:115], v[130:131] neg_lo:[0,1] neg_hi:[0,1]
	v_cmp_lt_f32_e64 s[56:57], |v144|, s56
	v_sub_f32_e32 v3, v114, v128
	v_pk_add_f32 v[112:113], v[112:113], v[128:129] neg_lo:[0,1] neg_hi:[0,1]
	v_sub_f32_e32 v3, v130, v3
	v_add_f32_e32 v3, v112, v3
	v_add_f32_e32 v3, v3, v113
	;; [unrolled: 1-line block ×3, first 2 shown]
	s_or_b64 s[4:5], s[4:5], s[56:57]
	v_cndmask_b32_e64 v3, v3, v144, s[4:5]
	v_add_f32_e32 v3, v2, v3
.LBB161_353:
	s_or_b64 exec, exec, s[54:55]
	ds_read_b32 v2, v101 offset:8
	v_max_f32_e32 v113, v3, v3
	v_cmp_u_f32_e64 s[4:5], v3, v3
	s_movk_i32 s56, 0x1f8
	ds_write_b32 v101, v3 offset:4
	s_waitcnt lgkmcnt(0)
	v_max_f32_e32 v114, v2, v2
	v_min_f32_e32 v112, v113, v114
	v_max_f32_e32 v113, v113, v114
	v_cndmask_b32_e64 v112, v112, v3, s[4:5]
	v_cmp_u_f32_e64 s[54:55], v2, v2
	v_cndmask_b32_e64 v113, v113, v3, s[4:5]
	s_nop 0
	v_cndmask_b32_e64 v112, v112, v2, s[54:55]
	v_cndmask_b32_e64 v2, v113, v2, s[54:55]
	v_cmp_neq_f32_e64 s[4:5], v112, v2
	v_cmp_class_f32_e64 s[54:55], v112, s56
	s_or_b64 s[4:5], s[4:5], s[54:55]
	s_and_saveexec_b64 s[54:55], s[4:5]
	s_cbranch_execz .LBB161_355
; %bb.354:
	v_sub_f32_e32 v3, v112, v2
	s_mov_b32 s4, 0x3fb8aa3b
	v_mul_f32_e32 v112, 0x3fb8aa3b, v3
	v_fma_f32 v113, v3, s4, -v112
	v_rndne_f32_e32 v114, v112
	v_fmamk_f32 v113, v3, 0x32a5705f, v113
	v_sub_f32_e32 v112, v112, v114
	v_add_f32_e32 v112, v112, v113
	v_exp_f32_e32 v112, v112
	v_cvt_i32_f32_e32 v113, v114
	s_mov_b32 s4, 0xc2ce8ed0
	v_cmp_ngt_f32_e64 s[4:5], s4, v3
	s_mov_b32 s57, 0x7f800000
	v_ldexp_f32 v112, v112, v113
	v_cndmask_b32_e64 v112, 0, v112, s[4:5]
	s_mov_b32 s4, 0x42b17218
	v_mov_b32_e32 v113, 0x7f800000
	v_cmp_nlt_f32_e64 s[4:5], s4, v3
	s_nop 1
	v_cndmask_b32_e64 v144, v113, v112, s[4:5]
	v_add_f32_e32 v3, 1.0, v144
	v_add_f32_e32 v112, -1.0, v3
	v_sub_f32_e32 v113, v112, v3
	v_add_f32_e32 v113, 1.0, v113
	v_sub_f32_e32 v112, v144, v112
	v_add_f32_e32 v114, v112, v113
	v_frexp_mant_f32_e32 v115, v3
	s_mov_b32 s4, 0x3f2aaaab
	v_cvt_f64_f32_e32 v[112:113], v3
	v_frexp_exp_i32_f64_e32 v112, v[112:113]
	v_cmp_gt_f32_e64 s[4:5], s4, v115
	s_nop 1
	v_subbrev_co_u32_e64 v128, s[4:5], 0, v112, s[4:5]
	v_sub_u32_e32 v112, 0, v128
	v_ldexp_f32 v3, v3, v112
	v_ldexp_f32 v112, v114, v112
	v_add_f32_e32 v114, -1.0, v3
	v_add_f32_e32 v113, 1.0, v114
	v_sub_f32_e32 v113, v3, v113
	v_add_f32_e32 v115, v112, v113
	v_add_f32_e32 v113, 1.0, v3
	v_add_f32_e32 v116, -1.0, v113
	v_sub_f32_e32 v3, v3, v116
	v_add_f32_e32 v3, v112, v3
	v_add_f32_e32 v129, v113, v3
	v_rcp_f32_e32 v130, v129
	v_sub_f32_e32 v112, v113, v129
	v_add_f32_e32 v113, v114, v115
	v_add_f32_e32 v3, v3, v112
	v_mul_f32_e32 v132, v113, v130
	v_sub_f32_e32 v112, v114, v113
	v_mul_f32_e32 v114, v129, v132
	v_fma_f32 v116, v132, v129, -v114
	v_fmac_f32_e32 v116, v132, v3
	v_add_f32_e32 v131, v115, v112
	v_add_f32_e32 v112, v114, v116
	v_sub_f32_e32 v115, v113, v112
	v_pk_add_f32 v[118:119], v[112:113], v[114:115] neg_lo:[0,1] neg_hi:[0,1]
	v_mov_b32_e32 v117, v112
	v_pk_add_f32 v[112:113], v[118:119], v[116:117] neg_lo:[0,1] neg_hi:[0,1]
	s_mov_b32 s4, 0x3f317218
	v_add_f32_e32 v113, v131, v113
	v_add_f32_e32 v112, v112, v113
	;; [unrolled: 1-line block ×3, first 2 shown]
	v_mul_f32_e32 v131, v130, v113
	v_mul_f32_e32 v114, v129, v131
	v_fma_f32 v116, v131, v129, -v114
	v_fmac_f32_e32 v116, v131, v3
	v_sub_f32_e32 v3, v115, v113
	v_add_f32_e32 v3, v112, v3
	v_add_f32_e32 v112, v114, v116
	v_sub_f32_e32 v115, v113, v112
	v_pk_add_f32 v[118:119], v[112:113], v[114:115] neg_lo:[0,1] neg_hi:[0,1]
	v_mov_b32_e32 v117, v112
	v_pk_add_f32 v[112:113], v[118:119], v[116:117] neg_lo:[0,1] neg_hi:[0,1]
	v_cvt_f32_i32_e32 v114, v128
	v_add_f32_e32 v3, v3, v113
	v_add_f32_e32 v3, v112, v3
	v_add_f32_e32 v112, v132, v131
	v_add_f32_e32 v3, v115, v3
	v_sub_f32_e32 v113, v112, v132
	v_mul_f32_e32 v3, v130, v3
	v_sub_f32_e32 v113, v131, v113
	v_add_f32_e32 v3, v113, v3
	v_add_f32_e32 v115, v112, v3
	v_mul_f32_e32 v116, v115, v115
	v_mov_b32_e32 v113, 0x3ecc95a3
	v_fmac_f32_e32 v113, 0x3e9b6dac, v116
	v_sub_f32_e32 v112, v115, v112
	v_fmaak_f32 v113, v116, v113, 0x3f2aaada
	v_sub_f32_e32 v3, v3, v112
	v_ldexp_f32 v117, v115, 1
	v_mul_f32_e32 v115, v115, v116
	v_mov_b32_e32 v112, 0x3f317218
	v_pk_mul_f32 v[112:113], v[114:115], v[112:113]
	v_ldexp_f32 v3, v3, 1
	v_fma_f32 v115, v114, s4, -v112
	v_fmamk_f32 v116, v114, 0xb102e308, v115
	v_pk_add_f32 v[114:115], v[112:113], v[116:117]
	v_mov_b32_e32 v118, v112
	v_sub_f32_e32 v117, v115, v117
	v_sub_f32_e32 v117, v113, v117
	v_add_f32_e32 v119, v3, v117
	v_pk_add_f32 v[112:113], v[114:115], v[112:113] neg_lo:[0,1] neg_hi:[0,1]
	v_pk_add_f32 v[128:129], v[114:115], v[118:119]
	v_mov_b32_e32 v117, v114
	v_mov_b32_e32 v113, v129
	v_pk_add_f32 v[130:131], v[116:117], v[112:113] neg_lo:[0,1] neg_hi:[0,1]
	v_pk_add_f32 v[112:113], v[116:117], v[112:113]
	v_mov_b32_e32 v118, v119
	v_mov_b32_e32 v116, v113
	v_pk_add_f32 v[132:133], v[116:117], v[114:115] neg_lo:[0,1] neg_hi:[0,1]
	v_mov_b32_e32 v112, v129
	v_mov_b32_e32 v3, v132
	v_pk_add_f32 v[134:135], v[128:129], v[2:3] neg_lo:[0,1] neg_hi:[0,1]
	v_mov_b32_e32 v128, v115
	v_mov_b32_e32 v129, v132
	;; [unrolled: 1-line block ×3, first 2 shown]
	v_pk_add_f32 v[112:113], v[112:113], v[128:129] neg_lo:[0,1] neg_hi:[0,1]
	v_mov_b32_e32 v119, v114
	v_pk_add_f32 v[112:113], v[118:119], v[112:113] neg_lo:[0,1] neg_hi:[0,1]
	v_mov_b32_e32 v134, v130
	v_pk_add_f32 v[114:115], v[134:135], v[112:113]
	v_cmp_eq_f32_e64 s[4:5], s57, v144
	v_mov_b32_e32 v118, v115
	v_pk_add_f32 v[118:119], v[114:115], v[118:119]
	s_mov_b32 s57, 0x33800000
	v_pk_add_f32 v[116:117], v[116:117], v[118:119]
	v_mov_b32_e32 v113, v118
	v_mov_b32_e32 v115, v116
	v_pk_add_f32 v[128:129], v[114:115], v[130:131] neg_lo:[0,1] neg_hi:[0,1]
	v_cmp_lt_f32_e64 s[58:59], |v144|, s57
	v_sub_f32_e32 v3, v114, v128
	v_pk_add_f32 v[112:113], v[112:113], v[128:129] neg_lo:[0,1] neg_hi:[0,1]
	v_sub_f32_e32 v3, v130, v3
	v_add_f32_e32 v3, v112, v3
	v_add_f32_e32 v3, v3, v113
	;; [unrolled: 1-line block ×3, first 2 shown]
	s_or_b64 s[4:5], s[4:5], s[58:59]
	v_cndmask_b32_e64 v3, v3, v144, s[4:5]
	v_add_f32_e32 v3, v2, v3
.LBB161_355:
	s_or_b64 exec, exec, s[54:55]
	ds_read_b32 v2, v101 offset:12
	v_max_f32_e32 v113, v3, v3
	v_cmp_u_f32_e64 s[4:5], v3, v3
	ds_write_b32 v101, v3 offset:8
	s_waitcnt lgkmcnt(0)
	v_max_f32_e32 v114, v2, v2
	v_min_f32_e32 v112, v113, v114
	v_max_f32_e32 v113, v113, v114
	v_cndmask_b32_e64 v112, v112, v3, s[4:5]
	v_cmp_u_f32_e64 s[54:55], v2, v2
	v_cndmask_b32_e64 v113, v113, v3, s[4:5]
	s_nop 0
	v_cndmask_b32_e64 v112, v112, v2, s[54:55]
	v_cndmask_b32_e64 v2, v113, v2, s[54:55]
	v_cmp_neq_f32_e64 s[4:5], v112, v2
	v_cmp_class_f32_e64 s[54:55], v112, s56
	s_or_b64 s[4:5], s[4:5], s[54:55]
	s_and_saveexec_b64 s[54:55], s[4:5]
	s_cbranch_execz .LBB161_357
; %bb.356:
	v_sub_f32_e32 v3, v112, v2
	s_mov_b32 s4, 0x3fb8aa3b
	v_mul_f32_e32 v112, 0x3fb8aa3b, v3
	v_fma_f32 v113, v3, s4, -v112
	v_rndne_f32_e32 v114, v112
	v_fmamk_f32 v113, v3, 0x32a5705f, v113
	v_sub_f32_e32 v112, v112, v114
	v_add_f32_e32 v112, v112, v113
	v_exp_f32_e32 v112, v112
	v_cvt_i32_f32_e32 v113, v114
	s_mov_b32 s4, 0xc2ce8ed0
	v_cmp_ngt_f32_e64 s[4:5], s4, v3
	s_mov_b32 s56, 0x7f800000
	v_ldexp_f32 v112, v112, v113
	v_cndmask_b32_e64 v112, 0, v112, s[4:5]
	s_mov_b32 s4, 0x42b17218
	v_mov_b32_e32 v113, 0x7f800000
	v_cmp_nlt_f32_e64 s[4:5], s4, v3
	s_nop 1
	v_cndmask_b32_e64 v144, v113, v112, s[4:5]
	v_add_f32_e32 v3, 1.0, v144
	v_add_f32_e32 v112, -1.0, v3
	v_sub_f32_e32 v113, v112, v3
	v_add_f32_e32 v113, 1.0, v113
	v_sub_f32_e32 v112, v144, v112
	v_add_f32_e32 v114, v112, v113
	v_frexp_mant_f32_e32 v115, v3
	s_mov_b32 s4, 0x3f2aaaab
	v_cvt_f64_f32_e32 v[112:113], v3
	v_frexp_exp_i32_f64_e32 v112, v[112:113]
	v_cmp_gt_f32_e64 s[4:5], s4, v115
	s_nop 1
	v_subbrev_co_u32_e64 v128, s[4:5], 0, v112, s[4:5]
	v_sub_u32_e32 v112, 0, v128
	v_ldexp_f32 v3, v3, v112
	v_ldexp_f32 v112, v114, v112
	v_add_f32_e32 v114, -1.0, v3
	v_add_f32_e32 v113, 1.0, v114
	v_sub_f32_e32 v113, v3, v113
	v_add_f32_e32 v115, v112, v113
	v_add_f32_e32 v113, 1.0, v3
	v_add_f32_e32 v116, -1.0, v113
	v_sub_f32_e32 v3, v3, v116
	v_add_f32_e32 v3, v112, v3
	v_add_f32_e32 v129, v113, v3
	v_rcp_f32_e32 v130, v129
	v_sub_f32_e32 v112, v113, v129
	v_add_f32_e32 v113, v114, v115
	v_add_f32_e32 v3, v3, v112
	v_mul_f32_e32 v132, v113, v130
	v_sub_f32_e32 v112, v114, v113
	v_mul_f32_e32 v114, v129, v132
	v_fma_f32 v116, v132, v129, -v114
	v_fmac_f32_e32 v116, v132, v3
	v_add_f32_e32 v131, v115, v112
	v_add_f32_e32 v112, v114, v116
	v_sub_f32_e32 v115, v113, v112
	v_pk_add_f32 v[118:119], v[112:113], v[114:115] neg_lo:[0,1] neg_hi:[0,1]
	v_mov_b32_e32 v117, v112
	v_pk_add_f32 v[112:113], v[118:119], v[116:117] neg_lo:[0,1] neg_hi:[0,1]
	s_mov_b32 s4, 0x3f317218
	v_add_f32_e32 v113, v131, v113
	v_add_f32_e32 v112, v112, v113
	;; [unrolled: 1-line block ×3, first 2 shown]
	v_mul_f32_e32 v131, v130, v113
	v_mul_f32_e32 v114, v129, v131
	v_fma_f32 v116, v131, v129, -v114
	v_fmac_f32_e32 v116, v131, v3
	v_sub_f32_e32 v3, v115, v113
	v_add_f32_e32 v3, v112, v3
	v_add_f32_e32 v112, v114, v116
	v_sub_f32_e32 v115, v113, v112
	v_pk_add_f32 v[118:119], v[112:113], v[114:115] neg_lo:[0,1] neg_hi:[0,1]
	v_mov_b32_e32 v117, v112
	v_pk_add_f32 v[112:113], v[118:119], v[116:117] neg_lo:[0,1] neg_hi:[0,1]
	v_cvt_f32_i32_e32 v114, v128
	v_add_f32_e32 v3, v3, v113
	v_add_f32_e32 v3, v112, v3
	;; [unrolled: 1-line block ×4, first 2 shown]
	v_sub_f32_e32 v113, v112, v132
	v_mul_f32_e32 v3, v130, v3
	v_sub_f32_e32 v113, v131, v113
	v_add_f32_e32 v3, v113, v3
	v_add_f32_e32 v115, v112, v3
	v_mul_f32_e32 v116, v115, v115
	v_mov_b32_e32 v113, 0x3ecc95a3
	v_fmac_f32_e32 v113, 0x3e9b6dac, v116
	v_sub_f32_e32 v112, v115, v112
	v_fmaak_f32 v113, v116, v113, 0x3f2aaada
	v_sub_f32_e32 v3, v3, v112
	v_ldexp_f32 v117, v115, 1
	v_mul_f32_e32 v115, v115, v116
	v_mov_b32_e32 v112, 0x3f317218
	v_pk_mul_f32 v[112:113], v[114:115], v[112:113]
	v_ldexp_f32 v3, v3, 1
	v_fma_f32 v115, v114, s4, -v112
	v_fmamk_f32 v116, v114, 0xb102e308, v115
	v_pk_add_f32 v[114:115], v[112:113], v[116:117]
	v_mov_b32_e32 v118, v112
	v_sub_f32_e32 v117, v115, v117
	v_sub_f32_e32 v117, v113, v117
	v_add_f32_e32 v119, v3, v117
	v_pk_add_f32 v[112:113], v[114:115], v[112:113] neg_lo:[0,1] neg_hi:[0,1]
	v_pk_add_f32 v[128:129], v[114:115], v[118:119]
	v_mov_b32_e32 v117, v114
	v_mov_b32_e32 v113, v129
	v_pk_add_f32 v[130:131], v[116:117], v[112:113] neg_lo:[0,1] neg_hi:[0,1]
	v_pk_add_f32 v[112:113], v[116:117], v[112:113]
	v_mov_b32_e32 v118, v119
	v_mov_b32_e32 v116, v113
	v_pk_add_f32 v[132:133], v[116:117], v[114:115] neg_lo:[0,1] neg_hi:[0,1]
	v_mov_b32_e32 v112, v129
	v_mov_b32_e32 v3, v132
	v_pk_add_f32 v[134:135], v[128:129], v[2:3] neg_lo:[0,1] neg_hi:[0,1]
	v_mov_b32_e32 v128, v115
	v_mov_b32_e32 v129, v132
	;; [unrolled: 1-line block ×3, first 2 shown]
	v_pk_add_f32 v[112:113], v[112:113], v[128:129] neg_lo:[0,1] neg_hi:[0,1]
	v_mov_b32_e32 v119, v114
	v_pk_add_f32 v[112:113], v[118:119], v[112:113] neg_lo:[0,1] neg_hi:[0,1]
	v_mov_b32_e32 v134, v130
	v_pk_add_f32 v[114:115], v[134:135], v[112:113]
	v_cmp_eq_f32_e64 s[4:5], s56, v144
	v_mov_b32_e32 v118, v115
	v_pk_add_f32 v[118:119], v[114:115], v[118:119]
	s_mov_b32 s56, 0x33800000
	v_pk_add_f32 v[116:117], v[116:117], v[118:119]
	v_mov_b32_e32 v113, v118
	v_mov_b32_e32 v115, v116
	v_pk_add_f32 v[128:129], v[114:115], v[130:131] neg_lo:[0,1] neg_hi:[0,1]
	v_cmp_lt_f32_e64 s[56:57], |v144|, s56
	v_sub_f32_e32 v3, v114, v128
	v_pk_add_f32 v[112:113], v[112:113], v[128:129] neg_lo:[0,1] neg_hi:[0,1]
	v_sub_f32_e32 v3, v130, v3
	v_add_f32_e32 v3, v112, v3
	v_add_f32_e32 v3, v3, v113
	;; [unrolled: 1-line block ×3, first 2 shown]
	s_or_b64 s[4:5], s[4:5], s[56:57]
	v_cndmask_b32_e64 v3, v3, v144, s[4:5]
	v_add_f32_e32 v3, v2, v3
.LBB161_357:
	s_or_b64 exec, exec, s[54:55]
	ds_write_b32 v101, v3 offset:12
.LBB161_358:
	s_or_b64 exec, exec, s[60:61]
	s_waitcnt lgkmcnt(0)
	s_barrier
	s_and_saveexec_b64 s[4:5], s[2:3]
	s_cbranch_execz .LBB161_360
; %bb.359:
	v_add_u32_e32 v2, -1, v100
	v_lshrrev_b32_e32 v3, 5, v2
	v_add_lshl_u32 v2, v3, v2, 2
	ds_read_b32 v53, v2
.LBB161_360:
	s_or_b64 exec, exec, s[4:5]
	s_and_saveexec_b64 s[4:5], s[2:3]
	s_cbranch_execz .LBB161_364
; %bb.361:
	s_waitcnt lgkmcnt(0)
	v_max_f32_e32 v2, v53, v53
	v_min_f32_e32 v3, v2, v51
	v_cmp_u_f32_e64 s[2:3], v53, v53
	v_max_f32_e32 v2, v2, v51
	s_nop 0
	v_cndmask_b32_e64 v3, v3, v53, s[2:3]
	v_cndmask_b32_e64 v2, v2, v53, s[2:3]
	;; [unrolled: 1-line block ×4, first 2 shown]
	s_movk_i32 s52, 0x1f8
	v_cmp_neq_f32_e64 s[2:3], v3, v2
	v_cmp_class_f32_e64 s[52:53], v3, s52
	s_or_b64 s[2:3], s[2:3], s[52:53]
	s_and_saveexec_b64 s[52:53], s[2:3]
	s_cbranch_execz .LBB161_363
; %bb.362:
	v_sub_f32_e32 v3, v3, v2
	s_mov_b32 s2, 0x3fb8aa3b
	v_mul_f32_e32 v16, 0x3fb8aa3b, v3
	v_fma_f32 v50, v3, s2, -v16
	v_rndne_f32_e32 v51, v16
	v_fmamk_f32 v50, v3, 0x32a5705f, v50
	v_sub_f32_e32 v16, v16, v51
	v_add_f32_e32 v16, v16, v50
	v_exp_f32_e32 v16, v16
	v_cvt_i32_f32_e32 v50, v51
	s_mov_b32 s2, 0xc2ce8ed0
	v_cmp_ngt_f32_e64 s[2:3], s2, v3
	s_mov_b32 s54, 0x7f800000
	v_ldexp_f32 v16, v16, v50
	v_cndmask_b32_e64 v16, 0, v16, s[2:3]
	s_mov_b32 s2, 0x42b17218
	v_mov_b32_e32 v50, 0x7f800000
	v_cmp_nlt_f32_e64 s[2:3], s2, v3
	s_nop 1
	v_cndmask_b32_e64 v101, v50, v16, s[2:3]
	v_add_f32_e32 v3, 1.0, v101
	v_add_f32_e32 v16, -1.0, v3
	v_sub_f32_e32 v50, v16, v3
	v_add_f32_e32 v50, 1.0, v50
	v_sub_f32_e32 v16, v101, v16
	v_add_f32_e32 v16, v16, v50
	v_frexp_mant_f32_e32 v52, v3
	s_mov_b32 s2, 0x3f2aaaab
	v_cvt_f64_f32_e32 v[50:51], v3
	v_frexp_exp_i32_f64_e32 v50, v[50:51]
	v_cmp_gt_f32_e64 s[2:3], s2, v52
	s_nop 1
	v_subbrev_co_u32_e64 v116, s[2:3], 0, v50, s[2:3]
	v_sub_u32_e32 v50, 0, v116
	v_ldexp_f32 v3, v3, v50
	v_ldexp_f32 v16, v16, v50
	v_add_f32_e32 v50, -1.0, v3
	v_add_f32_e32 v51, 1.0, v50
	v_sub_f32_e32 v51, v3, v51
	v_add_f32_e32 v52, v16, v51
	v_add_f32_e32 v51, 1.0, v3
	v_add_f32_e32 v53, -1.0, v51
	v_sub_f32_e32 v3, v3, v53
	v_add_f32_e32 v3, v16, v3
	v_add_f32_e32 v16, v51, v3
	v_rcp_f32_e32 v117, v16
	v_sub_f32_e32 v51, v51, v16
	v_add_f32_e32 v3, v3, v51
	v_add_f32_e32 v51, v50, v52
	v_sub_f32_e32 v50, v50, v51
	v_mul_f32_e32 v119, v51, v117
	v_add_f32_e32 v118, v52, v50
	v_mul_f32_e32 v52, v16, v119
	v_fma_f32 v112, v119, v16, -v52
	v_fmac_f32_e32 v112, v119, v3
	v_add_f32_e32 v50, v52, v112
	v_sub_f32_e32 v53, v51, v50
	v_pk_add_f32 v[114:115], v[50:51], v[52:53] neg_lo:[0,1] neg_hi:[0,1]
	v_mov_b32_e32 v113, v50
	v_pk_add_f32 v[50:51], v[114:115], v[112:113] neg_lo:[0,1] neg_hi:[0,1]
	s_mov_b32 s2, 0x3f317218
	v_add_f32_e32 v51, v118, v51
	v_add_f32_e32 v50, v50, v51
	;; [unrolled: 1-line block ×3, first 2 shown]
	v_mul_f32_e32 v118, v117, v51
	v_mul_f32_e32 v52, v16, v118
	v_fma_f32 v112, v118, v16, -v52
	v_fmac_f32_e32 v112, v118, v3
	v_sub_f32_e32 v3, v53, v51
	v_add_f32_e32 v3, v50, v3
	v_add_f32_e32 v50, v52, v112
	v_sub_f32_e32 v53, v51, v50
	v_pk_add_f32 v[114:115], v[50:51], v[52:53] neg_lo:[0,1] neg_hi:[0,1]
	v_mov_b32_e32 v113, v50
	v_pk_add_f32 v[50:51], v[114:115], v[112:113] neg_lo:[0,1] neg_hi:[0,1]
	v_add_f32_e32 v16, v119, v118
	v_add_f32_e32 v3, v3, v51
	;; [unrolled: 1-line block ×4, first 2 shown]
	v_sub_f32_e32 v50, v16, v119
	v_mul_f32_e32 v3, v117, v3
	v_sub_f32_e32 v50, v118, v50
	v_add_f32_e32 v3, v50, v3
	v_add_f32_e32 v50, v16, v3
	v_cvt_f32_i32_e32 v52, v116
	v_mul_f32_e32 v53, v50, v50
	v_mov_b32_e32 v51, 0x3ecc95a3
	v_fmac_f32_e32 v51, 0x3e9b6dac, v53
	v_fmaak_f32 v51, v53, v51, 0x3f2aaada
	v_sub_f32_e32 v16, v50, v16
	v_ldexp_f32 v113, v50, 1
	v_mul_f32_e32 v53, v50, v53
	v_mov_b32_e32 v50, 0x3f317218
	v_pk_mul_f32 v[50:51], v[52:53], v[50:51]
	v_sub_f32_e32 v3, v3, v16
	v_fma_f32 v16, v52, s2, -v50
	v_fmamk_f32 v112, v52, 0xb102e308, v16
	v_pk_add_f32 v[52:53], v[50:51], v[112:113]
	v_ldexp_f32 v3, v3, 1
	v_sub_f32_e32 v16, v53, v113
	v_sub_f32_e32 v16, v51, v16
	v_add_f32_e32 v115, v3, v16
	v_mov_b32_e32 v114, v50
	v_pk_add_f32 v[50:51], v[52:53], v[50:51] neg_lo:[0,1] neg_hi:[0,1]
	v_pk_add_f32 v[116:117], v[52:53], v[114:115]
	v_mov_b32_e32 v113, v52
	v_mov_b32_e32 v51, v117
	v_pk_add_f32 v[118:119], v[112:113], v[50:51] neg_lo:[0,1] neg_hi:[0,1]
	v_pk_add_f32 v[50:51], v[112:113], v[50:51]
	v_cmp_eq_f32_e64 s[2:3], s54, v101
	v_mov_b32_e32 v16, v51
	v_pk_add_f32 v[112:113], v[16:17], v[52:53] neg_lo:[0,1] neg_hi:[0,1]
	v_mov_b32_e32 v50, v117
	v_mov_b32_e32 v3, v112
	v_pk_add_f32 v[128:129], v[116:117], v[2:3] neg_lo:[0,1] neg_hi:[0,1]
	v_mov_b32_e32 v116, v53
	v_mov_b32_e32 v117, v112
	;; [unrolled: 1-line block ×3, first 2 shown]
	v_pk_add_f32 v[50:51], v[50:51], v[116:117] neg_lo:[0,1] neg_hi:[0,1]
	v_mov_b32_e32 v112, v115
	v_mov_b32_e32 v113, v52
	v_pk_add_f32 v[50:51], v[112:113], v[50:51] neg_lo:[0,1] neg_hi:[0,1]
	v_mov_b32_e32 v128, v118
	v_pk_add_f32 v[52:53], v[128:129], v[50:51]
	s_mov_b32 s54, 0x33800000
	v_mov_b32_e32 v112, v53
	v_pk_add_f32 v[112:113], v[52:53], v[112:113]
	v_cmp_lt_f32_e64 s[54:55], |v101|, s54
	v_pk_add_f32 v[114:115], v[16:17], v[112:113]
	v_mov_b32_e32 v51, v112
	v_mov_b32_e32 v53, v114
	v_pk_add_f32 v[116:117], v[52:53], v[118:119] neg_lo:[0,1] neg_hi:[0,1]
	s_or_b64 s[2:3], s[2:3], s[54:55]
	v_sub_f32_e32 v3, v52, v116
	v_pk_add_f32 v[50:51], v[50:51], v[116:117] neg_lo:[0,1] neg_hi:[0,1]
	v_sub_f32_e32 v3, v118, v3
	v_add_f32_e32 v3, v50, v3
	v_add_f32_e32 v3, v3, v51
	;; [unrolled: 1-line block ×3, first 2 shown]
	v_cndmask_b32_e64 v3, v3, v101, s[2:3]
	v_add_f32_e32 v53, v2, v3
.LBB161_363:
	s_or_b64 exec, exec, s[52:53]
	v_max_f32_e32 v2, v53, v53
	v_min_f32_e32 v50, v2, v99
	v_max_f32_e32 v52, v2, v99
	v_mov_b32_e32 v16, v53
	;;#ASMSTART
	;;#ASMEND
.LBB161_364:
	s_or_b64 exec, exec, s[4:5]
	v_cmp_u_f32_e64 s[2:3], v16, v16
	s_movk_i32 s4, 0x1f8
	s_nop 0
	v_cndmask_b32_e64 v2, v50, v16, s[2:3]
	v_cndmask_b32_e32 v3, v2, v17, vcc
	v_cndmask_b32_e64 v2, v52, v16, s[2:3]
	v_cndmask_b32_e32 v2, v2, v17, vcc
	v_cmp_neq_f32_e32 vcc, v3, v2
	v_cmp_class_f32_e64 s[2:3], v3, s4
	s_or_b64 vcc, vcc, s[2:3]
	v_mov_b32_e32 v17, v16
	s_and_saveexec_b64 s[2:3], vcc
	s_cbranch_execz .LBB161_366
; %bb.365:
	v_sub_f32_e32 v3, v3, v2
	s_mov_b32 s5, 0x3fb8aa3b
	v_mul_f32_e32 v17, 0x3fb8aa3b, v3
	v_fma_f32 v50, v3, s5, -v17
	v_rndne_f32_e32 v51, v17
	v_fmamk_f32 v50, v3, 0x32a5705f, v50
	v_sub_f32_e32 v17, v17, v51
	v_add_f32_e32 v17, v17, v50
	v_exp_f32_e32 v17, v17
	v_cvt_i32_f32_e32 v50, v51
	s_mov_b32 s5, 0xc2ce8ed0
	v_cmp_ngt_f32_e32 vcc, s5, v3
	s_mov_b32 s5, 0x42b17218
	v_ldexp_f32 v17, v17, v50
	v_cndmask_b32_e32 v17, 0, v17, vcc
	v_mov_b32_e32 v50, 0x7f800000
	v_cmp_nlt_f32_e32 vcc, s5, v3
	s_mov_b32 s5, 0x3f2aaaab
	s_mov_b32 s52, 0x7f800000
	v_cndmask_b32_e32 v17, v50, v17, vcc
	v_add_f32_e32 v3, 1.0, v17
	v_add_f32_e32 v50, -1.0, v3
	v_sub_f32_e32 v51, v50, v3
	v_add_f32_e32 v51, 1.0, v51
	v_sub_f32_e32 v50, v17, v50
	v_add_f32_e32 v52, v50, v51
	s_waitcnt lgkmcnt(0)
	v_frexp_mant_f32_e32 v53, v3
	v_cvt_f64_f32_e32 v[50:51], v3
	v_frexp_exp_i32_f64_e32 v50, v[50:51]
	v_cmp_gt_f32_e32 vcc, s5, v53
	s_mov_b32 s5, 0x3f317218
	s_nop 0
	v_subbrev_co_u32_e32 v99, vcc, 0, v50, vcc
	v_sub_u32_e32 v50, 0, v99
	v_ldexp_f32 v3, v3, v50
	v_ldexp_f32 v50, v52, v50
	v_add_f32_e32 v52, -1.0, v3
	v_add_f32_e32 v51, 1.0, v52
	v_sub_f32_e32 v51, v3, v51
	v_add_f32_e32 v53, v50, v51
	v_add_f32_e32 v51, 1.0, v3
	v_add_f32_e32 v101, -1.0, v51
	v_sub_f32_e32 v3, v3, v101
	v_add_f32_e32 v3, v50, v3
	v_add_f32_e32 v101, v51, v3
	v_rcp_f32_e32 v116, v101
	v_sub_f32_e32 v50, v51, v101
	v_add_f32_e32 v51, v52, v53
	v_add_f32_e32 v3, v3, v50
	v_mul_f32_e32 v118, v51, v116
	v_sub_f32_e32 v50, v52, v51
	v_mul_f32_e32 v52, v101, v118
	v_fma_f32 v112, v118, v101, -v52
	v_fmac_f32_e32 v112, v118, v3
	v_add_f32_e32 v117, v53, v50
	v_add_f32_e32 v50, v52, v112
	v_sub_f32_e32 v53, v51, v50
	v_pk_add_f32 v[114:115], v[50:51], v[52:53] neg_lo:[0,1] neg_hi:[0,1]
	v_mov_b32_e32 v113, v50
	v_pk_add_f32 v[50:51], v[114:115], v[112:113] neg_lo:[0,1] neg_hi:[0,1]
	v_cmp_eq_f32_e32 vcc, s52, v17
	v_add_f32_e32 v51, v117, v51
	v_add_f32_e32 v50, v50, v51
	;; [unrolled: 1-line block ×3, first 2 shown]
	v_mul_f32_e32 v117, v116, v51
	v_mul_f32_e32 v52, v101, v117
	v_fma_f32 v112, v117, v101, -v52
	v_fmac_f32_e32 v112, v117, v3
	v_sub_f32_e32 v3, v53, v51
	v_add_f32_e32 v3, v50, v3
	v_add_f32_e32 v50, v52, v112
	v_sub_f32_e32 v53, v51, v50
	v_pk_add_f32 v[114:115], v[50:51], v[52:53] neg_lo:[0,1] neg_hi:[0,1]
	v_mov_b32_e32 v113, v50
	v_pk_add_f32 v[50:51], v[114:115], v[112:113] neg_lo:[0,1] neg_hi:[0,1]
	v_cvt_f32_i32_e32 v52, v99
	v_add_f32_e32 v3, v3, v51
	v_add_f32_e32 v3, v50, v3
	;; [unrolled: 1-line block ×4, first 2 shown]
	v_sub_f32_e32 v51, v50, v118
	v_mul_f32_e32 v3, v116, v3
	v_sub_f32_e32 v51, v117, v51
	v_add_f32_e32 v3, v51, v3
	v_add_f32_e32 v53, v50, v3
	v_mul_f32_e32 v101, v53, v53
	v_mov_b32_e32 v51, 0x3ecc95a3
	v_fmac_f32_e32 v51, 0x3e9b6dac, v101
	v_sub_f32_e32 v50, v53, v50
	v_fmaak_f32 v51, v101, v51, 0x3f2aaada
	v_sub_f32_e32 v3, v3, v50
	v_ldexp_f32 v113, v53, 1
	v_mul_f32_e32 v53, v53, v101
	v_mov_b32_e32 v50, 0x3f317218
	v_pk_mul_f32 v[50:51], v[52:53], v[50:51]
	v_ldexp_f32 v3, v3, 1
	v_fma_f32 v53, v52, s5, -v50
	v_fmamk_f32 v112, v52, 0xb102e308, v53
	v_pk_add_f32 v[52:53], v[50:51], v[112:113]
	v_mov_b32_e32 v114, v50
	v_sub_f32_e32 v99, v53, v113
	v_sub_f32_e32 v99, v51, v99
	v_add_f32_e32 v115, v3, v99
	v_pk_add_f32 v[50:51], v[52:53], v[50:51] neg_lo:[0,1] neg_hi:[0,1]
	v_pk_add_f32 v[116:117], v[52:53], v[114:115]
	v_mov_b32_e32 v113, v52
	v_mov_b32_e32 v51, v117
	v_pk_add_f32 v[118:119], v[112:113], v[50:51] neg_lo:[0,1] neg_hi:[0,1]
	v_pk_add_f32 v[50:51], v[112:113], v[50:51]
	v_mov_b32_e32 v114, v115
	v_mov_b32_e32 v112, v51
	v_pk_add_f32 v[128:129], v[112:113], v[52:53] neg_lo:[0,1] neg_hi:[0,1]
	v_mov_b32_e32 v50, v117
	v_mov_b32_e32 v3, v128
	v_pk_add_f32 v[130:131], v[116:117], v[2:3] neg_lo:[0,1] neg_hi:[0,1]
	v_mov_b32_e32 v116, v53
	v_mov_b32_e32 v117, v128
	;; [unrolled: 1-line block ×3, first 2 shown]
	v_pk_add_f32 v[50:51], v[50:51], v[116:117] neg_lo:[0,1] neg_hi:[0,1]
	v_mov_b32_e32 v115, v52
	v_pk_add_f32 v[50:51], v[114:115], v[50:51] neg_lo:[0,1] neg_hi:[0,1]
	v_mov_b32_e32 v130, v118
	v_pk_add_f32 v[52:53], v[130:131], v[50:51]
	s_mov_b32 s5, 0x33800000
	v_mov_b32_e32 v114, v53
	v_pk_add_f32 v[114:115], v[52:53], v[114:115]
	v_cmp_lt_f32_e64 s[52:53], |v17|, s5
	v_pk_add_f32 v[112:113], v[112:113], v[114:115]
	v_mov_b32_e32 v51, v114
	v_mov_b32_e32 v53, v112
	v_pk_add_f32 v[116:117], v[52:53], v[118:119] neg_lo:[0,1] neg_hi:[0,1]
	s_or_b64 vcc, vcc, s[52:53]
	v_sub_f32_e32 v3, v52, v116
	v_pk_add_f32 v[50:51], v[50:51], v[116:117] neg_lo:[0,1] neg_hi:[0,1]
	v_sub_f32_e32 v3, v118, v3
	v_add_f32_e32 v3, v50, v3
	v_add_f32_e32 v3, v3, v51
	;; [unrolled: 1-line block ×3, first 2 shown]
	v_cndmask_b32_e32 v3, v3, v17, vcc
	v_add_f32_e32 v17, v2, v3
.LBB161_366:
	s_or_b64 exec, exec, s[2:3]
	v_max_f32_e32 v2, v17, v17
	v_min_f32_e32 v3, v2, v6
	v_cmp_u_f32_e32 vcc, v17, v17
	v_max_f32_e32 v2, v2, v6
	v_mov_b32_e32 v50, v17
	v_cndmask_b32_e32 v3, v3, v17, vcc
	v_cndmask_b32_e32 v2, v2, v17, vcc
	v_cndmask_b32_e64 v3, v3, v18, s[6:7]
	v_cndmask_b32_e64 v2, v2, v18, s[6:7]
	v_cmp_neq_f32_e32 vcc, v3, v2
	v_cmp_class_f32_e64 s[2:3], v3, s4
	s_or_b64 s[4:5], vcc, s[2:3]
	s_and_saveexec_b64 s[2:3], s[4:5]
	s_cbranch_execz .LBB161_368
; %bb.367:
	v_sub_f32_e32 v3, v3, v2
	s_mov_b32 s4, 0x3fb8aa3b
	v_mul_f32_e32 v6, 0x3fb8aa3b, v3
	v_fma_f32 v18, v3, s4, -v6
	v_rndne_f32_e32 v50, v6
	v_fmamk_f32 v18, v3, 0x32a5705f, v18
	v_sub_f32_e32 v6, v6, v50
	v_add_f32_e32 v6, v6, v18
	v_exp_f32_e32 v6, v6
	v_cvt_i32_f32_e32 v18, v50
	s_mov_b32 s4, 0xc2ce8ed0
	v_cmp_ngt_f32_e32 vcc, s4, v3
	s_mov_b32 s4, 0x42b17218
	v_ldexp_f32 v6, v6, v18
	v_cndmask_b32_e32 v6, 0, v6, vcc
	v_mov_b32_e32 v18, 0x7f800000
	v_cmp_nlt_f32_e32 vcc, s4, v3
	s_mov_b32 s4, 0x3f2aaaab
	s_mov_b32 s5, 0x7f800000
	v_cndmask_b32_e32 v99, v18, v6, vcc
	v_add_f32_e32 v3, 1.0, v99
	v_add_f32_e32 v6, -1.0, v3
	v_sub_f32_e32 v18, v6, v3
	v_add_f32_e32 v18, 1.0, v18
	v_sub_f32_e32 v6, v99, v6
	v_add_f32_e32 v6, v6, v18
	v_frexp_mant_f32_e32 v18, v3
	v_cvt_f64_f32_e32 v[50:51], v3
	v_frexp_exp_i32_f64_e32 v50, v[50:51]
	v_cmp_gt_f32_e32 vcc, s4, v18
	s_mov_b32 s4, 0x3f317218
	s_nop 0
	v_subbrev_co_u32_e32 v18, vcc, 0, v50, vcc
	v_sub_u32_e32 v50, 0, v18
	v_ldexp_f32 v3, v3, v50
	v_ldexp_f32 v6, v6, v50
	v_add_f32_e32 v50, -1.0, v3
	v_add_f32_e32 v51, 1.0, v50
	v_sub_f32_e32 v51, v3, v51
	v_add_f32_e32 v52, v6, v51
	v_add_f32_e32 v51, 1.0, v3
	s_waitcnt lgkmcnt(0)
	v_add_f32_e32 v53, -1.0, v51
	v_sub_f32_e32 v3, v3, v53
	v_add_f32_e32 v3, v6, v3
	v_add_f32_e32 v6, v51, v3
	v_rcp_f32_e32 v101, v6
	v_sub_f32_e32 v51, v51, v6
	v_add_f32_e32 v3, v3, v51
	v_add_f32_e32 v51, v50, v52
	v_sub_f32_e32 v50, v50, v51
	v_mul_f32_e32 v117, v51, v101
	v_add_f32_e32 v116, v52, v50
	v_mul_f32_e32 v52, v6, v117
	v_fma_f32 v112, v117, v6, -v52
	v_fmac_f32_e32 v112, v117, v3
	v_add_f32_e32 v50, v52, v112
	v_sub_f32_e32 v53, v51, v50
	v_pk_add_f32 v[114:115], v[50:51], v[52:53] neg_lo:[0,1] neg_hi:[0,1]
	v_mov_b32_e32 v113, v50
	v_pk_add_f32 v[50:51], v[114:115], v[112:113] neg_lo:[0,1] neg_hi:[0,1]
	v_cmp_eq_f32_e32 vcc, s5, v99
	v_add_f32_e32 v51, v116, v51
	v_add_f32_e32 v50, v50, v51
	;; [unrolled: 1-line block ×3, first 2 shown]
	v_mul_f32_e32 v116, v101, v51
	v_mul_f32_e32 v52, v6, v116
	v_fma_f32 v112, v116, v6, -v52
	v_fmac_f32_e32 v112, v116, v3
	v_sub_f32_e32 v3, v53, v51
	v_add_f32_e32 v3, v50, v3
	v_add_f32_e32 v50, v52, v112
	v_sub_f32_e32 v53, v51, v50
	v_pk_add_f32 v[114:115], v[50:51], v[52:53] neg_lo:[0,1] neg_hi:[0,1]
	v_mov_b32_e32 v113, v50
	v_pk_add_f32 v[50:51], v[114:115], v[112:113] neg_lo:[0,1] neg_hi:[0,1]
	v_add_f32_e32 v6, v117, v116
	v_add_f32_e32 v3, v3, v51
	;; [unrolled: 1-line block ×4, first 2 shown]
	v_sub_f32_e32 v50, v6, v117
	v_mul_f32_e32 v3, v101, v3
	v_sub_f32_e32 v50, v116, v50
	v_add_f32_e32 v3, v50, v3
	v_add_f32_e32 v50, v6, v3
	v_cvt_f32_i32_e32 v52, v18
	v_mul_f32_e32 v53, v50, v50
	v_mov_b32_e32 v51, 0x3ecc95a3
	v_fmac_f32_e32 v51, 0x3e9b6dac, v53
	v_fmaak_f32 v51, v53, v51, 0x3f2aaada
	v_sub_f32_e32 v6, v50, v6
	v_ldexp_f32 v113, v50, 1
	v_mul_f32_e32 v53, v50, v53
	v_mov_b32_e32 v50, 0x3f317218
	v_pk_mul_f32 v[50:51], v[52:53], v[50:51]
	v_sub_f32_e32 v3, v3, v6
	v_fma_f32 v6, v52, s4, -v50
	v_fmamk_f32 v112, v52, 0xb102e308, v6
	v_pk_add_f32 v[52:53], v[50:51], v[112:113]
	v_ldexp_f32 v3, v3, 1
	v_sub_f32_e32 v6, v53, v113
	v_sub_f32_e32 v6, v51, v6
	v_add_f32_e32 v115, v3, v6
	v_mov_b32_e32 v114, v50
	v_pk_add_f32 v[50:51], v[52:53], v[50:51] neg_lo:[0,1] neg_hi:[0,1]
	v_pk_add_f32 v[116:117], v[52:53], v[114:115]
	v_mov_b32_e32 v113, v52
	v_mov_b32_e32 v51, v117
	v_pk_add_f32 v[118:119], v[112:113], v[50:51] neg_lo:[0,1] neg_hi:[0,1]
	v_pk_add_f32 v[50:51], v[112:113], v[50:51]
	s_mov_b32 s4, 0x33800000
	v_mov_b32_e32 v6, v51
	v_pk_add_f32 v[112:113], v[6:7], v[52:53] neg_lo:[0,1] neg_hi:[0,1]
	v_mov_b32_e32 v50, v117
	v_mov_b32_e32 v3, v112
	v_pk_add_f32 v[128:129], v[116:117], v[2:3] neg_lo:[0,1] neg_hi:[0,1]
	v_mov_b32_e32 v116, v53
	v_mov_b32_e32 v117, v112
	;; [unrolled: 1-line block ×3, first 2 shown]
	v_pk_add_f32 v[50:51], v[50:51], v[116:117] neg_lo:[0,1] neg_hi:[0,1]
	v_mov_b32_e32 v112, v115
	v_mov_b32_e32 v113, v52
	v_pk_add_f32 v[50:51], v[112:113], v[50:51] neg_lo:[0,1] neg_hi:[0,1]
	v_mov_b32_e32 v128, v118
	v_pk_add_f32 v[52:53], v[128:129], v[50:51]
	v_cmp_lt_f32_e64 s[4:5], |v99|, s4
	v_mov_b32_e32 v18, v53
	v_pk_add_f32 v[112:113], v[52:53], v[18:19]
	s_or_b64 vcc, vcc, s[4:5]
	v_pk_add_f32 v[114:115], v[6:7], v[112:113]
	v_mov_b32_e32 v51, v112
	v_mov_b32_e32 v53, v114
	v_pk_add_f32 v[116:117], v[52:53], v[118:119] neg_lo:[0,1] neg_hi:[0,1]
	s_nop 0
	v_sub_f32_e32 v3, v52, v116
	v_pk_add_f32 v[50:51], v[50:51], v[116:117] neg_lo:[0,1] neg_hi:[0,1]
	v_sub_f32_e32 v3, v118, v3
	v_add_f32_e32 v3, v50, v3
	v_add_f32_e32 v3, v3, v51
	;; [unrolled: 1-line block ×3, first 2 shown]
	v_cndmask_b32_e32 v3, v3, v99, vcc
	v_add_f32_e32 v50, v2, v3
.LBB161_368:
	s_or_b64 exec, exec, s[2:3]
	v_max_f32_e32 v2, v50, v50
	v_min_f32_e32 v3, v2, v7
	v_cmp_u_f32_e32 vcc, v50, v50
	v_max_f32_e32 v2, v2, v7
	s_movk_i32 s4, 0x1f8
	v_cndmask_b32_e32 v3, v3, v50, vcc
	v_cndmask_b32_e32 v2, v2, v50, vcc
	v_cndmask_b32_e64 v3, v3, v19, s[8:9]
	v_cndmask_b32_e64 v2, v2, v19, s[8:9]
	v_cmp_neq_f32_e32 vcc, v3, v2
	v_cmp_class_f32_e64 s[2:3], v3, s4
	s_or_b64 s[6:7], vcc, s[2:3]
	v_mov_b32_e32 v51, v50
	s_and_saveexec_b64 s[2:3], s[6:7]
	s_cbranch_execz .LBB161_370
; %bb.369:
	v_sub_f32_e32 v3, v3, v2
	s_mov_b32 s5, 0x3fb8aa3b
	v_mul_f32_e32 v6, 0x3fb8aa3b, v3
	v_fma_f32 v7, v3, s5, -v6
	v_rndne_f32_e32 v18, v6
	v_fmamk_f32 v7, v3, 0x32a5705f, v7
	v_sub_f32_e32 v6, v6, v18
	v_add_f32_e32 v6, v6, v7
	v_exp_f32_e32 v6, v6
	v_cvt_i32_f32_e32 v7, v18
	s_mov_b32 s5, 0xc2ce8ed0
	v_cmp_ngt_f32_e32 vcc, s5, v3
	s_mov_b32 s5, 0x42b17218
	v_ldexp_f32 v6, v6, v7
	v_cndmask_b32_e32 v6, 0, v6, vcc
	v_mov_b32_e32 v7, 0x7f800000
	v_cmp_nlt_f32_e32 vcc, s5, v3
	s_mov_b32 s5, 0x3f2aaaab
	s_mov_b32 s6, 0x7f800000
	v_cndmask_b32_e32 v51, v7, v6, vcc
	v_add_f32_e32 v3, 1.0, v51
	v_add_f32_e32 v6, -1.0, v3
	v_sub_f32_e32 v7, v6, v3
	v_add_f32_e32 v7, 1.0, v7
	v_sub_f32_e32 v6, v51, v6
	v_add_f32_e32 v18, v6, v7
	v_frexp_mant_f32_e32 v19, v3
	v_cvt_f64_f32_e32 v[6:7], v3
	v_frexp_exp_i32_f64_e32 v6, v[6:7]
	v_cmp_gt_f32_e32 vcc, s5, v19
	s_mov_b32 s5, 0x3f317218
	s_nop 0
	v_subbrev_co_u32_e32 v99, vcc, 0, v6, vcc
	v_sub_u32_e32 v6, 0, v99
	v_ldexp_f32 v3, v3, v6
	v_ldexp_f32 v6, v18, v6
	v_add_f32_e32 v18, -1.0, v3
	v_add_f32_e32 v7, 1.0, v18
	v_sub_f32_e32 v7, v3, v7
	v_add_f32_e32 v19, v6, v7
	v_add_f32_e32 v7, 1.0, v3
	v_add_f32_e32 v52, -1.0, v7
	v_sub_f32_e32 v3, v3, v52
	v_add_f32_e32 v3, v6, v3
	v_add_f32_e32 v101, v7, v3
	v_rcp_f32_e32 v114, v101
	v_sub_f32_e32 v6, v7, v101
	v_add_f32_e32 v7, v18, v19
	v_add_f32_e32 v3, v3, v6
	v_mul_f32_e32 v116, v7, v114
	v_sub_f32_e32 v6, v18, v7
	v_mul_f32_e32 v18, v101, v116
	v_fma_f32 v52, v116, v101, -v18
	v_fmac_f32_e32 v52, v116, v3
	v_add_f32_e32 v115, v19, v6
	v_add_f32_e32 v6, v18, v52
	v_sub_f32_e32 v19, v7, v6
	v_pk_add_f32 v[112:113], v[6:7], v[18:19] neg_lo:[0,1] neg_hi:[0,1]
	s_waitcnt lgkmcnt(0)
	v_mov_b32_e32 v53, v6
	v_pk_add_f32 v[6:7], v[112:113], v[52:53] neg_lo:[0,1] neg_hi:[0,1]
	v_cmp_eq_f32_e32 vcc, s6, v51
	v_add_f32_e32 v7, v115, v7
	v_add_f32_e32 v6, v6, v7
	;; [unrolled: 1-line block ×3, first 2 shown]
	v_mul_f32_e32 v115, v114, v7
	v_mul_f32_e32 v18, v101, v115
	v_fma_f32 v52, v115, v101, -v18
	v_fmac_f32_e32 v52, v115, v3
	v_sub_f32_e32 v3, v19, v7
	v_add_f32_e32 v3, v6, v3
	v_add_f32_e32 v6, v18, v52
	v_sub_f32_e32 v19, v7, v6
	v_pk_add_f32 v[112:113], v[6:7], v[18:19] neg_lo:[0,1] neg_hi:[0,1]
	v_mov_b32_e32 v53, v6
	v_pk_add_f32 v[6:7], v[112:113], v[52:53] neg_lo:[0,1] neg_hi:[0,1]
	v_cvt_f32_i32_e32 v18, v99
	v_add_f32_e32 v3, v3, v7
	v_add_f32_e32 v3, v6, v3
	;; [unrolled: 1-line block ×4, first 2 shown]
	v_sub_f32_e32 v7, v6, v116
	v_mul_f32_e32 v3, v114, v3
	v_sub_f32_e32 v7, v115, v7
	v_add_f32_e32 v3, v7, v3
	v_add_f32_e32 v19, v6, v3
	v_mul_f32_e32 v52, v19, v19
	v_mov_b32_e32 v7, 0x3ecc95a3
	v_fmac_f32_e32 v7, 0x3e9b6dac, v52
	v_sub_f32_e32 v6, v19, v6
	v_fmaak_f32 v7, v52, v7, 0x3f2aaada
	v_sub_f32_e32 v3, v3, v6
	v_ldexp_f32 v53, v19, 1
	v_mul_f32_e32 v19, v19, v52
	v_mov_b32_e32 v6, 0x3f317218
	v_pk_mul_f32 v[6:7], v[18:19], v[6:7]
	v_ldexp_f32 v3, v3, 1
	v_fma_f32 v19, v18, s5, -v6
	v_fmamk_f32 v52, v18, 0xb102e308, v19
	v_pk_add_f32 v[18:19], v[6:7], v[52:53]
	v_mov_b32_e32 v112, v6
	v_sub_f32_e32 v53, v19, v53
	v_sub_f32_e32 v53, v7, v53
	v_add_f32_e32 v113, v3, v53
	v_pk_add_f32 v[6:7], v[18:19], v[6:7] neg_lo:[0,1] neg_hi:[0,1]
	v_pk_add_f32 v[114:115], v[18:19], v[112:113]
	v_mov_b32_e32 v53, v18
	v_mov_b32_e32 v7, v115
	v_pk_add_f32 v[116:117], v[52:53], v[6:7] neg_lo:[0,1] neg_hi:[0,1]
	v_pk_add_f32 v[6:7], v[52:53], v[6:7]
	v_mov_b32_e32 v112, v113
	v_mov_b32_e32 v52, v7
	v_pk_add_f32 v[118:119], v[52:53], v[18:19] neg_lo:[0,1] neg_hi:[0,1]
	v_mov_b32_e32 v6, v115
	v_mov_b32_e32 v3, v118
	v_pk_add_f32 v[128:129], v[114:115], v[2:3] neg_lo:[0,1] neg_hi:[0,1]
	v_mov_b32_e32 v114, v19
	v_mov_b32_e32 v115, v118
	;; [unrolled: 1-line block ×3, first 2 shown]
	v_pk_add_f32 v[6:7], v[6:7], v[114:115] neg_lo:[0,1] neg_hi:[0,1]
	v_mov_b32_e32 v113, v18
	v_pk_add_f32 v[6:7], v[112:113], v[6:7] neg_lo:[0,1] neg_hi:[0,1]
	v_mov_b32_e32 v128, v116
	v_pk_add_f32 v[18:19], v[128:129], v[6:7]
	s_mov_b32 s5, 0x33800000
	v_mov_b32_e32 v112, v19
	v_pk_add_f32 v[112:113], v[18:19], v[112:113]
	v_cmp_lt_f32_e64 s[6:7], |v51|, s5
	v_pk_add_f32 v[52:53], v[52:53], v[112:113]
	v_mov_b32_e32 v7, v112
	v_mov_b32_e32 v19, v52
	v_pk_add_f32 v[114:115], v[18:19], v[116:117] neg_lo:[0,1] neg_hi:[0,1]
	s_or_b64 vcc, vcc, s[6:7]
	v_sub_f32_e32 v3, v18, v114
	v_pk_add_f32 v[6:7], v[6:7], v[114:115] neg_lo:[0,1] neg_hi:[0,1]
	v_sub_f32_e32 v3, v116, v3
	v_add_f32_e32 v3, v6, v3
	v_add_f32_e32 v3, v3, v7
	;; [unrolled: 1-line block ×3, first 2 shown]
	v_cndmask_b32_e32 v3, v3, v51, vcc
	v_add_f32_e32 v51, v2, v3
.LBB161_370:
	s_or_b64 exec, exec, s[2:3]
	v_max_f32_e32 v2, v51, v51
	v_min_f32_e32 v3, v2, v48
	v_cmp_u_f32_e32 vcc, v51, v51
	v_max_f32_e32 v2, v2, v48
	v_mov_b32_e32 v52, v51
	v_cndmask_b32_e32 v3, v3, v51, vcc
	v_cndmask_b32_e32 v2, v2, v51, vcc
	v_cndmask_b32_e64 v3, v3, v36, s[10:11]
	v_cndmask_b32_e64 v2, v2, v36, s[10:11]
	v_cmp_neq_f32_e32 vcc, v3, v2
	v_cmp_class_f32_e64 s[2:3], v3, s4
	s_or_b64 s[4:5], vcc, s[2:3]
	s_and_saveexec_b64 s[2:3], s[4:5]
	s_cbranch_execz .LBB161_372
; %bb.371:
	v_sub_f32_e32 v3, v3, v2
	s_mov_b32 s4, 0x3fb8aa3b
	v_mul_f32_e32 v6, 0x3fb8aa3b, v3
	v_fma_f32 v7, v3, s4, -v6
	v_rndne_f32_e32 v18, v6
	v_fmamk_f32 v7, v3, 0x32a5705f, v7
	v_sub_f32_e32 v6, v6, v18
	v_add_f32_e32 v6, v6, v7
	v_exp_f32_e32 v6, v6
	v_cvt_i32_f32_e32 v7, v18
	s_mov_b32 s4, 0xc2ce8ed0
	v_cmp_ngt_f32_e32 vcc, s4, v3
	s_mov_b32 s4, 0x42b17218
	v_ldexp_f32 v6, v6, v7
	v_cndmask_b32_e32 v6, 0, v6, vcc
	v_mov_b32_e32 v7, 0x7f800000
	v_cmp_nlt_f32_e32 vcc, s4, v3
	s_mov_b32 s4, 0x3f2aaaab
	s_mov_b32 s5, 0x7f800000
	v_cndmask_b32_e32 v99, v7, v6, vcc
	v_add_f32_e32 v3, 1.0, v99
	v_add_f32_e32 v6, -1.0, v3
	v_sub_f32_e32 v7, v6, v3
	v_add_f32_e32 v7, 1.0, v7
	v_sub_f32_e32 v6, v99, v6
	v_add_f32_e32 v18, v6, v7
	v_frexp_mant_f32_e32 v19, v3
	v_cvt_f64_f32_e32 v[6:7], v3
	v_frexp_exp_i32_f64_e32 v6, v[6:7]
	v_cmp_gt_f32_e32 vcc, s4, v19
	s_mov_b32 s4, 0x3f317218
	s_nop 0
	v_subbrev_co_u32_e32 v36, vcc, 0, v6, vcc
	v_sub_u32_e32 v6, 0, v36
	v_ldexp_f32 v3, v3, v6
	v_ldexp_f32 v6, v18, v6
	v_add_f32_e32 v18, -1.0, v3
	v_add_f32_e32 v7, 1.0, v18
	v_sub_f32_e32 v7, v3, v7
	v_add_f32_e32 v19, v6, v7
	v_add_f32_e32 v7, 1.0, v3
	v_add_f32_e32 v48, -1.0, v7
	v_sub_f32_e32 v3, v3, v48
	v_add_f32_e32 v3, v6, v3
	v_add_f32_e32 v48, v7, v3
	v_rcp_f32_e32 v101, v48
	v_sub_f32_e32 v6, v7, v48
	v_add_f32_e32 v7, v18, v19
	v_add_f32_e32 v3, v3, v6
	v_mul_f32_e32 v115, v7, v101
	v_sub_f32_e32 v6, v18, v7
	v_mul_f32_e32 v18, v48, v115
	v_fma_f32 v52, v115, v48, -v18
	v_fmac_f32_e32 v52, v115, v3
	v_add_f32_e32 v114, v19, v6
	v_add_f32_e32 v6, v18, v52
	v_sub_f32_e32 v19, v7, v6
	v_pk_add_f32 v[112:113], v[6:7], v[18:19] neg_lo:[0,1] neg_hi:[0,1]
	s_waitcnt lgkmcnt(0)
	v_mov_b32_e32 v53, v6
	v_pk_add_f32 v[6:7], v[112:113], v[52:53] neg_lo:[0,1] neg_hi:[0,1]
	v_cmp_eq_f32_e32 vcc, s5, v99
	v_add_f32_e32 v7, v114, v7
	v_add_f32_e32 v6, v6, v7
	;; [unrolled: 1-line block ×3, first 2 shown]
	v_mul_f32_e32 v114, v101, v7
	v_mul_f32_e32 v18, v48, v114
	v_fma_f32 v52, v114, v48, -v18
	v_fmac_f32_e32 v52, v114, v3
	v_sub_f32_e32 v3, v19, v7
	v_add_f32_e32 v3, v6, v3
	v_add_f32_e32 v6, v18, v52
	v_sub_f32_e32 v19, v7, v6
	v_pk_add_f32 v[112:113], v[6:7], v[18:19] neg_lo:[0,1] neg_hi:[0,1]
	v_mov_b32_e32 v53, v6
	v_pk_add_f32 v[6:7], v[112:113], v[52:53] neg_lo:[0,1] neg_hi:[0,1]
	v_cvt_f32_i32_e32 v18, v36
	v_add_f32_e32 v3, v3, v7
	v_add_f32_e32 v3, v6, v3
	;; [unrolled: 1-line block ×4, first 2 shown]
	v_sub_f32_e32 v7, v6, v115
	v_mul_f32_e32 v3, v101, v3
	v_sub_f32_e32 v7, v114, v7
	v_add_f32_e32 v3, v7, v3
	v_add_f32_e32 v19, v6, v3
	v_mul_f32_e32 v48, v19, v19
	v_mov_b32_e32 v7, 0x3ecc95a3
	v_fmac_f32_e32 v7, 0x3e9b6dac, v48
	v_sub_f32_e32 v6, v19, v6
	v_fmaak_f32 v7, v48, v7, 0x3f2aaada
	v_sub_f32_e32 v3, v3, v6
	v_ldexp_f32 v53, v19, 1
	v_mul_f32_e32 v19, v19, v48
	v_mov_b32_e32 v6, 0x3f317218
	v_pk_mul_f32 v[6:7], v[18:19], v[6:7]
	v_ldexp_f32 v3, v3, 1
	v_fma_f32 v19, v18, s4, -v6
	v_fmamk_f32 v52, v18, 0xb102e308, v19
	v_pk_add_f32 v[18:19], v[6:7], v[52:53]
	v_mov_b32_e32 v112, v6
	v_sub_f32_e32 v36, v19, v53
	v_sub_f32_e32 v36, v7, v36
	v_add_f32_e32 v113, v3, v36
	v_pk_add_f32 v[6:7], v[18:19], v[6:7] neg_lo:[0,1] neg_hi:[0,1]
	v_pk_add_f32 v[114:115], v[18:19], v[112:113]
	v_mov_b32_e32 v53, v18
	v_mov_b32_e32 v7, v115
	v_pk_add_f32 v[116:117], v[52:53], v[6:7] neg_lo:[0,1] neg_hi:[0,1]
	v_pk_add_f32 v[6:7], v[52:53], v[6:7]
	s_mov_b32 s4, 0x33800000
	v_mov_b32_e32 v36, v7
	v_pk_add_f32 v[52:53], v[36:37], v[18:19] neg_lo:[0,1] neg_hi:[0,1]
	v_mov_b32_e32 v6, v115
	v_mov_b32_e32 v3, v52
	v_pk_add_f32 v[118:119], v[114:115], v[2:3] neg_lo:[0,1] neg_hi:[0,1]
	v_mov_b32_e32 v114, v19
	v_mov_b32_e32 v115, v52
	;; [unrolled: 1-line block ×3, first 2 shown]
	v_pk_add_f32 v[6:7], v[6:7], v[114:115] neg_lo:[0,1] neg_hi:[0,1]
	v_mov_b32_e32 v52, v113
	v_mov_b32_e32 v53, v18
	v_pk_add_f32 v[6:7], v[52:53], v[6:7] neg_lo:[0,1] neg_hi:[0,1]
	v_mov_b32_e32 v118, v116
	v_pk_add_f32 v[18:19], v[118:119], v[6:7]
	v_cmp_lt_f32_e64 s[4:5], |v99|, s4
	v_mov_b32_e32 v48, v19
	v_pk_add_f32 v[52:53], v[18:19], v[48:49]
	s_or_b64 vcc, vcc, s[4:5]
	v_pk_add_f32 v[112:113], v[36:37], v[52:53]
	v_mov_b32_e32 v7, v52
	v_mov_b32_e32 v19, v112
	v_pk_add_f32 v[114:115], v[18:19], v[116:117] neg_lo:[0,1] neg_hi:[0,1]
	s_nop 0
	v_sub_f32_e32 v3, v18, v114
	v_pk_add_f32 v[6:7], v[6:7], v[114:115] neg_lo:[0,1] neg_hi:[0,1]
	v_sub_f32_e32 v3, v116, v3
	v_add_f32_e32 v3, v6, v3
	v_add_f32_e32 v3, v3, v7
	;; [unrolled: 1-line block ×3, first 2 shown]
	v_cndmask_b32_e32 v3, v3, v99, vcc
	v_add_f32_e32 v52, v2, v3
.LBB161_372:
	s_or_b64 exec, exec, s[2:3]
	v_max_f32_e32 v2, v52, v52
	v_min_f32_e32 v3, v2, v49
	v_cmp_u_f32_e32 vcc, v52, v52
	v_max_f32_e32 v2, v2, v49
	s_movk_i32 s4, 0x1f8
	v_cndmask_b32_e32 v3, v3, v52, vcc
	v_cndmask_b32_e32 v2, v2, v52, vcc
	v_cndmask_b32_e64 v3, v3, v37, s[12:13]
	v_cndmask_b32_e64 v2, v2, v37, s[12:13]
	v_cmp_neq_f32_e32 vcc, v3, v2
	v_cmp_class_f32_e64 s[2:3], v3, s4
	s_or_b64 s[6:7], vcc, s[2:3]
	s_waitcnt lgkmcnt(0)
	v_mov_b32_e32 v53, v52
	s_and_saveexec_b64 s[2:3], s[6:7]
	s_cbranch_execz .LBB161_374
; %bb.373:
	v_sub_f32_e32 v3, v3, v2
	s_mov_b32 s5, 0x3fb8aa3b
	v_mul_f32_e32 v6, 0x3fb8aa3b, v3
	v_fma_f32 v7, v3, s5, -v6
	v_rndne_f32_e32 v18, v6
	v_fmamk_f32 v7, v3, 0x32a5705f, v7
	v_sub_f32_e32 v6, v6, v18
	v_add_f32_e32 v6, v6, v7
	v_exp_f32_e32 v6, v6
	v_cvt_i32_f32_e32 v7, v18
	s_mov_b32 s5, 0xc2ce8ed0
	v_cmp_ngt_f32_e32 vcc, s5, v3
	s_mov_b32 s5, 0x42b17218
	v_ldexp_f32 v6, v6, v7
	v_cndmask_b32_e32 v6, 0, v6, vcc
	v_mov_b32_e32 v7, 0x7f800000
	v_cmp_nlt_f32_e32 vcc, s5, v3
	s_mov_b32 s5, 0x3f2aaaab
	s_mov_b32 s6, 0x7f800000
	v_cndmask_b32_e32 v53, v7, v6, vcc
	v_add_f32_e32 v3, 1.0, v53
	v_add_f32_e32 v6, -1.0, v3
	v_sub_f32_e32 v7, v6, v3
	v_add_f32_e32 v7, 1.0, v7
	v_sub_f32_e32 v6, v53, v6
	v_add_f32_e32 v18, v6, v7
	v_frexp_mant_f32_e32 v19, v3
	v_cvt_f64_f32_e32 v[6:7], v3
	v_frexp_exp_i32_f64_e32 v6, v[6:7]
	v_cmp_gt_f32_e32 vcc, s5, v19
	s_mov_b32 s5, 0x3f317218
	s_nop 0
	v_subbrev_co_u32_e32 v99, vcc, 0, v6, vcc
	v_sub_u32_e32 v6, 0, v99
	v_ldexp_f32 v3, v3, v6
	v_ldexp_f32 v6, v18, v6
	v_add_f32_e32 v18, -1.0, v3
	v_add_f32_e32 v7, 1.0, v18
	v_sub_f32_e32 v7, v3, v7
	v_add_f32_e32 v19, v6, v7
	v_add_f32_e32 v7, 1.0, v3
	v_add_f32_e32 v36, -1.0, v7
	v_sub_f32_e32 v3, v3, v36
	v_add_f32_e32 v3, v6, v3
	v_add_f32_e32 v101, v7, v3
	v_rcp_f32_e32 v112, v101
	v_sub_f32_e32 v6, v7, v101
	v_add_f32_e32 v7, v18, v19
	v_add_f32_e32 v3, v3, v6
	v_mul_f32_e32 v114, v7, v112
	v_sub_f32_e32 v6, v18, v7
	v_mul_f32_e32 v18, v101, v114
	v_fma_f32 v36, v114, v101, -v18
	v_fmac_f32_e32 v36, v114, v3
	v_add_f32_e32 v113, v19, v6
	v_add_f32_e32 v6, v18, v36
	v_sub_f32_e32 v19, v7, v6
	v_pk_add_f32 v[48:49], v[6:7], v[18:19] neg_lo:[0,1] neg_hi:[0,1]
	v_mov_b32_e32 v37, v6
	v_pk_add_f32 v[6:7], v[48:49], v[36:37] neg_lo:[0,1] neg_hi:[0,1]
	v_cmp_eq_f32_e32 vcc, s6, v53
	v_add_f32_e32 v7, v113, v7
	v_add_f32_e32 v6, v6, v7
	;; [unrolled: 1-line block ×3, first 2 shown]
	v_mul_f32_e32 v113, v112, v7
	v_mul_f32_e32 v18, v101, v113
	v_fma_f32 v36, v113, v101, -v18
	v_fmac_f32_e32 v36, v113, v3
	v_sub_f32_e32 v3, v19, v7
	v_add_f32_e32 v3, v6, v3
	v_add_f32_e32 v6, v18, v36
	v_sub_f32_e32 v19, v7, v6
	v_pk_add_f32 v[48:49], v[6:7], v[18:19] neg_lo:[0,1] neg_hi:[0,1]
	v_mov_b32_e32 v37, v6
	v_pk_add_f32 v[6:7], v[48:49], v[36:37] neg_lo:[0,1] neg_hi:[0,1]
	v_cvt_f32_i32_e32 v18, v99
	v_add_f32_e32 v3, v3, v7
	v_add_f32_e32 v3, v6, v3
	;; [unrolled: 1-line block ×4, first 2 shown]
	v_sub_f32_e32 v7, v6, v114
	v_mul_f32_e32 v3, v112, v3
	v_sub_f32_e32 v7, v113, v7
	v_add_f32_e32 v3, v7, v3
	v_add_f32_e32 v19, v6, v3
	v_mul_f32_e32 v36, v19, v19
	v_mov_b32_e32 v7, 0x3ecc95a3
	v_fmac_f32_e32 v7, 0x3e9b6dac, v36
	v_sub_f32_e32 v6, v19, v6
	v_fmaak_f32 v7, v36, v7, 0x3f2aaada
	v_sub_f32_e32 v3, v3, v6
	v_ldexp_f32 v37, v19, 1
	v_mul_f32_e32 v19, v19, v36
	v_mov_b32_e32 v6, 0x3f317218
	v_pk_mul_f32 v[6:7], v[18:19], v[6:7]
	v_ldexp_f32 v3, v3, 1
	v_fma_f32 v19, v18, s5, -v6
	v_fmamk_f32 v36, v18, 0xb102e308, v19
	v_pk_add_f32 v[18:19], v[6:7], v[36:37]
	v_mov_b32_e32 v48, v6
	v_sub_f32_e32 v37, v19, v37
	v_sub_f32_e32 v37, v7, v37
	v_add_f32_e32 v49, v3, v37
	v_pk_add_f32 v[6:7], v[18:19], v[6:7] neg_lo:[0,1] neg_hi:[0,1]
	v_pk_add_f32 v[112:113], v[18:19], v[48:49]
	v_mov_b32_e32 v37, v18
	v_mov_b32_e32 v7, v113
	v_pk_add_f32 v[114:115], v[36:37], v[6:7] neg_lo:[0,1] neg_hi:[0,1]
	v_pk_add_f32 v[6:7], v[36:37], v[6:7]
	v_mov_b32_e32 v48, v49
	v_mov_b32_e32 v36, v7
	v_pk_add_f32 v[116:117], v[36:37], v[18:19] neg_lo:[0,1] neg_hi:[0,1]
	v_mov_b32_e32 v6, v113
	v_mov_b32_e32 v3, v116
	v_pk_add_f32 v[118:119], v[112:113], v[2:3] neg_lo:[0,1] neg_hi:[0,1]
	v_mov_b32_e32 v112, v19
	v_mov_b32_e32 v113, v116
	;; [unrolled: 1-line block ×3, first 2 shown]
	v_pk_add_f32 v[6:7], v[6:7], v[112:113] neg_lo:[0,1] neg_hi:[0,1]
	v_mov_b32_e32 v49, v18
	v_pk_add_f32 v[6:7], v[48:49], v[6:7] neg_lo:[0,1] neg_hi:[0,1]
	v_mov_b32_e32 v118, v114
	v_pk_add_f32 v[18:19], v[118:119], v[6:7]
	s_mov_b32 s5, 0x33800000
	v_mov_b32_e32 v48, v19
	v_pk_add_f32 v[48:49], v[18:19], v[48:49]
	v_cmp_lt_f32_e64 s[6:7], |v53|, s5
	v_pk_add_f32 v[36:37], v[36:37], v[48:49]
	v_mov_b32_e32 v7, v48
	v_mov_b32_e32 v19, v36
	v_pk_add_f32 v[112:113], v[18:19], v[114:115] neg_lo:[0,1] neg_hi:[0,1]
	s_or_b64 vcc, vcc, s[6:7]
	v_sub_f32_e32 v3, v18, v112
	v_pk_add_f32 v[6:7], v[6:7], v[112:113] neg_lo:[0,1] neg_hi:[0,1]
	v_sub_f32_e32 v3, v114, v3
	v_add_f32_e32 v3, v6, v3
	v_add_f32_e32 v3, v3, v7
	;; [unrolled: 1-line block ×3, first 2 shown]
	v_cndmask_b32_e32 v3, v3, v53, vcc
	v_add_f32_e32 v53, v2, v3
.LBB161_374:
	s_or_b64 exec, exec, s[2:3]
	v_max_f32_e32 v2, v53, v53
	v_min_f32_e32 v3, v2, v54
	v_cmp_u_f32_e32 vcc, v53, v53
	v_max_f32_e32 v2, v2, v54
	v_mov_b32_e32 v54, v53
	v_cndmask_b32_e32 v3, v3, v53, vcc
	v_cndmask_b32_e32 v2, v2, v53, vcc
	v_cndmask_b32_e64 v3, v3, v38, s[14:15]
	v_cndmask_b32_e64 v2, v2, v38, s[14:15]
	v_cmp_neq_f32_e32 vcc, v3, v2
	v_cmp_class_f32_e64 s[2:3], v3, s4
	s_or_b64 s[4:5], vcc, s[2:3]
	s_and_saveexec_b64 s[2:3], s[4:5]
	s_cbranch_execz .LBB161_376
; %bb.375:
	v_sub_f32_e32 v3, v3, v2
	s_mov_b32 s4, 0x3fb8aa3b
	v_mul_f32_e32 v6, 0x3fb8aa3b, v3
	v_fma_f32 v7, v3, s4, -v6
	v_rndne_f32_e32 v18, v6
	v_fmamk_f32 v7, v3, 0x32a5705f, v7
	v_sub_f32_e32 v6, v6, v18
	v_add_f32_e32 v6, v6, v7
	v_exp_f32_e32 v6, v6
	v_cvt_i32_f32_e32 v7, v18
	s_mov_b32 s4, 0xc2ce8ed0
	v_cmp_ngt_f32_e32 vcc, s4, v3
	s_mov_b32 s4, 0x42b17218
	v_ldexp_f32 v6, v6, v7
	v_cndmask_b32_e32 v6, 0, v6, vcc
	v_mov_b32_e32 v7, 0x7f800000
	v_cmp_nlt_f32_e32 vcc, s4, v3
	s_mov_b32 s4, 0x3f2aaaab
	s_mov_b32 s5, 0x7f800000
	v_cndmask_b32_e32 v54, v7, v6, vcc
	v_add_f32_e32 v3, 1.0, v54
	v_add_f32_e32 v6, -1.0, v3
	v_sub_f32_e32 v7, v6, v3
	v_add_f32_e32 v7, 1.0, v7
	v_sub_f32_e32 v6, v54, v6
	v_add_f32_e32 v18, v6, v7
	v_frexp_mant_f32_e32 v19, v3
	v_cvt_f64_f32_e32 v[6:7], v3
	v_frexp_exp_i32_f64_e32 v6, v[6:7]
	v_cmp_gt_f32_e32 vcc, s4, v19
	s_mov_b32 s4, 0x3f317218
	s_nop 0
	v_subbrev_co_u32_e32 v38, vcc, 0, v6, vcc
	v_sub_u32_e32 v6, 0, v38
	v_ldexp_f32 v3, v3, v6
	v_ldexp_f32 v6, v18, v6
	v_add_f32_e32 v18, -1.0, v3
	v_add_f32_e32 v7, 1.0, v18
	v_sub_f32_e32 v7, v3, v7
	v_add_f32_e32 v19, v6, v7
	v_add_f32_e32 v7, 1.0, v3
	v_add_f32_e32 v36, -1.0, v7
	v_sub_f32_e32 v3, v3, v36
	v_add_f32_e32 v3, v6, v3
	v_add_f32_e32 v99, v7, v3
	v_rcp_f32_e32 v101, v99
	v_sub_f32_e32 v6, v7, v99
	v_add_f32_e32 v7, v18, v19
	v_add_f32_e32 v3, v3, v6
	v_mul_f32_e32 v113, v7, v101
	v_sub_f32_e32 v6, v18, v7
	v_mul_f32_e32 v18, v99, v113
	v_fma_f32 v36, v113, v99, -v18
	v_fmac_f32_e32 v36, v113, v3
	v_add_f32_e32 v112, v19, v6
	v_add_f32_e32 v6, v18, v36
	v_sub_f32_e32 v19, v7, v6
	v_pk_add_f32 v[48:49], v[6:7], v[18:19] neg_lo:[0,1] neg_hi:[0,1]
	v_mov_b32_e32 v37, v6
	v_pk_add_f32 v[6:7], v[48:49], v[36:37] neg_lo:[0,1] neg_hi:[0,1]
	v_cmp_eq_f32_e32 vcc, s5, v54
	v_add_f32_e32 v7, v112, v7
	v_add_f32_e32 v6, v6, v7
	;; [unrolled: 1-line block ×3, first 2 shown]
	v_mul_f32_e32 v112, v101, v7
	v_mul_f32_e32 v18, v99, v112
	v_fma_f32 v36, v112, v99, -v18
	v_fmac_f32_e32 v36, v112, v3
	v_sub_f32_e32 v3, v19, v7
	v_add_f32_e32 v3, v6, v3
	v_add_f32_e32 v6, v18, v36
	v_sub_f32_e32 v19, v7, v6
	v_pk_add_f32 v[48:49], v[6:7], v[18:19] neg_lo:[0,1] neg_hi:[0,1]
	v_mov_b32_e32 v37, v6
	v_pk_add_f32 v[6:7], v[48:49], v[36:37] neg_lo:[0,1] neg_hi:[0,1]
	v_cvt_f32_i32_e32 v18, v38
	v_add_f32_e32 v3, v3, v7
	v_add_f32_e32 v3, v6, v3
	;; [unrolled: 1-line block ×4, first 2 shown]
	v_sub_f32_e32 v7, v6, v113
	v_mul_f32_e32 v3, v101, v3
	v_sub_f32_e32 v7, v112, v7
	v_add_f32_e32 v3, v7, v3
	v_add_f32_e32 v19, v6, v3
	v_mul_f32_e32 v36, v19, v19
	v_mov_b32_e32 v7, 0x3ecc95a3
	v_fmac_f32_e32 v7, 0x3e9b6dac, v36
	v_sub_f32_e32 v6, v19, v6
	v_fmaak_f32 v7, v36, v7, 0x3f2aaada
	v_sub_f32_e32 v3, v3, v6
	v_ldexp_f32 v37, v19, 1
	v_mul_f32_e32 v19, v19, v36
	v_mov_b32_e32 v6, 0x3f317218
	v_pk_mul_f32 v[6:7], v[18:19], v[6:7]
	v_ldexp_f32 v3, v3, 1
	v_fma_f32 v19, v18, s4, -v6
	v_fmamk_f32 v36, v18, 0xb102e308, v19
	v_pk_add_f32 v[18:19], v[6:7], v[36:37]
	v_mov_b32_e32 v48, v6
	v_sub_f32_e32 v37, v19, v37
	v_sub_f32_e32 v37, v7, v37
	v_add_f32_e32 v49, v3, v37
	v_pk_add_f32 v[6:7], v[18:19], v[6:7] neg_lo:[0,1] neg_hi:[0,1]
	v_pk_add_f32 v[112:113], v[18:19], v[48:49]
	v_mov_b32_e32 v37, v18
	v_mov_b32_e32 v7, v113
	v_pk_add_f32 v[114:115], v[36:37], v[6:7] neg_lo:[0,1] neg_hi:[0,1]
	v_pk_add_f32 v[6:7], v[36:37], v[6:7]
	v_mov_b32_e32 v48, v49
	v_mov_b32_e32 v36, v7
	v_pk_add_f32 v[116:117], v[36:37], v[18:19] neg_lo:[0,1] neg_hi:[0,1]
	v_mov_b32_e32 v6, v113
	v_mov_b32_e32 v3, v116
	v_pk_add_f32 v[118:119], v[112:113], v[2:3] neg_lo:[0,1] neg_hi:[0,1]
	v_mov_b32_e32 v112, v19
	v_mov_b32_e32 v113, v116
	v_mov_b32_e32 v115, v7
	v_pk_add_f32 v[6:7], v[6:7], v[112:113] neg_lo:[0,1] neg_hi:[0,1]
	v_mov_b32_e32 v49, v18
	v_pk_add_f32 v[6:7], v[48:49], v[6:7] neg_lo:[0,1] neg_hi:[0,1]
	v_mov_b32_e32 v118, v114
	v_pk_add_f32 v[18:19], v[118:119], v[6:7]
	s_mov_b32 s4, 0x33800000
	v_mov_b32_e32 v38, v19
	v_pk_add_f32 v[48:49], v[18:19], v[38:39]
	v_cmp_lt_f32_e64 s[4:5], |v54|, s4
	v_pk_add_f32 v[36:37], v[36:37], v[48:49]
	v_mov_b32_e32 v7, v48
	v_mov_b32_e32 v19, v36
	v_pk_add_f32 v[112:113], v[18:19], v[114:115] neg_lo:[0,1] neg_hi:[0,1]
	s_or_b64 vcc, vcc, s[4:5]
	v_sub_f32_e32 v3, v18, v112
	v_pk_add_f32 v[6:7], v[6:7], v[112:113] neg_lo:[0,1] neg_hi:[0,1]
	v_sub_f32_e32 v3, v114, v3
	v_add_f32_e32 v3, v6, v3
	v_add_f32_e32 v3, v3, v7
	;; [unrolled: 1-line block ×3, first 2 shown]
	v_cndmask_b32_e32 v3, v3, v54, vcc
	v_add_f32_e32 v54, v2, v3
.LBB161_376:
	s_or_b64 exec, exec, s[2:3]
	v_max_f32_e32 v2, v54, v54
	v_min_f32_e32 v3, v2, v55
	v_cmp_u_f32_e32 vcc, v54, v54
	v_max_f32_e32 v2, v2, v55
	s_movk_i32 s4, 0x1f8
	v_cndmask_b32_e32 v3, v3, v54, vcc
	v_cndmask_b32_e32 v2, v2, v54, vcc
	v_cndmask_b32_e64 v3, v3, v39, s[16:17]
	v_cndmask_b32_e64 v2, v2, v39, s[16:17]
	v_cmp_neq_f32_e32 vcc, v3, v2
	v_cmp_class_f32_e64 s[2:3], v3, s4
	s_or_b64 s[6:7], vcc, s[2:3]
	v_mov_b32_e32 v55, v54
	s_and_saveexec_b64 s[2:3], s[6:7]
	s_cbranch_execz .LBB161_378
; %bb.377:
	v_sub_f32_e32 v3, v3, v2
	s_mov_b32 s5, 0x3fb8aa3b
	v_mul_f32_e32 v6, 0x3fb8aa3b, v3
	v_fma_f32 v7, v3, s5, -v6
	v_rndne_f32_e32 v18, v6
	v_fmamk_f32 v7, v3, 0x32a5705f, v7
	v_sub_f32_e32 v6, v6, v18
	v_add_f32_e32 v6, v6, v7
	v_exp_f32_e32 v6, v6
	v_cvt_i32_f32_e32 v7, v18
	s_mov_b32 s5, 0xc2ce8ed0
	v_cmp_ngt_f32_e32 vcc, s5, v3
	s_mov_b32 s5, 0x42b17218
	v_ldexp_f32 v6, v6, v7
	v_cndmask_b32_e32 v6, 0, v6, vcc
	v_mov_b32_e32 v7, 0x7f800000
	v_cmp_nlt_f32_e32 vcc, s5, v3
	s_mov_b32 s5, 0x3f2aaaab
	s_mov_b32 s6, 0x7f800000
	v_cndmask_b32_e32 v55, v7, v6, vcc
	v_add_f32_e32 v3, 1.0, v55
	v_add_f32_e32 v6, -1.0, v3
	v_sub_f32_e32 v7, v6, v3
	v_add_f32_e32 v7, 1.0, v7
	v_sub_f32_e32 v6, v55, v6
	v_add_f32_e32 v18, v6, v7
	v_frexp_mant_f32_e32 v19, v3
	v_cvt_f64_f32_e32 v[6:7], v3
	v_frexp_exp_i32_f64_e32 v6, v[6:7]
	v_cmp_gt_f32_e32 vcc, s5, v19
	s_mov_b32 s5, 0x3f317218
	s_nop 0
	v_subbrev_co_u32_e32 v48, vcc, 0, v6, vcc
	v_sub_u32_e32 v6, 0, v48
	v_ldexp_f32 v3, v3, v6
	v_ldexp_f32 v6, v18, v6
	v_add_f32_e32 v18, -1.0, v3
	v_add_f32_e32 v7, 1.0, v18
	v_sub_f32_e32 v7, v3, v7
	v_add_f32_e32 v19, v6, v7
	v_add_f32_e32 v7, 1.0, v3
	v_add_f32_e32 v36, -1.0, v7
	v_sub_f32_e32 v3, v3, v36
	v_add_f32_e32 v3, v6, v3
	v_add_f32_e32 v49, v7, v3
	v_rcp_f32_e32 v99, v49
	v_sub_f32_e32 v6, v7, v49
	v_add_f32_e32 v7, v18, v19
	v_add_f32_e32 v3, v3, v6
	v_mul_f32_e32 v112, v7, v99
	v_sub_f32_e32 v6, v18, v7
	v_mul_f32_e32 v18, v49, v112
	v_fma_f32 v36, v112, v49, -v18
	v_fmac_f32_e32 v36, v112, v3
	v_add_f32_e32 v101, v19, v6
	v_add_f32_e32 v6, v18, v36
	v_sub_f32_e32 v19, v7, v6
	v_pk_add_f32 v[38:39], v[6:7], v[18:19] neg_lo:[0,1] neg_hi:[0,1]
	v_mov_b32_e32 v37, v6
	v_pk_add_f32 v[6:7], v[38:39], v[36:37] neg_lo:[0,1] neg_hi:[0,1]
	v_cmp_eq_f32_e32 vcc, s6, v55
	v_add_f32_e32 v7, v101, v7
	v_add_f32_e32 v6, v6, v7
	;; [unrolled: 1-line block ×3, first 2 shown]
	v_mul_f32_e32 v101, v99, v7
	v_mul_f32_e32 v18, v49, v101
	v_fma_f32 v36, v101, v49, -v18
	v_fmac_f32_e32 v36, v101, v3
	v_sub_f32_e32 v3, v19, v7
	v_add_f32_e32 v3, v6, v3
	v_add_f32_e32 v6, v18, v36
	v_sub_f32_e32 v19, v7, v6
	v_pk_add_f32 v[38:39], v[6:7], v[18:19] neg_lo:[0,1] neg_hi:[0,1]
	v_mov_b32_e32 v37, v6
	v_pk_add_f32 v[6:7], v[38:39], v[36:37] neg_lo:[0,1] neg_hi:[0,1]
	v_cvt_f32_i32_e32 v18, v48
	v_add_f32_e32 v3, v3, v7
	v_add_f32_e32 v3, v6, v3
	;; [unrolled: 1-line block ×4, first 2 shown]
	v_sub_f32_e32 v7, v6, v112
	v_mul_f32_e32 v3, v99, v3
	v_sub_f32_e32 v7, v101, v7
	v_add_f32_e32 v3, v7, v3
	v_add_f32_e32 v19, v6, v3
	v_mul_f32_e32 v36, v19, v19
	v_mov_b32_e32 v7, 0x3ecc95a3
	v_fmac_f32_e32 v7, 0x3e9b6dac, v36
	v_sub_f32_e32 v6, v19, v6
	v_fmaak_f32 v7, v36, v7, 0x3f2aaada
	v_sub_f32_e32 v3, v3, v6
	v_ldexp_f32 v37, v19, 1
	v_mul_f32_e32 v19, v19, v36
	v_mov_b32_e32 v6, 0x3f317218
	v_pk_mul_f32 v[6:7], v[18:19], v[6:7]
	v_ldexp_f32 v3, v3, 1
	v_fma_f32 v19, v18, s5, -v6
	v_fmamk_f32 v36, v18, 0xb102e308, v19
	v_pk_add_f32 v[18:19], v[6:7], v[36:37]
	v_mov_b32_e32 v38, v6
	v_sub_f32_e32 v37, v19, v37
	v_sub_f32_e32 v37, v7, v37
	v_add_f32_e32 v39, v3, v37
	v_pk_add_f32 v[6:7], v[18:19], v[6:7] neg_lo:[0,1] neg_hi:[0,1]
	v_pk_add_f32 v[48:49], v[18:19], v[38:39]
	v_mov_b32_e32 v37, v18
	v_mov_b32_e32 v7, v49
	v_pk_add_f32 v[112:113], v[36:37], v[6:7] neg_lo:[0,1] neg_hi:[0,1]
	v_pk_add_f32 v[6:7], v[36:37], v[6:7]
	v_mov_b32_e32 v38, v39
	v_mov_b32_e32 v36, v7
	v_pk_add_f32 v[114:115], v[36:37], v[18:19] neg_lo:[0,1] neg_hi:[0,1]
	v_mov_b32_e32 v6, v49
	v_mov_b32_e32 v3, v114
	v_pk_add_f32 v[116:117], v[48:49], v[2:3] neg_lo:[0,1] neg_hi:[0,1]
	v_mov_b32_e32 v48, v19
	v_mov_b32_e32 v49, v114
	;; [unrolled: 1-line block ×3, first 2 shown]
	v_pk_add_f32 v[6:7], v[6:7], v[48:49] neg_lo:[0,1] neg_hi:[0,1]
	v_mov_b32_e32 v39, v18
	v_pk_add_f32 v[6:7], v[38:39], v[6:7] neg_lo:[0,1] neg_hi:[0,1]
	v_mov_b32_e32 v116, v112
	v_pk_add_f32 v[18:19], v[116:117], v[6:7]
	s_mov_b32 s5, 0x33800000
	v_mov_b32_e32 v38, v19
	v_pk_add_f32 v[38:39], v[18:19], v[38:39]
	v_cmp_lt_f32_e64 s[6:7], |v55|, s5
	v_pk_add_f32 v[36:37], v[36:37], v[38:39]
	v_mov_b32_e32 v7, v38
	v_mov_b32_e32 v19, v36
	v_pk_add_f32 v[48:49], v[18:19], v[112:113] neg_lo:[0,1] neg_hi:[0,1]
	s_or_b64 vcc, vcc, s[6:7]
	v_sub_f32_e32 v3, v18, v48
	v_pk_add_f32 v[6:7], v[6:7], v[48:49] neg_lo:[0,1] neg_hi:[0,1]
	v_sub_f32_e32 v3, v112, v3
	v_add_f32_e32 v3, v6, v3
	v_add_f32_e32 v3, v3, v7
	;; [unrolled: 1-line block ×3, first 2 shown]
	v_cndmask_b32_e32 v3, v3, v55, vcc
	v_add_f32_e32 v55, v2, v3
.LBB161_378:
	s_or_b64 exec, exec, s[2:3]
	v_max_f32_e32 v2, v55, v55
	v_min_f32_e32 v3, v2, v64
	v_cmp_u_f32_e32 vcc, v55, v55
	v_max_f32_e32 v2, v2, v64
	v_mov_b32_e32 v64, v55
	v_cndmask_b32_e32 v3, v3, v55, vcc
	v_cndmask_b32_e32 v2, v2, v55, vcc
	v_cndmask_b32_e64 v3, v3, v32, s[18:19]
	v_cndmask_b32_e64 v2, v2, v32, s[18:19]
	v_cmp_neq_f32_e32 vcc, v3, v2
	v_cmp_class_f32_e64 s[2:3], v3, s4
	s_or_b64 s[4:5], vcc, s[2:3]
	s_and_saveexec_b64 s[2:3], s[4:5]
	s_cbranch_execz .LBB161_380
; %bb.379:
	v_sub_f32_e32 v3, v3, v2
	s_mov_b32 s4, 0x3fb8aa3b
	v_mul_f32_e32 v6, 0x3fb8aa3b, v3
	v_fma_f32 v7, v3, s4, -v6
	v_rndne_f32_e32 v18, v6
	v_fmamk_f32 v7, v3, 0x32a5705f, v7
	v_sub_f32_e32 v6, v6, v18
	v_add_f32_e32 v6, v6, v7
	v_exp_f32_e32 v6, v6
	v_cvt_i32_f32_e32 v7, v18
	s_mov_b32 s4, 0xc2ce8ed0
	v_cmp_ngt_f32_e32 vcc, s4, v3
	s_mov_b32 s4, 0x42b17218
	v_ldexp_f32 v6, v6, v7
	v_cndmask_b32_e32 v6, 0, v6, vcc
	v_mov_b32_e32 v7, 0x7f800000
	v_cmp_nlt_f32_e32 vcc, s4, v3
	s_mov_b32 s4, 0x3f2aaaab
	s_mov_b32 s5, 0x7f800000
	v_cndmask_b32_e32 v64, v7, v6, vcc
	v_add_f32_e32 v3, 1.0, v64
	v_add_f32_e32 v6, -1.0, v3
	v_sub_f32_e32 v7, v6, v3
	v_add_f32_e32 v7, 1.0, v7
	v_sub_f32_e32 v6, v64, v6
	v_add_f32_e32 v18, v6, v7
	v_frexp_mant_f32_e32 v19, v3
	v_cvt_f64_f32_e32 v[6:7], v3
	v_frexp_exp_i32_f64_e32 v6, v[6:7]
	v_cmp_gt_f32_e32 vcc, s4, v19
	s_mov_b32 s4, 0x3f317218
	s_nop 0
	v_subbrev_co_u32_e32 v32, vcc, 0, v6, vcc
	v_sub_u32_e32 v6, 0, v32
	v_ldexp_f32 v3, v3, v6
	v_ldexp_f32 v6, v18, v6
	v_add_f32_e32 v18, -1.0, v3
	v_add_f32_e32 v7, 1.0, v18
	v_sub_f32_e32 v7, v3, v7
	v_add_f32_e32 v19, v6, v7
	v_add_f32_e32 v7, 1.0, v3
	v_add_f32_e32 v36, -1.0, v7
	v_sub_f32_e32 v3, v3, v36
	v_add_f32_e32 v3, v6, v3
	v_add_f32_e32 v48, v7, v3
	v_rcp_f32_e32 v49, v48
	v_sub_f32_e32 v6, v7, v48
	v_add_f32_e32 v7, v18, v19
	v_add_f32_e32 v3, v3, v6
	v_mul_f32_e32 v101, v7, v49
	v_sub_f32_e32 v6, v18, v7
	v_mul_f32_e32 v18, v48, v101
	v_fma_f32 v36, v101, v48, -v18
	v_fmac_f32_e32 v36, v101, v3
	v_add_f32_e32 v99, v19, v6
	v_add_f32_e32 v6, v18, v36
	v_sub_f32_e32 v19, v7, v6
	v_pk_add_f32 v[38:39], v[6:7], v[18:19] neg_lo:[0,1] neg_hi:[0,1]
	v_mov_b32_e32 v37, v6
	v_pk_add_f32 v[6:7], v[38:39], v[36:37] neg_lo:[0,1] neg_hi:[0,1]
	v_cmp_eq_f32_e32 vcc, s5, v64
	v_add_f32_e32 v7, v99, v7
	v_add_f32_e32 v6, v6, v7
	;; [unrolled: 1-line block ×3, first 2 shown]
	v_mul_f32_e32 v99, v49, v7
	v_mul_f32_e32 v18, v48, v99
	v_fma_f32 v36, v99, v48, -v18
	v_fmac_f32_e32 v36, v99, v3
	v_sub_f32_e32 v3, v19, v7
	v_add_f32_e32 v3, v6, v3
	v_add_f32_e32 v6, v18, v36
	v_sub_f32_e32 v19, v7, v6
	v_pk_add_f32 v[38:39], v[6:7], v[18:19] neg_lo:[0,1] neg_hi:[0,1]
	v_mov_b32_e32 v37, v6
	v_pk_add_f32 v[6:7], v[38:39], v[36:37] neg_lo:[0,1] neg_hi:[0,1]
	v_cvt_f32_i32_e32 v18, v32
	v_add_f32_e32 v3, v3, v7
	v_add_f32_e32 v3, v6, v3
	;; [unrolled: 1-line block ×4, first 2 shown]
	v_sub_f32_e32 v7, v6, v101
	v_mul_f32_e32 v3, v49, v3
	v_sub_f32_e32 v7, v99, v7
	v_add_f32_e32 v3, v7, v3
	v_add_f32_e32 v19, v6, v3
	v_mul_f32_e32 v36, v19, v19
	v_mov_b32_e32 v7, 0x3ecc95a3
	v_fmac_f32_e32 v7, 0x3e9b6dac, v36
	v_sub_f32_e32 v6, v19, v6
	v_fmaak_f32 v7, v36, v7, 0x3f2aaada
	v_sub_f32_e32 v3, v3, v6
	v_ldexp_f32 v37, v19, 1
	v_mul_f32_e32 v19, v19, v36
	v_mov_b32_e32 v6, 0x3f317218
	v_pk_mul_f32 v[6:7], v[18:19], v[6:7]
	v_ldexp_f32 v3, v3, 1
	v_fma_f32 v19, v18, s4, -v6
	v_fmamk_f32 v36, v18, 0xb102e308, v19
	v_pk_add_f32 v[18:19], v[6:7], v[36:37]
	v_mov_b32_e32 v38, v6
	v_sub_f32_e32 v32, v19, v37
	v_sub_f32_e32 v32, v7, v32
	v_add_f32_e32 v39, v3, v32
	v_pk_add_f32 v[6:7], v[18:19], v[6:7] neg_lo:[0,1] neg_hi:[0,1]
	v_pk_add_f32 v[48:49], v[18:19], v[38:39]
	v_mov_b32_e32 v37, v18
	v_mov_b32_e32 v7, v49
	v_pk_add_f32 v[112:113], v[36:37], v[6:7] neg_lo:[0,1] neg_hi:[0,1]
	v_pk_add_f32 v[6:7], v[36:37], v[6:7]
	s_mov_b32 s4, 0x33800000
	v_mov_b32_e32 v32, v7
	v_pk_add_f32 v[36:37], v[32:33], v[18:19] neg_lo:[0,1] neg_hi:[0,1]
	v_mov_b32_e32 v6, v49
	v_mov_b32_e32 v3, v36
	v_pk_add_f32 v[114:115], v[48:49], v[2:3] neg_lo:[0,1] neg_hi:[0,1]
	v_mov_b32_e32 v48, v19
	v_mov_b32_e32 v49, v36
	;; [unrolled: 1-line block ×3, first 2 shown]
	v_pk_add_f32 v[6:7], v[6:7], v[48:49] neg_lo:[0,1] neg_hi:[0,1]
	v_mov_b32_e32 v36, v39
	v_mov_b32_e32 v37, v18
	v_pk_add_f32 v[6:7], v[36:37], v[6:7] neg_lo:[0,1] neg_hi:[0,1]
	v_mov_b32_e32 v114, v112
	v_pk_add_f32 v[18:19], v[114:115], v[6:7]
	v_cmp_lt_f32_e64 s[4:5], |v64|, s4
	v_mov_b32_e32 v36, v19
	v_pk_add_f32 v[36:37], v[18:19], v[36:37]
	s_or_b64 vcc, vcc, s[4:5]
	v_pk_add_f32 v[38:39], v[32:33], v[36:37]
	v_mov_b32_e32 v7, v36
	v_mov_b32_e32 v19, v38
	v_pk_add_f32 v[48:49], v[18:19], v[112:113] neg_lo:[0,1] neg_hi:[0,1]
	s_nop 0
	v_sub_f32_e32 v3, v18, v48
	v_pk_add_f32 v[6:7], v[6:7], v[48:49] neg_lo:[0,1] neg_hi:[0,1]
	v_sub_f32_e32 v3, v112, v3
	v_add_f32_e32 v3, v6, v3
	v_add_f32_e32 v3, v3, v7
	;; [unrolled: 1-line block ×3, first 2 shown]
	v_cndmask_b32_e32 v3, v3, v64, vcc
	v_add_f32_e32 v64, v2, v3
.LBB161_380:
	s_or_b64 exec, exec, s[2:3]
	v_max_f32_e32 v2, v64, v64
	v_min_f32_e32 v3, v2, v65
	v_cmp_u_f32_e32 vcc, v64, v64
	v_max_f32_e32 v2, v2, v65
	s_movk_i32 s4, 0x1f8
	v_cndmask_b32_e32 v3, v3, v64, vcc
	v_cndmask_b32_e32 v2, v2, v64, vcc
	v_cndmask_b32_e64 v3, v3, v33, s[20:21]
	v_cndmask_b32_e64 v2, v2, v33, s[20:21]
	v_cmp_neq_f32_e32 vcc, v3, v2
	v_cmp_class_f32_e64 s[2:3], v3, s4
	s_or_b64 s[6:7], vcc, s[2:3]
	v_mov_b32_e32 v65, v64
	s_and_saveexec_b64 s[2:3], s[6:7]
	s_cbranch_execz .LBB161_382
; %bb.381:
	v_sub_f32_e32 v3, v3, v2
	s_mov_b32 s5, 0x3fb8aa3b
	v_mul_f32_e32 v6, 0x3fb8aa3b, v3
	v_fma_f32 v7, v3, s5, -v6
	v_rndne_f32_e32 v18, v6
	v_fmamk_f32 v7, v3, 0x32a5705f, v7
	v_sub_f32_e32 v6, v6, v18
	v_add_f32_e32 v6, v6, v7
	v_exp_f32_e32 v6, v6
	v_cvt_i32_f32_e32 v7, v18
	s_mov_b32 s5, 0xc2ce8ed0
	v_cmp_ngt_f32_e32 vcc, s5, v3
	s_mov_b32 s5, 0x42b17218
	v_ldexp_f32 v6, v6, v7
	v_cndmask_b32_e32 v6, 0, v6, vcc
	v_mov_b32_e32 v7, 0x7f800000
	v_cmp_nlt_f32_e32 vcc, s5, v3
	s_mov_b32 s5, 0x3f2aaaab
	s_mov_b32 s6, 0x7f800000
	v_cndmask_b32_e32 v65, v7, v6, vcc
	v_add_f32_e32 v3, 1.0, v65
	v_add_f32_e32 v6, -1.0, v3
	v_sub_f32_e32 v7, v6, v3
	v_add_f32_e32 v7, 1.0, v7
	v_sub_f32_e32 v6, v65, v6
	v_add_f32_e32 v18, v6, v7
	v_frexp_mant_f32_e32 v19, v3
	v_cvt_f64_f32_e32 v[6:7], v3
	v_frexp_exp_i32_f64_e32 v6, v[6:7]
	v_cmp_gt_f32_e32 vcc, s5, v19
	s_mov_b32 s5, 0x3f317218
	s_nop 0
	v_subbrev_co_u32_e32 v38, vcc, 0, v6, vcc
	v_sub_u32_e32 v6, 0, v38
	v_ldexp_f32 v3, v3, v6
	v_ldexp_f32 v6, v18, v6
	v_add_f32_e32 v18, -1.0, v3
	v_add_f32_e32 v7, 1.0, v18
	v_sub_f32_e32 v7, v3, v7
	v_add_f32_e32 v19, v6, v7
	v_add_f32_e32 v7, 1.0, v3
	v_add_f32_e32 v32, -1.0, v7
	v_sub_f32_e32 v3, v3, v32
	v_add_f32_e32 v3, v6, v3
	v_add_f32_e32 v39, v7, v3
	v_rcp_f32_e32 v48, v39
	v_sub_f32_e32 v6, v7, v39
	v_add_f32_e32 v7, v18, v19
	v_add_f32_e32 v3, v3, v6
	v_mul_f32_e32 v99, v7, v48
	v_sub_f32_e32 v6, v18, v7
	v_mul_f32_e32 v18, v39, v99
	v_fma_f32 v32, v99, v39, -v18
	v_fmac_f32_e32 v32, v99, v3
	v_add_f32_e32 v49, v19, v6
	v_add_f32_e32 v6, v18, v32
	v_sub_f32_e32 v19, v7, v6
	v_pk_add_f32 v[36:37], v[6:7], v[18:19] neg_lo:[0,1] neg_hi:[0,1]
	v_mov_b32_e32 v33, v6
	v_pk_add_f32 v[6:7], v[36:37], v[32:33] neg_lo:[0,1] neg_hi:[0,1]
	v_cmp_eq_f32_e32 vcc, s6, v65
	v_add_f32_e32 v7, v49, v7
	v_add_f32_e32 v6, v6, v7
	;; [unrolled: 1-line block ×3, first 2 shown]
	v_mul_f32_e32 v49, v48, v7
	v_mul_f32_e32 v18, v39, v49
	v_fma_f32 v32, v49, v39, -v18
	v_fmac_f32_e32 v32, v49, v3
	v_sub_f32_e32 v3, v19, v7
	v_add_f32_e32 v3, v6, v3
	v_add_f32_e32 v6, v18, v32
	v_sub_f32_e32 v19, v7, v6
	v_pk_add_f32 v[36:37], v[6:7], v[18:19] neg_lo:[0,1] neg_hi:[0,1]
	v_mov_b32_e32 v33, v6
	v_pk_add_f32 v[6:7], v[36:37], v[32:33] neg_lo:[0,1] neg_hi:[0,1]
	v_cvt_f32_i32_e32 v18, v38
	v_add_f32_e32 v3, v3, v7
	v_add_f32_e32 v3, v6, v3
	v_add_f32_e32 v6, v99, v49
	v_add_f32_e32 v3, v19, v3
	v_sub_f32_e32 v7, v6, v99
	v_mul_f32_e32 v3, v48, v3
	v_sub_f32_e32 v7, v49, v7
	v_add_f32_e32 v3, v7, v3
	v_add_f32_e32 v19, v6, v3
	v_mul_f32_e32 v32, v19, v19
	v_mov_b32_e32 v7, 0x3ecc95a3
	v_fmac_f32_e32 v7, 0x3e9b6dac, v32
	v_sub_f32_e32 v6, v19, v6
	v_fmaak_f32 v7, v32, v7, 0x3f2aaada
	v_sub_f32_e32 v3, v3, v6
	v_ldexp_f32 v33, v19, 1
	v_mul_f32_e32 v19, v19, v32
	v_mov_b32_e32 v6, 0x3f317218
	v_pk_mul_f32 v[6:7], v[18:19], v[6:7]
	v_ldexp_f32 v3, v3, 1
	v_fma_f32 v19, v18, s5, -v6
	v_fmamk_f32 v32, v18, 0xb102e308, v19
	v_pk_add_f32 v[18:19], v[6:7], v[32:33]
	v_mov_b32_e32 v36, v6
	v_sub_f32_e32 v33, v19, v33
	v_sub_f32_e32 v33, v7, v33
	v_add_f32_e32 v37, v3, v33
	v_pk_add_f32 v[6:7], v[18:19], v[6:7] neg_lo:[0,1] neg_hi:[0,1]
	v_pk_add_f32 v[38:39], v[18:19], v[36:37]
	v_mov_b32_e32 v33, v18
	v_mov_b32_e32 v7, v39
	v_pk_add_f32 v[48:49], v[32:33], v[6:7] neg_lo:[0,1] neg_hi:[0,1]
	v_pk_add_f32 v[6:7], v[32:33], v[6:7]
	v_mov_b32_e32 v36, v37
	v_mov_b32_e32 v32, v7
	v_pk_add_f32 v[112:113], v[32:33], v[18:19] neg_lo:[0,1] neg_hi:[0,1]
	v_mov_b32_e32 v6, v39
	v_mov_b32_e32 v3, v112
	v_pk_add_f32 v[114:115], v[38:39], v[2:3] neg_lo:[0,1] neg_hi:[0,1]
	v_mov_b32_e32 v38, v19
	v_mov_b32_e32 v39, v112
	;; [unrolled: 1-line block ×3, first 2 shown]
	v_pk_add_f32 v[6:7], v[6:7], v[38:39] neg_lo:[0,1] neg_hi:[0,1]
	v_mov_b32_e32 v37, v18
	v_pk_add_f32 v[6:7], v[36:37], v[6:7] neg_lo:[0,1] neg_hi:[0,1]
	v_mov_b32_e32 v114, v48
	v_pk_add_f32 v[18:19], v[114:115], v[6:7]
	s_mov_b32 s5, 0x33800000
	v_mov_b32_e32 v36, v19
	v_pk_add_f32 v[36:37], v[18:19], v[36:37]
	v_cmp_lt_f32_e64 s[6:7], |v65|, s5
	v_pk_add_f32 v[32:33], v[32:33], v[36:37]
	v_mov_b32_e32 v7, v36
	v_mov_b32_e32 v19, v32
	v_pk_add_f32 v[38:39], v[18:19], v[48:49] neg_lo:[0,1] neg_hi:[0,1]
	s_or_b64 vcc, vcc, s[6:7]
	v_sub_f32_e32 v3, v18, v38
	v_pk_add_f32 v[6:7], v[6:7], v[38:39] neg_lo:[0,1] neg_hi:[0,1]
	v_sub_f32_e32 v3, v48, v3
	v_add_f32_e32 v3, v6, v3
	v_add_f32_e32 v3, v3, v7
	;; [unrolled: 1-line block ×3, first 2 shown]
	v_cndmask_b32_e32 v3, v3, v65, vcc
	v_add_f32_e32 v65, v2, v3
.LBB161_382:
	s_or_b64 exec, exec, s[2:3]
	v_max_f32_e32 v2, v65, v65
	v_min_f32_e32 v3, v2, v66
	v_cmp_u_f32_e32 vcc, v65, v65
	v_max_f32_e32 v2, v2, v66
	v_mov_b32_e32 v66, v65
	v_cndmask_b32_e32 v3, v3, v65, vcc
	v_cndmask_b32_e32 v2, v2, v65, vcc
	v_cndmask_b32_e64 v3, v3, v34, s[22:23]
	v_cndmask_b32_e64 v2, v2, v34, s[22:23]
	v_cmp_neq_f32_e32 vcc, v3, v2
	v_cmp_class_f32_e64 s[2:3], v3, s4
	s_or_b64 s[4:5], vcc, s[2:3]
	s_and_saveexec_b64 s[2:3], s[4:5]
	s_cbranch_execz .LBB161_384
; %bb.383:
	v_sub_f32_e32 v3, v3, v2
	s_mov_b32 s4, 0x3fb8aa3b
	v_mul_f32_e32 v6, 0x3fb8aa3b, v3
	v_fma_f32 v7, v3, s4, -v6
	v_rndne_f32_e32 v18, v6
	v_fmamk_f32 v7, v3, 0x32a5705f, v7
	v_sub_f32_e32 v6, v6, v18
	v_add_f32_e32 v6, v6, v7
	v_exp_f32_e32 v6, v6
	v_cvt_i32_f32_e32 v7, v18
	s_mov_b32 s4, 0xc2ce8ed0
	v_cmp_ngt_f32_e32 vcc, s4, v3
	s_mov_b32 s4, 0x42b17218
	v_ldexp_f32 v6, v6, v7
	v_cndmask_b32_e32 v6, 0, v6, vcc
	v_mov_b32_e32 v7, 0x7f800000
	v_cmp_nlt_f32_e32 vcc, s4, v3
	s_mov_b32 s4, 0x3f2aaaab
	s_mov_b32 s5, 0x7f800000
	v_cndmask_b32_e32 v66, v7, v6, vcc
	v_add_f32_e32 v3, 1.0, v66
	v_add_f32_e32 v6, -1.0, v3
	v_sub_f32_e32 v7, v6, v3
	v_add_f32_e32 v7, 1.0, v7
	v_sub_f32_e32 v6, v66, v6
	v_add_f32_e32 v18, v6, v7
	v_frexp_mant_f32_e32 v19, v3
	v_cvt_f64_f32_e32 v[6:7], v3
	v_frexp_exp_i32_f64_e32 v6, v[6:7]
	v_cmp_gt_f32_e32 vcc, s4, v19
	s_mov_b32 s4, 0x3f317218
	s_nop 0
	v_subbrev_co_u32_e32 v34, vcc, 0, v6, vcc
	v_sub_u32_e32 v6, 0, v34
	v_ldexp_f32 v3, v3, v6
	v_ldexp_f32 v6, v18, v6
	v_add_f32_e32 v18, -1.0, v3
	v_add_f32_e32 v7, 1.0, v18
	v_sub_f32_e32 v7, v3, v7
	v_add_f32_e32 v19, v6, v7
	v_add_f32_e32 v7, 1.0, v3
	v_add_f32_e32 v32, -1.0, v7
	v_sub_f32_e32 v3, v3, v32
	v_add_f32_e32 v3, v6, v3
	v_add_f32_e32 v38, v7, v3
	v_rcp_f32_e32 v39, v38
	v_sub_f32_e32 v6, v7, v38
	v_add_f32_e32 v7, v18, v19
	v_add_f32_e32 v3, v3, v6
	v_mul_f32_e32 v49, v7, v39
	v_sub_f32_e32 v6, v18, v7
	v_mul_f32_e32 v18, v38, v49
	v_fma_f32 v32, v49, v38, -v18
	v_fmac_f32_e32 v32, v49, v3
	v_add_f32_e32 v48, v19, v6
	v_add_f32_e32 v6, v18, v32
	v_sub_f32_e32 v19, v7, v6
	v_pk_add_f32 v[36:37], v[6:7], v[18:19] neg_lo:[0,1] neg_hi:[0,1]
	v_mov_b32_e32 v33, v6
	v_pk_add_f32 v[6:7], v[36:37], v[32:33] neg_lo:[0,1] neg_hi:[0,1]
	v_cmp_eq_f32_e32 vcc, s5, v66
	v_add_f32_e32 v7, v48, v7
	v_add_f32_e32 v6, v6, v7
	;; [unrolled: 1-line block ×3, first 2 shown]
	v_mul_f32_e32 v48, v39, v7
	v_mul_f32_e32 v18, v38, v48
	v_fma_f32 v32, v48, v38, -v18
	v_fmac_f32_e32 v32, v48, v3
	v_sub_f32_e32 v3, v19, v7
	v_add_f32_e32 v3, v6, v3
	v_add_f32_e32 v6, v18, v32
	v_sub_f32_e32 v19, v7, v6
	v_pk_add_f32 v[36:37], v[6:7], v[18:19] neg_lo:[0,1] neg_hi:[0,1]
	v_mov_b32_e32 v33, v6
	v_pk_add_f32 v[6:7], v[36:37], v[32:33] neg_lo:[0,1] neg_hi:[0,1]
	v_cvt_f32_i32_e32 v18, v34
	v_add_f32_e32 v3, v3, v7
	v_add_f32_e32 v3, v6, v3
	;; [unrolled: 1-line block ×4, first 2 shown]
	v_sub_f32_e32 v7, v6, v49
	v_mul_f32_e32 v3, v39, v3
	v_sub_f32_e32 v7, v48, v7
	v_add_f32_e32 v3, v7, v3
	v_add_f32_e32 v19, v6, v3
	v_mul_f32_e32 v32, v19, v19
	v_mov_b32_e32 v7, 0x3ecc95a3
	v_fmac_f32_e32 v7, 0x3e9b6dac, v32
	v_sub_f32_e32 v6, v19, v6
	v_fmaak_f32 v7, v32, v7, 0x3f2aaada
	v_sub_f32_e32 v3, v3, v6
	v_ldexp_f32 v33, v19, 1
	v_mul_f32_e32 v19, v19, v32
	v_mov_b32_e32 v6, 0x3f317218
	v_pk_mul_f32 v[6:7], v[18:19], v[6:7]
	v_ldexp_f32 v3, v3, 1
	v_fma_f32 v19, v18, s4, -v6
	v_fmamk_f32 v32, v18, 0xb102e308, v19
	v_pk_add_f32 v[18:19], v[6:7], v[32:33]
	v_mov_b32_e32 v36, v6
	v_sub_f32_e32 v33, v19, v33
	v_sub_f32_e32 v33, v7, v33
	v_add_f32_e32 v37, v3, v33
	v_pk_add_f32 v[6:7], v[18:19], v[6:7] neg_lo:[0,1] neg_hi:[0,1]
	v_pk_add_f32 v[38:39], v[18:19], v[36:37]
	v_mov_b32_e32 v33, v18
	v_mov_b32_e32 v7, v39
	v_pk_add_f32 v[48:49], v[32:33], v[6:7] neg_lo:[0,1] neg_hi:[0,1]
	v_pk_add_f32 v[6:7], v[32:33], v[6:7]
	v_mov_b32_e32 v36, v37
	v_mov_b32_e32 v32, v7
	v_pk_add_f32 v[112:113], v[32:33], v[18:19] neg_lo:[0,1] neg_hi:[0,1]
	v_mov_b32_e32 v6, v39
	v_mov_b32_e32 v3, v112
	v_pk_add_f32 v[114:115], v[38:39], v[2:3] neg_lo:[0,1] neg_hi:[0,1]
	v_mov_b32_e32 v38, v19
	v_mov_b32_e32 v39, v112
	;; [unrolled: 1-line block ×3, first 2 shown]
	v_pk_add_f32 v[6:7], v[6:7], v[38:39] neg_lo:[0,1] neg_hi:[0,1]
	v_mov_b32_e32 v37, v18
	v_pk_add_f32 v[6:7], v[36:37], v[6:7] neg_lo:[0,1] neg_hi:[0,1]
	v_mov_b32_e32 v114, v48
	v_pk_add_f32 v[18:19], v[114:115], v[6:7]
	s_mov_b32 s4, 0x33800000
	v_mov_b32_e32 v34, v19
	v_pk_add_f32 v[36:37], v[18:19], v[34:35]
	v_cmp_lt_f32_e64 s[4:5], |v66|, s4
	v_pk_add_f32 v[32:33], v[32:33], v[36:37]
	v_mov_b32_e32 v7, v36
	v_mov_b32_e32 v19, v32
	v_pk_add_f32 v[38:39], v[18:19], v[48:49] neg_lo:[0,1] neg_hi:[0,1]
	s_or_b64 vcc, vcc, s[4:5]
	v_sub_f32_e32 v3, v18, v38
	v_pk_add_f32 v[6:7], v[6:7], v[38:39] neg_lo:[0,1] neg_hi:[0,1]
	v_sub_f32_e32 v3, v48, v3
	v_add_f32_e32 v3, v6, v3
	v_add_f32_e32 v3, v3, v7
	;; [unrolled: 1-line block ×3, first 2 shown]
	v_cndmask_b32_e32 v3, v3, v66, vcc
	v_add_f32_e32 v66, v2, v3
.LBB161_384:
	s_or_b64 exec, exec, s[2:3]
	v_max_f32_e32 v2, v66, v66
	v_min_f32_e32 v3, v2, v67
	v_cmp_u_f32_e32 vcc, v66, v66
	v_max_f32_e32 v2, v2, v67
	s_movk_i32 s4, 0x1f8
	v_cndmask_b32_e32 v3, v3, v66, vcc
	v_cndmask_b32_e32 v2, v2, v66, vcc
	v_cndmask_b32_e64 v3, v3, v35, s[24:25]
	v_cndmask_b32_e64 v2, v2, v35, s[24:25]
	v_cmp_neq_f32_e32 vcc, v3, v2
	v_cmp_class_f32_e64 s[2:3], v3, s4
	s_or_b64 s[6:7], vcc, s[2:3]
	v_mov_b32_e32 v67, v66
	s_and_saveexec_b64 s[2:3], s[6:7]
	s_cbranch_execz .LBB161_386
; %bb.385:
	v_sub_f32_e32 v3, v3, v2
	s_mov_b32 s5, 0x3fb8aa3b
	v_mul_f32_e32 v6, 0x3fb8aa3b, v3
	v_fma_f32 v7, v3, s5, -v6
	v_rndne_f32_e32 v18, v6
	v_fmamk_f32 v7, v3, 0x32a5705f, v7
	v_sub_f32_e32 v6, v6, v18
	v_add_f32_e32 v6, v6, v7
	v_exp_f32_e32 v6, v6
	v_cvt_i32_f32_e32 v7, v18
	s_mov_b32 s5, 0xc2ce8ed0
	v_cmp_ngt_f32_e32 vcc, s5, v3
	s_mov_b32 s5, 0x42b17218
	v_ldexp_f32 v6, v6, v7
	v_cndmask_b32_e32 v6, 0, v6, vcc
	v_mov_b32_e32 v7, 0x7f800000
	v_cmp_nlt_f32_e32 vcc, s5, v3
	s_mov_b32 s5, 0x3f2aaaab
	s_mov_b32 s6, 0x7f800000
	v_cndmask_b32_e32 v67, v7, v6, vcc
	v_add_f32_e32 v3, 1.0, v67
	v_add_f32_e32 v6, -1.0, v3
	v_sub_f32_e32 v7, v6, v3
	v_add_f32_e32 v7, 1.0, v7
	v_sub_f32_e32 v6, v67, v6
	v_add_f32_e32 v18, v6, v7
	v_frexp_mant_f32_e32 v19, v3
	v_cvt_f64_f32_e32 v[6:7], v3
	v_frexp_exp_i32_f64_e32 v6, v[6:7]
	v_cmp_gt_f32_e32 vcc, s5, v19
	s_mov_b32 s5, 0x3f317218
	s_nop 0
	v_subbrev_co_u32_e32 v36, vcc, 0, v6, vcc
	v_sub_u32_e32 v6, 0, v36
	v_ldexp_f32 v3, v3, v6
	v_ldexp_f32 v6, v18, v6
	v_add_f32_e32 v18, -1.0, v3
	v_add_f32_e32 v7, 1.0, v18
	v_sub_f32_e32 v7, v3, v7
	v_add_f32_e32 v19, v6, v7
	v_add_f32_e32 v7, 1.0, v3
	v_add_f32_e32 v32, -1.0, v7
	v_sub_f32_e32 v3, v3, v32
	v_add_f32_e32 v3, v6, v3
	v_add_f32_e32 v37, v7, v3
	v_rcp_f32_e32 v38, v37
	v_sub_f32_e32 v6, v7, v37
	v_add_f32_e32 v7, v18, v19
	v_add_f32_e32 v3, v3, v6
	v_mul_f32_e32 v48, v7, v38
	v_sub_f32_e32 v6, v18, v7
	v_mul_f32_e32 v18, v37, v48
	v_fma_f32 v32, v48, v37, -v18
	v_fmac_f32_e32 v32, v48, v3
	v_add_f32_e32 v39, v19, v6
	v_add_f32_e32 v6, v18, v32
	v_sub_f32_e32 v19, v7, v6
	v_pk_add_f32 v[34:35], v[6:7], v[18:19] neg_lo:[0,1] neg_hi:[0,1]
	v_mov_b32_e32 v33, v6
	v_pk_add_f32 v[6:7], v[34:35], v[32:33] neg_lo:[0,1] neg_hi:[0,1]
	v_cmp_eq_f32_e32 vcc, s6, v67
	v_add_f32_e32 v7, v39, v7
	v_add_f32_e32 v6, v6, v7
	;; [unrolled: 1-line block ×3, first 2 shown]
	v_mul_f32_e32 v39, v38, v7
	v_mul_f32_e32 v18, v37, v39
	v_fma_f32 v32, v39, v37, -v18
	v_fmac_f32_e32 v32, v39, v3
	v_sub_f32_e32 v3, v19, v7
	v_add_f32_e32 v3, v6, v3
	v_add_f32_e32 v6, v18, v32
	v_sub_f32_e32 v19, v7, v6
	v_pk_add_f32 v[34:35], v[6:7], v[18:19] neg_lo:[0,1] neg_hi:[0,1]
	v_mov_b32_e32 v33, v6
	v_pk_add_f32 v[6:7], v[34:35], v[32:33] neg_lo:[0,1] neg_hi:[0,1]
	v_cvt_f32_i32_e32 v18, v36
	v_add_f32_e32 v3, v3, v7
	v_add_f32_e32 v3, v6, v3
	;; [unrolled: 1-line block ×4, first 2 shown]
	v_sub_f32_e32 v7, v6, v48
	v_mul_f32_e32 v3, v38, v3
	v_sub_f32_e32 v7, v39, v7
	v_add_f32_e32 v3, v7, v3
	v_add_f32_e32 v19, v6, v3
	v_mul_f32_e32 v32, v19, v19
	v_mov_b32_e32 v7, 0x3ecc95a3
	v_fmac_f32_e32 v7, 0x3e9b6dac, v32
	v_sub_f32_e32 v6, v19, v6
	v_fmaak_f32 v7, v32, v7, 0x3f2aaada
	v_sub_f32_e32 v3, v3, v6
	v_ldexp_f32 v33, v19, 1
	v_mul_f32_e32 v19, v19, v32
	v_mov_b32_e32 v6, 0x3f317218
	v_pk_mul_f32 v[6:7], v[18:19], v[6:7]
	v_ldexp_f32 v3, v3, 1
	v_fma_f32 v19, v18, s5, -v6
	v_fmamk_f32 v32, v18, 0xb102e308, v19
	v_pk_add_f32 v[18:19], v[6:7], v[32:33]
	v_mov_b32_e32 v34, v6
	v_sub_f32_e32 v33, v19, v33
	v_sub_f32_e32 v33, v7, v33
	v_add_f32_e32 v35, v3, v33
	v_pk_add_f32 v[6:7], v[18:19], v[6:7] neg_lo:[0,1] neg_hi:[0,1]
	v_pk_add_f32 v[36:37], v[18:19], v[34:35]
	v_mov_b32_e32 v33, v18
	v_mov_b32_e32 v7, v37
	v_pk_add_f32 v[38:39], v[32:33], v[6:7] neg_lo:[0,1] neg_hi:[0,1]
	v_pk_add_f32 v[6:7], v[32:33], v[6:7]
	v_mov_b32_e32 v34, v35
	v_mov_b32_e32 v32, v7
	v_pk_add_f32 v[48:49], v[32:33], v[18:19] neg_lo:[0,1] neg_hi:[0,1]
	v_mov_b32_e32 v6, v37
	v_mov_b32_e32 v3, v48
	v_pk_add_f32 v[112:113], v[36:37], v[2:3] neg_lo:[0,1] neg_hi:[0,1]
	v_mov_b32_e32 v36, v19
	v_mov_b32_e32 v37, v48
	;; [unrolled: 1-line block ×3, first 2 shown]
	v_pk_add_f32 v[6:7], v[6:7], v[36:37] neg_lo:[0,1] neg_hi:[0,1]
	v_mov_b32_e32 v35, v18
	v_pk_add_f32 v[6:7], v[34:35], v[6:7] neg_lo:[0,1] neg_hi:[0,1]
	v_mov_b32_e32 v112, v38
	v_pk_add_f32 v[18:19], v[112:113], v[6:7]
	s_mov_b32 s5, 0x33800000
	v_mov_b32_e32 v34, v19
	v_pk_add_f32 v[34:35], v[18:19], v[34:35]
	v_cmp_lt_f32_e64 s[6:7], |v67|, s5
	v_pk_add_f32 v[32:33], v[32:33], v[34:35]
	v_mov_b32_e32 v7, v34
	v_mov_b32_e32 v19, v32
	v_pk_add_f32 v[36:37], v[18:19], v[38:39] neg_lo:[0,1] neg_hi:[0,1]
	s_or_b64 vcc, vcc, s[6:7]
	v_sub_f32_e32 v3, v18, v36
	v_pk_add_f32 v[6:7], v[6:7], v[36:37] neg_lo:[0,1] neg_hi:[0,1]
	v_sub_f32_e32 v3, v38, v3
	v_add_f32_e32 v3, v6, v3
	v_add_f32_e32 v3, v3, v7
	;; [unrolled: 1-line block ×3, first 2 shown]
	v_cndmask_b32_e32 v3, v3, v67, vcc
	v_add_f32_e32 v67, v2, v3
.LBB161_386:
	s_or_b64 exec, exec, s[2:3]
	v_max_f32_e32 v2, v67, v67
	v_min_f32_e32 v3, v2, v68
	v_cmp_u_f32_e32 vcc, v67, v67
	v_max_f32_e32 v2, v2, v68
	v_mov_b32_e32 v68, v67
	v_cndmask_b32_e32 v3, v3, v67, vcc
	v_cndmask_b32_e32 v2, v2, v67, vcc
	v_cndmask_b32_e64 v3, v3, v28, s[26:27]
	v_cndmask_b32_e64 v2, v2, v28, s[26:27]
	v_cmp_neq_f32_e32 vcc, v3, v2
	v_cmp_class_f32_e64 s[2:3], v3, s4
	s_or_b64 s[4:5], vcc, s[2:3]
	s_and_saveexec_b64 s[2:3], s[4:5]
	s_cbranch_execz .LBB161_388
; %bb.387:
	v_sub_f32_e32 v3, v3, v2
	s_mov_b32 s4, 0x3fb8aa3b
	v_mul_f32_e32 v6, 0x3fb8aa3b, v3
	v_fma_f32 v7, v3, s4, -v6
	v_rndne_f32_e32 v18, v6
	v_fmamk_f32 v7, v3, 0x32a5705f, v7
	v_sub_f32_e32 v6, v6, v18
	v_add_f32_e32 v6, v6, v7
	v_exp_f32_e32 v6, v6
	v_cvt_i32_f32_e32 v7, v18
	s_mov_b32 s4, 0xc2ce8ed0
	v_cmp_ngt_f32_e32 vcc, s4, v3
	s_mov_b32 s4, 0x42b17218
	v_ldexp_f32 v6, v6, v7
	v_cndmask_b32_e32 v6, 0, v6, vcc
	v_mov_b32_e32 v7, 0x7f800000
	v_cmp_nlt_f32_e32 vcc, s4, v3
	s_mov_b32 s4, 0x3f2aaaab
	s_mov_b32 s5, 0x7f800000
	v_cndmask_b32_e32 v68, v7, v6, vcc
	v_add_f32_e32 v3, 1.0, v68
	v_add_f32_e32 v6, -1.0, v3
	v_sub_f32_e32 v7, v6, v3
	v_add_f32_e32 v7, 1.0, v7
	v_sub_f32_e32 v6, v68, v6
	v_add_f32_e32 v18, v6, v7
	v_frexp_mant_f32_e32 v19, v3
	v_cvt_f64_f32_e32 v[6:7], v3
	v_frexp_exp_i32_f64_e32 v6, v[6:7]
	v_cmp_gt_f32_e32 vcc, s4, v19
	s_mov_b32 s4, 0x3f317218
	s_nop 0
	v_subbrev_co_u32_e32 v28, vcc, 0, v6, vcc
	v_sub_u32_e32 v6, 0, v28
	v_ldexp_f32 v3, v3, v6
	v_ldexp_f32 v6, v18, v6
	v_add_f32_e32 v18, -1.0, v3
	v_add_f32_e32 v7, 1.0, v18
	v_sub_f32_e32 v7, v3, v7
	v_add_f32_e32 v19, v6, v7
	v_add_f32_e32 v7, 1.0, v3
	v_add_f32_e32 v32, -1.0, v7
	v_sub_f32_e32 v3, v3, v32
	v_add_f32_e32 v3, v6, v3
	v_add_f32_e32 v36, v7, v3
	v_rcp_f32_e32 v37, v36
	v_sub_f32_e32 v6, v7, v36
	v_add_f32_e32 v7, v18, v19
	v_add_f32_e32 v3, v3, v6
	v_mul_f32_e32 v39, v7, v37
	v_sub_f32_e32 v6, v18, v7
	v_mul_f32_e32 v18, v36, v39
	v_fma_f32 v32, v39, v36, -v18
	v_fmac_f32_e32 v32, v39, v3
	v_add_f32_e32 v38, v19, v6
	v_add_f32_e32 v6, v18, v32
	v_sub_f32_e32 v19, v7, v6
	v_pk_add_f32 v[34:35], v[6:7], v[18:19] neg_lo:[0,1] neg_hi:[0,1]
	v_mov_b32_e32 v33, v6
	v_pk_add_f32 v[6:7], v[34:35], v[32:33] neg_lo:[0,1] neg_hi:[0,1]
	v_cmp_eq_f32_e32 vcc, s5, v68
	v_add_f32_e32 v7, v38, v7
	v_add_f32_e32 v6, v6, v7
	;; [unrolled: 1-line block ×3, first 2 shown]
	v_mul_f32_e32 v38, v37, v7
	v_mul_f32_e32 v18, v36, v38
	v_fma_f32 v32, v38, v36, -v18
	v_fmac_f32_e32 v32, v38, v3
	v_sub_f32_e32 v3, v19, v7
	v_add_f32_e32 v3, v6, v3
	v_add_f32_e32 v6, v18, v32
	v_sub_f32_e32 v19, v7, v6
	v_pk_add_f32 v[34:35], v[6:7], v[18:19] neg_lo:[0,1] neg_hi:[0,1]
	v_mov_b32_e32 v33, v6
	v_pk_add_f32 v[6:7], v[34:35], v[32:33] neg_lo:[0,1] neg_hi:[0,1]
	v_cvt_f32_i32_e32 v18, v28
	v_add_f32_e32 v3, v3, v7
	v_add_f32_e32 v3, v6, v3
	;; [unrolled: 1-line block ×4, first 2 shown]
	v_sub_f32_e32 v7, v6, v39
	v_mul_f32_e32 v3, v37, v3
	v_sub_f32_e32 v7, v38, v7
	v_add_f32_e32 v3, v7, v3
	v_add_f32_e32 v19, v6, v3
	v_mul_f32_e32 v32, v19, v19
	v_mov_b32_e32 v7, 0x3ecc95a3
	v_fmac_f32_e32 v7, 0x3e9b6dac, v32
	v_sub_f32_e32 v6, v19, v6
	v_fmaak_f32 v7, v32, v7, 0x3f2aaada
	v_sub_f32_e32 v3, v3, v6
	v_ldexp_f32 v33, v19, 1
	v_mul_f32_e32 v19, v19, v32
	v_mov_b32_e32 v6, 0x3f317218
	v_pk_mul_f32 v[6:7], v[18:19], v[6:7]
	v_ldexp_f32 v3, v3, 1
	v_fma_f32 v19, v18, s4, -v6
	v_fmamk_f32 v32, v18, 0xb102e308, v19
	v_pk_add_f32 v[18:19], v[6:7], v[32:33]
	v_mov_b32_e32 v34, v6
	v_sub_f32_e32 v28, v19, v33
	v_sub_f32_e32 v28, v7, v28
	v_add_f32_e32 v35, v3, v28
	v_pk_add_f32 v[6:7], v[18:19], v[6:7] neg_lo:[0,1] neg_hi:[0,1]
	v_pk_add_f32 v[36:37], v[18:19], v[34:35]
	v_mov_b32_e32 v33, v18
	v_mov_b32_e32 v7, v37
	v_pk_add_f32 v[38:39], v[32:33], v[6:7] neg_lo:[0,1] neg_hi:[0,1]
	v_pk_add_f32 v[6:7], v[32:33], v[6:7]
	s_mov_b32 s4, 0x33800000
	v_mov_b32_e32 v28, v7
	v_pk_add_f32 v[32:33], v[28:29], v[18:19] neg_lo:[0,1] neg_hi:[0,1]
	v_mov_b32_e32 v6, v37
	v_mov_b32_e32 v3, v32
	v_pk_add_f32 v[48:49], v[36:37], v[2:3] neg_lo:[0,1] neg_hi:[0,1]
	v_mov_b32_e32 v36, v19
	v_mov_b32_e32 v37, v32
	;; [unrolled: 1-line block ×3, first 2 shown]
	v_pk_add_f32 v[6:7], v[6:7], v[36:37] neg_lo:[0,1] neg_hi:[0,1]
	v_mov_b32_e32 v32, v35
	v_mov_b32_e32 v33, v18
	v_pk_add_f32 v[6:7], v[32:33], v[6:7] neg_lo:[0,1] neg_hi:[0,1]
	v_mov_b32_e32 v48, v38
	v_pk_add_f32 v[18:19], v[48:49], v[6:7]
	v_cmp_lt_f32_e64 s[4:5], |v68|, s4
	v_mov_b32_e32 v32, v19
	v_pk_add_f32 v[32:33], v[18:19], v[32:33]
	s_or_b64 vcc, vcc, s[4:5]
	v_pk_add_f32 v[34:35], v[28:29], v[32:33]
	v_mov_b32_e32 v7, v32
	v_mov_b32_e32 v19, v34
	v_pk_add_f32 v[36:37], v[18:19], v[38:39] neg_lo:[0,1] neg_hi:[0,1]
	s_nop 0
	v_sub_f32_e32 v3, v18, v36
	v_pk_add_f32 v[6:7], v[6:7], v[36:37] neg_lo:[0,1] neg_hi:[0,1]
	v_sub_f32_e32 v3, v38, v3
	v_add_f32_e32 v3, v6, v3
	v_add_f32_e32 v3, v3, v7
	;; [unrolled: 1-line block ×3, first 2 shown]
	v_cndmask_b32_e32 v3, v3, v68, vcc
	v_add_f32_e32 v68, v2, v3
.LBB161_388:
	s_or_b64 exec, exec, s[2:3]
	v_max_f32_e32 v2, v68, v68
	v_min_f32_e32 v3, v2, v69
	v_cmp_u_f32_e32 vcc, v68, v68
	v_max_f32_e32 v2, v2, v69
	s_movk_i32 s4, 0x1f8
	v_cndmask_b32_e32 v3, v3, v68, vcc
	v_cndmask_b32_e32 v2, v2, v68, vcc
	v_cndmask_b32_e64 v3, v3, v29, s[28:29]
	v_cndmask_b32_e64 v2, v2, v29, s[28:29]
	v_cmp_neq_f32_e32 vcc, v3, v2
	v_cmp_class_f32_e64 s[2:3], v3, s4
	s_or_b64 s[6:7], vcc, s[2:3]
	v_mov_b32_e32 v69, v68
	s_and_saveexec_b64 s[2:3], s[6:7]
	s_cbranch_execz .LBB161_390
; %bb.389:
	v_sub_f32_e32 v3, v3, v2
	s_mov_b32 s5, 0x3fb8aa3b
	v_mul_f32_e32 v6, 0x3fb8aa3b, v3
	v_fma_f32 v7, v3, s5, -v6
	v_rndne_f32_e32 v18, v6
	v_fmamk_f32 v7, v3, 0x32a5705f, v7
	v_sub_f32_e32 v6, v6, v18
	v_add_f32_e32 v6, v6, v7
	v_exp_f32_e32 v6, v6
	v_cvt_i32_f32_e32 v7, v18
	s_mov_b32 s5, 0xc2ce8ed0
	v_cmp_ngt_f32_e32 vcc, s5, v3
	s_mov_b32 s5, 0x42b17218
	v_ldexp_f32 v6, v6, v7
	v_cndmask_b32_e32 v6, 0, v6, vcc
	v_mov_b32_e32 v7, 0x7f800000
	v_cmp_nlt_f32_e32 vcc, s5, v3
	s_mov_b32 s5, 0x3f2aaaab
	s_mov_b32 s6, 0x7f800000
	v_cndmask_b32_e32 v69, v7, v6, vcc
	v_add_f32_e32 v3, 1.0, v69
	v_add_f32_e32 v6, -1.0, v3
	v_sub_f32_e32 v7, v6, v3
	v_add_f32_e32 v7, 1.0, v7
	v_sub_f32_e32 v6, v69, v6
	v_add_f32_e32 v18, v6, v7
	v_frexp_mant_f32_e32 v19, v3
	v_cvt_f64_f32_e32 v[6:7], v3
	v_frexp_exp_i32_f64_e32 v6, v[6:7]
	v_cmp_gt_f32_e32 vcc, s5, v19
	s_mov_b32 s5, 0x3f317218
	s_nop 0
	v_subbrev_co_u32_e32 v34, vcc, 0, v6, vcc
	v_sub_u32_e32 v6, 0, v34
	v_ldexp_f32 v3, v3, v6
	v_ldexp_f32 v6, v18, v6
	v_add_f32_e32 v18, -1.0, v3
	v_add_f32_e32 v7, 1.0, v18
	v_sub_f32_e32 v7, v3, v7
	v_add_f32_e32 v19, v6, v7
	v_add_f32_e32 v7, 1.0, v3
	v_add_f32_e32 v28, -1.0, v7
	v_sub_f32_e32 v3, v3, v28
	v_add_f32_e32 v3, v6, v3
	v_add_f32_e32 v35, v7, v3
	v_rcp_f32_e32 v36, v35
	v_sub_f32_e32 v6, v7, v35
	v_add_f32_e32 v7, v18, v19
	v_add_f32_e32 v3, v3, v6
	v_mul_f32_e32 v38, v7, v36
	v_sub_f32_e32 v6, v18, v7
	v_mul_f32_e32 v18, v35, v38
	v_fma_f32 v28, v38, v35, -v18
	v_fmac_f32_e32 v28, v38, v3
	v_add_f32_e32 v37, v19, v6
	v_add_f32_e32 v6, v18, v28
	v_sub_f32_e32 v19, v7, v6
	v_pk_add_f32 v[32:33], v[6:7], v[18:19] neg_lo:[0,1] neg_hi:[0,1]
	v_mov_b32_e32 v29, v6
	v_pk_add_f32 v[6:7], v[32:33], v[28:29] neg_lo:[0,1] neg_hi:[0,1]
	v_cmp_eq_f32_e32 vcc, s6, v69
	v_add_f32_e32 v7, v37, v7
	v_add_f32_e32 v6, v6, v7
	;; [unrolled: 1-line block ×3, first 2 shown]
	v_mul_f32_e32 v37, v36, v7
	v_mul_f32_e32 v18, v35, v37
	v_fma_f32 v28, v37, v35, -v18
	v_fmac_f32_e32 v28, v37, v3
	v_sub_f32_e32 v3, v19, v7
	v_add_f32_e32 v3, v6, v3
	v_add_f32_e32 v6, v18, v28
	v_sub_f32_e32 v19, v7, v6
	v_pk_add_f32 v[32:33], v[6:7], v[18:19] neg_lo:[0,1] neg_hi:[0,1]
	v_mov_b32_e32 v29, v6
	v_pk_add_f32 v[6:7], v[32:33], v[28:29] neg_lo:[0,1] neg_hi:[0,1]
	v_cvt_f32_i32_e32 v18, v34
	v_add_f32_e32 v3, v3, v7
	v_add_f32_e32 v3, v6, v3
	;; [unrolled: 1-line block ×4, first 2 shown]
	v_sub_f32_e32 v7, v6, v38
	v_mul_f32_e32 v3, v36, v3
	v_sub_f32_e32 v7, v37, v7
	v_add_f32_e32 v3, v7, v3
	v_add_f32_e32 v19, v6, v3
	v_mul_f32_e32 v28, v19, v19
	v_mov_b32_e32 v7, 0x3ecc95a3
	v_fmac_f32_e32 v7, 0x3e9b6dac, v28
	v_sub_f32_e32 v6, v19, v6
	v_fmaak_f32 v7, v28, v7, 0x3f2aaada
	v_sub_f32_e32 v3, v3, v6
	v_ldexp_f32 v29, v19, 1
	v_mul_f32_e32 v19, v19, v28
	v_mov_b32_e32 v6, 0x3f317218
	v_pk_mul_f32 v[6:7], v[18:19], v[6:7]
	v_ldexp_f32 v3, v3, 1
	v_fma_f32 v19, v18, s5, -v6
	v_fmamk_f32 v28, v18, 0xb102e308, v19
	v_pk_add_f32 v[18:19], v[6:7], v[28:29]
	v_mov_b32_e32 v32, v6
	v_sub_f32_e32 v29, v19, v29
	v_sub_f32_e32 v29, v7, v29
	v_add_f32_e32 v33, v3, v29
	v_pk_add_f32 v[6:7], v[18:19], v[6:7] neg_lo:[0,1] neg_hi:[0,1]
	v_pk_add_f32 v[34:35], v[18:19], v[32:33]
	v_mov_b32_e32 v29, v18
	v_mov_b32_e32 v7, v35
	v_pk_add_f32 v[36:37], v[28:29], v[6:7] neg_lo:[0,1] neg_hi:[0,1]
	v_pk_add_f32 v[6:7], v[28:29], v[6:7]
	v_mov_b32_e32 v32, v33
	v_mov_b32_e32 v28, v7
	v_pk_add_f32 v[38:39], v[28:29], v[18:19] neg_lo:[0,1] neg_hi:[0,1]
	v_mov_b32_e32 v6, v35
	v_mov_b32_e32 v3, v38
	v_pk_add_f32 v[48:49], v[34:35], v[2:3] neg_lo:[0,1] neg_hi:[0,1]
	v_mov_b32_e32 v34, v19
	v_mov_b32_e32 v35, v38
	;; [unrolled: 1-line block ×3, first 2 shown]
	v_pk_add_f32 v[6:7], v[6:7], v[34:35] neg_lo:[0,1] neg_hi:[0,1]
	v_mov_b32_e32 v33, v18
	v_pk_add_f32 v[6:7], v[32:33], v[6:7] neg_lo:[0,1] neg_hi:[0,1]
	v_mov_b32_e32 v48, v36
	v_pk_add_f32 v[18:19], v[48:49], v[6:7]
	s_mov_b32 s5, 0x33800000
	v_mov_b32_e32 v32, v19
	v_pk_add_f32 v[32:33], v[18:19], v[32:33]
	v_cmp_lt_f32_e64 s[6:7], |v69|, s5
	v_pk_add_f32 v[28:29], v[28:29], v[32:33]
	v_mov_b32_e32 v7, v32
	v_mov_b32_e32 v19, v28
	v_pk_add_f32 v[34:35], v[18:19], v[36:37] neg_lo:[0,1] neg_hi:[0,1]
	s_or_b64 vcc, vcc, s[6:7]
	v_sub_f32_e32 v3, v18, v34
	v_pk_add_f32 v[6:7], v[6:7], v[34:35] neg_lo:[0,1] neg_hi:[0,1]
	v_sub_f32_e32 v3, v36, v3
	v_add_f32_e32 v3, v6, v3
	v_add_f32_e32 v3, v3, v7
	;; [unrolled: 1-line block ×3, first 2 shown]
	v_cndmask_b32_e32 v3, v3, v69, vcc
	v_add_f32_e32 v69, v2, v3
.LBB161_390:
	s_or_b64 exec, exec, s[2:3]
	v_max_f32_e32 v2, v69, v69
	v_min_f32_e32 v3, v2, v70
	v_cmp_u_f32_e32 vcc, v69, v69
	v_max_f32_e32 v2, v2, v70
	v_mov_b32_e32 v70, v69
	v_cndmask_b32_e32 v3, v3, v69, vcc
	v_cndmask_b32_e32 v2, v2, v69, vcc
	v_cndmask_b32_e64 v3, v3, v30, s[30:31]
	v_cndmask_b32_e64 v2, v2, v30, s[30:31]
	v_cmp_neq_f32_e32 vcc, v3, v2
	v_cmp_class_f32_e64 s[2:3], v3, s4
	s_or_b64 s[4:5], vcc, s[2:3]
	s_and_saveexec_b64 s[2:3], s[4:5]
	s_cbranch_execz .LBB161_392
; %bb.391:
	v_sub_f32_e32 v3, v3, v2
	s_mov_b32 s4, 0x3fb8aa3b
	v_mul_f32_e32 v6, 0x3fb8aa3b, v3
	v_fma_f32 v7, v3, s4, -v6
	v_rndne_f32_e32 v18, v6
	v_fmamk_f32 v7, v3, 0x32a5705f, v7
	v_sub_f32_e32 v6, v6, v18
	v_add_f32_e32 v6, v6, v7
	v_exp_f32_e32 v6, v6
	v_cvt_i32_f32_e32 v7, v18
	s_mov_b32 s4, 0xc2ce8ed0
	v_cmp_ngt_f32_e32 vcc, s4, v3
	s_mov_b32 s4, 0x42b17218
	v_ldexp_f32 v6, v6, v7
	v_cndmask_b32_e32 v6, 0, v6, vcc
	v_mov_b32_e32 v7, 0x7f800000
	v_cmp_nlt_f32_e32 vcc, s4, v3
	s_mov_b32 s4, 0x3f2aaaab
	s_mov_b32 s5, 0x7f800000
	v_cndmask_b32_e32 v70, v7, v6, vcc
	v_add_f32_e32 v3, 1.0, v70
	v_add_f32_e32 v6, -1.0, v3
	v_sub_f32_e32 v7, v6, v3
	v_add_f32_e32 v7, 1.0, v7
	v_sub_f32_e32 v6, v70, v6
	v_add_f32_e32 v18, v6, v7
	v_frexp_mant_f32_e32 v19, v3
	v_cvt_f64_f32_e32 v[6:7], v3
	v_frexp_exp_i32_f64_e32 v6, v[6:7]
	v_cmp_gt_f32_e32 vcc, s4, v19
	s_mov_b32 s4, 0x3f317218
	s_nop 0
	v_subbrev_co_u32_e32 v30, vcc, 0, v6, vcc
	v_sub_u32_e32 v6, 0, v30
	v_ldexp_f32 v3, v3, v6
	v_ldexp_f32 v6, v18, v6
	v_add_f32_e32 v18, -1.0, v3
	v_add_f32_e32 v7, 1.0, v18
	v_sub_f32_e32 v7, v3, v7
	v_add_f32_e32 v19, v6, v7
	v_add_f32_e32 v7, 1.0, v3
	v_add_f32_e32 v28, -1.0, v7
	v_sub_f32_e32 v3, v3, v28
	v_add_f32_e32 v3, v6, v3
	v_add_f32_e32 v34, v7, v3
	v_rcp_f32_e32 v35, v34
	v_sub_f32_e32 v6, v7, v34
	v_add_f32_e32 v7, v18, v19
	v_add_f32_e32 v3, v3, v6
	v_mul_f32_e32 v37, v7, v35
	v_sub_f32_e32 v6, v18, v7
	v_mul_f32_e32 v18, v34, v37
	v_fma_f32 v28, v37, v34, -v18
	v_fmac_f32_e32 v28, v37, v3
	v_add_f32_e32 v36, v19, v6
	v_add_f32_e32 v6, v18, v28
	v_sub_f32_e32 v19, v7, v6
	v_pk_add_f32 v[32:33], v[6:7], v[18:19] neg_lo:[0,1] neg_hi:[0,1]
	v_mov_b32_e32 v29, v6
	v_pk_add_f32 v[6:7], v[32:33], v[28:29] neg_lo:[0,1] neg_hi:[0,1]
	v_cmp_eq_f32_e32 vcc, s5, v70
	v_add_f32_e32 v7, v36, v7
	v_add_f32_e32 v6, v6, v7
	;; [unrolled: 1-line block ×3, first 2 shown]
	v_mul_f32_e32 v36, v35, v7
	v_mul_f32_e32 v18, v34, v36
	v_fma_f32 v28, v36, v34, -v18
	v_fmac_f32_e32 v28, v36, v3
	v_sub_f32_e32 v3, v19, v7
	v_add_f32_e32 v3, v6, v3
	v_add_f32_e32 v6, v18, v28
	v_sub_f32_e32 v19, v7, v6
	v_pk_add_f32 v[32:33], v[6:7], v[18:19] neg_lo:[0,1] neg_hi:[0,1]
	v_mov_b32_e32 v29, v6
	v_pk_add_f32 v[6:7], v[32:33], v[28:29] neg_lo:[0,1] neg_hi:[0,1]
	v_cvt_f32_i32_e32 v18, v30
	v_add_f32_e32 v3, v3, v7
	v_add_f32_e32 v3, v6, v3
	;; [unrolled: 1-line block ×4, first 2 shown]
	v_sub_f32_e32 v7, v6, v37
	v_mul_f32_e32 v3, v35, v3
	v_sub_f32_e32 v7, v36, v7
	v_add_f32_e32 v3, v7, v3
	v_add_f32_e32 v19, v6, v3
	v_mul_f32_e32 v28, v19, v19
	v_mov_b32_e32 v7, 0x3ecc95a3
	v_fmac_f32_e32 v7, 0x3e9b6dac, v28
	v_sub_f32_e32 v6, v19, v6
	v_fmaak_f32 v7, v28, v7, 0x3f2aaada
	v_sub_f32_e32 v3, v3, v6
	v_ldexp_f32 v29, v19, 1
	v_mul_f32_e32 v19, v19, v28
	v_mov_b32_e32 v6, 0x3f317218
	v_pk_mul_f32 v[6:7], v[18:19], v[6:7]
	v_ldexp_f32 v3, v3, 1
	v_fma_f32 v19, v18, s4, -v6
	v_fmamk_f32 v28, v18, 0xb102e308, v19
	v_pk_add_f32 v[18:19], v[6:7], v[28:29]
	v_mov_b32_e32 v32, v6
	v_sub_f32_e32 v29, v19, v29
	v_sub_f32_e32 v29, v7, v29
	v_add_f32_e32 v33, v3, v29
	v_pk_add_f32 v[6:7], v[18:19], v[6:7] neg_lo:[0,1] neg_hi:[0,1]
	v_pk_add_f32 v[34:35], v[18:19], v[32:33]
	v_mov_b32_e32 v29, v18
	v_mov_b32_e32 v7, v35
	v_pk_add_f32 v[36:37], v[28:29], v[6:7] neg_lo:[0,1] neg_hi:[0,1]
	v_pk_add_f32 v[6:7], v[28:29], v[6:7]
	v_mov_b32_e32 v32, v33
	v_mov_b32_e32 v28, v7
	v_pk_add_f32 v[38:39], v[28:29], v[18:19] neg_lo:[0,1] neg_hi:[0,1]
	v_mov_b32_e32 v6, v35
	v_mov_b32_e32 v3, v38
	v_pk_add_f32 v[48:49], v[34:35], v[2:3] neg_lo:[0,1] neg_hi:[0,1]
	v_mov_b32_e32 v34, v19
	v_mov_b32_e32 v35, v38
	;; [unrolled: 1-line block ×3, first 2 shown]
	v_pk_add_f32 v[6:7], v[6:7], v[34:35] neg_lo:[0,1] neg_hi:[0,1]
	v_mov_b32_e32 v33, v18
	v_pk_add_f32 v[6:7], v[32:33], v[6:7] neg_lo:[0,1] neg_hi:[0,1]
	v_mov_b32_e32 v48, v36
	v_pk_add_f32 v[18:19], v[48:49], v[6:7]
	s_mov_b32 s4, 0x33800000
	v_mov_b32_e32 v30, v19
	v_pk_add_f32 v[32:33], v[18:19], v[30:31]
	v_cmp_lt_f32_e64 s[4:5], |v70|, s4
	v_pk_add_f32 v[28:29], v[28:29], v[32:33]
	v_mov_b32_e32 v7, v32
	v_mov_b32_e32 v19, v28
	v_pk_add_f32 v[34:35], v[18:19], v[36:37] neg_lo:[0,1] neg_hi:[0,1]
	s_or_b64 vcc, vcc, s[4:5]
	v_sub_f32_e32 v3, v18, v34
	v_pk_add_f32 v[6:7], v[6:7], v[34:35] neg_lo:[0,1] neg_hi:[0,1]
	v_sub_f32_e32 v3, v36, v3
	v_add_f32_e32 v3, v6, v3
	v_add_f32_e32 v3, v3, v7
	;; [unrolled: 1-line block ×3, first 2 shown]
	v_cndmask_b32_e32 v3, v3, v70, vcc
	v_add_f32_e32 v70, v2, v3
.LBB161_392:
	s_or_b64 exec, exec, s[2:3]
	v_max_f32_e32 v2, v70, v70
	v_min_f32_e32 v3, v2, v71
	v_cmp_u_f32_e32 vcc, v70, v70
	v_max_f32_e32 v2, v2, v71
	s_movk_i32 s4, 0x1f8
	v_cndmask_b32_e32 v3, v3, v70, vcc
	v_cndmask_b32_e32 v2, v2, v70, vcc
	v_cndmask_b32_e64 v3, v3, v31, s[34:35]
	v_cndmask_b32_e64 v2, v2, v31, s[34:35]
	v_cmp_neq_f32_e32 vcc, v3, v2
	v_cmp_class_f32_e64 s[2:3], v3, s4
	s_or_b64 s[6:7], vcc, s[2:3]
	v_mov_b32_e32 v71, v70
	s_and_saveexec_b64 s[2:3], s[6:7]
	s_cbranch_execz .LBB161_394
; %bb.393:
	v_sub_f32_e32 v3, v3, v2
	s_mov_b32 s5, 0x3fb8aa3b
	v_mul_f32_e32 v6, 0x3fb8aa3b, v3
	v_fma_f32 v7, v3, s5, -v6
	v_rndne_f32_e32 v18, v6
	v_fmamk_f32 v7, v3, 0x32a5705f, v7
	v_sub_f32_e32 v6, v6, v18
	v_add_f32_e32 v6, v6, v7
	v_exp_f32_e32 v6, v6
	v_cvt_i32_f32_e32 v7, v18
	s_mov_b32 s5, 0xc2ce8ed0
	v_cmp_ngt_f32_e32 vcc, s5, v3
	s_mov_b32 s5, 0x42b17218
	v_ldexp_f32 v6, v6, v7
	v_cndmask_b32_e32 v6, 0, v6, vcc
	v_mov_b32_e32 v7, 0x7f800000
	v_cmp_nlt_f32_e32 vcc, s5, v3
	s_mov_b32 s5, 0x3f2aaaab
	s_mov_b32 s6, 0x7f800000
	v_cndmask_b32_e32 v48, v7, v6, vcc
	v_add_f32_e32 v3, 1.0, v48
	v_add_f32_e32 v6, -1.0, v3
	v_sub_f32_e32 v7, v6, v3
	v_add_f32_e32 v7, 1.0, v7
	v_sub_f32_e32 v6, v48, v6
	v_add_f32_e32 v18, v6, v7
	v_frexp_mant_f32_e32 v19, v3
	v_cvt_f64_f32_e32 v[6:7], v3
	v_frexp_exp_i32_f64_e32 v6, v[6:7]
	v_cmp_gt_f32_e32 vcc, s5, v19
	s_mov_b32 s5, 0x3f317218
	s_nop 0
	v_subbrev_co_u32_e32 v32, vcc, 0, v6, vcc
	v_sub_u32_e32 v6, 0, v32
	v_ldexp_f32 v3, v3, v6
	v_ldexp_f32 v6, v18, v6
	v_add_f32_e32 v18, -1.0, v3
	v_add_f32_e32 v7, 1.0, v18
	v_sub_f32_e32 v7, v3, v7
	v_add_f32_e32 v19, v6, v7
	v_add_f32_e32 v7, 1.0, v3
	v_add_f32_e32 v28, -1.0, v7
	v_sub_f32_e32 v3, v3, v28
	v_add_f32_e32 v3, v6, v3
	v_add_f32_e32 v33, v7, v3
	v_rcp_f32_e32 v34, v33
	v_sub_f32_e32 v6, v7, v33
	v_add_f32_e32 v7, v18, v19
	v_add_f32_e32 v3, v3, v6
	v_mul_f32_e32 v36, v7, v34
	v_sub_f32_e32 v6, v18, v7
	v_mul_f32_e32 v18, v33, v36
	v_fma_f32 v28, v36, v33, -v18
	v_fmac_f32_e32 v28, v36, v3
	v_add_f32_e32 v35, v19, v6
	v_add_f32_e32 v6, v18, v28
	v_sub_f32_e32 v19, v7, v6
	v_pk_add_f32 v[30:31], v[6:7], v[18:19] neg_lo:[0,1] neg_hi:[0,1]
	v_mov_b32_e32 v29, v6
	v_pk_add_f32 v[6:7], v[30:31], v[28:29] neg_lo:[0,1] neg_hi:[0,1]
	v_cmp_eq_f32_e32 vcc, s6, v48
	v_add_f32_e32 v7, v35, v7
	v_add_f32_e32 v6, v6, v7
	;; [unrolled: 1-line block ×3, first 2 shown]
	v_mul_f32_e32 v35, v34, v7
	v_mul_f32_e32 v18, v33, v35
	v_fma_f32 v28, v35, v33, -v18
	v_fmac_f32_e32 v28, v35, v3
	v_sub_f32_e32 v3, v19, v7
	v_add_f32_e32 v3, v6, v3
	v_add_f32_e32 v6, v18, v28
	v_sub_f32_e32 v19, v7, v6
	v_pk_add_f32 v[30:31], v[6:7], v[18:19] neg_lo:[0,1] neg_hi:[0,1]
	v_mov_b32_e32 v29, v6
	v_pk_add_f32 v[6:7], v[30:31], v[28:29] neg_lo:[0,1] neg_hi:[0,1]
	v_cvt_f32_i32_e32 v18, v32
	v_add_f32_e32 v3, v3, v7
	v_add_f32_e32 v3, v6, v3
	;; [unrolled: 1-line block ×4, first 2 shown]
	v_sub_f32_e32 v7, v6, v36
	v_mul_f32_e32 v3, v34, v3
	v_sub_f32_e32 v7, v35, v7
	v_add_f32_e32 v3, v7, v3
	v_add_f32_e32 v19, v6, v3
	v_mul_f32_e32 v28, v19, v19
	v_mov_b32_e32 v7, 0x3ecc95a3
	v_fmac_f32_e32 v7, 0x3e9b6dac, v28
	v_sub_f32_e32 v6, v19, v6
	v_fmaak_f32 v7, v28, v7, 0x3f2aaada
	v_sub_f32_e32 v3, v3, v6
	v_ldexp_f32 v29, v19, 1
	v_mul_f32_e32 v19, v19, v28
	v_mov_b32_e32 v6, 0x3f317218
	v_pk_mul_f32 v[6:7], v[18:19], v[6:7]
	v_ldexp_f32 v3, v3, 1
	v_fma_f32 v19, v18, s5, -v6
	v_fmamk_f32 v28, v18, 0xb102e308, v19
	v_pk_add_f32 v[18:19], v[6:7], v[28:29]
	v_mov_b32_e32 v30, v6
	v_sub_f32_e32 v29, v19, v29
	v_sub_f32_e32 v29, v7, v29
	v_add_f32_e32 v31, v3, v29
	v_pk_add_f32 v[6:7], v[18:19], v[6:7] neg_lo:[0,1] neg_hi:[0,1]
	v_pk_add_f32 v[32:33], v[18:19], v[30:31]
	v_mov_b32_e32 v29, v18
	v_mov_b32_e32 v7, v33
	v_pk_add_f32 v[34:35], v[28:29], v[6:7] neg_lo:[0,1] neg_hi:[0,1]
	v_pk_add_f32 v[6:7], v[28:29], v[6:7]
	v_mov_b32_e32 v30, v31
	v_mov_b32_e32 v28, v7
	v_pk_add_f32 v[36:37], v[28:29], v[18:19] neg_lo:[0,1] neg_hi:[0,1]
	v_mov_b32_e32 v6, v33
	v_mov_b32_e32 v3, v36
	v_pk_add_f32 v[38:39], v[32:33], v[2:3] neg_lo:[0,1] neg_hi:[0,1]
	v_mov_b32_e32 v32, v19
	v_mov_b32_e32 v33, v36
	;; [unrolled: 1-line block ×3, first 2 shown]
	v_pk_add_f32 v[6:7], v[6:7], v[32:33] neg_lo:[0,1] neg_hi:[0,1]
	v_mov_b32_e32 v31, v18
	v_pk_add_f32 v[6:7], v[30:31], v[6:7] neg_lo:[0,1] neg_hi:[0,1]
	v_mov_b32_e32 v38, v34
	v_pk_add_f32 v[18:19], v[38:39], v[6:7]
	s_mov_b32 s5, 0x33800000
	v_mov_b32_e32 v30, v19
	v_pk_add_f32 v[30:31], v[18:19], v[30:31]
	v_cmp_lt_f32_e64 s[6:7], |v48|, s5
	v_pk_add_f32 v[28:29], v[28:29], v[30:31]
	v_mov_b32_e32 v7, v30
	v_mov_b32_e32 v19, v28
	v_pk_add_f32 v[32:33], v[18:19], v[34:35] neg_lo:[0,1] neg_hi:[0,1]
	s_or_b64 vcc, vcc, s[6:7]
	v_sub_f32_e32 v3, v18, v32
	v_pk_add_f32 v[6:7], v[6:7], v[32:33] neg_lo:[0,1] neg_hi:[0,1]
	v_sub_f32_e32 v3, v34, v3
	v_add_f32_e32 v3, v6, v3
	v_add_f32_e32 v3, v3, v7
	;; [unrolled: 1-line block ×3, first 2 shown]
	v_cndmask_b32_e32 v3, v3, v48, vcc
	v_add_f32_e32 v71, v2, v3
.LBB161_394:
	s_or_b64 exec, exec, s[2:3]
	v_max_f32_e32 v2, v71, v71
	v_min_f32_e32 v3, v2, v80
	v_cmp_u_f32_e32 vcc, v71, v71
	v_max_f32_e32 v2, v2, v80
	v_mov_b32_e32 v80, v71
	v_cndmask_b32_e32 v3, v3, v71, vcc
	v_cndmask_b32_e32 v2, v2, v71, vcc
	v_cndmask_b32_e64 v3, v3, v24, s[36:37]
	v_cndmask_b32_e64 v2, v2, v24, s[36:37]
	v_cmp_neq_f32_e32 vcc, v3, v2
	v_cmp_class_f32_e64 s[2:3], v3, s4
	s_or_b64 s[4:5], vcc, s[2:3]
	s_and_saveexec_b64 s[2:3], s[4:5]
	s_cbranch_execz .LBB161_396
; %bb.395:
	v_sub_f32_e32 v3, v3, v2
	s_mov_b32 s4, 0x3fb8aa3b
	v_mul_f32_e32 v6, 0x3fb8aa3b, v3
	v_fma_f32 v7, v3, s4, -v6
	v_rndne_f32_e32 v18, v6
	v_fmamk_f32 v7, v3, 0x32a5705f, v7
	v_sub_f32_e32 v6, v6, v18
	v_add_f32_e32 v6, v6, v7
	v_exp_f32_e32 v6, v6
	v_cvt_i32_f32_e32 v7, v18
	s_mov_b32 s4, 0xc2ce8ed0
	v_cmp_ngt_f32_e32 vcc, s4, v3
	s_mov_b32 s4, 0x42b17218
	v_ldexp_f32 v6, v6, v7
	v_cndmask_b32_e32 v6, 0, v6, vcc
	v_mov_b32_e32 v7, 0x7f800000
	v_cmp_nlt_f32_e32 vcc, s4, v3
	s_mov_b32 s4, 0x3f2aaaab
	s_mov_b32 s5, 0x7f800000
	v_cndmask_b32_e32 v38, v7, v6, vcc
	v_add_f32_e32 v3, 1.0, v38
	v_add_f32_e32 v6, -1.0, v3
	v_sub_f32_e32 v7, v6, v3
	v_add_f32_e32 v7, 1.0, v7
	v_sub_f32_e32 v6, v38, v6
	v_add_f32_e32 v18, v6, v7
	v_frexp_mant_f32_e32 v19, v3
	v_cvt_f64_f32_e32 v[6:7], v3
	v_frexp_exp_i32_f64_e32 v6, v[6:7]
	v_cmp_gt_f32_e32 vcc, s4, v19
	s_mov_b32 s4, 0x3f317218
	s_nop 0
	v_subbrev_co_u32_e32 v24, vcc, 0, v6, vcc
	v_sub_u32_e32 v6, 0, v24
	v_ldexp_f32 v3, v3, v6
	v_ldexp_f32 v6, v18, v6
	v_add_f32_e32 v18, -1.0, v3
	v_add_f32_e32 v7, 1.0, v18
	v_sub_f32_e32 v7, v3, v7
	v_add_f32_e32 v19, v6, v7
	v_add_f32_e32 v7, 1.0, v3
	v_add_f32_e32 v28, -1.0, v7
	v_sub_f32_e32 v3, v3, v28
	v_add_f32_e32 v3, v6, v3
	v_add_f32_e32 v32, v7, v3
	v_rcp_f32_e32 v33, v32
	v_sub_f32_e32 v6, v7, v32
	v_add_f32_e32 v7, v18, v19
	v_add_f32_e32 v3, v3, v6
	v_mul_f32_e32 v35, v7, v33
	v_sub_f32_e32 v6, v18, v7
	v_mul_f32_e32 v18, v32, v35
	v_fma_f32 v28, v35, v32, -v18
	v_fmac_f32_e32 v28, v35, v3
	v_add_f32_e32 v34, v19, v6
	v_add_f32_e32 v6, v18, v28
	v_sub_f32_e32 v19, v7, v6
	v_pk_add_f32 v[30:31], v[6:7], v[18:19] neg_lo:[0,1] neg_hi:[0,1]
	v_mov_b32_e32 v29, v6
	v_pk_add_f32 v[6:7], v[30:31], v[28:29] neg_lo:[0,1] neg_hi:[0,1]
	v_cmp_eq_f32_e32 vcc, s5, v38
	v_add_f32_e32 v7, v34, v7
	v_add_f32_e32 v6, v6, v7
	v_add_f32_e32 v7, v19, v6
	v_mul_f32_e32 v34, v33, v7
	v_mul_f32_e32 v18, v32, v34
	v_fma_f32 v28, v34, v32, -v18
	v_fmac_f32_e32 v28, v34, v3
	v_sub_f32_e32 v3, v19, v7
	v_add_f32_e32 v3, v6, v3
	v_add_f32_e32 v6, v18, v28
	v_sub_f32_e32 v19, v7, v6
	v_pk_add_f32 v[30:31], v[6:7], v[18:19] neg_lo:[0,1] neg_hi:[0,1]
	v_mov_b32_e32 v29, v6
	v_pk_add_f32 v[6:7], v[30:31], v[28:29] neg_lo:[0,1] neg_hi:[0,1]
	v_cvt_f32_i32_e32 v18, v24
	v_add_f32_e32 v3, v3, v7
	v_add_f32_e32 v3, v6, v3
	;; [unrolled: 1-line block ×4, first 2 shown]
	v_sub_f32_e32 v7, v6, v35
	v_mul_f32_e32 v3, v33, v3
	v_sub_f32_e32 v7, v34, v7
	v_add_f32_e32 v3, v7, v3
	v_add_f32_e32 v19, v6, v3
	v_mul_f32_e32 v28, v19, v19
	v_mov_b32_e32 v7, 0x3ecc95a3
	v_fmac_f32_e32 v7, 0x3e9b6dac, v28
	v_sub_f32_e32 v6, v19, v6
	v_fmaak_f32 v7, v28, v7, 0x3f2aaada
	v_sub_f32_e32 v3, v3, v6
	v_ldexp_f32 v29, v19, 1
	v_mul_f32_e32 v19, v19, v28
	v_mov_b32_e32 v6, 0x3f317218
	v_pk_mul_f32 v[6:7], v[18:19], v[6:7]
	v_ldexp_f32 v3, v3, 1
	v_fma_f32 v19, v18, s4, -v6
	v_fmamk_f32 v28, v18, 0xb102e308, v19
	v_pk_add_f32 v[18:19], v[6:7], v[28:29]
	v_mov_b32_e32 v30, v6
	v_sub_f32_e32 v24, v19, v29
	v_sub_f32_e32 v24, v7, v24
	v_add_f32_e32 v31, v3, v24
	v_pk_add_f32 v[6:7], v[18:19], v[6:7] neg_lo:[0,1] neg_hi:[0,1]
	v_pk_add_f32 v[32:33], v[18:19], v[30:31]
	v_mov_b32_e32 v29, v18
	v_mov_b32_e32 v7, v33
	v_pk_add_f32 v[34:35], v[28:29], v[6:7] neg_lo:[0,1] neg_hi:[0,1]
	v_pk_add_f32 v[6:7], v[28:29], v[6:7]
	s_mov_b32 s4, 0x33800000
	v_mov_b32_e32 v24, v7
	v_pk_add_f32 v[28:29], v[24:25], v[18:19] neg_lo:[0,1] neg_hi:[0,1]
	v_mov_b32_e32 v6, v33
	v_mov_b32_e32 v3, v28
	v_pk_add_f32 v[36:37], v[32:33], v[2:3] neg_lo:[0,1] neg_hi:[0,1]
	v_mov_b32_e32 v32, v19
	v_mov_b32_e32 v33, v28
	;; [unrolled: 1-line block ×3, first 2 shown]
	v_pk_add_f32 v[6:7], v[6:7], v[32:33] neg_lo:[0,1] neg_hi:[0,1]
	v_mov_b32_e32 v28, v31
	v_mov_b32_e32 v29, v18
	v_pk_add_f32 v[6:7], v[28:29], v[6:7] neg_lo:[0,1] neg_hi:[0,1]
	v_mov_b32_e32 v36, v34
	v_pk_add_f32 v[18:19], v[36:37], v[6:7]
	v_cmp_lt_f32_e64 s[4:5], |v38|, s4
	v_mov_b32_e32 v28, v19
	v_pk_add_f32 v[28:29], v[18:19], v[28:29]
	s_or_b64 vcc, vcc, s[4:5]
	v_pk_add_f32 v[30:31], v[24:25], v[28:29]
	v_mov_b32_e32 v7, v28
	v_mov_b32_e32 v19, v30
	v_pk_add_f32 v[32:33], v[18:19], v[34:35] neg_lo:[0,1] neg_hi:[0,1]
	s_nop 0
	v_sub_f32_e32 v3, v18, v32
	v_pk_add_f32 v[6:7], v[6:7], v[32:33] neg_lo:[0,1] neg_hi:[0,1]
	v_sub_f32_e32 v3, v34, v3
	v_add_f32_e32 v3, v6, v3
	v_add_f32_e32 v3, v3, v7
	;; [unrolled: 1-line block ×3, first 2 shown]
	v_cndmask_b32_e32 v3, v3, v38, vcc
	v_add_f32_e32 v80, v2, v3
.LBB161_396:
	s_or_b64 exec, exec, s[2:3]
	v_max_f32_e32 v2, v80, v80
	v_min_f32_e32 v3, v2, v81
	v_cmp_u_f32_e32 vcc, v80, v80
	v_max_f32_e32 v2, v2, v81
	s_movk_i32 s4, 0x1f8
	v_cndmask_b32_e32 v3, v3, v80, vcc
	v_cndmask_b32_e32 v2, v2, v80, vcc
	v_cndmask_b32_e64 v3, v3, v25, s[38:39]
	v_cndmask_b32_e64 v2, v2, v25, s[38:39]
	v_cmp_neq_f32_e32 vcc, v3, v2
	v_cmp_class_f32_e64 s[2:3], v3, s4
	s_or_b64 s[6:7], vcc, s[2:3]
	v_mov_b32_e32 v81, v80
	s_and_saveexec_b64 s[2:3], s[6:7]
	s_cbranch_execz .LBB161_398
; %bb.397:
	v_sub_f32_e32 v3, v3, v2
	s_mov_b32 s5, 0x3fb8aa3b
	v_mul_f32_e32 v6, 0x3fb8aa3b, v3
	v_fma_f32 v7, v3, s5, -v6
	v_rndne_f32_e32 v18, v6
	v_fmamk_f32 v7, v3, 0x32a5705f, v7
	v_sub_f32_e32 v6, v6, v18
	v_add_f32_e32 v6, v6, v7
	v_exp_f32_e32 v6, v6
	v_cvt_i32_f32_e32 v7, v18
	s_mov_b32 s5, 0xc2ce8ed0
	v_cmp_ngt_f32_e32 vcc, s5, v3
	s_mov_b32 s5, 0x42b17218
	v_ldexp_f32 v6, v6, v7
	v_cndmask_b32_e32 v6, 0, v6, vcc
	v_mov_b32_e32 v7, 0x7f800000
	v_cmp_nlt_f32_e32 vcc, s5, v3
	s_mov_b32 s5, 0x3f2aaaab
	s_mov_b32 s6, 0x7f800000
	v_cndmask_b32_e32 v38, v7, v6, vcc
	v_add_f32_e32 v3, 1.0, v38
	v_add_f32_e32 v6, -1.0, v3
	v_sub_f32_e32 v7, v6, v3
	v_add_f32_e32 v7, 1.0, v7
	v_sub_f32_e32 v6, v38, v6
	v_add_f32_e32 v18, v6, v7
	v_frexp_mant_f32_e32 v19, v3
	v_cvt_f64_f32_e32 v[6:7], v3
	v_frexp_exp_i32_f64_e32 v6, v[6:7]
	v_cmp_gt_f32_e32 vcc, s5, v19
	s_mov_b32 s5, 0x3f317218
	s_nop 0
	v_subbrev_co_u32_e32 v30, vcc, 0, v6, vcc
	v_sub_u32_e32 v6, 0, v30
	v_ldexp_f32 v3, v3, v6
	v_ldexp_f32 v6, v18, v6
	v_add_f32_e32 v18, -1.0, v3
	v_add_f32_e32 v7, 1.0, v18
	v_sub_f32_e32 v7, v3, v7
	v_add_f32_e32 v19, v6, v7
	v_add_f32_e32 v7, 1.0, v3
	v_add_f32_e32 v24, -1.0, v7
	v_sub_f32_e32 v3, v3, v24
	v_add_f32_e32 v3, v6, v3
	v_add_f32_e32 v31, v7, v3
	v_rcp_f32_e32 v32, v31
	v_sub_f32_e32 v6, v7, v31
	v_add_f32_e32 v7, v18, v19
	v_add_f32_e32 v3, v3, v6
	v_mul_f32_e32 v34, v7, v32
	v_sub_f32_e32 v6, v18, v7
	v_mul_f32_e32 v18, v31, v34
	v_fma_f32 v24, v34, v31, -v18
	v_fmac_f32_e32 v24, v34, v3
	v_add_f32_e32 v33, v19, v6
	v_add_f32_e32 v6, v18, v24
	v_sub_f32_e32 v19, v7, v6
	v_pk_add_f32 v[28:29], v[6:7], v[18:19] neg_lo:[0,1] neg_hi:[0,1]
	v_mov_b32_e32 v25, v6
	v_pk_add_f32 v[6:7], v[28:29], v[24:25] neg_lo:[0,1] neg_hi:[0,1]
	v_cmp_eq_f32_e32 vcc, s6, v38
	v_add_f32_e32 v7, v33, v7
	v_add_f32_e32 v6, v6, v7
	;; [unrolled: 1-line block ×3, first 2 shown]
	v_mul_f32_e32 v33, v32, v7
	v_mul_f32_e32 v18, v31, v33
	v_fma_f32 v24, v33, v31, -v18
	v_fmac_f32_e32 v24, v33, v3
	v_sub_f32_e32 v3, v19, v7
	v_add_f32_e32 v3, v6, v3
	v_add_f32_e32 v6, v18, v24
	v_sub_f32_e32 v19, v7, v6
	v_pk_add_f32 v[28:29], v[6:7], v[18:19] neg_lo:[0,1] neg_hi:[0,1]
	v_mov_b32_e32 v25, v6
	v_pk_add_f32 v[6:7], v[28:29], v[24:25] neg_lo:[0,1] neg_hi:[0,1]
	v_cvt_f32_i32_e32 v18, v30
	v_add_f32_e32 v3, v3, v7
	v_add_f32_e32 v3, v6, v3
	;; [unrolled: 1-line block ×4, first 2 shown]
	v_sub_f32_e32 v7, v6, v34
	v_mul_f32_e32 v3, v32, v3
	v_sub_f32_e32 v7, v33, v7
	v_add_f32_e32 v3, v7, v3
	v_add_f32_e32 v19, v6, v3
	v_mul_f32_e32 v24, v19, v19
	v_mov_b32_e32 v7, 0x3ecc95a3
	v_fmac_f32_e32 v7, 0x3e9b6dac, v24
	v_sub_f32_e32 v6, v19, v6
	v_fmaak_f32 v7, v24, v7, 0x3f2aaada
	v_sub_f32_e32 v3, v3, v6
	v_ldexp_f32 v25, v19, 1
	v_mul_f32_e32 v19, v19, v24
	v_mov_b32_e32 v6, 0x3f317218
	v_pk_mul_f32 v[6:7], v[18:19], v[6:7]
	v_ldexp_f32 v3, v3, 1
	v_fma_f32 v19, v18, s5, -v6
	v_fmamk_f32 v24, v18, 0xb102e308, v19
	v_pk_add_f32 v[18:19], v[6:7], v[24:25]
	v_mov_b32_e32 v28, v6
	v_sub_f32_e32 v25, v19, v25
	v_sub_f32_e32 v25, v7, v25
	v_add_f32_e32 v29, v3, v25
	v_pk_add_f32 v[6:7], v[18:19], v[6:7] neg_lo:[0,1] neg_hi:[0,1]
	v_pk_add_f32 v[30:31], v[18:19], v[28:29]
	v_mov_b32_e32 v25, v18
	v_mov_b32_e32 v7, v31
	v_pk_add_f32 v[32:33], v[24:25], v[6:7] neg_lo:[0,1] neg_hi:[0,1]
	v_pk_add_f32 v[6:7], v[24:25], v[6:7]
	v_mov_b32_e32 v28, v29
	v_mov_b32_e32 v24, v7
	v_pk_add_f32 v[34:35], v[24:25], v[18:19] neg_lo:[0,1] neg_hi:[0,1]
	v_mov_b32_e32 v6, v31
	v_mov_b32_e32 v3, v34
	v_pk_add_f32 v[36:37], v[30:31], v[2:3] neg_lo:[0,1] neg_hi:[0,1]
	v_mov_b32_e32 v30, v19
	v_mov_b32_e32 v31, v34
	;; [unrolled: 1-line block ×3, first 2 shown]
	v_pk_add_f32 v[6:7], v[6:7], v[30:31] neg_lo:[0,1] neg_hi:[0,1]
	v_mov_b32_e32 v29, v18
	v_pk_add_f32 v[6:7], v[28:29], v[6:7] neg_lo:[0,1] neg_hi:[0,1]
	v_mov_b32_e32 v36, v32
	v_pk_add_f32 v[18:19], v[36:37], v[6:7]
	s_mov_b32 s5, 0x33800000
	v_mov_b32_e32 v28, v19
	v_pk_add_f32 v[28:29], v[18:19], v[28:29]
	v_cmp_lt_f32_e64 s[6:7], |v38|, s5
	v_pk_add_f32 v[24:25], v[24:25], v[28:29]
	v_mov_b32_e32 v7, v28
	v_mov_b32_e32 v19, v24
	v_pk_add_f32 v[30:31], v[18:19], v[32:33] neg_lo:[0,1] neg_hi:[0,1]
	s_or_b64 vcc, vcc, s[6:7]
	v_sub_f32_e32 v3, v18, v30
	v_pk_add_f32 v[6:7], v[6:7], v[30:31] neg_lo:[0,1] neg_hi:[0,1]
	v_sub_f32_e32 v3, v32, v3
	v_add_f32_e32 v3, v6, v3
	v_add_f32_e32 v3, v3, v7
	v_add_f32_e32 v3, v24, v3
	v_cndmask_b32_e32 v3, v3, v38, vcc
	v_add_f32_e32 v81, v2, v3
.LBB161_398:
	s_or_b64 exec, exec, s[2:3]
	v_max_f32_e32 v2, v81, v81
	v_min_f32_e32 v3, v2, v82
	v_cmp_u_f32_e32 vcc, v81, v81
	v_max_f32_e32 v2, v2, v82
	v_mov_b32_e32 v82, v81
	v_cndmask_b32_e32 v3, v3, v81, vcc
	v_cndmask_b32_e32 v2, v2, v81, vcc
	v_cndmask_b32_e64 v3, v3, v26, s[40:41]
	v_cndmask_b32_e64 v2, v2, v26, s[40:41]
	v_cmp_neq_f32_e32 vcc, v3, v2
	v_cmp_class_f32_e64 s[2:3], v3, s4
	s_or_b64 s[4:5], vcc, s[2:3]
	s_and_saveexec_b64 s[2:3], s[4:5]
	s_cbranch_execz .LBB161_400
; %bb.399:
	v_sub_f32_e32 v3, v3, v2
	s_mov_b32 s4, 0x3fb8aa3b
	v_mul_f32_e32 v6, 0x3fb8aa3b, v3
	v_fma_f32 v7, v3, s4, -v6
	v_rndne_f32_e32 v18, v6
	v_fmamk_f32 v7, v3, 0x32a5705f, v7
	v_sub_f32_e32 v6, v6, v18
	v_add_f32_e32 v6, v6, v7
	v_exp_f32_e32 v6, v6
	v_cvt_i32_f32_e32 v7, v18
	s_mov_b32 s4, 0xc2ce8ed0
	v_cmp_ngt_f32_e32 vcc, s4, v3
	s_mov_b32 s4, 0x42b17218
	v_ldexp_f32 v6, v6, v7
	v_cndmask_b32_e32 v6, 0, v6, vcc
	v_mov_b32_e32 v7, 0x7f800000
	v_cmp_nlt_f32_e32 vcc, s4, v3
	s_mov_b32 s4, 0x3f2aaaab
	s_mov_b32 s5, 0x7f800000
	v_cndmask_b32_e32 v38, v7, v6, vcc
	v_add_f32_e32 v3, 1.0, v38
	v_add_f32_e32 v6, -1.0, v3
	v_sub_f32_e32 v7, v6, v3
	v_add_f32_e32 v7, 1.0, v7
	v_sub_f32_e32 v6, v38, v6
	v_add_f32_e32 v18, v6, v7
	v_frexp_mant_f32_e32 v19, v3
	v_cvt_f64_f32_e32 v[6:7], v3
	v_frexp_exp_i32_f64_e32 v6, v[6:7]
	v_cmp_gt_f32_e32 vcc, s4, v19
	s_mov_b32 s4, 0x3f317218
	s_nop 0
	v_subbrev_co_u32_e32 v26, vcc, 0, v6, vcc
	v_sub_u32_e32 v6, 0, v26
	v_ldexp_f32 v3, v3, v6
	v_ldexp_f32 v6, v18, v6
	v_add_f32_e32 v18, -1.0, v3
	v_add_f32_e32 v7, 1.0, v18
	v_sub_f32_e32 v7, v3, v7
	v_add_f32_e32 v19, v6, v7
	v_add_f32_e32 v7, 1.0, v3
	v_add_f32_e32 v24, -1.0, v7
	v_sub_f32_e32 v3, v3, v24
	v_add_f32_e32 v3, v6, v3
	v_add_f32_e32 v30, v7, v3
	v_rcp_f32_e32 v31, v30
	v_sub_f32_e32 v6, v7, v30
	v_add_f32_e32 v7, v18, v19
	v_add_f32_e32 v3, v3, v6
	v_mul_f32_e32 v33, v7, v31
	v_sub_f32_e32 v6, v18, v7
	v_mul_f32_e32 v18, v30, v33
	v_fma_f32 v24, v33, v30, -v18
	v_fmac_f32_e32 v24, v33, v3
	v_add_f32_e32 v32, v19, v6
	v_add_f32_e32 v6, v18, v24
	v_sub_f32_e32 v19, v7, v6
	v_pk_add_f32 v[28:29], v[6:7], v[18:19] neg_lo:[0,1] neg_hi:[0,1]
	v_mov_b32_e32 v25, v6
	v_pk_add_f32 v[6:7], v[28:29], v[24:25] neg_lo:[0,1] neg_hi:[0,1]
	v_cmp_eq_f32_e32 vcc, s5, v38
	v_add_f32_e32 v7, v32, v7
	v_add_f32_e32 v6, v6, v7
	;; [unrolled: 1-line block ×3, first 2 shown]
	v_mul_f32_e32 v32, v31, v7
	v_mul_f32_e32 v18, v30, v32
	v_fma_f32 v24, v32, v30, -v18
	v_fmac_f32_e32 v24, v32, v3
	v_sub_f32_e32 v3, v19, v7
	v_add_f32_e32 v3, v6, v3
	v_add_f32_e32 v6, v18, v24
	v_sub_f32_e32 v19, v7, v6
	v_pk_add_f32 v[28:29], v[6:7], v[18:19] neg_lo:[0,1] neg_hi:[0,1]
	v_mov_b32_e32 v25, v6
	v_pk_add_f32 v[6:7], v[28:29], v[24:25] neg_lo:[0,1] neg_hi:[0,1]
	v_cvt_f32_i32_e32 v18, v26
	v_add_f32_e32 v3, v3, v7
	v_add_f32_e32 v3, v6, v3
	;; [unrolled: 1-line block ×4, first 2 shown]
	v_sub_f32_e32 v7, v6, v33
	v_mul_f32_e32 v3, v31, v3
	v_sub_f32_e32 v7, v32, v7
	v_add_f32_e32 v3, v7, v3
	v_add_f32_e32 v19, v6, v3
	v_mul_f32_e32 v24, v19, v19
	v_mov_b32_e32 v7, 0x3ecc95a3
	v_fmac_f32_e32 v7, 0x3e9b6dac, v24
	v_sub_f32_e32 v6, v19, v6
	v_fmaak_f32 v7, v24, v7, 0x3f2aaada
	v_sub_f32_e32 v3, v3, v6
	v_ldexp_f32 v25, v19, 1
	v_mul_f32_e32 v19, v19, v24
	v_mov_b32_e32 v6, 0x3f317218
	v_pk_mul_f32 v[6:7], v[18:19], v[6:7]
	v_ldexp_f32 v3, v3, 1
	v_fma_f32 v19, v18, s4, -v6
	v_fmamk_f32 v24, v18, 0xb102e308, v19
	v_pk_add_f32 v[18:19], v[6:7], v[24:25]
	v_mov_b32_e32 v28, v6
	v_sub_f32_e32 v25, v19, v25
	v_sub_f32_e32 v25, v7, v25
	v_add_f32_e32 v29, v3, v25
	v_pk_add_f32 v[6:7], v[18:19], v[6:7] neg_lo:[0,1] neg_hi:[0,1]
	v_pk_add_f32 v[30:31], v[18:19], v[28:29]
	v_mov_b32_e32 v25, v18
	v_mov_b32_e32 v7, v31
	v_pk_add_f32 v[32:33], v[24:25], v[6:7] neg_lo:[0,1] neg_hi:[0,1]
	v_pk_add_f32 v[6:7], v[24:25], v[6:7]
	v_mov_b32_e32 v28, v29
	v_mov_b32_e32 v24, v7
	v_pk_add_f32 v[34:35], v[24:25], v[18:19] neg_lo:[0,1] neg_hi:[0,1]
	v_mov_b32_e32 v6, v31
	v_mov_b32_e32 v3, v34
	v_pk_add_f32 v[36:37], v[30:31], v[2:3] neg_lo:[0,1] neg_hi:[0,1]
	v_mov_b32_e32 v30, v19
	v_mov_b32_e32 v31, v34
	;; [unrolled: 1-line block ×3, first 2 shown]
	v_pk_add_f32 v[6:7], v[6:7], v[30:31] neg_lo:[0,1] neg_hi:[0,1]
	v_mov_b32_e32 v29, v18
	v_pk_add_f32 v[6:7], v[28:29], v[6:7] neg_lo:[0,1] neg_hi:[0,1]
	v_mov_b32_e32 v36, v32
	v_pk_add_f32 v[18:19], v[36:37], v[6:7]
	s_mov_b32 s4, 0x33800000
	v_mov_b32_e32 v26, v19
	v_pk_add_f32 v[28:29], v[18:19], v[26:27]
	v_cmp_lt_f32_e64 s[4:5], |v38|, s4
	v_pk_add_f32 v[24:25], v[24:25], v[28:29]
	v_mov_b32_e32 v7, v28
	v_mov_b32_e32 v19, v24
	v_pk_add_f32 v[30:31], v[18:19], v[32:33] neg_lo:[0,1] neg_hi:[0,1]
	s_or_b64 vcc, vcc, s[4:5]
	v_sub_f32_e32 v3, v18, v30
	v_pk_add_f32 v[6:7], v[6:7], v[30:31] neg_lo:[0,1] neg_hi:[0,1]
	v_sub_f32_e32 v3, v32, v3
	v_add_f32_e32 v3, v6, v3
	v_add_f32_e32 v3, v3, v7
	;; [unrolled: 1-line block ×3, first 2 shown]
	v_cndmask_b32_e32 v3, v3, v38, vcc
	v_add_f32_e32 v82, v2, v3
.LBB161_400:
	s_or_b64 exec, exec, s[2:3]
	v_max_f32_e32 v2, v82, v82
	v_min_f32_e32 v3, v2, v83
	v_cmp_u_f32_e32 vcc, v82, v82
	v_max_f32_e32 v2, v2, v83
	s_movk_i32 s4, 0x1f8
	v_cndmask_b32_e32 v3, v3, v82, vcc
	v_cndmask_b32_e32 v2, v2, v82, vcc
	v_cndmask_b32_e64 v3, v3, v27, s[42:43]
	v_cndmask_b32_e64 v2, v2, v27, s[42:43]
	v_cmp_neq_f32_e32 vcc, v3, v2
	v_cmp_class_f32_e64 s[2:3], v3, s4
	s_or_b64 s[6:7], vcc, s[2:3]
	v_mov_b32_e32 v83, v82
	s_and_saveexec_b64 s[2:3], s[6:7]
	s_cbranch_execz .LBB161_402
; %bb.401:
	v_sub_f32_e32 v3, v3, v2
	s_mov_b32 s5, 0x3fb8aa3b
	v_mul_f32_e32 v6, 0x3fb8aa3b, v3
	v_fma_f32 v7, v3, s5, -v6
	v_rndne_f32_e32 v18, v6
	v_fmamk_f32 v7, v3, 0x32a5705f, v7
	v_sub_f32_e32 v6, v6, v18
	v_add_f32_e32 v6, v6, v7
	v_exp_f32_e32 v6, v6
	v_cvt_i32_f32_e32 v7, v18
	s_mov_b32 s5, 0xc2ce8ed0
	v_cmp_ngt_f32_e32 vcc, s5, v3
	s_mov_b32 s5, 0x42b17218
	v_ldexp_f32 v6, v6, v7
	v_cndmask_b32_e32 v6, 0, v6, vcc
	v_mov_b32_e32 v7, 0x7f800000
	v_cmp_nlt_f32_e32 vcc, s5, v3
	s_mov_b32 s5, 0x3f2aaaab
	s_mov_b32 s6, 0x7f800000
	v_cndmask_b32_e32 v36, v7, v6, vcc
	v_add_f32_e32 v3, 1.0, v36
	v_add_f32_e32 v6, -1.0, v3
	v_sub_f32_e32 v7, v6, v3
	v_add_f32_e32 v7, 1.0, v7
	v_sub_f32_e32 v6, v36, v6
	v_add_f32_e32 v18, v6, v7
	v_frexp_mant_f32_e32 v19, v3
	v_cvt_f64_f32_e32 v[6:7], v3
	v_frexp_exp_i32_f64_e32 v6, v[6:7]
	v_cmp_gt_f32_e32 vcc, s5, v19
	s_mov_b32 s5, 0x3f317218
	s_nop 0
	v_subbrev_co_u32_e32 v28, vcc, 0, v6, vcc
	v_sub_u32_e32 v6, 0, v28
	v_ldexp_f32 v3, v3, v6
	v_ldexp_f32 v6, v18, v6
	v_add_f32_e32 v18, -1.0, v3
	v_add_f32_e32 v7, 1.0, v18
	v_sub_f32_e32 v7, v3, v7
	v_add_f32_e32 v19, v6, v7
	v_add_f32_e32 v7, 1.0, v3
	v_add_f32_e32 v24, -1.0, v7
	v_sub_f32_e32 v3, v3, v24
	v_add_f32_e32 v3, v6, v3
	v_add_f32_e32 v29, v7, v3
	v_rcp_f32_e32 v30, v29
	v_sub_f32_e32 v6, v7, v29
	v_add_f32_e32 v7, v18, v19
	v_add_f32_e32 v3, v3, v6
	v_mul_f32_e32 v32, v7, v30
	v_sub_f32_e32 v6, v18, v7
	v_mul_f32_e32 v18, v29, v32
	v_fma_f32 v24, v32, v29, -v18
	v_fmac_f32_e32 v24, v32, v3
	v_add_f32_e32 v31, v19, v6
	v_add_f32_e32 v6, v18, v24
	v_sub_f32_e32 v19, v7, v6
	v_pk_add_f32 v[26:27], v[6:7], v[18:19] neg_lo:[0,1] neg_hi:[0,1]
	v_mov_b32_e32 v25, v6
	v_pk_add_f32 v[6:7], v[26:27], v[24:25] neg_lo:[0,1] neg_hi:[0,1]
	v_cmp_eq_f32_e32 vcc, s6, v36
	v_add_f32_e32 v7, v31, v7
	v_add_f32_e32 v6, v6, v7
	;; [unrolled: 1-line block ×3, first 2 shown]
	v_mul_f32_e32 v31, v30, v7
	v_mul_f32_e32 v18, v29, v31
	v_fma_f32 v24, v31, v29, -v18
	v_fmac_f32_e32 v24, v31, v3
	v_sub_f32_e32 v3, v19, v7
	v_add_f32_e32 v3, v6, v3
	v_add_f32_e32 v6, v18, v24
	v_sub_f32_e32 v19, v7, v6
	v_pk_add_f32 v[26:27], v[6:7], v[18:19] neg_lo:[0,1] neg_hi:[0,1]
	v_mov_b32_e32 v25, v6
	v_pk_add_f32 v[6:7], v[26:27], v[24:25] neg_lo:[0,1] neg_hi:[0,1]
	v_cvt_f32_i32_e32 v18, v28
	v_add_f32_e32 v3, v3, v7
	v_add_f32_e32 v3, v6, v3
	;; [unrolled: 1-line block ×4, first 2 shown]
	v_sub_f32_e32 v7, v6, v32
	v_mul_f32_e32 v3, v30, v3
	v_sub_f32_e32 v7, v31, v7
	v_add_f32_e32 v3, v7, v3
	v_add_f32_e32 v19, v6, v3
	v_mul_f32_e32 v24, v19, v19
	v_mov_b32_e32 v7, 0x3ecc95a3
	v_fmac_f32_e32 v7, 0x3e9b6dac, v24
	v_sub_f32_e32 v6, v19, v6
	v_fmaak_f32 v7, v24, v7, 0x3f2aaada
	v_sub_f32_e32 v3, v3, v6
	v_ldexp_f32 v25, v19, 1
	v_mul_f32_e32 v19, v19, v24
	v_mov_b32_e32 v6, 0x3f317218
	v_pk_mul_f32 v[6:7], v[18:19], v[6:7]
	v_ldexp_f32 v3, v3, 1
	v_fma_f32 v19, v18, s5, -v6
	v_fmamk_f32 v24, v18, 0xb102e308, v19
	v_pk_add_f32 v[18:19], v[6:7], v[24:25]
	v_mov_b32_e32 v26, v6
	v_sub_f32_e32 v25, v19, v25
	v_sub_f32_e32 v25, v7, v25
	v_add_f32_e32 v27, v3, v25
	v_pk_add_f32 v[6:7], v[18:19], v[6:7] neg_lo:[0,1] neg_hi:[0,1]
	v_pk_add_f32 v[28:29], v[18:19], v[26:27]
	v_mov_b32_e32 v25, v18
	v_mov_b32_e32 v7, v29
	v_pk_add_f32 v[30:31], v[24:25], v[6:7] neg_lo:[0,1] neg_hi:[0,1]
	v_pk_add_f32 v[6:7], v[24:25], v[6:7]
	v_mov_b32_e32 v26, v27
	v_mov_b32_e32 v24, v7
	v_pk_add_f32 v[32:33], v[24:25], v[18:19] neg_lo:[0,1] neg_hi:[0,1]
	v_mov_b32_e32 v6, v29
	v_mov_b32_e32 v3, v32
	v_pk_add_f32 v[34:35], v[28:29], v[2:3] neg_lo:[0,1] neg_hi:[0,1]
	v_mov_b32_e32 v28, v19
	v_mov_b32_e32 v29, v32
	;; [unrolled: 1-line block ×3, first 2 shown]
	v_pk_add_f32 v[6:7], v[6:7], v[28:29] neg_lo:[0,1] neg_hi:[0,1]
	v_mov_b32_e32 v27, v18
	v_pk_add_f32 v[6:7], v[26:27], v[6:7] neg_lo:[0,1] neg_hi:[0,1]
	v_mov_b32_e32 v34, v30
	v_pk_add_f32 v[18:19], v[34:35], v[6:7]
	s_mov_b32 s5, 0x33800000
	v_mov_b32_e32 v26, v19
	v_pk_add_f32 v[26:27], v[18:19], v[26:27]
	v_cmp_lt_f32_e64 s[6:7], |v36|, s5
	v_pk_add_f32 v[24:25], v[24:25], v[26:27]
	v_mov_b32_e32 v7, v26
	v_mov_b32_e32 v19, v24
	v_pk_add_f32 v[28:29], v[18:19], v[30:31] neg_lo:[0,1] neg_hi:[0,1]
	s_or_b64 vcc, vcc, s[6:7]
	v_sub_f32_e32 v3, v18, v28
	v_pk_add_f32 v[6:7], v[6:7], v[28:29] neg_lo:[0,1] neg_hi:[0,1]
	v_sub_f32_e32 v3, v30, v3
	v_add_f32_e32 v3, v6, v3
	v_add_f32_e32 v3, v3, v7
	;; [unrolled: 1-line block ×3, first 2 shown]
	v_cndmask_b32_e32 v3, v3, v36, vcc
	v_add_f32_e32 v83, v2, v3
.LBB161_402:
	s_or_b64 exec, exec, s[2:3]
	v_max_f32_e32 v2, v83, v83
	v_min_f32_e32 v3, v2, v84
	v_cmp_u_f32_e32 vcc, v83, v83
	v_max_f32_e32 v2, v2, v84
	v_mov_b32_e32 v84, v83
	v_cndmask_b32_e32 v3, v3, v83, vcc
	v_cndmask_b32_e32 v2, v2, v83, vcc
	v_cndmask_b32_e64 v3, v3, v20, s[44:45]
	v_cndmask_b32_e64 v2, v2, v20, s[44:45]
	v_cmp_neq_f32_e32 vcc, v3, v2
	v_cmp_class_f32_e64 s[2:3], v3, s4
	s_or_b64 s[4:5], vcc, s[2:3]
	s_and_saveexec_b64 s[2:3], s[4:5]
	s_cbranch_execz .LBB161_404
; %bb.403:
	v_sub_f32_e32 v3, v3, v2
	s_mov_b32 s4, 0x3fb8aa3b
	v_mul_f32_e32 v6, 0x3fb8aa3b, v3
	v_fma_f32 v7, v3, s4, -v6
	v_rndne_f32_e32 v18, v6
	v_fmamk_f32 v7, v3, 0x32a5705f, v7
	v_sub_f32_e32 v6, v6, v18
	v_add_f32_e32 v6, v6, v7
	v_exp_f32_e32 v6, v6
	v_cvt_i32_f32_e32 v7, v18
	s_mov_b32 s4, 0xc2ce8ed0
	v_cmp_ngt_f32_e32 vcc, s4, v3
	s_mov_b32 s4, 0x42b17218
	v_ldexp_f32 v6, v6, v7
	v_cndmask_b32_e32 v6, 0, v6, vcc
	v_mov_b32_e32 v7, 0x7f800000
	v_cmp_nlt_f32_e32 vcc, s4, v3
	s_mov_b32 s4, 0x3f2aaaab
	s_mov_b32 s5, 0x7f800000
	v_cndmask_b32_e32 v34, v7, v6, vcc
	v_add_f32_e32 v3, 1.0, v34
	v_add_f32_e32 v6, -1.0, v3
	v_sub_f32_e32 v7, v6, v3
	v_add_f32_e32 v7, 1.0, v7
	v_sub_f32_e32 v6, v34, v6
	v_add_f32_e32 v18, v6, v7
	v_frexp_mant_f32_e32 v19, v3
	v_cvt_f64_f32_e32 v[6:7], v3
	v_frexp_exp_i32_f64_e32 v6, v[6:7]
	v_cmp_gt_f32_e32 vcc, s4, v19
	s_mov_b32 s4, 0x3f317218
	s_nop 0
	v_subbrev_co_u32_e32 v20, vcc, 0, v6, vcc
	v_sub_u32_e32 v6, 0, v20
	v_ldexp_f32 v3, v3, v6
	v_ldexp_f32 v6, v18, v6
	v_add_f32_e32 v18, -1.0, v3
	v_add_f32_e32 v7, 1.0, v18
	v_sub_f32_e32 v7, v3, v7
	v_add_f32_e32 v19, v6, v7
	v_add_f32_e32 v7, 1.0, v3
	v_add_f32_e32 v24, -1.0, v7
	v_sub_f32_e32 v3, v3, v24
	v_add_f32_e32 v3, v6, v3
	v_add_f32_e32 v28, v7, v3
	v_rcp_f32_e32 v29, v28
	v_sub_f32_e32 v6, v7, v28
	v_add_f32_e32 v7, v18, v19
	v_add_f32_e32 v3, v3, v6
	v_mul_f32_e32 v31, v7, v29
	v_sub_f32_e32 v6, v18, v7
	v_mul_f32_e32 v18, v28, v31
	v_fma_f32 v24, v31, v28, -v18
	v_fmac_f32_e32 v24, v31, v3
	v_add_f32_e32 v30, v19, v6
	v_add_f32_e32 v6, v18, v24
	v_sub_f32_e32 v19, v7, v6
	v_pk_add_f32 v[26:27], v[6:7], v[18:19] neg_lo:[0,1] neg_hi:[0,1]
	v_mov_b32_e32 v25, v6
	v_pk_add_f32 v[6:7], v[26:27], v[24:25] neg_lo:[0,1] neg_hi:[0,1]
	v_cmp_eq_f32_e32 vcc, s5, v34
	v_add_f32_e32 v7, v30, v7
	v_add_f32_e32 v6, v6, v7
	;; [unrolled: 1-line block ×3, first 2 shown]
	v_mul_f32_e32 v30, v29, v7
	v_mul_f32_e32 v18, v28, v30
	v_fma_f32 v24, v30, v28, -v18
	v_fmac_f32_e32 v24, v30, v3
	v_sub_f32_e32 v3, v19, v7
	v_add_f32_e32 v3, v6, v3
	v_add_f32_e32 v6, v18, v24
	v_sub_f32_e32 v19, v7, v6
	v_pk_add_f32 v[26:27], v[6:7], v[18:19] neg_lo:[0,1] neg_hi:[0,1]
	v_mov_b32_e32 v25, v6
	v_pk_add_f32 v[6:7], v[26:27], v[24:25] neg_lo:[0,1] neg_hi:[0,1]
	v_cvt_f32_i32_e32 v18, v20
	v_add_f32_e32 v3, v3, v7
	v_add_f32_e32 v3, v6, v3
	;; [unrolled: 1-line block ×4, first 2 shown]
	v_sub_f32_e32 v7, v6, v31
	v_mul_f32_e32 v3, v29, v3
	v_sub_f32_e32 v7, v30, v7
	v_add_f32_e32 v3, v7, v3
	v_add_f32_e32 v19, v6, v3
	v_mul_f32_e32 v24, v19, v19
	v_mov_b32_e32 v7, 0x3ecc95a3
	v_fmac_f32_e32 v7, 0x3e9b6dac, v24
	v_sub_f32_e32 v6, v19, v6
	v_fmaak_f32 v7, v24, v7, 0x3f2aaada
	v_sub_f32_e32 v3, v3, v6
	v_ldexp_f32 v25, v19, 1
	v_mul_f32_e32 v19, v19, v24
	v_mov_b32_e32 v6, 0x3f317218
	v_pk_mul_f32 v[6:7], v[18:19], v[6:7]
	v_ldexp_f32 v3, v3, 1
	v_fma_f32 v19, v18, s4, -v6
	v_fmamk_f32 v24, v18, 0xb102e308, v19
	v_pk_add_f32 v[18:19], v[6:7], v[24:25]
	v_mov_b32_e32 v26, v6
	v_sub_f32_e32 v20, v19, v25
	v_sub_f32_e32 v20, v7, v20
	v_add_f32_e32 v27, v3, v20
	v_pk_add_f32 v[6:7], v[18:19], v[6:7] neg_lo:[0,1] neg_hi:[0,1]
	v_pk_add_f32 v[28:29], v[18:19], v[26:27]
	v_mov_b32_e32 v25, v18
	v_mov_b32_e32 v7, v29
	v_pk_add_f32 v[30:31], v[24:25], v[6:7] neg_lo:[0,1] neg_hi:[0,1]
	v_pk_add_f32 v[6:7], v[24:25], v[6:7]
	s_mov_b32 s4, 0x33800000
	v_mov_b32_e32 v20, v7
	v_pk_add_f32 v[24:25], v[20:21], v[18:19] neg_lo:[0,1] neg_hi:[0,1]
	v_mov_b32_e32 v6, v29
	v_mov_b32_e32 v3, v24
	v_pk_add_f32 v[32:33], v[28:29], v[2:3] neg_lo:[0,1] neg_hi:[0,1]
	v_mov_b32_e32 v28, v19
	v_mov_b32_e32 v29, v24
	;; [unrolled: 1-line block ×3, first 2 shown]
	v_pk_add_f32 v[6:7], v[6:7], v[28:29] neg_lo:[0,1] neg_hi:[0,1]
	v_mov_b32_e32 v24, v27
	v_mov_b32_e32 v25, v18
	v_pk_add_f32 v[6:7], v[24:25], v[6:7] neg_lo:[0,1] neg_hi:[0,1]
	v_mov_b32_e32 v32, v30
	v_pk_add_f32 v[18:19], v[32:33], v[6:7]
	v_cmp_lt_f32_e64 s[4:5], |v34|, s4
	v_mov_b32_e32 v24, v19
	v_pk_add_f32 v[24:25], v[18:19], v[24:25]
	s_or_b64 vcc, vcc, s[4:5]
	v_pk_add_f32 v[26:27], v[20:21], v[24:25]
	v_mov_b32_e32 v7, v24
	v_mov_b32_e32 v19, v26
	v_pk_add_f32 v[28:29], v[18:19], v[30:31] neg_lo:[0,1] neg_hi:[0,1]
	s_nop 0
	v_sub_f32_e32 v3, v18, v28
	v_pk_add_f32 v[6:7], v[6:7], v[28:29] neg_lo:[0,1] neg_hi:[0,1]
	v_sub_f32_e32 v3, v30, v3
	v_add_f32_e32 v3, v6, v3
	v_add_f32_e32 v3, v3, v7
	;; [unrolled: 1-line block ×3, first 2 shown]
	v_cndmask_b32_e32 v3, v3, v34, vcc
	v_add_f32_e32 v84, v2, v3
.LBB161_404:
	s_or_b64 exec, exec, s[2:3]
	v_max_f32_e32 v2, v84, v84
	v_min_f32_e32 v3, v2, v85
	v_cmp_u_f32_e32 vcc, v84, v84
	v_max_f32_e32 v2, v2, v85
	s_movk_i32 s4, 0x1f8
	v_cndmask_b32_e32 v3, v3, v84, vcc
	v_cndmask_b32_e32 v2, v2, v84, vcc
	v_cndmask_b32_e64 v3, v3, v21, s[46:47]
	v_cndmask_b32_e64 v2, v2, v21, s[46:47]
	v_cmp_neq_f32_e32 vcc, v3, v2
	v_cmp_class_f32_e64 s[2:3], v3, s4
	s_or_b64 s[6:7], vcc, s[2:3]
	v_mov_b32_e32 v85, v84
	s_and_saveexec_b64 s[2:3], s[6:7]
	s_cbranch_execz .LBB161_406
; %bb.405:
	v_sub_f32_e32 v3, v3, v2
	s_mov_b32 s5, 0x3fb8aa3b
	v_mul_f32_e32 v6, 0x3fb8aa3b, v3
	v_fma_f32 v7, v3, s5, -v6
	v_rndne_f32_e32 v18, v6
	v_fmamk_f32 v7, v3, 0x32a5705f, v7
	v_sub_f32_e32 v6, v6, v18
	v_add_f32_e32 v6, v6, v7
	v_exp_f32_e32 v6, v6
	v_cvt_i32_f32_e32 v7, v18
	s_mov_b32 s5, 0xc2ce8ed0
	v_cmp_ngt_f32_e32 vcc, s5, v3
	s_mov_b32 s5, 0x42b17218
	v_ldexp_f32 v6, v6, v7
	v_cndmask_b32_e32 v6, 0, v6, vcc
	v_mov_b32_e32 v7, 0x7f800000
	v_cmp_nlt_f32_e32 vcc, s5, v3
	s_mov_b32 s5, 0x3f2aaaab
	s_mov_b32 s6, 0x7f800000
	v_cndmask_b32_e32 v34, v7, v6, vcc
	v_add_f32_e32 v3, 1.0, v34
	v_add_f32_e32 v6, -1.0, v3
	v_sub_f32_e32 v7, v6, v3
	v_add_f32_e32 v7, 1.0, v7
	v_sub_f32_e32 v6, v34, v6
	v_add_f32_e32 v18, v6, v7
	v_frexp_mant_f32_e32 v19, v3
	v_cvt_f64_f32_e32 v[6:7], v3
	v_frexp_exp_i32_f64_e32 v6, v[6:7]
	v_cmp_gt_f32_e32 vcc, s5, v19
	s_mov_b32 s5, 0x3f317218
	s_nop 0
	v_subbrev_co_u32_e32 v26, vcc, 0, v6, vcc
	v_sub_u32_e32 v6, 0, v26
	v_ldexp_f32 v3, v3, v6
	v_ldexp_f32 v6, v18, v6
	v_add_f32_e32 v18, -1.0, v3
	v_add_f32_e32 v7, 1.0, v18
	v_sub_f32_e32 v7, v3, v7
	v_add_f32_e32 v19, v6, v7
	v_add_f32_e32 v7, 1.0, v3
	v_add_f32_e32 v20, -1.0, v7
	v_sub_f32_e32 v3, v3, v20
	v_add_f32_e32 v3, v6, v3
	v_add_f32_e32 v27, v7, v3
	v_rcp_f32_e32 v28, v27
	v_sub_f32_e32 v6, v7, v27
	v_add_f32_e32 v7, v18, v19
	v_add_f32_e32 v3, v3, v6
	v_mul_f32_e32 v30, v7, v28
	v_sub_f32_e32 v6, v18, v7
	v_mul_f32_e32 v18, v27, v30
	v_fma_f32 v20, v30, v27, -v18
	v_fmac_f32_e32 v20, v30, v3
	v_add_f32_e32 v29, v19, v6
	v_add_f32_e32 v6, v18, v20
	v_sub_f32_e32 v19, v7, v6
	v_pk_add_f32 v[24:25], v[6:7], v[18:19] neg_lo:[0,1] neg_hi:[0,1]
	v_mov_b32_e32 v21, v6
	v_pk_add_f32 v[6:7], v[24:25], v[20:21] neg_lo:[0,1] neg_hi:[0,1]
	v_cmp_eq_f32_e32 vcc, s6, v34
	v_add_f32_e32 v7, v29, v7
	v_add_f32_e32 v6, v6, v7
	;; [unrolled: 1-line block ×3, first 2 shown]
	v_mul_f32_e32 v29, v28, v7
	v_mul_f32_e32 v18, v27, v29
	v_fma_f32 v20, v29, v27, -v18
	v_fmac_f32_e32 v20, v29, v3
	v_sub_f32_e32 v3, v19, v7
	v_add_f32_e32 v3, v6, v3
	v_add_f32_e32 v6, v18, v20
	v_sub_f32_e32 v19, v7, v6
	v_pk_add_f32 v[24:25], v[6:7], v[18:19] neg_lo:[0,1] neg_hi:[0,1]
	v_mov_b32_e32 v21, v6
	v_pk_add_f32 v[6:7], v[24:25], v[20:21] neg_lo:[0,1] neg_hi:[0,1]
	v_cvt_f32_i32_e32 v18, v26
	v_add_f32_e32 v3, v3, v7
	v_add_f32_e32 v3, v6, v3
	;; [unrolled: 1-line block ×4, first 2 shown]
	v_sub_f32_e32 v7, v6, v30
	v_mul_f32_e32 v3, v28, v3
	v_sub_f32_e32 v7, v29, v7
	v_add_f32_e32 v3, v7, v3
	v_add_f32_e32 v19, v6, v3
	v_mul_f32_e32 v20, v19, v19
	v_mov_b32_e32 v7, 0x3ecc95a3
	v_fmac_f32_e32 v7, 0x3e9b6dac, v20
	v_sub_f32_e32 v6, v19, v6
	v_fmaak_f32 v7, v20, v7, 0x3f2aaada
	v_sub_f32_e32 v3, v3, v6
	v_ldexp_f32 v21, v19, 1
	v_mul_f32_e32 v19, v19, v20
	v_mov_b32_e32 v6, 0x3f317218
	v_pk_mul_f32 v[6:7], v[18:19], v[6:7]
	v_ldexp_f32 v3, v3, 1
	v_fma_f32 v19, v18, s5, -v6
	v_fmamk_f32 v20, v18, 0xb102e308, v19
	v_pk_add_f32 v[18:19], v[6:7], v[20:21]
	v_mov_b32_e32 v24, v6
	v_sub_f32_e32 v21, v19, v21
	v_sub_f32_e32 v21, v7, v21
	v_add_f32_e32 v25, v3, v21
	v_pk_add_f32 v[6:7], v[18:19], v[6:7] neg_lo:[0,1] neg_hi:[0,1]
	v_pk_add_f32 v[26:27], v[18:19], v[24:25]
	v_mov_b32_e32 v21, v18
	v_mov_b32_e32 v7, v27
	v_pk_add_f32 v[28:29], v[20:21], v[6:7] neg_lo:[0,1] neg_hi:[0,1]
	v_pk_add_f32 v[6:7], v[20:21], v[6:7]
	v_mov_b32_e32 v24, v25
	v_mov_b32_e32 v20, v7
	v_pk_add_f32 v[30:31], v[20:21], v[18:19] neg_lo:[0,1] neg_hi:[0,1]
	v_mov_b32_e32 v6, v27
	v_mov_b32_e32 v3, v30
	v_pk_add_f32 v[32:33], v[26:27], v[2:3] neg_lo:[0,1] neg_hi:[0,1]
	v_mov_b32_e32 v26, v19
	v_mov_b32_e32 v27, v30
	;; [unrolled: 1-line block ×3, first 2 shown]
	v_pk_add_f32 v[6:7], v[6:7], v[26:27] neg_lo:[0,1] neg_hi:[0,1]
	v_mov_b32_e32 v25, v18
	v_pk_add_f32 v[6:7], v[24:25], v[6:7] neg_lo:[0,1] neg_hi:[0,1]
	v_mov_b32_e32 v32, v28
	v_pk_add_f32 v[18:19], v[32:33], v[6:7]
	s_mov_b32 s5, 0x33800000
	v_mov_b32_e32 v24, v19
	v_pk_add_f32 v[24:25], v[18:19], v[24:25]
	v_cmp_lt_f32_e64 s[6:7], |v34|, s5
	v_pk_add_f32 v[20:21], v[20:21], v[24:25]
	v_mov_b32_e32 v7, v24
	v_mov_b32_e32 v19, v20
	v_pk_add_f32 v[26:27], v[18:19], v[28:29] neg_lo:[0,1] neg_hi:[0,1]
	s_or_b64 vcc, vcc, s[6:7]
	v_sub_f32_e32 v3, v18, v26
	v_pk_add_f32 v[6:7], v[6:7], v[26:27] neg_lo:[0,1] neg_hi:[0,1]
	v_sub_f32_e32 v3, v28, v3
	v_add_f32_e32 v3, v6, v3
	v_add_f32_e32 v3, v3, v7
	;; [unrolled: 1-line block ×3, first 2 shown]
	v_cndmask_b32_e32 v3, v3, v34, vcc
	v_add_f32_e32 v85, v2, v3
.LBB161_406:
	s_or_b64 exec, exec, s[2:3]
	v_max_f32_e32 v2, v85, v85
	v_min_f32_e32 v3, v2, v86
	v_cmp_u_f32_e32 vcc, v85, v85
	v_max_f32_e32 v2, v2, v86
	v_mov_b32_e32 v86, v85
	v_cndmask_b32_e32 v3, v3, v85, vcc
	v_cndmask_b32_e32 v2, v2, v85, vcc
	v_cndmask_b32_e64 v3, v3, v22, s[48:49]
	v_cndmask_b32_e64 v2, v2, v22, s[48:49]
	v_cmp_neq_f32_e32 vcc, v3, v2
	v_cmp_class_f32_e64 s[2:3], v3, s4
	s_or_b64 s[4:5], vcc, s[2:3]
	s_and_saveexec_b64 s[2:3], s[4:5]
	s_cbranch_execz .LBB161_408
; %bb.407:
	v_sub_f32_e32 v3, v3, v2
	s_mov_b32 s4, 0x3fb8aa3b
	v_mul_f32_e32 v6, 0x3fb8aa3b, v3
	v_fma_f32 v7, v3, s4, -v6
	v_rndne_f32_e32 v18, v6
	v_fmamk_f32 v7, v3, 0x32a5705f, v7
	v_sub_f32_e32 v6, v6, v18
	v_add_f32_e32 v6, v6, v7
	v_exp_f32_e32 v6, v6
	v_cvt_i32_f32_e32 v7, v18
	s_mov_b32 s4, 0xc2ce8ed0
	v_cmp_ngt_f32_e32 vcc, s4, v3
	s_mov_b32 s4, 0x42b17218
	v_ldexp_f32 v6, v6, v7
	v_cndmask_b32_e32 v6, 0, v6, vcc
	v_mov_b32_e32 v7, 0x7f800000
	v_cmp_nlt_f32_e32 vcc, s4, v3
	s_mov_b32 s4, 0x3f2aaaab
	s_mov_b32 s5, 0x7f800000
	v_cndmask_b32_e32 v34, v7, v6, vcc
	v_add_f32_e32 v3, 1.0, v34
	v_add_f32_e32 v6, -1.0, v3
	v_sub_f32_e32 v7, v6, v3
	v_add_f32_e32 v7, 1.0, v7
	v_sub_f32_e32 v6, v34, v6
	v_add_f32_e32 v18, v6, v7
	v_frexp_mant_f32_e32 v19, v3
	v_cvt_f64_f32_e32 v[6:7], v3
	v_frexp_exp_i32_f64_e32 v6, v[6:7]
	v_cmp_gt_f32_e32 vcc, s4, v19
	s_mov_b32 s4, 0x3f317218
	s_nop 0
	v_subbrev_co_u32_e32 v22, vcc, 0, v6, vcc
	v_sub_u32_e32 v6, 0, v22
	v_ldexp_f32 v3, v3, v6
	v_ldexp_f32 v6, v18, v6
	v_add_f32_e32 v18, -1.0, v3
	v_add_f32_e32 v7, 1.0, v18
	v_sub_f32_e32 v7, v3, v7
	v_add_f32_e32 v19, v6, v7
	v_add_f32_e32 v7, 1.0, v3
	v_add_f32_e32 v20, -1.0, v7
	v_sub_f32_e32 v3, v3, v20
	v_add_f32_e32 v3, v6, v3
	v_add_f32_e32 v26, v7, v3
	v_rcp_f32_e32 v27, v26
	v_sub_f32_e32 v6, v7, v26
	v_add_f32_e32 v7, v18, v19
	v_add_f32_e32 v3, v3, v6
	v_mul_f32_e32 v29, v7, v27
	v_sub_f32_e32 v6, v18, v7
	v_mul_f32_e32 v18, v26, v29
	v_fma_f32 v20, v29, v26, -v18
	v_fmac_f32_e32 v20, v29, v3
	v_add_f32_e32 v28, v19, v6
	v_add_f32_e32 v6, v18, v20
	v_sub_f32_e32 v19, v7, v6
	v_pk_add_f32 v[24:25], v[6:7], v[18:19] neg_lo:[0,1] neg_hi:[0,1]
	v_mov_b32_e32 v21, v6
	v_pk_add_f32 v[6:7], v[24:25], v[20:21] neg_lo:[0,1] neg_hi:[0,1]
	v_cmp_eq_f32_e32 vcc, s5, v34
	v_add_f32_e32 v7, v28, v7
	v_add_f32_e32 v6, v6, v7
	;; [unrolled: 1-line block ×3, first 2 shown]
	v_mul_f32_e32 v28, v27, v7
	v_mul_f32_e32 v18, v26, v28
	v_fma_f32 v20, v28, v26, -v18
	v_fmac_f32_e32 v20, v28, v3
	v_sub_f32_e32 v3, v19, v7
	v_add_f32_e32 v3, v6, v3
	v_add_f32_e32 v6, v18, v20
	v_sub_f32_e32 v19, v7, v6
	v_pk_add_f32 v[24:25], v[6:7], v[18:19] neg_lo:[0,1] neg_hi:[0,1]
	v_mov_b32_e32 v21, v6
	v_pk_add_f32 v[6:7], v[24:25], v[20:21] neg_lo:[0,1] neg_hi:[0,1]
	v_cvt_f32_i32_e32 v18, v22
	v_add_f32_e32 v3, v3, v7
	v_add_f32_e32 v3, v6, v3
	;; [unrolled: 1-line block ×4, first 2 shown]
	v_sub_f32_e32 v7, v6, v29
	v_mul_f32_e32 v3, v27, v3
	v_sub_f32_e32 v7, v28, v7
	v_add_f32_e32 v3, v7, v3
	v_add_f32_e32 v19, v6, v3
	v_mul_f32_e32 v20, v19, v19
	v_mov_b32_e32 v7, 0x3ecc95a3
	v_fmac_f32_e32 v7, 0x3e9b6dac, v20
	v_sub_f32_e32 v6, v19, v6
	v_fmaak_f32 v7, v20, v7, 0x3f2aaada
	v_sub_f32_e32 v3, v3, v6
	v_ldexp_f32 v21, v19, 1
	v_mul_f32_e32 v19, v19, v20
	v_mov_b32_e32 v6, 0x3f317218
	v_pk_mul_f32 v[6:7], v[18:19], v[6:7]
	v_ldexp_f32 v3, v3, 1
	v_fma_f32 v19, v18, s4, -v6
	v_fmamk_f32 v20, v18, 0xb102e308, v19
	v_pk_add_f32 v[18:19], v[6:7], v[20:21]
	v_mov_b32_e32 v24, v6
	v_sub_f32_e32 v21, v19, v21
	v_sub_f32_e32 v21, v7, v21
	v_add_f32_e32 v25, v3, v21
	v_pk_add_f32 v[6:7], v[18:19], v[6:7] neg_lo:[0,1] neg_hi:[0,1]
	v_pk_add_f32 v[26:27], v[18:19], v[24:25]
	v_mov_b32_e32 v21, v18
	v_mov_b32_e32 v7, v27
	v_pk_add_f32 v[28:29], v[20:21], v[6:7] neg_lo:[0,1] neg_hi:[0,1]
	v_pk_add_f32 v[6:7], v[20:21], v[6:7]
	v_mov_b32_e32 v24, v25
	v_mov_b32_e32 v20, v7
	v_pk_add_f32 v[30:31], v[20:21], v[18:19] neg_lo:[0,1] neg_hi:[0,1]
	v_mov_b32_e32 v6, v27
	v_mov_b32_e32 v3, v30
	v_pk_add_f32 v[32:33], v[26:27], v[2:3] neg_lo:[0,1] neg_hi:[0,1]
	v_mov_b32_e32 v26, v19
	v_mov_b32_e32 v27, v30
	;; [unrolled: 1-line block ×3, first 2 shown]
	v_pk_add_f32 v[6:7], v[6:7], v[26:27] neg_lo:[0,1] neg_hi:[0,1]
	v_mov_b32_e32 v25, v18
	v_pk_add_f32 v[6:7], v[24:25], v[6:7] neg_lo:[0,1] neg_hi:[0,1]
	v_mov_b32_e32 v32, v28
	v_pk_add_f32 v[18:19], v[32:33], v[6:7]
	s_mov_b32 s4, 0x33800000
	v_mov_b32_e32 v22, v19
	v_pk_add_f32 v[24:25], v[18:19], v[22:23]
	v_cmp_lt_f32_e64 s[4:5], |v34|, s4
	v_pk_add_f32 v[20:21], v[20:21], v[24:25]
	v_mov_b32_e32 v7, v24
	v_mov_b32_e32 v19, v20
	v_pk_add_f32 v[26:27], v[18:19], v[28:29] neg_lo:[0,1] neg_hi:[0,1]
	s_or_b64 vcc, vcc, s[4:5]
	v_sub_f32_e32 v3, v18, v26
	v_pk_add_f32 v[6:7], v[6:7], v[26:27] neg_lo:[0,1] neg_hi:[0,1]
	v_sub_f32_e32 v3, v28, v3
	v_add_f32_e32 v3, v6, v3
	v_add_f32_e32 v3, v3, v7
	;; [unrolled: 1-line block ×3, first 2 shown]
	v_cndmask_b32_e32 v3, v3, v34, vcc
	v_add_f32_e32 v86, v2, v3
.LBB161_408:
	s_or_b64 exec, exec, s[2:3]
	v_max_f32_e32 v2, v86, v86
	v_min_f32_e32 v3, v2, v87
	v_cmp_u_f32_e32 vcc, v86, v86
	v_max_f32_e32 v2, v2, v87
	s_movk_i32 s2, 0x1f8
	v_cndmask_b32_e32 v3, v3, v86, vcc
	v_cndmask_b32_e32 v2, v2, v86, vcc
	v_cndmask_b32_e64 v3, v3, v23, s[50:51]
	v_cndmask_b32_e64 v2, v2, v23, s[50:51]
	v_cmp_neq_f32_e32 vcc, v3, v2
	v_cmp_class_f32_e64 s[2:3], v3, s2
	s_or_b64 s[4:5], vcc, s[2:3]
	v_mov_b32_e32 v87, v86
	s_and_saveexec_b64 s[2:3], s[4:5]
	s_cbranch_execz .LBB161_410
; %bb.409:
	v_sub_f32_e32 v3, v3, v2
	s_mov_b32 s4, 0x3fb8aa3b
	v_mul_f32_e32 v6, 0x3fb8aa3b, v3
	v_fma_f32 v7, v3, s4, -v6
	v_rndne_f32_e32 v18, v6
	v_fmamk_f32 v7, v3, 0x32a5705f, v7
	v_sub_f32_e32 v6, v6, v18
	v_add_f32_e32 v6, v6, v7
	v_exp_f32_e32 v6, v6
	v_cvt_i32_f32_e32 v7, v18
	s_mov_b32 s4, 0xc2ce8ed0
	v_cmp_ngt_f32_e32 vcc, s4, v3
	s_mov_b32 s4, 0x42b17218
	v_ldexp_f32 v6, v6, v7
	v_cndmask_b32_e32 v6, 0, v6, vcc
	v_mov_b32_e32 v7, 0x7f800000
	v_cmp_nlt_f32_e32 vcc, s4, v3
	s_mov_b32 s4, 0x3f2aaaab
	s_mov_b32 s5, 0x7f800000
	v_cndmask_b32_e32 v32, v7, v6, vcc
	v_add_f32_e32 v3, 1.0, v32
	v_add_f32_e32 v6, -1.0, v3
	v_sub_f32_e32 v7, v6, v3
	v_add_f32_e32 v7, 1.0, v7
	v_sub_f32_e32 v6, v32, v6
	v_add_f32_e32 v18, v6, v7
	v_frexp_mant_f32_e32 v19, v3
	v_cvt_f64_f32_e32 v[6:7], v3
	v_frexp_exp_i32_f64_e32 v6, v[6:7]
	v_cmp_gt_f32_e32 vcc, s4, v19
	s_mov_b32 s4, 0x3f317218
	s_nop 0
	v_subbrev_co_u32_e32 v24, vcc, 0, v6, vcc
	v_sub_u32_e32 v6, 0, v24
	v_ldexp_f32 v3, v3, v6
	v_ldexp_f32 v6, v18, v6
	v_add_f32_e32 v18, -1.0, v3
	v_add_f32_e32 v7, 1.0, v18
	v_sub_f32_e32 v7, v3, v7
	v_add_f32_e32 v19, v6, v7
	v_add_f32_e32 v7, 1.0, v3
	v_add_f32_e32 v20, -1.0, v7
	v_sub_f32_e32 v3, v3, v20
	v_add_f32_e32 v3, v6, v3
	v_add_f32_e32 v25, v7, v3
	v_rcp_f32_e32 v26, v25
	v_sub_f32_e32 v6, v7, v25
	v_add_f32_e32 v7, v18, v19
	v_add_f32_e32 v3, v3, v6
	v_mul_f32_e32 v28, v7, v26
	v_sub_f32_e32 v6, v18, v7
	v_mul_f32_e32 v18, v25, v28
	v_fma_f32 v20, v28, v25, -v18
	v_fmac_f32_e32 v20, v28, v3
	v_add_f32_e32 v27, v19, v6
	v_add_f32_e32 v6, v18, v20
	v_sub_f32_e32 v19, v7, v6
	v_pk_add_f32 v[22:23], v[6:7], v[18:19] neg_lo:[0,1] neg_hi:[0,1]
	v_mov_b32_e32 v21, v6
	v_pk_add_f32 v[6:7], v[22:23], v[20:21] neg_lo:[0,1] neg_hi:[0,1]
	v_cmp_eq_f32_e32 vcc, s5, v32
	v_add_f32_e32 v7, v27, v7
	v_add_f32_e32 v6, v6, v7
	;; [unrolled: 1-line block ×3, first 2 shown]
	v_mul_f32_e32 v27, v26, v7
	v_mul_f32_e32 v18, v25, v27
	v_fma_f32 v20, v27, v25, -v18
	v_fmac_f32_e32 v20, v27, v3
	v_sub_f32_e32 v3, v19, v7
	v_add_f32_e32 v3, v6, v3
	v_add_f32_e32 v6, v18, v20
	v_sub_f32_e32 v19, v7, v6
	v_pk_add_f32 v[22:23], v[6:7], v[18:19] neg_lo:[0,1] neg_hi:[0,1]
	v_mov_b32_e32 v21, v6
	v_pk_add_f32 v[6:7], v[22:23], v[20:21] neg_lo:[0,1] neg_hi:[0,1]
	v_cvt_f32_i32_e32 v18, v24
	v_add_f32_e32 v3, v3, v7
	v_add_f32_e32 v3, v6, v3
	;; [unrolled: 1-line block ×4, first 2 shown]
	v_sub_f32_e32 v7, v6, v28
	v_mul_f32_e32 v3, v26, v3
	v_sub_f32_e32 v7, v27, v7
	v_add_f32_e32 v3, v7, v3
	v_add_f32_e32 v19, v6, v3
	v_mul_f32_e32 v20, v19, v19
	v_mov_b32_e32 v7, 0x3ecc95a3
	v_fmac_f32_e32 v7, 0x3e9b6dac, v20
	v_sub_f32_e32 v6, v19, v6
	v_fmaak_f32 v7, v20, v7, 0x3f2aaada
	v_sub_f32_e32 v3, v3, v6
	v_ldexp_f32 v21, v19, 1
	v_mul_f32_e32 v19, v19, v20
	v_mov_b32_e32 v6, 0x3f317218
	v_pk_mul_f32 v[6:7], v[18:19], v[6:7]
	v_ldexp_f32 v3, v3, 1
	v_fma_f32 v19, v18, s4, -v6
	v_fmamk_f32 v20, v18, 0xb102e308, v19
	v_pk_add_f32 v[18:19], v[6:7], v[20:21]
	v_mov_b32_e32 v22, v6
	v_sub_f32_e32 v21, v19, v21
	v_sub_f32_e32 v21, v7, v21
	v_add_f32_e32 v23, v3, v21
	v_pk_add_f32 v[6:7], v[18:19], v[6:7] neg_lo:[0,1] neg_hi:[0,1]
	v_pk_add_f32 v[24:25], v[18:19], v[22:23]
	v_mov_b32_e32 v21, v18
	v_mov_b32_e32 v7, v25
	v_pk_add_f32 v[26:27], v[20:21], v[6:7] neg_lo:[0,1] neg_hi:[0,1]
	v_pk_add_f32 v[6:7], v[20:21], v[6:7]
	v_mov_b32_e32 v22, v23
	v_mov_b32_e32 v20, v7
	v_pk_add_f32 v[28:29], v[20:21], v[18:19] neg_lo:[0,1] neg_hi:[0,1]
	v_mov_b32_e32 v6, v25
	v_mov_b32_e32 v3, v28
	v_pk_add_f32 v[30:31], v[24:25], v[2:3] neg_lo:[0,1] neg_hi:[0,1]
	v_mov_b32_e32 v24, v19
	v_mov_b32_e32 v25, v28
	;; [unrolled: 1-line block ×3, first 2 shown]
	v_pk_add_f32 v[6:7], v[6:7], v[24:25] neg_lo:[0,1] neg_hi:[0,1]
	v_mov_b32_e32 v23, v18
	v_pk_add_f32 v[6:7], v[22:23], v[6:7] neg_lo:[0,1] neg_hi:[0,1]
	v_mov_b32_e32 v30, v26
	v_pk_add_f32 v[18:19], v[30:31], v[6:7]
	s_mov_b32 s4, 0x33800000
	v_mov_b32_e32 v22, v19
	v_pk_add_f32 v[22:23], v[18:19], v[22:23]
	v_cmp_lt_f32_e64 s[4:5], |v32|, s4
	v_pk_add_f32 v[20:21], v[20:21], v[22:23]
	v_mov_b32_e32 v7, v22
	v_mov_b32_e32 v19, v20
	v_pk_add_f32 v[24:25], v[18:19], v[26:27] neg_lo:[0,1] neg_hi:[0,1]
	s_or_b64 vcc, vcc, s[4:5]
	v_sub_f32_e32 v3, v18, v24
	v_pk_add_f32 v[6:7], v[6:7], v[24:25] neg_lo:[0,1] neg_hi:[0,1]
	v_sub_f32_e32 v3, v26, v3
	v_add_f32_e32 v3, v6, v3
	v_add_f32_e32 v3, v3, v7
	v_add_f32_e32 v3, v20, v3
	v_cndmask_b32_e32 v3, v3, v32, vcc
	v_add_f32_e32 v87, v2, v3
.LBB161_410:
	s_or_b64 exec, exec, s[2:3]
	s_movk_i32 s2, 0xff
	v_cmp_eq_u32_e32 vcc, s2, v100
	s_and_saveexec_b64 s[2:3], vcc
	s_cbranch_execz .LBB161_412
; %bb.411:
	v_mov_b32_e32 v3, 2
	v_mov_b32_e32 v2, v87
	flat_store_dwordx2 v[96:97], v[2:3] offset:512 sc1
.LBB161_412:
	s_or_b64 exec, exec, s[2:3]
	v_mov_b64_e32 v[48:49], v[16:17]
.LBB161_413:
	v_lshl_add_u64 v[2:3], v[12:13], 2, v[14:15]
	v_lshl_add_u64 v[32:33], v[102:103], 2, v[2:3]
	s_waitcnt lgkmcnt(0)
	s_barrier
	s_and_saveexec_b64 s[2:3], s[0:1]
	s_xor_b64 s[0:1], exec, s[2:3]
	s_cbranch_execz .LBB161_415
; %bb.414:
	ds_write_b128 v1, v[48:51]
	ds_write_b128 v1, v[52:55] offset:16
	ds_write_b128 v1, v[64:67] offset:32
	;; [unrolled: 1-line block ×5, first 2 shown]
	v_mov_b32_e32 v1, 0
	s_waitcnt lgkmcnt(0)
	s_barrier
	ds_read2st64_b32 v[2:3], v0 offset1:4
	ds_read2st64_b32 v[4:5], v0 offset0:8 offset1:12
	ds_read2st64_b32 v[6:7], v0 offset0:16 offset1:20
	;; [unrolled: 1-line block ×11, first 2 shown]
	v_lshl_add_u64 v[0:1], v[32:33], 0, v[0:1]
	s_movk_i32 s2, 0x1000
	s_waitcnt lgkmcnt(0)
	flat_store_dword v[0:1], v2
	flat_store_dword v[0:1], v3 offset:1024
	flat_store_dword v[0:1], v4 offset:2048
	;; [unrolled: 1-line block ×3, first 2 shown]
	v_add_co_u32_e32 v2, vcc, s2, v0
	s_movk_i32 s2, 0x2000
	s_nop 0
	v_addc_co_u32_e32 v3, vcc, 0, v1, vcc
	flat_store_dword v[2:3], v6
	flat_store_dword v[2:3], v7 offset:1024
	flat_store_dword v[2:3], v8 offset:2048
	flat_store_dword v[2:3], v9 offset:3072
	v_add_co_u32_e32 v2, vcc, s2, v0
	s_movk_i32 s2, 0x3000
	s_nop 0
	v_addc_co_u32_e32 v3, vcc, 0, v1, vcc
	flat_store_dword v[2:3], v10
	flat_store_dword v[2:3], v11 offset:1024
	flat_store_dword v[2:3], v12 offset:2048
	;; [unrolled: 1-line block ×3, first 2 shown]
	v_add_co_u32_e32 v2, vcc, s2, v0
                                        ; implicit-def: $vgpr6_vgpr7_vgpr8_vgpr9
                                        ; implicit-def: $vgpr100
                                        ; implicit-def: $vgpr10_vgpr11
                                        ; implicit-def: $vgpr87
                                        ; implicit-def: $vgpr82_vgpr83
                                        ; implicit-def: $vgpr70_vgpr71
                                        ; implicit-def: $vgpr66_vgpr67
                                        ; implicit-def: $vgpr54_vgpr55
                                        ; implicit-def: $vgpr50_vgpr51
                                        ; implicit-def: $vgpr32_vgpr33
                                        ; implicit-def: $vgpr98
	s_nop 1
	v_addc_co_u32_e32 v3, vcc, 0, v1, vcc
	flat_store_dword v[2:3], v14
	flat_store_dword v[2:3], v15 offset:1024
	flat_store_dword v[2:3], v16 offset:2048
	;; [unrolled: 1-line block ×3, first 2 shown]
	v_add_co_u32_e32 v2, vcc, 0x4000, v0
	s_nop 1
	v_addc_co_u32_e32 v3, vcc, 0, v1, vcc
	v_add_co_u32_e32 v0, vcc, 0x5000, v0
	flat_store_dword v[2:3], v18
	flat_store_dword v[2:3], v19 offset:1024
	flat_store_dword v[2:3], v20 offset:2048
	;; [unrolled: 1-line block ×3, first 2 shown]
	v_addc_co_u32_e32 v1, vcc, 0, v1, vcc
	flat_store_dword v[0:1], v22
	flat_store_dword v[0:1], v23 offset:1024
	flat_store_dword v[0:1], v24 offset:2048
	;; [unrolled: 1-line block ×3, first 2 shown]
                                        ; implicit-def: $vgpr2_vgpr3_vgpr4_vgpr5
                                        ; implicit-def: $vgpr1
                                        ; implicit-def: $vgpr0
.LBB161_415:
	s_andn2_saveexec_b64 s[2:3], s[0:1]
	s_cbranch_execz .LBB161_554
; %bb.416:
	ds_write_b128 v1, v[48:51]
	ds_write_b128 v1, v[52:55] offset:16
	ds_write_b128 v1, v[64:67] offset:32
	;; [unrolled: 1-line block ×5, first 2 shown]
	s_waitcnt lgkmcnt(0)
	s_barrier
	ds_read2st64_b32 v[2:3], v0 offset1:4
	ds_read2st64_b32 v[6:7], v0 offset0:8 offset1:12
	ds_read2st64_b32 v[12:13], v0 offset0:16 offset1:20
	;; [unrolled: 1-line block ×11, first 2 shown]
	v_mov_b32_e32 v1, 0
	v_lshl_add_u64 v[32:33], v[32:33], 0, v[0:1]
	v_cmp_lt_u32_e32 vcc, v100, v10
	s_and_saveexec_b64 s[0:1], vcc
	s_cbranch_execz .LBB161_418
; %bb.417:
	s_waitcnt lgkmcnt(0)
	flat_store_dword v[32:33], v2
.LBB161_418:
	s_or_b64 exec, exec, s[0:1]
	v_add_u32_e32 v0, 0x100, v100
	v_cmp_lt_u32_e32 vcc, v0, v10
	s_and_saveexec_b64 s[0:1], vcc
	s_cbranch_execz .LBB161_420
; %bb.419:
	s_waitcnt lgkmcnt(0)
	flat_store_dword v[32:33], v3 offset:1024
.LBB161_420:
	s_or_b64 exec, exec, s[0:1]
	v_add_u32_e32 v0, 0x200, v100
	v_cmp_lt_u32_e32 vcc, v0, v10
	s_and_saveexec_b64 s[0:1], vcc
	s_cbranch_execz .LBB161_422
; %bb.421:
	s_waitcnt lgkmcnt(0)
	flat_store_dword v[32:33], v6 offset:2048
.LBB161_422:
	;; [unrolled: 9-line block ×3, first 2 shown]
	s_or_b64 exec, exec, s[0:1]
	v_or_b32_e32 v0, 0x400, v100
	v_cmp_lt_u32_e32 vcc, v0, v10
	s_and_saveexec_b64 s[0:1], vcc
	s_cbranch_execz .LBB161_426
; %bb.425:
	v_add_co_u32_e32 v34, vcc, 0x1000, v32
	s_nop 1
	v_addc_co_u32_e32 v35, vcc, 0, v33, vcc
	s_waitcnt lgkmcnt(0)
	flat_store_dword v[34:35], v12
.LBB161_426:
	s_or_b64 exec, exec, s[0:1]
	v_add_u32_e32 v0, 0x500, v100
	v_cmp_lt_u32_e32 vcc, v0, v10
	s_and_saveexec_b64 s[0:1], vcc
	s_cbranch_execz .LBB161_428
; %bb.427:
	v_add_co_u32_e32 v34, vcc, 0x1000, v32
	s_nop 1
	v_addc_co_u32_e32 v35, vcc, 0, v33, vcc
	s_waitcnt lgkmcnt(0)
	flat_store_dword v[34:35], v13 offset:1024
.LBB161_428:
	s_or_b64 exec, exec, s[0:1]
	v_add_u32_e32 v0, 0x600, v100
	v_cmp_lt_u32_e32 vcc, v0, v10
	s_and_saveexec_b64 s[0:1], vcc
	s_cbranch_execz .LBB161_430
; %bb.429:
	v_add_co_u32_e32 v34, vcc, 0x1000, v32
	s_nop 1
	v_addc_co_u32_e32 v35, vcc, 0, v33, vcc
	s_waitcnt lgkmcnt(0)
	flat_store_dword v[34:35], v22 offset:2048
.LBB161_430:
	s_or_b64 exec, exec, s[0:1]
	v_add_u32_e32 v0, 0x700, v100
	v_cmp_lt_u32_e32 vcc, v0, v10
	s_and_saveexec_b64 s[0:1], vcc
	s_cbranch_execz .LBB161_432
; %bb.431:
	v_add_co_u32_e32 v34, vcc, 0x1000, v32
	s_nop 1
	v_addc_co_u32_e32 v35, vcc, 0, v33, vcc
	s_waitcnt lgkmcnt(0)
	flat_store_dword v[34:35], v23 offset:3072
.LBB161_432:
	s_or_b64 exec, exec, s[0:1]
	v_or_b32_e32 v0, 0x800, v100
	v_cmp_lt_u32_e32 vcc, v0, v10
	s_and_saveexec_b64 s[0:1], vcc
	s_cbranch_execz .LBB161_434
; %bb.433:
	v_add_co_u32_e32 v34, vcc, 0x2000, v32
	s_nop 1
	v_addc_co_u32_e32 v35, vcc, 0, v33, vcc
	s_waitcnt lgkmcnt(0)
	flat_store_dword v[34:35], v20
.LBB161_434:
	s_or_b64 exec, exec, s[0:1]
	v_add_u32_e32 v0, 0x900, v100
	v_cmp_lt_u32_e32 vcc, v0, v10
	s_and_saveexec_b64 s[0:1], vcc
	s_cbranch_execz .LBB161_436
; %bb.435:
	v_add_co_u32_e32 v34, vcc, 0x2000, v32
	s_nop 1
	v_addc_co_u32_e32 v35, vcc, 0, v33, vcc
	s_waitcnt lgkmcnt(0)
	flat_store_dword v[34:35], v21 offset:1024
.LBB161_436:
	s_or_b64 exec, exec, s[0:1]
	v_add_u32_e32 v0, 0xa00, v100
	v_cmp_lt_u32_e32 vcc, v0, v10
	s_and_saveexec_b64 s[0:1], vcc
	s_cbranch_execz .LBB161_438
; %bb.437:
	v_add_co_u32_e32 v34, vcc, 0x2000, v32
	s_nop 1
	v_addc_co_u32_e32 v35, vcc, 0, v33, vcc
	s_waitcnt lgkmcnt(0)
	flat_store_dword v[34:35], v24 offset:2048
.LBB161_438:
	s_or_b64 exec, exec, s[0:1]
	v_add_u32_e32 v0, 0xb00, v100
	v_cmp_lt_u32_e32 vcc, v0, v10
	s_and_saveexec_b64 s[0:1], vcc
	s_cbranch_execz .LBB161_440
; %bb.439:
	v_add_co_u32_e32 v34, vcc, 0x2000, v32
	s_nop 1
	v_addc_co_u32_e32 v35, vcc, 0, v33, vcc
	s_waitcnt lgkmcnt(0)
	flat_store_dword v[34:35], v25 offset:3072
.LBB161_440:
	;; [unrolled: 48-line block ×5, first 2 shown]
	s_or_b64 exec, exec, s[0:1]
	v_cmp_lt_u64_e32 vcc, 1, v[8:9]
	s_and_saveexec_b64 s[4:5], vcc
	s_cbranch_execz .LBB161_553
; %bb.465:
	s_add_u32 s0, 0, 0xaaaa0000
	s_addc_u32 s1, 0, 42
	s_add_i32 s1, s1, 0xaaaaa80
	s_mul_hi_u32 s9, s0, 0xffffffe8
	s_sub_i32 s9, s9, s0
	s_mul_i32 s10, s1, 0xffffffe8
	s_mul_i32 s6, s0, 0xffffffe8
	s_add_i32 s9, s9, s10
	s_mul_hi_u32 s7, s1, s6
	s_mul_i32 s8, s1, s6
	s_mul_i32 s11, s0, s9
	s_mul_hi_u32 s6, s0, s6
	s_mul_hi_u32 s10, s0, s9
	s_add_u32 s6, s6, s11
	s_addc_u32 s10, 0, s10
	s_add_u32 s6, s6, s8
	s_mul_hi_u32 s11, s1, s9
	s_addc_u32 s6, s10, s7
	s_addc_u32 s7, s11, 0
	s_mul_i32 s8, s1, s9
	s_add_u32 s6, s6, s8
	v_mov_b32_e32 v8, s6
	s_addc_u32 s7, 0, s7
	v_add_co_u32_e32 v34, vcc, s0, v8
	s_cmp_lg_u64 vcc, 0
	v_mov_b32_e32 v101, v1
	v_lshl_add_u64 v[0:1], v[10:11], 0, -1
	s_addc_u32 s6, s1, s7
	v_mad_u64_u32 v[8:9], s[0:1], v0, s6, 0
	v_mul_hi_u32 v10, v0, v34
	v_mov_b32_e32 v11, 0
	v_lshl_add_u64 v[8:9], v[10:11], 0, v[8:9]
	v_mad_u64_u32 v[34:35], s[0:1], v1, v34, 0
	v_add_co_u32_e32 v8, vcc, v8, v34
	v_mad_u64_u32 v[32:33], s[0:1], v1, s6, 0
	s_nop 0
	v_addc_co_u32_e32 v10, vcc, v9, v35, vcc
	s_nop 1
	v_addc_co_u32_e32 v33, vcc, 0, v33, vcc
	v_lshl_add_u64 v[8:9], v[10:11], 0, v[32:33]
	v_mad_u64_u32 v[10:11], s[0:1], v8, 24, 0
	v_mov_b32_e32 v32, v11
	v_mad_u64_u32 v[32:33], s[0:1], v9, 24, v[32:33]
	v_sub_co_u32_e32 v34, vcc, v0, v10
	v_cmp_lt_u32_e64 s[0:1], 23, v34
	s_nop 0
	v_subb_co_u32_e32 v35, vcc, v1, v32, vcc
	v_subrev_co_u32_e32 v10, vcc, 24, v34
	v_lshl_add_u64 v[32:33], v[8:9], 0, 1
	s_nop 0
	v_subbrev_co_u32_e32 v11, vcc, 0, v35, vcc
	v_cmp_lt_u32_e32 vcc, 23, v10
	s_nop 1
	v_cndmask_b32_e64 v10, 0, -1, vcc
	v_cmp_eq_u32_e32 vcc, 0, v11
	s_nop 1
	v_cndmask_b32_e32 v36, -1, v10, vcc
	v_lshl_add_u64 v[10:11], v[8:9], 0, 2
	v_cmp_ne_u32_e32 vcc, 0, v36
	s_nop 1
	v_cndmask_b32_e32 v11, v33, v11, vcc
	v_cndmask_b32_e64 v33, 0, -1, s[0:1]
	v_cmp_eq_u32_e64 s[0:1], 0, v35
	v_cndmask_b32_e32 v10, v32, v10, vcc
	s_nop 0
	v_cndmask_b32_e64 v33, -1, v33, s[0:1]
	v_cmp_ne_u32_e64 s[0:1], 0, v33
	s_nop 1
	v_cndmask_b32_e64 v9, v9, v11, s[0:1]
	v_cndmask_b32_e64 v8, v8, v10, s[0:1]
	v_cmp_eq_u64_e32 vcc, v[8:9], v[100:101]
	s_and_b64 exec, exec, vcc
	s_cbranch_execz .LBB161_553
; %bb.466:
	v_mul_hi_u32_u24_e32 v8, 24, v100
	v_sub_co_u32_e32 v0, vcc, v0, v98
	s_mov_b64 s[0:1], 0
	s_nop 0
	v_subb_co_u32_e32 v1, vcc, v1, v8, vcc
	v_cmp_lt_i64_e32 vcc, 11, v[0:1]
	s_mov_b64 s[12:13], 0
	s_mov_b64 s[10:11], 0
	s_mov_b64 s[8:9], 0
	s_and_saveexec_b64 s[6:7], vcc
	s_xor_b64 s[6:7], exec, s[6:7]
	s_cbranch_execnz .LBB161_472
; %bb.467:
	s_andn2_saveexec_b64 s[6:7], s[6:7]
	s_cbranch_execnz .LBB161_517
.LBB161_468:
	s_or_b64 exec, exec, s[6:7]
	s_and_saveexec_b64 s[6:7], s[12:13]
	s_cbranch_execnz .LBB161_532
.LBB161_469:
	s_or_b64 exec, exec, s[6:7]
	s_and_saveexec_b64 s[6:7], s[10:11]
	s_cbranch_execnz .LBB161_533
.LBB161_470:
	s_or_b64 exec, exec, s[6:7]
	s_and_saveexec_b64 s[6:7], s[8:9]
	s_xor_b64 s[6:7], exec, s[6:7]
	s_cbranch_execnz .LBB161_534
.LBB161_471:
	s_or_b64 exec, exec, s[6:7]
	s_and_b64 exec, exec, s[0:1]
	s_cbranch_execnz .LBB161_535
	s_branch .LBB161_553
.LBB161_472:
	v_cmp_lt_i64_e32 vcc, 17, v[0:1]
	s_and_saveexec_b64 s[14:15], vcc
	s_xor_b64 s[14:15], exec, s[14:15]
	s_cbranch_execz .LBB161_494
; %bb.473:
	v_cmp_lt_i64_e32 vcc, 20, v[0:1]
                                        ; implicit-def: $vgpr15
	s_and_saveexec_b64 s[16:17], vcc
	s_xor_b64 s[16:17], exec, s[16:17]
	s_cbranch_execz .LBB161_483
; %bb.474:
	v_cmp_lt_i64_e32 vcc, 21, v[0:1]
	s_mov_b64 s[18:19], 0
                                        ; implicit-def: $vgpr15
	s_and_saveexec_b64 s[8:9], vcc
	s_xor_b64 s[8:9], exec, s[8:9]
	s_cbranch_execz .LBB161_480
; %bb.475:
	v_cmp_lt_i64_e32 vcc, 22, v[0:1]
	s_and_saveexec_b64 s[18:19], vcc
	s_xor_b64 s[18:19], exec, s[18:19]
	s_cbranch_execz .LBB161_477
; %bb.476:
	s_waitcnt lgkmcnt(0)
	flat_store_dword v[4:5], v31
                                        ; implicit-def: $vgpr30
.LBB161_477:
	s_or_saveexec_b64 s[18:19], s[18:19]
	s_mov_b64 s[20:21], 0
	s_xor_b64 exec, exec, s[18:19]
; %bb.478:
	s_mov_b64 s[20:21], exec
; %bb.479:
	s_or_b64 exec, exec, s[18:19]
	s_and_b64 s[18:19], s[20:21], exec
	s_waitcnt lgkmcnt(0)
	v_mov_b32_e32 v15, v30
                                        ; implicit-def: $vgpr17
.LBB161_480:
	s_andn2_saveexec_b64 s[8:9], s[8:9]
; %bb.481:
	s_mov_b64 s[10:11], exec
                                        ; implicit-def: $vgpr15
; %bb.482:
	s_or_b64 exec, exec, s[8:9]
	s_and_b64 s[8:9], s[18:19], exec
	s_and_b64 s[10:11], s[10:11], exec
                                        ; implicit-def: $vgpr26_vgpr27
.LBB161_483:
	s_andn2_saveexec_b64 s[16:17], s[16:17]
	s_cbranch_execz .LBB161_493
; %bb.484:
	v_cmp_lt_i64_e32 vcc, 18, v[0:1]
	s_mov_b64 s[18:19], 0
	s_and_saveexec_b64 s[12:13], vcc
	s_xor_b64 s[12:13], exec, s[12:13]
	s_cbranch_execz .LBB161_490
; %bb.485:
	v_cmp_lt_i64_e32 vcc, 19, v[0:1]
	s_and_saveexec_b64 s[20:21], vcc
	s_xor_b64 s[20:21], exec, s[20:21]
; %bb.486:
	s_mov_b64 s[18:19], exec
                                        ; implicit-def: $vgpr26_vgpr27
; %bb.487:
	s_andn2_saveexec_b64 s[20:21], s[20:21]
	s_cbranch_execz .LBB161_489
; %bb.488:
	s_waitcnt lgkmcnt(0)
	flat_store_dword v[4:5], v27
                                        ; implicit-def: $vgpr16
.LBB161_489:
	s_or_b64 exec, exec, s[20:21]
	s_and_b64 s[18:19], s[18:19], exec
                                        ; implicit-def: $vgpr26_vgpr27
.LBB161_490:
	s_andn2_saveexec_b64 s[12:13], s[12:13]
	s_cbranch_execz .LBB161_492
; %bb.491:
	s_waitcnt lgkmcnt(0)
	flat_store_dword v[4:5], v26
                                        ; implicit-def: $vgpr16
.LBB161_492:
	s_or_b64 exec, exec, s[12:13]
	s_and_b64 s[12:13], s[18:19], exec
                                        ; implicit-def: $vgpr15
.LBB161_493:
	s_or_b64 exec, exec, s[16:17]
	s_and_b64 s[8:9], s[8:9], exec
	s_and_b64 s[10:11], s[10:11], exec
	;; [unrolled: 1-line block ×3, first 2 shown]
                                        ; implicit-def: $vgpr18
                                        ; implicit-def: $vgpr28_vgpr29
.LBB161_494:
	s_andn2_saveexec_b64 s[14:15], s[14:15]
	s_cbranch_execz .LBB161_516
; %bb.495:
	v_cmp_lt_i64_e32 vcc, 14, v[0:1]
	s_mov_b64 s[16:17], s[8:9]
	s_and_saveexec_b64 s[18:19], vcc
	s_xor_b64 s[18:19], exec, s[18:19]
	s_cbranch_execz .LBB161_505
; %bb.496:
	v_cmp_lt_i64_e32 vcc, 15, v[0:1]
	s_and_saveexec_b64 s[16:17], vcc
	s_xor_b64 s[16:17], exec, s[16:17]
	s_cbranch_execz .LBB161_502
; %bb.497:
	v_cmp_lt_i64_e32 vcc, 16, v[0:1]
	s_and_saveexec_b64 s[20:21], vcc
	s_xor_b64 s[20:21], exec, s[20:21]
	s_cbranch_execz .LBB161_499
; %bb.498:
	s_waitcnt lgkmcnt(0)
	flat_store_dword v[4:5], v29
                                        ; implicit-def: $vgpr28_vgpr29
.LBB161_499:
	s_andn2_saveexec_b64 s[20:21], s[20:21]
	s_cbranch_execz .LBB161_501
; %bb.500:
	s_waitcnt lgkmcnt(0)
	flat_store_dword v[4:5], v28
.LBB161_501:
	s_or_b64 exec, exec, s[20:21]
                                        ; implicit-def: $vgpr15
.LBB161_502:
	s_or_saveexec_b64 s[16:17], s[16:17]
	s_mov_b64 s[20:21], s[8:9]
	s_xor_b64 exec, exec, s[16:17]
; %bb.503:
	s_or_b64 s[20:21], s[8:9], exec
; %bb.504:
	s_or_b64 exec, exec, s[16:17]
	s_andn2_b64 s[16:17], s[8:9], exec
	s_and_b64 s[20:21], s[20:21], exec
	s_or_b64 s[16:17], s[16:17], s[20:21]
                                        ; implicit-def: $vgpr18
.LBB161_505:
	s_or_saveexec_b64 s[18:19], s[18:19]
	s_mov_b64 s[20:21], s[10:11]
                                        ; implicit-def: $vgpr17
	s_xor_b64 exec, exec, s[18:19]
	s_cbranch_execz .LBB161_515
; %bb.506:
	v_cmp_lt_i64_e32 vcc, 12, v[0:1]
	s_mov_b64 s[22:23], s[10:11]
	s_mov_b64 s[24:25], s[16:17]
                                        ; implicit-def: $vgpr17
	s_and_saveexec_b64 s[20:21], vcc
	s_xor_b64 s[20:21], exec, s[20:21]
	s_cbranch_execz .LBB161_512
; %bb.507:
	v_cmp_lt_i64_e32 vcc, 13, v[0:1]
	s_mov_b64 s[22:23], s[16:17]
	s_and_saveexec_b64 s[24:25], vcc
	s_xor_b64 s[24:25], exec, s[24:25]
; %bb.508:
	s_or_b64 s[22:23], s[16:17], exec
                                        ; implicit-def: $vgpr19
; %bb.509:
	s_or_saveexec_b64 s[24:25], s[24:25]
	s_mov_b64 s[26:27], s[10:11]
	s_xor_b64 exec, exec, s[24:25]
; %bb.510:
	s_or_b64 s[26:27], s[10:11], exec
                                        ; implicit-def: $vgpr14
; %bb.511:
	s_or_b64 exec, exec, s[24:25]
	s_andn2_b64 s[24:25], s[16:17], exec
	s_and_b64 s[22:23], s[22:23], exec
	s_or_b64 s[24:25], s[24:25], s[22:23]
	s_andn2_b64 s[22:23], s[10:11], exec
	s_and_b64 s[26:27], s[26:27], exec
	s_or_b64 s[22:23], s[22:23], s[26:27]
	s_waitcnt lgkmcnt(0)
	v_mov_b32_e32 v15, v14
	v_mov_b32_e32 v17, v19
                                        ; implicit-def: $vgpr18
.LBB161_512:
	s_andn2_saveexec_b64 s[20:21], s[20:21]
	s_cbranch_execz .LBB161_514
; %bb.513:
	s_or_b64 s[22:23], s[22:23], exec
                                        ; implicit-def: $vgpr15
	s_waitcnt lgkmcnt(0)
	v_mov_b32_e32 v17, v18
.LBB161_514:
	s_or_b64 exec, exec, s[20:21]
	s_andn2_b64 s[16:17], s[16:17], exec
	s_and_b64 s[20:21], s[24:25], exec
	s_or_b64 s[16:17], s[16:17], s[20:21]
	s_andn2_b64 s[20:21], s[10:11], exec
	s_and_b64 s[22:23], s[22:23], exec
	s_or_b64 s[20:21], s[20:21], s[22:23]
.LBB161_515:
	s_or_b64 exec, exec, s[18:19]
	s_andn2_b64 s[8:9], s[8:9], exec
	s_and_b64 s[16:17], s[16:17], exec
	s_or_b64 s[8:9], s[8:9], s[16:17]
	s_andn2_b64 s[10:11], s[10:11], exec
	s_and_b64 s[16:17], s[20:21], exec
	s_or_b64 s[10:11], s[10:11], s[16:17]
.LBB161_516:
	s_or_b64 exec, exec, s[14:15]
	s_and_b64 s[8:9], s[8:9], exec
	s_and_b64 s[10:11], s[10:11], exec
	;; [unrolled: 1-line block ×3, first 2 shown]
                                        ; implicit-def: $vgpr22
                                        ; implicit-def: $vgpr20
                                        ; implicit-def: $vgpr24
	s_andn2_saveexec_b64 s[6:7], s[6:7]
	s_cbranch_execz .LBB161_468
.LBB161_517:
	v_cmp_lt_i64_e32 vcc, 5, v[0:1]
	s_mov_b64 s[16:17], -1
	s_mov_b64 s[14:15], s[12:13]
	s_mov_b64 s[18:19], s[10:11]
	;; [unrolled: 1-line block ×3, first 2 shown]
                                        ; implicit-def: $vgpr15
                                        ; implicit-def: $vgpr17
	s_and_saveexec_b64 s[0:1], vcc
	s_cbranch_execz .LBB161_531
; %bb.518:
	v_cmp_lt_i64_e32 vcc, 8, v[0:1]
	s_mov_b64 s[14:15], s[12:13]
                                        ; implicit-def: $vgpr16
	s_and_saveexec_b64 s[16:17], vcc
	s_xor_b64 s[16:17], exec, s[16:17]
	s_cbranch_execz .LBB161_526
; %bb.519:
	v_cmp_lt_i64_e32 vcc, 9, v[0:1]
	s_and_saveexec_b64 s[14:15], vcc
	s_xor_b64 s[14:15], exec, s[14:15]
	s_cbranch_execz .LBB161_523
; %bb.520:
	v_cmp_lt_i64_e32 vcc, 10, v[0:1]
	s_and_saveexec_b64 s[18:19], vcc
	s_xor_b64 s[18:19], exec, s[18:19]
	s_andn2_saveexec_b64 s[18:19], s[18:19]
	s_cbranch_execz .LBB161_522
; %bb.521:
	s_waitcnt lgkmcnt(0)
	v_mov_b32_e32 v25, v24
.LBB161_522:
	s_or_b64 exec, exec, s[18:19]
                                        ; implicit-def: $vgpr21
.LBB161_523:
	s_andn2_saveexec_b64 s[14:15], s[14:15]
	s_cbranch_execz .LBB161_525
; %bb.524:
	s_waitcnt lgkmcnt(0)
	v_mov_b32_e32 v25, v21
.LBB161_525:
	s_or_b64 exec, exec, s[14:15]
	s_or_b64 s[14:15], s[12:13], exec
	s_waitcnt lgkmcnt(0)
	v_mov_b32_e32 v16, v25
                                        ; implicit-def: $vgpr22
                                        ; implicit-def: $vgpr20
.LBB161_526:
	s_or_saveexec_b64 s[16:17], s[16:17]
	s_mov_b64 s[18:19], s[10:11]
	s_mov_b64 s[22:23], s[8:9]
                                        ; implicit-def: $vgpr15
	s_xor_b64 exec, exec, s[16:17]
	s_cbranch_execz .LBB161_530
; %bb.527:
	v_cmp_lt_i64_e32 vcc, 6, v[0:1]
	s_mov_b64 s[22:23], -1
	s_mov_b64 s[20:21], s[14:15]
	s_mov_b64 s[18:19], s[10:11]
	s_and_saveexec_b64 s[24:25], vcc
; %bb.528:
	v_cmp_lt_i64_e32 vcc, 7, v[0:1]
	s_andn2_b64 s[20:21], s[14:15], exec
	s_and_b64 s[26:27], vcc, exec
	s_xor_b64 s[22:23], exec, -1
	s_or_b64 s[18:19], s[10:11], exec
	s_or_b64 s[20:21], s[20:21], s[26:27]
; %bb.529:
	s_or_b64 exec, exec, s[24:25]
	s_andn2_b64 s[24:25], s[8:9], exec
	s_and_b64 s[22:23], s[22:23], exec
	s_or_b64 s[22:23], s[24:25], s[22:23]
	s_andn2_b64 s[24:25], s[10:11], exec
	s_and_b64 s[18:19], s[18:19], exec
	s_andn2_b64 s[14:15], s[14:15], exec
	s_and_b64 s[20:21], s[20:21], exec
	s_or_b64 s[18:19], s[24:25], s[18:19]
	s_or_b64 s[14:15], s[14:15], s[20:21]
	s_waitcnt lgkmcnt(0)
	v_mov_b32_e32 v15, v22
	v_mov_b32_e32 v17, v23
	;; [unrolled: 1-line block ×3, first 2 shown]
.LBB161_530:
	s_or_b64 exec, exec, s[16:17]
	s_andn2_b64 s[20:21], s[8:9], exec
	s_and_b64 s[22:23], s[22:23], exec
	s_or_b64 s[20:21], s[20:21], s[22:23]
	s_andn2_b64 s[22:23], s[10:11], exec
	s_and_b64 s[18:19], s[18:19], exec
	s_or_b64 s[18:19], s[22:23], s[18:19]
	s_andn2_b64 s[22:23], s[12:13], exec
	s_and_b64 s[14:15], s[14:15], exec
	s_xor_b64 s[16:17], exec, -1
	s_or_b64 s[14:15], s[22:23], s[14:15]
.LBB161_531:
	s_or_b64 exec, exec, s[0:1]
	s_and_b64 s[0:1], s[16:17], exec
	s_andn2_b64 s[8:9], s[8:9], exec
	s_and_b64 s[16:17], s[20:21], exec
	s_or_b64 s[8:9], s[8:9], s[16:17]
	s_andn2_b64 s[10:11], s[10:11], exec
	s_and_b64 s[16:17], s[18:19], exec
	s_andn2_b64 s[12:13], s[12:13], exec
	s_and_b64 s[14:15], s[14:15], exec
	s_or_b64 s[10:11], s[10:11], s[16:17]
	s_or_b64 s[12:13], s[12:13], s[14:15]
	s_or_b64 exec, exec, s[6:7]
	s_and_saveexec_b64 s[6:7], s[12:13]
	s_cbranch_execz .LBB161_469
.LBB161_532:
	s_andn2_b64 s[10:11], s[10:11], exec
	s_waitcnt lgkmcnt(0)
	flat_store_dword v[4:5], v16
                                        ; implicit-def: $vgpr15
                                        ; implicit-def: $vgpr17
	s_or_b64 exec, exec, s[6:7]
	s_and_saveexec_b64 s[6:7], s[10:11]
	s_cbranch_execz .LBB161_470
.LBB161_533:
	s_waitcnt lgkmcnt(0)
	flat_store_dword v[4:5], v17
                                        ; implicit-def: $vgpr15
	s_or_b64 exec, exec, s[6:7]
	s_and_saveexec_b64 s[6:7], s[8:9]
	s_xor_b64 s[6:7], exec, s[6:7]
	s_cbranch_execz .LBB161_471
.LBB161_534:
	s_waitcnt lgkmcnt(0)
	flat_store_dword v[4:5], v15
	s_or_b64 exec, exec, s[6:7]
	s_and_b64 exec, exec, s[0:1]
	s_cbranch_execz .LBB161_553
.LBB161_535:
	v_cmp_lt_i64_e32 vcc, 2, v[0:1]
	s_and_saveexec_b64 s[0:1], vcc
	s_xor_b64 s[0:1], exec, s[0:1]
	s_cbranch_execz .LBB161_545
; %bb.536:
	v_cmp_lt_i64_e32 vcc, 3, v[0:1]
	s_and_saveexec_b64 s[6:7], vcc
	s_xor_b64 s[6:7], exec, s[6:7]
	s_cbranch_execz .LBB161_542
; %bb.537:
	;; [unrolled: 5-line block ×3, first 2 shown]
	s_waitcnt lgkmcnt(0)
	flat_store_dword v[4:5], v13
                                        ; implicit-def: $vgpr4_vgpr5
                                        ; implicit-def: $vgpr12_vgpr13
.LBB161_539:
	s_andn2_saveexec_b64 s[8:9], s[8:9]
	s_cbranch_execz .LBB161_541
; %bb.540:
	s_waitcnt lgkmcnt(0)
	flat_store_dword v[4:5], v12
.LBB161_541:
	s_or_b64 exec, exec, s[8:9]
                                        ; implicit-def: $vgpr4_vgpr5
                                        ; implicit-def: $vgpr6_vgpr7
.LBB161_542:
	s_andn2_saveexec_b64 s[6:7], s[6:7]
	s_cbranch_execz .LBB161_544
; %bb.543:
	s_waitcnt lgkmcnt(0)
	flat_store_dword v[4:5], v7
.LBB161_544:
	s_or_b64 exec, exec, s[6:7]
                                        ; implicit-def: $vgpr0_vgpr1
                                        ; implicit-def: $vgpr4_vgpr5
                                        ; implicit-def: $vgpr6_vgpr7
                                        ; implicit-def: $vgpr2_vgpr3
.LBB161_545:
	s_andn2_saveexec_b64 s[0:1], s[0:1]
	s_cbranch_execz .LBB161_553
; %bb.546:
	v_cmp_lt_i64_e32 vcc, 1, v[0:1]
	s_and_saveexec_b64 s[0:1], vcc
	s_xor_b64 s[0:1], exec, s[0:1]
	s_cbranch_execz .LBB161_548
; %bb.547:
	s_waitcnt lgkmcnt(0)
	flat_store_dword v[4:5], v6
                                        ; implicit-def: $vgpr4_vgpr5
                                        ; implicit-def: $vgpr2_vgpr3
                                        ; implicit-def: $vgpr0_vgpr1
.LBB161_548:
	s_andn2_saveexec_b64 s[0:1], s[0:1]
	s_cbranch_execz .LBB161_553
; %bb.549:
	v_cmp_ne_u64_e32 vcc, 1, v[0:1]
	s_and_saveexec_b64 s[0:1], vcc
	s_xor_b64 s[0:1], exec, s[0:1]
	s_cbranch_execz .LBB161_551
; %bb.550:
	s_waitcnt lgkmcnt(0)
	flat_store_dword v[4:5], v2
                                        ; implicit-def: $vgpr4_vgpr5
                                        ; implicit-def: $vgpr2_vgpr3
.LBB161_551:
	s_andn2_saveexec_b64 s[0:1], s[0:1]
	s_cbranch_execz .LBB161_553
; %bb.552:
	s_waitcnt lgkmcnt(0)
	flat_store_dword v[4:5], v3
.LBB161_553:
	s_or_b64 exec, exec, s[4:5]
.LBB161_554:
	s_or_b64 exec, exec, s[2:3]
	v_readlane_b32 s30, v40, 0
	v_readlane_b32 s31, v40, 1
	s_or_saveexec_b64 s[0:1], -1
	scratch_load_dword v40, off, s32        ; 4-byte Folded Reload
	s_mov_b64 exec, s[0:1]
	s_waitcnt vmcnt(0) lgkmcnt(0)
	s_setpc_b64 s[30:31]
.Lfunc_end161:
	.size	_ZZZN7rocprim17ROCPRIM_400000_NS6detail9scan_implILNS1_25lookback_scan_determinismE0ELb0ELb0ENS0_14default_configEPKfPffZZZN2at6native31launch_logcumsumexp_cuda_kernelERKNS8_10TensorBaseESC_lENKUlvE_clEvENKUlvE0_clEvEUlffE_fEEDaPvRmT3_T4_T5_mT6_P12ihipStream_tbENKUlT_T0_E_clISt17integral_constantIbLb0EESS_IbLb1EEEEDaSO_SP_ENKUlSO_E_clINS1_13target_configIS4_NS1_20scan_config_selectorIfEENS1_11comp_targetILNS1_3genE5ELNS1_11target_archE942ELNS1_3gpuE9ELNS1_3repE0EEELNS0_4arch9wavefront6targetE1EEEEEDaSO_, .Lfunc_end161-_ZZZN7rocprim17ROCPRIM_400000_NS6detail9scan_implILNS1_25lookback_scan_determinismE0ELb0ELb0ENS0_14default_configEPKfPffZZZN2at6native31launch_logcumsumexp_cuda_kernelERKNS8_10TensorBaseESC_lENKUlvE_clEvENKUlvE0_clEvEUlffE_fEEDaPvRmT3_T4_T5_mT6_P12ihipStream_tbENKUlT_T0_E_clISt17integral_constantIbLb0EESS_IbLb1EEEEDaSO_SP_ENKUlSO_E_clINS1_13target_configIS4_NS1_20scan_config_selectorIfEENS1_11comp_targetILNS1_3genE5ELNS1_11target_archE942ELNS1_3gpuE9ELNS1_3repE0EEELNS0_4arch9wavefront6targetE1EEEEEDaSO_
                                        ; -- End function
	.section	.AMDGPU.csdata,"",@progbits
; Function info:
; codeLenInByte = 121300
; NumSgprs: 80
; NumVgprs: 196
; NumAgprs: 0
; TotalNumVgprs: 196
; ScratchSize: 8
; MemoryBound: 0
	.section	.text._ZN7rocprim17ROCPRIM_400000_NS6detail17trampoline_kernelINS0_14default_configENS1_20scan_config_selectorIfEEZZNS1_9scan_implILNS1_25lookback_scan_determinismE0ELb0ELb0ES3_PKfPffZZZN2at6native31launch_logcumsumexp_cuda_kernelERKNSB_10TensorBaseESF_lENKUlvE_clEvENKUlvE0_clEvEUlffE_fEEDaPvRmT3_T4_T5_mT6_P12ihipStream_tbENKUlT_T0_E_clISt17integral_constantIbLb0EESV_IbLb1EEEEDaSR_SS_EUlSR_E_NS1_11comp_targetILNS1_3genE5ELNS1_11target_archE942ELNS1_3gpuE9ELNS1_3repE0EEENS1_30default_config_static_selectorELNS0_4arch9wavefront6targetE1EEEvT1_,"axG",@progbits,_ZN7rocprim17ROCPRIM_400000_NS6detail17trampoline_kernelINS0_14default_configENS1_20scan_config_selectorIfEEZZNS1_9scan_implILNS1_25lookback_scan_determinismE0ELb0ELb0ES3_PKfPffZZZN2at6native31launch_logcumsumexp_cuda_kernelERKNSB_10TensorBaseESF_lENKUlvE_clEvENKUlvE0_clEvEUlffE_fEEDaPvRmT3_T4_T5_mT6_P12ihipStream_tbENKUlT_T0_E_clISt17integral_constantIbLb0EESV_IbLb1EEEEDaSR_SS_EUlSR_E_NS1_11comp_targetILNS1_3genE5ELNS1_11target_archE942ELNS1_3gpuE9ELNS1_3repE0EEENS1_30default_config_static_selectorELNS0_4arch9wavefront6targetE1EEEvT1_,comdat
	.globl	_ZN7rocprim17ROCPRIM_400000_NS6detail17trampoline_kernelINS0_14default_configENS1_20scan_config_selectorIfEEZZNS1_9scan_implILNS1_25lookback_scan_determinismE0ELb0ELb0ES3_PKfPffZZZN2at6native31launch_logcumsumexp_cuda_kernelERKNSB_10TensorBaseESF_lENKUlvE_clEvENKUlvE0_clEvEUlffE_fEEDaPvRmT3_T4_T5_mT6_P12ihipStream_tbENKUlT_T0_E_clISt17integral_constantIbLb0EESV_IbLb1EEEEDaSR_SS_EUlSR_E_NS1_11comp_targetILNS1_3genE5ELNS1_11target_archE942ELNS1_3gpuE9ELNS1_3repE0EEENS1_30default_config_static_selectorELNS0_4arch9wavefront6targetE1EEEvT1_ ; -- Begin function _ZN7rocprim17ROCPRIM_400000_NS6detail17trampoline_kernelINS0_14default_configENS1_20scan_config_selectorIfEEZZNS1_9scan_implILNS1_25lookback_scan_determinismE0ELb0ELb0ES3_PKfPffZZZN2at6native31launch_logcumsumexp_cuda_kernelERKNSB_10TensorBaseESF_lENKUlvE_clEvENKUlvE0_clEvEUlffE_fEEDaPvRmT3_T4_T5_mT6_P12ihipStream_tbENKUlT_T0_E_clISt17integral_constantIbLb0EESV_IbLb1EEEEDaSR_SS_EUlSR_E_NS1_11comp_targetILNS1_3genE5ELNS1_11target_archE942ELNS1_3gpuE9ELNS1_3repE0EEENS1_30default_config_static_selectorELNS0_4arch9wavefront6targetE1EEEvT1_
	.p2align	8
	.type	_ZN7rocprim17ROCPRIM_400000_NS6detail17trampoline_kernelINS0_14default_configENS1_20scan_config_selectorIfEEZZNS1_9scan_implILNS1_25lookback_scan_determinismE0ELb0ELb0ES3_PKfPffZZZN2at6native31launch_logcumsumexp_cuda_kernelERKNSB_10TensorBaseESF_lENKUlvE_clEvENKUlvE0_clEvEUlffE_fEEDaPvRmT3_T4_T5_mT6_P12ihipStream_tbENKUlT_T0_E_clISt17integral_constantIbLb0EESV_IbLb1EEEEDaSR_SS_EUlSR_E_NS1_11comp_targetILNS1_3genE5ELNS1_11target_archE942ELNS1_3gpuE9ELNS1_3repE0EEENS1_30default_config_static_selectorELNS0_4arch9wavefront6targetE1EEEvT1_,@function
_ZN7rocprim17ROCPRIM_400000_NS6detail17trampoline_kernelINS0_14default_configENS1_20scan_config_selectorIfEEZZNS1_9scan_implILNS1_25lookback_scan_determinismE0ELb0ELb0ES3_PKfPffZZZN2at6native31launch_logcumsumexp_cuda_kernelERKNSB_10TensorBaseESF_lENKUlvE_clEvENKUlvE0_clEvEUlffE_fEEDaPvRmT3_T4_T5_mT6_P12ihipStream_tbENKUlT_T0_E_clISt17integral_constantIbLb0EESV_IbLb1EEEEDaSR_SS_EUlSR_E_NS1_11comp_targetILNS1_3genE5ELNS1_11target_archE942ELNS1_3gpuE9ELNS1_3repE0EEENS1_30default_config_static_selectorELNS0_4arch9wavefront6targetE1EEEvT1_: ; @_ZN7rocprim17ROCPRIM_400000_NS6detail17trampoline_kernelINS0_14default_configENS1_20scan_config_selectorIfEEZZNS1_9scan_implILNS1_25lookback_scan_determinismE0ELb0ELb0ES3_PKfPffZZZN2at6native31launch_logcumsumexp_cuda_kernelERKNSB_10TensorBaseESF_lENKUlvE_clEvENKUlvE0_clEvEUlffE_fEEDaPvRmT3_T4_T5_mT6_P12ihipStream_tbENKUlT_T0_E_clISt17integral_constantIbLb0EESV_IbLb1EEEEDaSR_SS_EUlSR_E_NS1_11comp_targetILNS1_3genE5ELNS1_11target_archE942ELNS1_3gpuE9ELNS1_3repE0EEENS1_30default_config_static_selectorELNS0_4arch9wavefront6targetE1EEEvT1_
; %bb.0:
	s_load_dwordx8 s[4:11], s[0:1], 0x0
	s_load_dwordx8 s[12:19], s[0:1], 0x20
	s_mov_b64 s[2:3], src_private_base
	v_mov_b32_e32 v31, v0
	v_mov_b32_e32 v0, 0
	s_waitcnt lgkmcnt(0)
	v_mov_b64_e32 v[2:3], s[4:5]
	v_mov_b64_e32 v[6:7], s[8:9]
	;; [unrolled: 1-line block ×4, first 2 shown]
	s_load_dwordx8 s[4:11], s[0:1], 0x40
	scratch_store_dwordx4 off, v[2:5], off
	scratch_store_dwordx4 off, v[6:9], off offset:16
	v_mov_b32_e32 v1, s3
	v_mov_b64_e32 v[2:3], s[12:13]
	v_mov_b64_e32 v[4:5], s[14:15]
	scratch_store_dwordx4 off, v[2:5], off offset:32
	s_movk_i32 s32, 0x70
	s_nop 0
	v_mov_b64_e32 v[2:3], s[16:17]
	v_mov_b64_e32 v[4:5], s[18:19]
	scratch_store_dwordx4 off, v[2:5], off offset:48
	s_waitcnt lgkmcnt(0)
	s_nop 0
	v_mov_b64_e32 v[2:3], s[4:5]
	v_mov_b64_e32 v[4:5], s[6:7]
	scratch_store_dwordx4 off, v[2:5], off offset:64
	s_nop 1
	v_mov_b64_e32 v[2:3], s[8:9]
	v_mov_b64_e32 v[4:5], s[10:11]
	s_add_u32 s8, s0, 0x60
	s_addc_u32 s9, s1, 0
	scratch_store_dwordx4 off, v[2:5], off offset:80
	s_getpc_b64 s[0:1]
	s_add_u32 s0, s0, _ZZZN7rocprim17ROCPRIM_400000_NS6detail9scan_implILNS1_25lookback_scan_determinismE0ELb0ELb0ENS0_14default_configEPKfPffZZZN2at6native31launch_logcumsumexp_cuda_kernelERKNS8_10TensorBaseESC_lENKUlvE_clEvENKUlvE0_clEvEUlffE_fEEDaPvRmT3_T4_T5_mT6_P12ihipStream_tbENKUlT_T0_E_clISt17integral_constantIbLb0EESS_IbLb1EEEEDaSO_SP_ENKUlSO_E_clINS1_13target_configIS4_NS1_20scan_config_selectorIfEENS1_11comp_targetILNS1_3genE5ELNS1_11target_archE942ELNS1_3gpuE9ELNS1_3repE0EEELNS0_4arch9wavefront6targetE1EEEEEDaSO_@rel32@lo+4
	s_addc_u32 s1, s1, _ZZZN7rocprim17ROCPRIM_400000_NS6detail9scan_implILNS1_25lookback_scan_determinismE0ELb0ELb0ENS0_14default_configEPKfPffZZZN2at6native31launch_logcumsumexp_cuda_kernelERKNS8_10TensorBaseESC_lENKUlvE_clEvENKUlvE0_clEvEUlffE_fEEDaPvRmT3_T4_T5_mT6_P12ihipStream_tbENKUlT_T0_E_clISt17integral_constantIbLb0EESS_IbLb1EEEEDaSO_SP_ENKUlSO_E_clINS1_13target_configIS4_NS1_20scan_config_selectorIfEENS1_11comp_targetILNS1_3genE5ELNS1_11target_archE942ELNS1_3gpuE9ELNS1_3repE0EEELNS0_4arch9wavefront6targetE1EEEEEDaSO_@rel32@hi+12
	s_swappc_b64 s[30:31], s[0:1]
	s_endpgm
	.section	.rodata,"a",@progbits
	.p2align	6, 0x0
	.amdhsa_kernel _ZN7rocprim17ROCPRIM_400000_NS6detail17trampoline_kernelINS0_14default_configENS1_20scan_config_selectorIfEEZZNS1_9scan_implILNS1_25lookback_scan_determinismE0ELb0ELb0ES3_PKfPffZZZN2at6native31launch_logcumsumexp_cuda_kernelERKNSB_10TensorBaseESF_lENKUlvE_clEvENKUlvE0_clEvEUlffE_fEEDaPvRmT3_T4_T5_mT6_P12ihipStream_tbENKUlT_T0_E_clISt17integral_constantIbLb0EESV_IbLb1EEEEDaSR_SS_EUlSR_E_NS1_11comp_targetILNS1_3genE5ELNS1_11target_archE942ELNS1_3gpuE9ELNS1_3repE0EEENS1_30default_config_static_selectorELNS0_4arch9wavefront6targetE1EEEvT1_
		.amdhsa_group_segment_fixed_size 24576
		.amdhsa_private_segment_fixed_size 120
		.amdhsa_kernarg_size 352
		.amdhsa_user_sgpr_count 2
		.amdhsa_user_sgpr_dispatch_ptr 0
		.amdhsa_user_sgpr_queue_ptr 0
		.amdhsa_user_sgpr_kernarg_segment_ptr 1
		.amdhsa_user_sgpr_dispatch_id 0
		.amdhsa_user_sgpr_kernarg_preload_length 0
		.amdhsa_user_sgpr_kernarg_preload_offset 0
		.amdhsa_user_sgpr_private_segment_size 0
		.amdhsa_uses_dynamic_stack 0
		.amdhsa_enable_private_segment 1
		.amdhsa_system_sgpr_workgroup_id_x 1
		.amdhsa_system_sgpr_workgroup_id_y 0
		.amdhsa_system_sgpr_workgroup_id_z 0
		.amdhsa_system_sgpr_workgroup_info 0
		.amdhsa_system_vgpr_workitem_id 0
		.amdhsa_next_free_vgpr 196
		.amdhsa_next_free_sgpr 74
		.amdhsa_accum_offset 196
		.amdhsa_reserve_vcc 1
		.amdhsa_float_round_mode_32 0
		.amdhsa_float_round_mode_16_64 0
		.amdhsa_float_denorm_mode_32 3
		.amdhsa_float_denorm_mode_16_64 3
		.amdhsa_dx10_clamp 1
		.amdhsa_ieee_mode 1
		.amdhsa_fp16_overflow 0
		.amdhsa_tg_split 0
		.amdhsa_exception_fp_ieee_invalid_op 0
		.amdhsa_exception_fp_denorm_src 0
		.amdhsa_exception_fp_ieee_div_zero 0
		.amdhsa_exception_fp_ieee_overflow 0
		.amdhsa_exception_fp_ieee_underflow 0
		.amdhsa_exception_fp_ieee_inexact 0
		.amdhsa_exception_int_div_zero 0
	.end_amdhsa_kernel
	.section	.text._ZN7rocprim17ROCPRIM_400000_NS6detail17trampoline_kernelINS0_14default_configENS1_20scan_config_selectorIfEEZZNS1_9scan_implILNS1_25lookback_scan_determinismE0ELb0ELb0ES3_PKfPffZZZN2at6native31launch_logcumsumexp_cuda_kernelERKNSB_10TensorBaseESF_lENKUlvE_clEvENKUlvE0_clEvEUlffE_fEEDaPvRmT3_T4_T5_mT6_P12ihipStream_tbENKUlT_T0_E_clISt17integral_constantIbLb0EESV_IbLb1EEEEDaSR_SS_EUlSR_E_NS1_11comp_targetILNS1_3genE5ELNS1_11target_archE942ELNS1_3gpuE9ELNS1_3repE0EEENS1_30default_config_static_selectorELNS0_4arch9wavefront6targetE1EEEvT1_,"axG",@progbits,_ZN7rocprim17ROCPRIM_400000_NS6detail17trampoline_kernelINS0_14default_configENS1_20scan_config_selectorIfEEZZNS1_9scan_implILNS1_25lookback_scan_determinismE0ELb0ELb0ES3_PKfPffZZZN2at6native31launch_logcumsumexp_cuda_kernelERKNSB_10TensorBaseESF_lENKUlvE_clEvENKUlvE0_clEvEUlffE_fEEDaPvRmT3_T4_T5_mT6_P12ihipStream_tbENKUlT_T0_E_clISt17integral_constantIbLb0EESV_IbLb1EEEEDaSR_SS_EUlSR_E_NS1_11comp_targetILNS1_3genE5ELNS1_11target_archE942ELNS1_3gpuE9ELNS1_3repE0EEENS1_30default_config_static_selectorELNS0_4arch9wavefront6targetE1EEEvT1_,comdat
.Lfunc_end162:
	.size	_ZN7rocprim17ROCPRIM_400000_NS6detail17trampoline_kernelINS0_14default_configENS1_20scan_config_selectorIfEEZZNS1_9scan_implILNS1_25lookback_scan_determinismE0ELb0ELb0ES3_PKfPffZZZN2at6native31launch_logcumsumexp_cuda_kernelERKNSB_10TensorBaseESF_lENKUlvE_clEvENKUlvE0_clEvEUlffE_fEEDaPvRmT3_T4_T5_mT6_P12ihipStream_tbENKUlT_T0_E_clISt17integral_constantIbLb0EESV_IbLb1EEEEDaSR_SS_EUlSR_E_NS1_11comp_targetILNS1_3genE5ELNS1_11target_archE942ELNS1_3gpuE9ELNS1_3repE0EEENS1_30default_config_static_selectorELNS0_4arch9wavefront6targetE1EEEvT1_, .Lfunc_end162-_ZN7rocprim17ROCPRIM_400000_NS6detail17trampoline_kernelINS0_14default_configENS1_20scan_config_selectorIfEEZZNS1_9scan_implILNS1_25lookback_scan_determinismE0ELb0ELb0ES3_PKfPffZZZN2at6native31launch_logcumsumexp_cuda_kernelERKNSB_10TensorBaseESF_lENKUlvE_clEvENKUlvE0_clEvEUlffE_fEEDaPvRmT3_T4_T5_mT6_P12ihipStream_tbENKUlT_T0_E_clISt17integral_constantIbLb0EESV_IbLb1EEEEDaSR_SS_EUlSR_E_NS1_11comp_targetILNS1_3genE5ELNS1_11target_archE942ELNS1_3gpuE9ELNS1_3repE0EEENS1_30default_config_static_selectorELNS0_4arch9wavefront6targetE1EEEvT1_
                                        ; -- End function
	.section	.AMDGPU.csdata,"",@progbits
; Kernel info:
; codeLenInByte = 200
; NumSgprs: 80
; NumVgprs: 196
; NumAgprs: 0
; TotalNumVgprs: 196
; ScratchSize: 120
; MemoryBound: 0
; FloatMode: 240
; IeeeMode: 1
; LDSByteSize: 24576 bytes/workgroup (compile time only)
; SGPRBlocks: 9
; VGPRBlocks: 24
; NumSGPRsForWavesPerEU: 80
; NumVGPRsForWavesPerEU: 196
; AccumOffset: 196
; Occupancy: 2
; WaveLimiterHint : 1
; COMPUTE_PGM_RSRC2:SCRATCH_EN: 1
; COMPUTE_PGM_RSRC2:USER_SGPR: 2
; COMPUTE_PGM_RSRC2:TRAP_HANDLER: 0
; COMPUTE_PGM_RSRC2:TGID_X_EN: 1
; COMPUTE_PGM_RSRC2:TGID_Y_EN: 0
; COMPUTE_PGM_RSRC2:TGID_Z_EN: 0
; COMPUTE_PGM_RSRC2:TIDIG_COMP_CNT: 0
; COMPUTE_PGM_RSRC3_GFX90A:ACCUM_OFFSET: 48
; COMPUTE_PGM_RSRC3_GFX90A:TG_SPLIT: 0
	.section	.text._ZN7rocprim17ROCPRIM_400000_NS6detail17trampoline_kernelINS0_14default_configENS1_20scan_config_selectorIfEEZZNS1_9scan_implILNS1_25lookback_scan_determinismE0ELb0ELb0ES3_PKfPffZZZN2at6native31launch_logcumsumexp_cuda_kernelERKNSB_10TensorBaseESF_lENKUlvE_clEvENKUlvE0_clEvEUlffE_fEEDaPvRmT3_T4_T5_mT6_P12ihipStream_tbENKUlT_T0_E_clISt17integral_constantIbLb0EESV_IbLb1EEEEDaSR_SS_EUlSR_E_NS1_11comp_targetILNS1_3genE4ELNS1_11target_archE910ELNS1_3gpuE8ELNS1_3repE0EEENS1_30default_config_static_selectorELNS0_4arch9wavefront6targetE1EEEvT1_,"axG",@progbits,_ZN7rocprim17ROCPRIM_400000_NS6detail17trampoline_kernelINS0_14default_configENS1_20scan_config_selectorIfEEZZNS1_9scan_implILNS1_25lookback_scan_determinismE0ELb0ELb0ES3_PKfPffZZZN2at6native31launch_logcumsumexp_cuda_kernelERKNSB_10TensorBaseESF_lENKUlvE_clEvENKUlvE0_clEvEUlffE_fEEDaPvRmT3_T4_T5_mT6_P12ihipStream_tbENKUlT_T0_E_clISt17integral_constantIbLb0EESV_IbLb1EEEEDaSR_SS_EUlSR_E_NS1_11comp_targetILNS1_3genE4ELNS1_11target_archE910ELNS1_3gpuE8ELNS1_3repE0EEENS1_30default_config_static_selectorELNS0_4arch9wavefront6targetE1EEEvT1_,comdat
	.globl	_ZN7rocprim17ROCPRIM_400000_NS6detail17trampoline_kernelINS0_14default_configENS1_20scan_config_selectorIfEEZZNS1_9scan_implILNS1_25lookback_scan_determinismE0ELb0ELb0ES3_PKfPffZZZN2at6native31launch_logcumsumexp_cuda_kernelERKNSB_10TensorBaseESF_lENKUlvE_clEvENKUlvE0_clEvEUlffE_fEEDaPvRmT3_T4_T5_mT6_P12ihipStream_tbENKUlT_T0_E_clISt17integral_constantIbLb0EESV_IbLb1EEEEDaSR_SS_EUlSR_E_NS1_11comp_targetILNS1_3genE4ELNS1_11target_archE910ELNS1_3gpuE8ELNS1_3repE0EEENS1_30default_config_static_selectorELNS0_4arch9wavefront6targetE1EEEvT1_ ; -- Begin function _ZN7rocprim17ROCPRIM_400000_NS6detail17trampoline_kernelINS0_14default_configENS1_20scan_config_selectorIfEEZZNS1_9scan_implILNS1_25lookback_scan_determinismE0ELb0ELb0ES3_PKfPffZZZN2at6native31launch_logcumsumexp_cuda_kernelERKNSB_10TensorBaseESF_lENKUlvE_clEvENKUlvE0_clEvEUlffE_fEEDaPvRmT3_T4_T5_mT6_P12ihipStream_tbENKUlT_T0_E_clISt17integral_constantIbLb0EESV_IbLb1EEEEDaSR_SS_EUlSR_E_NS1_11comp_targetILNS1_3genE4ELNS1_11target_archE910ELNS1_3gpuE8ELNS1_3repE0EEENS1_30default_config_static_selectorELNS0_4arch9wavefront6targetE1EEEvT1_
	.p2align	8
	.type	_ZN7rocprim17ROCPRIM_400000_NS6detail17trampoline_kernelINS0_14default_configENS1_20scan_config_selectorIfEEZZNS1_9scan_implILNS1_25lookback_scan_determinismE0ELb0ELb0ES3_PKfPffZZZN2at6native31launch_logcumsumexp_cuda_kernelERKNSB_10TensorBaseESF_lENKUlvE_clEvENKUlvE0_clEvEUlffE_fEEDaPvRmT3_T4_T5_mT6_P12ihipStream_tbENKUlT_T0_E_clISt17integral_constantIbLb0EESV_IbLb1EEEEDaSR_SS_EUlSR_E_NS1_11comp_targetILNS1_3genE4ELNS1_11target_archE910ELNS1_3gpuE8ELNS1_3repE0EEENS1_30default_config_static_selectorELNS0_4arch9wavefront6targetE1EEEvT1_,@function
_ZN7rocprim17ROCPRIM_400000_NS6detail17trampoline_kernelINS0_14default_configENS1_20scan_config_selectorIfEEZZNS1_9scan_implILNS1_25lookback_scan_determinismE0ELb0ELb0ES3_PKfPffZZZN2at6native31launch_logcumsumexp_cuda_kernelERKNSB_10TensorBaseESF_lENKUlvE_clEvENKUlvE0_clEvEUlffE_fEEDaPvRmT3_T4_T5_mT6_P12ihipStream_tbENKUlT_T0_E_clISt17integral_constantIbLb0EESV_IbLb1EEEEDaSR_SS_EUlSR_E_NS1_11comp_targetILNS1_3genE4ELNS1_11target_archE910ELNS1_3gpuE8ELNS1_3repE0EEENS1_30default_config_static_selectorELNS0_4arch9wavefront6targetE1EEEvT1_: ; @_ZN7rocprim17ROCPRIM_400000_NS6detail17trampoline_kernelINS0_14default_configENS1_20scan_config_selectorIfEEZZNS1_9scan_implILNS1_25lookback_scan_determinismE0ELb0ELb0ES3_PKfPffZZZN2at6native31launch_logcumsumexp_cuda_kernelERKNSB_10TensorBaseESF_lENKUlvE_clEvENKUlvE0_clEvEUlffE_fEEDaPvRmT3_T4_T5_mT6_P12ihipStream_tbENKUlT_T0_E_clISt17integral_constantIbLb0EESV_IbLb1EEEEDaSR_SS_EUlSR_E_NS1_11comp_targetILNS1_3genE4ELNS1_11target_archE910ELNS1_3gpuE8ELNS1_3repE0EEENS1_30default_config_static_selectorELNS0_4arch9wavefront6targetE1EEEvT1_
; %bb.0:
	.section	.rodata,"a",@progbits
	.p2align	6, 0x0
	.amdhsa_kernel _ZN7rocprim17ROCPRIM_400000_NS6detail17trampoline_kernelINS0_14default_configENS1_20scan_config_selectorIfEEZZNS1_9scan_implILNS1_25lookback_scan_determinismE0ELb0ELb0ES3_PKfPffZZZN2at6native31launch_logcumsumexp_cuda_kernelERKNSB_10TensorBaseESF_lENKUlvE_clEvENKUlvE0_clEvEUlffE_fEEDaPvRmT3_T4_T5_mT6_P12ihipStream_tbENKUlT_T0_E_clISt17integral_constantIbLb0EESV_IbLb1EEEEDaSR_SS_EUlSR_E_NS1_11comp_targetILNS1_3genE4ELNS1_11target_archE910ELNS1_3gpuE8ELNS1_3repE0EEENS1_30default_config_static_selectorELNS0_4arch9wavefront6targetE1EEEvT1_
		.amdhsa_group_segment_fixed_size 0
		.amdhsa_private_segment_fixed_size 0
		.amdhsa_kernarg_size 96
		.amdhsa_user_sgpr_count 2
		.amdhsa_user_sgpr_dispatch_ptr 0
		.amdhsa_user_sgpr_queue_ptr 0
		.amdhsa_user_sgpr_kernarg_segment_ptr 1
		.amdhsa_user_sgpr_dispatch_id 0
		.amdhsa_user_sgpr_kernarg_preload_length 0
		.amdhsa_user_sgpr_kernarg_preload_offset 0
		.amdhsa_user_sgpr_private_segment_size 0
		.amdhsa_uses_dynamic_stack 0
		.amdhsa_enable_private_segment 0
		.amdhsa_system_sgpr_workgroup_id_x 1
		.amdhsa_system_sgpr_workgroup_id_y 0
		.amdhsa_system_sgpr_workgroup_id_z 0
		.amdhsa_system_sgpr_workgroup_info 0
		.amdhsa_system_vgpr_workitem_id 0
		.amdhsa_next_free_vgpr 1
		.amdhsa_next_free_sgpr 0
		.amdhsa_accum_offset 4
		.amdhsa_reserve_vcc 0
		.amdhsa_float_round_mode_32 0
		.amdhsa_float_round_mode_16_64 0
		.amdhsa_float_denorm_mode_32 3
		.amdhsa_float_denorm_mode_16_64 3
		.amdhsa_dx10_clamp 1
		.amdhsa_ieee_mode 1
		.amdhsa_fp16_overflow 0
		.amdhsa_tg_split 0
		.amdhsa_exception_fp_ieee_invalid_op 0
		.amdhsa_exception_fp_denorm_src 0
		.amdhsa_exception_fp_ieee_div_zero 0
		.amdhsa_exception_fp_ieee_overflow 0
		.amdhsa_exception_fp_ieee_underflow 0
		.amdhsa_exception_fp_ieee_inexact 0
		.amdhsa_exception_int_div_zero 0
	.end_amdhsa_kernel
	.section	.text._ZN7rocprim17ROCPRIM_400000_NS6detail17trampoline_kernelINS0_14default_configENS1_20scan_config_selectorIfEEZZNS1_9scan_implILNS1_25lookback_scan_determinismE0ELb0ELb0ES3_PKfPffZZZN2at6native31launch_logcumsumexp_cuda_kernelERKNSB_10TensorBaseESF_lENKUlvE_clEvENKUlvE0_clEvEUlffE_fEEDaPvRmT3_T4_T5_mT6_P12ihipStream_tbENKUlT_T0_E_clISt17integral_constantIbLb0EESV_IbLb1EEEEDaSR_SS_EUlSR_E_NS1_11comp_targetILNS1_3genE4ELNS1_11target_archE910ELNS1_3gpuE8ELNS1_3repE0EEENS1_30default_config_static_selectorELNS0_4arch9wavefront6targetE1EEEvT1_,"axG",@progbits,_ZN7rocprim17ROCPRIM_400000_NS6detail17trampoline_kernelINS0_14default_configENS1_20scan_config_selectorIfEEZZNS1_9scan_implILNS1_25lookback_scan_determinismE0ELb0ELb0ES3_PKfPffZZZN2at6native31launch_logcumsumexp_cuda_kernelERKNSB_10TensorBaseESF_lENKUlvE_clEvENKUlvE0_clEvEUlffE_fEEDaPvRmT3_T4_T5_mT6_P12ihipStream_tbENKUlT_T0_E_clISt17integral_constantIbLb0EESV_IbLb1EEEEDaSR_SS_EUlSR_E_NS1_11comp_targetILNS1_3genE4ELNS1_11target_archE910ELNS1_3gpuE8ELNS1_3repE0EEENS1_30default_config_static_selectorELNS0_4arch9wavefront6targetE1EEEvT1_,comdat
.Lfunc_end163:
	.size	_ZN7rocprim17ROCPRIM_400000_NS6detail17trampoline_kernelINS0_14default_configENS1_20scan_config_selectorIfEEZZNS1_9scan_implILNS1_25lookback_scan_determinismE0ELb0ELb0ES3_PKfPffZZZN2at6native31launch_logcumsumexp_cuda_kernelERKNSB_10TensorBaseESF_lENKUlvE_clEvENKUlvE0_clEvEUlffE_fEEDaPvRmT3_T4_T5_mT6_P12ihipStream_tbENKUlT_T0_E_clISt17integral_constantIbLb0EESV_IbLb1EEEEDaSR_SS_EUlSR_E_NS1_11comp_targetILNS1_3genE4ELNS1_11target_archE910ELNS1_3gpuE8ELNS1_3repE0EEENS1_30default_config_static_selectorELNS0_4arch9wavefront6targetE1EEEvT1_, .Lfunc_end163-_ZN7rocprim17ROCPRIM_400000_NS6detail17trampoline_kernelINS0_14default_configENS1_20scan_config_selectorIfEEZZNS1_9scan_implILNS1_25lookback_scan_determinismE0ELb0ELb0ES3_PKfPffZZZN2at6native31launch_logcumsumexp_cuda_kernelERKNSB_10TensorBaseESF_lENKUlvE_clEvENKUlvE0_clEvEUlffE_fEEDaPvRmT3_T4_T5_mT6_P12ihipStream_tbENKUlT_T0_E_clISt17integral_constantIbLb0EESV_IbLb1EEEEDaSR_SS_EUlSR_E_NS1_11comp_targetILNS1_3genE4ELNS1_11target_archE910ELNS1_3gpuE8ELNS1_3repE0EEENS1_30default_config_static_selectorELNS0_4arch9wavefront6targetE1EEEvT1_
                                        ; -- End function
	.section	.AMDGPU.csdata,"",@progbits
; Kernel info:
; codeLenInByte = 0
; NumSgprs: 6
; NumVgprs: 0
; NumAgprs: 0
; TotalNumVgprs: 0
; ScratchSize: 0
; MemoryBound: 0
; FloatMode: 240
; IeeeMode: 1
; LDSByteSize: 0 bytes/workgroup (compile time only)
; SGPRBlocks: 0
; VGPRBlocks: 0
; NumSGPRsForWavesPerEU: 6
; NumVGPRsForWavesPerEU: 1
; AccumOffset: 4
; Occupancy: 8
; WaveLimiterHint : 0
; COMPUTE_PGM_RSRC2:SCRATCH_EN: 0
; COMPUTE_PGM_RSRC2:USER_SGPR: 2
; COMPUTE_PGM_RSRC2:TRAP_HANDLER: 0
; COMPUTE_PGM_RSRC2:TGID_X_EN: 1
; COMPUTE_PGM_RSRC2:TGID_Y_EN: 0
; COMPUTE_PGM_RSRC2:TGID_Z_EN: 0
; COMPUTE_PGM_RSRC2:TIDIG_COMP_CNT: 0
; COMPUTE_PGM_RSRC3_GFX90A:ACCUM_OFFSET: 0
; COMPUTE_PGM_RSRC3_GFX90A:TG_SPLIT: 0
	.section	.text._ZN7rocprim17ROCPRIM_400000_NS6detail17trampoline_kernelINS0_14default_configENS1_20scan_config_selectorIfEEZZNS1_9scan_implILNS1_25lookback_scan_determinismE0ELb0ELb0ES3_PKfPffZZZN2at6native31launch_logcumsumexp_cuda_kernelERKNSB_10TensorBaseESF_lENKUlvE_clEvENKUlvE0_clEvEUlffE_fEEDaPvRmT3_T4_T5_mT6_P12ihipStream_tbENKUlT_T0_E_clISt17integral_constantIbLb0EESV_IbLb1EEEEDaSR_SS_EUlSR_E_NS1_11comp_targetILNS1_3genE3ELNS1_11target_archE908ELNS1_3gpuE7ELNS1_3repE0EEENS1_30default_config_static_selectorELNS0_4arch9wavefront6targetE1EEEvT1_,"axG",@progbits,_ZN7rocprim17ROCPRIM_400000_NS6detail17trampoline_kernelINS0_14default_configENS1_20scan_config_selectorIfEEZZNS1_9scan_implILNS1_25lookback_scan_determinismE0ELb0ELb0ES3_PKfPffZZZN2at6native31launch_logcumsumexp_cuda_kernelERKNSB_10TensorBaseESF_lENKUlvE_clEvENKUlvE0_clEvEUlffE_fEEDaPvRmT3_T4_T5_mT6_P12ihipStream_tbENKUlT_T0_E_clISt17integral_constantIbLb0EESV_IbLb1EEEEDaSR_SS_EUlSR_E_NS1_11comp_targetILNS1_3genE3ELNS1_11target_archE908ELNS1_3gpuE7ELNS1_3repE0EEENS1_30default_config_static_selectorELNS0_4arch9wavefront6targetE1EEEvT1_,comdat
	.globl	_ZN7rocprim17ROCPRIM_400000_NS6detail17trampoline_kernelINS0_14default_configENS1_20scan_config_selectorIfEEZZNS1_9scan_implILNS1_25lookback_scan_determinismE0ELb0ELb0ES3_PKfPffZZZN2at6native31launch_logcumsumexp_cuda_kernelERKNSB_10TensorBaseESF_lENKUlvE_clEvENKUlvE0_clEvEUlffE_fEEDaPvRmT3_T4_T5_mT6_P12ihipStream_tbENKUlT_T0_E_clISt17integral_constantIbLb0EESV_IbLb1EEEEDaSR_SS_EUlSR_E_NS1_11comp_targetILNS1_3genE3ELNS1_11target_archE908ELNS1_3gpuE7ELNS1_3repE0EEENS1_30default_config_static_selectorELNS0_4arch9wavefront6targetE1EEEvT1_ ; -- Begin function _ZN7rocprim17ROCPRIM_400000_NS6detail17trampoline_kernelINS0_14default_configENS1_20scan_config_selectorIfEEZZNS1_9scan_implILNS1_25lookback_scan_determinismE0ELb0ELb0ES3_PKfPffZZZN2at6native31launch_logcumsumexp_cuda_kernelERKNSB_10TensorBaseESF_lENKUlvE_clEvENKUlvE0_clEvEUlffE_fEEDaPvRmT3_T4_T5_mT6_P12ihipStream_tbENKUlT_T0_E_clISt17integral_constantIbLb0EESV_IbLb1EEEEDaSR_SS_EUlSR_E_NS1_11comp_targetILNS1_3genE3ELNS1_11target_archE908ELNS1_3gpuE7ELNS1_3repE0EEENS1_30default_config_static_selectorELNS0_4arch9wavefront6targetE1EEEvT1_
	.p2align	8
	.type	_ZN7rocprim17ROCPRIM_400000_NS6detail17trampoline_kernelINS0_14default_configENS1_20scan_config_selectorIfEEZZNS1_9scan_implILNS1_25lookback_scan_determinismE0ELb0ELb0ES3_PKfPffZZZN2at6native31launch_logcumsumexp_cuda_kernelERKNSB_10TensorBaseESF_lENKUlvE_clEvENKUlvE0_clEvEUlffE_fEEDaPvRmT3_T4_T5_mT6_P12ihipStream_tbENKUlT_T0_E_clISt17integral_constantIbLb0EESV_IbLb1EEEEDaSR_SS_EUlSR_E_NS1_11comp_targetILNS1_3genE3ELNS1_11target_archE908ELNS1_3gpuE7ELNS1_3repE0EEENS1_30default_config_static_selectorELNS0_4arch9wavefront6targetE1EEEvT1_,@function
_ZN7rocprim17ROCPRIM_400000_NS6detail17trampoline_kernelINS0_14default_configENS1_20scan_config_selectorIfEEZZNS1_9scan_implILNS1_25lookback_scan_determinismE0ELb0ELb0ES3_PKfPffZZZN2at6native31launch_logcumsumexp_cuda_kernelERKNSB_10TensorBaseESF_lENKUlvE_clEvENKUlvE0_clEvEUlffE_fEEDaPvRmT3_T4_T5_mT6_P12ihipStream_tbENKUlT_T0_E_clISt17integral_constantIbLb0EESV_IbLb1EEEEDaSR_SS_EUlSR_E_NS1_11comp_targetILNS1_3genE3ELNS1_11target_archE908ELNS1_3gpuE7ELNS1_3repE0EEENS1_30default_config_static_selectorELNS0_4arch9wavefront6targetE1EEEvT1_: ; @_ZN7rocprim17ROCPRIM_400000_NS6detail17trampoline_kernelINS0_14default_configENS1_20scan_config_selectorIfEEZZNS1_9scan_implILNS1_25lookback_scan_determinismE0ELb0ELb0ES3_PKfPffZZZN2at6native31launch_logcumsumexp_cuda_kernelERKNSB_10TensorBaseESF_lENKUlvE_clEvENKUlvE0_clEvEUlffE_fEEDaPvRmT3_T4_T5_mT6_P12ihipStream_tbENKUlT_T0_E_clISt17integral_constantIbLb0EESV_IbLb1EEEEDaSR_SS_EUlSR_E_NS1_11comp_targetILNS1_3genE3ELNS1_11target_archE908ELNS1_3gpuE7ELNS1_3repE0EEENS1_30default_config_static_selectorELNS0_4arch9wavefront6targetE1EEEvT1_
; %bb.0:
	.section	.rodata,"a",@progbits
	.p2align	6, 0x0
	.amdhsa_kernel _ZN7rocprim17ROCPRIM_400000_NS6detail17trampoline_kernelINS0_14default_configENS1_20scan_config_selectorIfEEZZNS1_9scan_implILNS1_25lookback_scan_determinismE0ELb0ELb0ES3_PKfPffZZZN2at6native31launch_logcumsumexp_cuda_kernelERKNSB_10TensorBaseESF_lENKUlvE_clEvENKUlvE0_clEvEUlffE_fEEDaPvRmT3_T4_T5_mT6_P12ihipStream_tbENKUlT_T0_E_clISt17integral_constantIbLb0EESV_IbLb1EEEEDaSR_SS_EUlSR_E_NS1_11comp_targetILNS1_3genE3ELNS1_11target_archE908ELNS1_3gpuE7ELNS1_3repE0EEENS1_30default_config_static_selectorELNS0_4arch9wavefront6targetE1EEEvT1_
		.amdhsa_group_segment_fixed_size 0
		.amdhsa_private_segment_fixed_size 0
		.amdhsa_kernarg_size 96
		.amdhsa_user_sgpr_count 2
		.amdhsa_user_sgpr_dispatch_ptr 0
		.amdhsa_user_sgpr_queue_ptr 0
		.amdhsa_user_sgpr_kernarg_segment_ptr 1
		.amdhsa_user_sgpr_dispatch_id 0
		.amdhsa_user_sgpr_kernarg_preload_length 0
		.amdhsa_user_sgpr_kernarg_preload_offset 0
		.amdhsa_user_sgpr_private_segment_size 0
		.amdhsa_uses_dynamic_stack 0
		.amdhsa_enable_private_segment 0
		.amdhsa_system_sgpr_workgroup_id_x 1
		.amdhsa_system_sgpr_workgroup_id_y 0
		.amdhsa_system_sgpr_workgroup_id_z 0
		.amdhsa_system_sgpr_workgroup_info 0
		.amdhsa_system_vgpr_workitem_id 0
		.amdhsa_next_free_vgpr 1
		.amdhsa_next_free_sgpr 0
		.amdhsa_accum_offset 4
		.amdhsa_reserve_vcc 0
		.amdhsa_float_round_mode_32 0
		.amdhsa_float_round_mode_16_64 0
		.amdhsa_float_denorm_mode_32 3
		.amdhsa_float_denorm_mode_16_64 3
		.amdhsa_dx10_clamp 1
		.amdhsa_ieee_mode 1
		.amdhsa_fp16_overflow 0
		.amdhsa_tg_split 0
		.amdhsa_exception_fp_ieee_invalid_op 0
		.amdhsa_exception_fp_denorm_src 0
		.amdhsa_exception_fp_ieee_div_zero 0
		.amdhsa_exception_fp_ieee_overflow 0
		.amdhsa_exception_fp_ieee_underflow 0
		.amdhsa_exception_fp_ieee_inexact 0
		.amdhsa_exception_int_div_zero 0
	.end_amdhsa_kernel
	.section	.text._ZN7rocprim17ROCPRIM_400000_NS6detail17trampoline_kernelINS0_14default_configENS1_20scan_config_selectorIfEEZZNS1_9scan_implILNS1_25lookback_scan_determinismE0ELb0ELb0ES3_PKfPffZZZN2at6native31launch_logcumsumexp_cuda_kernelERKNSB_10TensorBaseESF_lENKUlvE_clEvENKUlvE0_clEvEUlffE_fEEDaPvRmT3_T4_T5_mT6_P12ihipStream_tbENKUlT_T0_E_clISt17integral_constantIbLb0EESV_IbLb1EEEEDaSR_SS_EUlSR_E_NS1_11comp_targetILNS1_3genE3ELNS1_11target_archE908ELNS1_3gpuE7ELNS1_3repE0EEENS1_30default_config_static_selectorELNS0_4arch9wavefront6targetE1EEEvT1_,"axG",@progbits,_ZN7rocprim17ROCPRIM_400000_NS6detail17trampoline_kernelINS0_14default_configENS1_20scan_config_selectorIfEEZZNS1_9scan_implILNS1_25lookback_scan_determinismE0ELb0ELb0ES3_PKfPffZZZN2at6native31launch_logcumsumexp_cuda_kernelERKNSB_10TensorBaseESF_lENKUlvE_clEvENKUlvE0_clEvEUlffE_fEEDaPvRmT3_T4_T5_mT6_P12ihipStream_tbENKUlT_T0_E_clISt17integral_constantIbLb0EESV_IbLb1EEEEDaSR_SS_EUlSR_E_NS1_11comp_targetILNS1_3genE3ELNS1_11target_archE908ELNS1_3gpuE7ELNS1_3repE0EEENS1_30default_config_static_selectorELNS0_4arch9wavefront6targetE1EEEvT1_,comdat
.Lfunc_end164:
	.size	_ZN7rocprim17ROCPRIM_400000_NS6detail17trampoline_kernelINS0_14default_configENS1_20scan_config_selectorIfEEZZNS1_9scan_implILNS1_25lookback_scan_determinismE0ELb0ELb0ES3_PKfPffZZZN2at6native31launch_logcumsumexp_cuda_kernelERKNSB_10TensorBaseESF_lENKUlvE_clEvENKUlvE0_clEvEUlffE_fEEDaPvRmT3_T4_T5_mT6_P12ihipStream_tbENKUlT_T0_E_clISt17integral_constantIbLb0EESV_IbLb1EEEEDaSR_SS_EUlSR_E_NS1_11comp_targetILNS1_3genE3ELNS1_11target_archE908ELNS1_3gpuE7ELNS1_3repE0EEENS1_30default_config_static_selectorELNS0_4arch9wavefront6targetE1EEEvT1_, .Lfunc_end164-_ZN7rocprim17ROCPRIM_400000_NS6detail17trampoline_kernelINS0_14default_configENS1_20scan_config_selectorIfEEZZNS1_9scan_implILNS1_25lookback_scan_determinismE0ELb0ELb0ES3_PKfPffZZZN2at6native31launch_logcumsumexp_cuda_kernelERKNSB_10TensorBaseESF_lENKUlvE_clEvENKUlvE0_clEvEUlffE_fEEDaPvRmT3_T4_T5_mT6_P12ihipStream_tbENKUlT_T0_E_clISt17integral_constantIbLb0EESV_IbLb1EEEEDaSR_SS_EUlSR_E_NS1_11comp_targetILNS1_3genE3ELNS1_11target_archE908ELNS1_3gpuE7ELNS1_3repE0EEENS1_30default_config_static_selectorELNS0_4arch9wavefront6targetE1EEEvT1_
                                        ; -- End function
	.section	.AMDGPU.csdata,"",@progbits
; Kernel info:
; codeLenInByte = 0
; NumSgprs: 6
; NumVgprs: 0
; NumAgprs: 0
; TotalNumVgprs: 0
; ScratchSize: 0
; MemoryBound: 0
; FloatMode: 240
; IeeeMode: 1
; LDSByteSize: 0 bytes/workgroup (compile time only)
; SGPRBlocks: 0
; VGPRBlocks: 0
; NumSGPRsForWavesPerEU: 6
; NumVGPRsForWavesPerEU: 1
; AccumOffset: 4
; Occupancy: 8
; WaveLimiterHint : 0
; COMPUTE_PGM_RSRC2:SCRATCH_EN: 0
; COMPUTE_PGM_RSRC2:USER_SGPR: 2
; COMPUTE_PGM_RSRC2:TRAP_HANDLER: 0
; COMPUTE_PGM_RSRC2:TGID_X_EN: 1
; COMPUTE_PGM_RSRC2:TGID_Y_EN: 0
; COMPUTE_PGM_RSRC2:TGID_Z_EN: 0
; COMPUTE_PGM_RSRC2:TIDIG_COMP_CNT: 0
; COMPUTE_PGM_RSRC3_GFX90A:ACCUM_OFFSET: 0
; COMPUTE_PGM_RSRC3_GFX90A:TG_SPLIT: 0
	.section	.text._ZN7rocprim17ROCPRIM_400000_NS6detail17trampoline_kernelINS0_14default_configENS1_20scan_config_selectorIfEEZZNS1_9scan_implILNS1_25lookback_scan_determinismE0ELb0ELb0ES3_PKfPffZZZN2at6native31launch_logcumsumexp_cuda_kernelERKNSB_10TensorBaseESF_lENKUlvE_clEvENKUlvE0_clEvEUlffE_fEEDaPvRmT3_T4_T5_mT6_P12ihipStream_tbENKUlT_T0_E_clISt17integral_constantIbLb0EESV_IbLb1EEEEDaSR_SS_EUlSR_E_NS1_11comp_targetILNS1_3genE2ELNS1_11target_archE906ELNS1_3gpuE6ELNS1_3repE0EEENS1_30default_config_static_selectorELNS0_4arch9wavefront6targetE1EEEvT1_,"axG",@progbits,_ZN7rocprim17ROCPRIM_400000_NS6detail17trampoline_kernelINS0_14default_configENS1_20scan_config_selectorIfEEZZNS1_9scan_implILNS1_25lookback_scan_determinismE0ELb0ELb0ES3_PKfPffZZZN2at6native31launch_logcumsumexp_cuda_kernelERKNSB_10TensorBaseESF_lENKUlvE_clEvENKUlvE0_clEvEUlffE_fEEDaPvRmT3_T4_T5_mT6_P12ihipStream_tbENKUlT_T0_E_clISt17integral_constantIbLb0EESV_IbLb1EEEEDaSR_SS_EUlSR_E_NS1_11comp_targetILNS1_3genE2ELNS1_11target_archE906ELNS1_3gpuE6ELNS1_3repE0EEENS1_30default_config_static_selectorELNS0_4arch9wavefront6targetE1EEEvT1_,comdat
	.globl	_ZN7rocprim17ROCPRIM_400000_NS6detail17trampoline_kernelINS0_14default_configENS1_20scan_config_selectorIfEEZZNS1_9scan_implILNS1_25lookback_scan_determinismE0ELb0ELb0ES3_PKfPffZZZN2at6native31launch_logcumsumexp_cuda_kernelERKNSB_10TensorBaseESF_lENKUlvE_clEvENKUlvE0_clEvEUlffE_fEEDaPvRmT3_T4_T5_mT6_P12ihipStream_tbENKUlT_T0_E_clISt17integral_constantIbLb0EESV_IbLb1EEEEDaSR_SS_EUlSR_E_NS1_11comp_targetILNS1_3genE2ELNS1_11target_archE906ELNS1_3gpuE6ELNS1_3repE0EEENS1_30default_config_static_selectorELNS0_4arch9wavefront6targetE1EEEvT1_ ; -- Begin function _ZN7rocprim17ROCPRIM_400000_NS6detail17trampoline_kernelINS0_14default_configENS1_20scan_config_selectorIfEEZZNS1_9scan_implILNS1_25lookback_scan_determinismE0ELb0ELb0ES3_PKfPffZZZN2at6native31launch_logcumsumexp_cuda_kernelERKNSB_10TensorBaseESF_lENKUlvE_clEvENKUlvE0_clEvEUlffE_fEEDaPvRmT3_T4_T5_mT6_P12ihipStream_tbENKUlT_T0_E_clISt17integral_constantIbLb0EESV_IbLb1EEEEDaSR_SS_EUlSR_E_NS1_11comp_targetILNS1_3genE2ELNS1_11target_archE906ELNS1_3gpuE6ELNS1_3repE0EEENS1_30default_config_static_selectorELNS0_4arch9wavefront6targetE1EEEvT1_
	.p2align	8
	.type	_ZN7rocprim17ROCPRIM_400000_NS6detail17trampoline_kernelINS0_14default_configENS1_20scan_config_selectorIfEEZZNS1_9scan_implILNS1_25lookback_scan_determinismE0ELb0ELb0ES3_PKfPffZZZN2at6native31launch_logcumsumexp_cuda_kernelERKNSB_10TensorBaseESF_lENKUlvE_clEvENKUlvE0_clEvEUlffE_fEEDaPvRmT3_T4_T5_mT6_P12ihipStream_tbENKUlT_T0_E_clISt17integral_constantIbLb0EESV_IbLb1EEEEDaSR_SS_EUlSR_E_NS1_11comp_targetILNS1_3genE2ELNS1_11target_archE906ELNS1_3gpuE6ELNS1_3repE0EEENS1_30default_config_static_selectorELNS0_4arch9wavefront6targetE1EEEvT1_,@function
_ZN7rocprim17ROCPRIM_400000_NS6detail17trampoline_kernelINS0_14default_configENS1_20scan_config_selectorIfEEZZNS1_9scan_implILNS1_25lookback_scan_determinismE0ELb0ELb0ES3_PKfPffZZZN2at6native31launch_logcumsumexp_cuda_kernelERKNSB_10TensorBaseESF_lENKUlvE_clEvENKUlvE0_clEvEUlffE_fEEDaPvRmT3_T4_T5_mT6_P12ihipStream_tbENKUlT_T0_E_clISt17integral_constantIbLb0EESV_IbLb1EEEEDaSR_SS_EUlSR_E_NS1_11comp_targetILNS1_3genE2ELNS1_11target_archE906ELNS1_3gpuE6ELNS1_3repE0EEENS1_30default_config_static_selectorELNS0_4arch9wavefront6targetE1EEEvT1_: ; @_ZN7rocprim17ROCPRIM_400000_NS6detail17trampoline_kernelINS0_14default_configENS1_20scan_config_selectorIfEEZZNS1_9scan_implILNS1_25lookback_scan_determinismE0ELb0ELb0ES3_PKfPffZZZN2at6native31launch_logcumsumexp_cuda_kernelERKNSB_10TensorBaseESF_lENKUlvE_clEvENKUlvE0_clEvEUlffE_fEEDaPvRmT3_T4_T5_mT6_P12ihipStream_tbENKUlT_T0_E_clISt17integral_constantIbLb0EESV_IbLb1EEEEDaSR_SS_EUlSR_E_NS1_11comp_targetILNS1_3genE2ELNS1_11target_archE906ELNS1_3gpuE6ELNS1_3repE0EEENS1_30default_config_static_selectorELNS0_4arch9wavefront6targetE1EEEvT1_
; %bb.0:
	.section	.rodata,"a",@progbits
	.p2align	6, 0x0
	.amdhsa_kernel _ZN7rocprim17ROCPRIM_400000_NS6detail17trampoline_kernelINS0_14default_configENS1_20scan_config_selectorIfEEZZNS1_9scan_implILNS1_25lookback_scan_determinismE0ELb0ELb0ES3_PKfPffZZZN2at6native31launch_logcumsumexp_cuda_kernelERKNSB_10TensorBaseESF_lENKUlvE_clEvENKUlvE0_clEvEUlffE_fEEDaPvRmT3_T4_T5_mT6_P12ihipStream_tbENKUlT_T0_E_clISt17integral_constantIbLb0EESV_IbLb1EEEEDaSR_SS_EUlSR_E_NS1_11comp_targetILNS1_3genE2ELNS1_11target_archE906ELNS1_3gpuE6ELNS1_3repE0EEENS1_30default_config_static_selectorELNS0_4arch9wavefront6targetE1EEEvT1_
		.amdhsa_group_segment_fixed_size 0
		.amdhsa_private_segment_fixed_size 0
		.amdhsa_kernarg_size 96
		.amdhsa_user_sgpr_count 2
		.amdhsa_user_sgpr_dispatch_ptr 0
		.amdhsa_user_sgpr_queue_ptr 0
		.amdhsa_user_sgpr_kernarg_segment_ptr 1
		.amdhsa_user_sgpr_dispatch_id 0
		.amdhsa_user_sgpr_kernarg_preload_length 0
		.amdhsa_user_sgpr_kernarg_preload_offset 0
		.amdhsa_user_sgpr_private_segment_size 0
		.amdhsa_uses_dynamic_stack 0
		.amdhsa_enable_private_segment 0
		.amdhsa_system_sgpr_workgroup_id_x 1
		.amdhsa_system_sgpr_workgroup_id_y 0
		.amdhsa_system_sgpr_workgroup_id_z 0
		.amdhsa_system_sgpr_workgroup_info 0
		.amdhsa_system_vgpr_workitem_id 0
		.amdhsa_next_free_vgpr 1
		.amdhsa_next_free_sgpr 0
		.amdhsa_accum_offset 4
		.amdhsa_reserve_vcc 0
		.amdhsa_float_round_mode_32 0
		.amdhsa_float_round_mode_16_64 0
		.amdhsa_float_denorm_mode_32 3
		.amdhsa_float_denorm_mode_16_64 3
		.amdhsa_dx10_clamp 1
		.amdhsa_ieee_mode 1
		.amdhsa_fp16_overflow 0
		.amdhsa_tg_split 0
		.amdhsa_exception_fp_ieee_invalid_op 0
		.amdhsa_exception_fp_denorm_src 0
		.amdhsa_exception_fp_ieee_div_zero 0
		.amdhsa_exception_fp_ieee_overflow 0
		.amdhsa_exception_fp_ieee_underflow 0
		.amdhsa_exception_fp_ieee_inexact 0
		.amdhsa_exception_int_div_zero 0
	.end_amdhsa_kernel
	.section	.text._ZN7rocprim17ROCPRIM_400000_NS6detail17trampoline_kernelINS0_14default_configENS1_20scan_config_selectorIfEEZZNS1_9scan_implILNS1_25lookback_scan_determinismE0ELb0ELb0ES3_PKfPffZZZN2at6native31launch_logcumsumexp_cuda_kernelERKNSB_10TensorBaseESF_lENKUlvE_clEvENKUlvE0_clEvEUlffE_fEEDaPvRmT3_T4_T5_mT6_P12ihipStream_tbENKUlT_T0_E_clISt17integral_constantIbLb0EESV_IbLb1EEEEDaSR_SS_EUlSR_E_NS1_11comp_targetILNS1_3genE2ELNS1_11target_archE906ELNS1_3gpuE6ELNS1_3repE0EEENS1_30default_config_static_selectorELNS0_4arch9wavefront6targetE1EEEvT1_,"axG",@progbits,_ZN7rocprim17ROCPRIM_400000_NS6detail17trampoline_kernelINS0_14default_configENS1_20scan_config_selectorIfEEZZNS1_9scan_implILNS1_25lookback_scan_determinismE0ELb0ELb0ES3_PKfPffZZZN2at6native31launch_logcumsumexp_cuda_kernelERKNSB_10TensorBaseESF_lENKUlvE_clEvENKUlvE0_clEvEUlffE_fEEDaPvRmT3_T4_T5_mT6_P12ihipStream_tbENKUlT_T0_E_clISt17integral_constantIbLb0EESV_IbLb1EEEEDaSR_SS_EUlSR_E_NS1_11comp_targetILNS1_3genE2ELNS1_11target_archE906ELNS1_3gpuE6ELNS1_3repE0EEENS1_30default_config_static_selectorELNS0_4arch9wavefront6targetE1EEEvT1_,comdat
.Lfunc_end165:
	.size	_ZN7rocprim17ROCPRIM_400000_NS6detail17trampoline_kernelINS0_14default_configENS1_20scan_config_selectorIfEEZZNS1_9scan_implILNS1_25lookback_scan_determinismE0ELb0ELb0ES3_PKfPffZZZN2at6native31launch_logcumsumexp_cuda_kernelERKNSB_10TensorBaseESF_lENKUlvE_clEvENKUlvE0_clEvEUlffE_fEEDaPvRmT3_T4_T5_mT6_P12ihipStream_tbENKUlT_T0_E_clISt17integral_constantIbLb0EESV_IbLb1EEEEDaSR_SS_EUlSR_E_NS1_11comp_targetILNS1_3genE2ELNS1_11target_archE906ELNS1_3gpuE6ELNS1_3repE0EEENS1_30default_config_static_selectorELNS0_4arch9wavefront6targetE1EEEvT1_, .Lfunc_end165-_ZN7rocprim17ROCPRIM_400000_NS6detail17trampoline_kernelINS0_14default_configENS1_20scan_config_selectorIfEEZZNS1_9scan_implILNS1_25lookback_scan_determinismE0ELb0ELb0ES3_PKfPffZZZN2at6native31launch_logcumsumexp_cuda_kernelERKNSB_10TensorBaseESF_lENKUlvE_clEvENKUlvE0_clEvEUlffE_fEEDaPvRmT3_T4_T5_mT6_P12ihipStream_tbENKUlT_T0_E_clISt17integral_constantIbLb0EESV_IbLb1EEEEDaSR_SS_EUlSR_E_NS1_11comp_targetILNS1_3genE2ELNS1_11target_archE906ELNS1_3gpuE6ELNS1_3repE0EEENS1_30default_config_static_selectorELNS0_4arch9wavefront6targetE1EEEvT1_
                                        ; -- End function
	.section	.AMDGPU.csdata,"",@progbits
; Kernel info:
; codeLenInByte = 0
; NumSgprs: 6
; NumVgprs: 0
; NumAgprs: 0
; TotalNumVgprs: 0
; ScratchSize: 0
; MemoryBound: 0
; FloatMode: 240
; IeeeMode: 1
; LDSByteSize: 0 bytes/workgroup (compile time only)
; SGPRBlocks: 0
; VGPRBlocks: 0
; NumSGPRsForWavesPerEU: 6
; NumVGPRsForWavesPerEU: 1
; AccumOffset: 4
; Occupancy: 8
; WaveLimiterHint : 0
; COMPUTE_PGM_RSRC2:SCRATCH_EN: 0
; COMPUTE_PGM_RSRC2:USER_SGPR: 2
; COMPUTE_PGM_RSRC2:TRAP_HANDLER: 0
; COMPUTE_PGM_RSRC2:TGID_X_EN: 1
; COMPUTE_PGM_RSRC2:TGID_Y_EN: 0
; COMPUTE_PGM_RSRC2:TGID_Z_EN: 0
; COMPUTE_PGM_RSRC2:TIDIG_COMP_CNT: 0
; COMPUTE_PGM_RSRC3_GFX90A:ACCUM_OFFSET: 0
; COMPUTE_PGM_RSRC3_GFX90A:TG_SPLIT: 0
	.section	.text._ZN7rocprim17ROCPRIM_400000_NS6detail17trampoline_kernelINS0_14default_configENS1_20scan_config_selectorIfEEZZNS1_9scan_implILNS1_25lookback_scan_determinismE0ELb0ELb0ES3_PKfPffZZZN2at6native31launch_logcumsumexp_cuda_kernelERKNSB_10TensorBaseESF_lENKUlvE_clEvENKUlvE0_clEvEUlffE_fEEDaPvRmT3_T4_T5_mT6_P12ihipStream_tbENKUlT_T0_E_clISt17integral_constantIbLb0EESV_IbLb1EEEEDaSR_SS_EUlSR_E_NS1_11comp_targetILNS1_3genE10ELNS1_11target_archE1201ELNS1_3gpuE5ELNS1_3repE0EEENS1_30default_config_static_selectorELNS0_4arch9wavefront6targetE1EEEvT1_,"axG",@progbits,_ZN7rocprim17ROCPRIM_400000_NS6detail17trampoline_kernelINS0_14default_configENS1_20scan_config_selectorIfEEZZNS1_9scan_implILNS1_25lookback_scan_determinismE0ELb0ELb0ES3_PKfPffZZZN2at6native31launch_logcumsumexp_cuda_kernelERKNSB_10TensorBaseESF_lENKUlvE_clEvENKUlvE0_clEvEUlffE_fEEDaPvRmT3_T4_T5_mT6_P12ihipStream_tbENKUlT_T0_E_clISt17integral_constantIbLb0EESV_IbLb1EEEEDaSR_SS_EUlSR_E_NS1_11comp_targetILNS1_3genE10ELNS1_11target_archE1201ELNS1_3gpuE5ELNS1_3repE0EEENS1_30default_config_static_selectorELNS0_4arch9wavefront6targetE1EEEvT1_,comdat
	.globl	_ZN7rocprim17ROCPRIM_400000_NS6detail17trampoline_kernelINS0_14default_configENS1_20scan_config_selectorIfEEZZNS1_9scan_implILNS1_25lookback_scan_determinismE0ELb0ELb0ES3_PKfPffZZZN2at6native31launch_logcumsumexp_cuda_kernelERKNSB_10TensorBaseESF_lENKUlvE_clEvENKUlvE0_clEvEUlffE_fEEDaPvRmT3_T4_T5_mT6_P12ihipStream_tbENKUlT_T0_E_clISt17integral_constantIbLb0EESV_IbLb1EEEEDaSR_SS_EUlSR_E_NS1_11comp_targetILNS1_3genE10ELNS1_11target_archE1201ELNS1_3gpuE5ELNS1_3repE0EEENS1_30default_config_static_selectorELNS0_4arch9wavefront6targetE1EEEvT1_ ; -- Begin function _ZN7rocprim17ROCPRIM_400000_NS6detail17trampoline_kernelINS0_14default_configENS1_20scan_config_selectorIfEEZZNS1_9scan_implILNS1_25lookback_scan_determinismE0ELb0ELb0ES3_PKfPffZZZN2at6native31launch_logcumsumexp_cuda_kernelERKNSB_10TensorBaseESF_lENKUlvE_clEvENKUlvE0_clEvEUlffE_fEEDaPvRmT3_T4_T5_mT6_P12ihipStream_tbENKUlT_T0_E_clISt17integral_constantIbLb0EESV_IbLb1EEEEDaSR_SS_EUlSR_E_NS1_11comp_targetILNS1_3genE10ELNS1_11target_archE1201ELNS1_3gpuE5ELNS1_3repE0EEENS1_30default_config_static_selectorELNS0_4arch9wavefront6targetE1EEEvT1_
	.p2align	8
	.type	_ZN7rocprim17ROCPRIM_400000_NS6detail17trampoline_kernelINS0_14default_configENS1_20scan_config_selectorIfEEZZNS1_9scan_implILNS1_25lookback_scan_determinismE0ELb0ELb0ES3_PKfPffZZZN2at6native31launch_logcumsumexp_cuda_kernelERKNSB_10TensorBaseESF_lENKUlvE_clEvENKUlvE0_clEvEUlffE_fEEDaPvRmT3_T4_T5_mT6_P12ihipStream_tbENKUlT_T0_E_clISt17integral_constantIbLb0EESV_IbLb1EEEEDaSR_SS_EUlSR_E_NS1_11comp_targetILNS1_3genE10ELNS1_11target_archE1201ELNS1_3gpuE5ELNS1_3repE0EEENS1_30default_config_static_selectorELNS0_4arch9wavefront6targetE1EEEvT1_,@function
_ZN7rocprim17ROCPRIM_400000_NS6detail17trampoline_kernelINS0_14default_configENS1_20scan_config_selectorIfEEZZNS1_9scan_implILNS1_25lookback_scan_determinismE0ELb0ELb0ES3_PKfPffZZZN2at6native31launch_logcumsumexp_cuda_kernelERKNSB_10TensorBaseESF_lENKUlvE_clEvENKUlvE0_clEvEUlffE_fEEDaPvRmT3_T4_T5_mT6_P12ihipStream_tbENKUlT_T0_E_clISt17integral_constantIbLb0EESV_IbLb1EEEEDaSR_SS_EUlSR_E_NS1_11comp_targetILNS1_3genE10ELNS1_11target_archE1201ELNS1_3gpuE5ELNS1_3repE0EEENS1_30default_config_static_selectorELNS0_4arch9wavefront6targetE1EEEvT1_: ; @_ZN7rocprim17ROCPRIM_400000_NS6detail17trampoline_kernelINS0_14default_configENS1_20scan_config_selectorIfEEZZNS1_9scan_implILNS1_25lookback_scan_determinismE0ELb0ELb0ES3_PKfPffZZZN2at6native31launch_logcumsumexp_cuda_kernelERKNSB_10TensorBaseESF_lENKUlvE_clEvENKUlvE0_clEvEUlffE_fEEDaPvRmT3_T4_T5_mT6_P12ihipStream_tbENKUlT_T0_E_clISt17integral_constantIbLb0EESV_IbLb1EEEEDaSR_SS_EUlSR_E_NS1_11comp_targetILNS1_3genE10ELNS1_11target_archE1201ELNS1_3gpuE5ELNS1_3repE0EEENS1_30default_config_static_selectorELNS0_4arch9wavefront6targetE1EEEvT1_
; %bb.0:
	.section	.rodata,"a",@progbits
	.p2align	6, 0x0
	.amdhsa_kernel _ZN7rocprim17ROCPRIM_400000_NS6detail17trampoline_kernelINS0_14default_configENS1_20scan_config_selectorIfEEZZNS1_9scan_implILNS1_25lookback_scan_determinismE0ELb0ELb0ES3_PKfPffZZZN2at6native31launch_logcumsumexp_cuda_kernelERKNSB_10TensorBaseESF_lENKUlvE_clEvENKUlvE0_clEvEUlffE_fEEDaPvRmT3_T4_T5_mT6_P12ihipStream_tbENKUlT_T0_E_clISt17integral_constantIbLb0EESV_IbLb1EEEEDaSR_SS_EUlSR_E_NS1_11comp_targetILNS1_3genE10ELNS1_11target_archE1201ELNS1_3gpuE5ELNS1_3repE0EEENS1_30default_config_static_selectorELNS0_4arch9wavefront6targetE1EEEvT1_
		.amdhsa_group_segment_fixed_size 0
		.amdhsa_private_segment_fixed_size 0
		.amdhsa_kernarg_size 96
		.amdhsa_user_sgpr_count 2
		.amdhsa_user_sgpr_dispatch_ptr 0
		.amdhsa_user_sgpr_queue_ptr 0
		.amdhsa_user_sgpr_kernarg_segment_ptr 1
		.amdhsa_user_sgpr_dispatch_id 0
		.amdhsa_user_sgpr_kernarg_preload_length 0
		.amdhsa_user_sgpr_kernarg_preload_offset 0
		.amdhsa_user_sgpr_private_segment_size 0
		.amdhsa_uses_dynamic_stack 0
		.amdhsa_enable_private_segment 0
		.amdhsa_system_sgpr_workgroup_id_x 1
		.amdhsa_system_sgpr_workgroup_id_y 0
		.amdhsa_system_sgpr_workgroup_id_z 0
		.amdhsa_system_sgpr_workgroup_info 0
		.amdhsa_system_vgpr_workitem_id 0
		.amdhsa_next_free_vgpr 1
		.amdhsa_next_free_sgpr 0
		.amdhsa_accum_offset 4
		.amdhsa_reserve_vcc 0
		.amdhsa_float_round_mode_32 0
		.amdhsa_float_round_mode_16_64 0
		.amdhsa_float_denorm_mode_32 3
		.amdhsa_float_denorm_mode_16_64 3
		.amdhsa_dx10_clamp 1
		.amdhsa_ieee_mode 1
		.amdhsa_fp16_overflow 0
		.amdhsa_tg_split 0
		.amdhsa_exception_fp_ieee_invalid_op 0
		.amdhsa_exception_fp_denorm_src 0
		.amdhsa_exception_fp_ieee_div_zero 0
		.amdhsa_exception_fp_ieee_overflow 0
		.amdhsa_exception_fp_ieee_underflow 0
		.amdhsa_exception_fp_ieee_inexact 0
		.amdhsa_exception_int_div_zero 0
	.end_amdhsa_kernel
	.section	.text._ZN7rocprim17ROCPRIM_400000_NS6detail17trampoline_kernelINS0_14default_configENS1_20scan_config_selectorIfEEZZNS1_9scan_implILNS1_25lookback_scan_determinismE0ELb0ELb0ES3_PKfPffZZZN2at6native31launch_logcumsumexp_cuda_kernelERKNSB_10TensorBaseESF_lENKUlvE_clEvENKUlvE0_clEvEUlffE_fEEDaPvRmT3_T4_T5_mT6_P12ihipStream_tbENKUlT_T0_E_clISt17integral_constantIbLb0EESV_IbLb1EEEEDaSR_SS_EUlSR_E_NS1_11comp_targetILNS1_3genE10ELNS1_11target_archE1201ELNS1_3gpuE5ELNS1_3repE0EEENS1_30default_config_static_selectorELNS0_4arch9wavefront6targetE1EEEvT1_,"axG",@progbits,_ZN7rocprim17ROCPRIM_400000_NS6detail17trampoline_kernelINS0_14default_configENS1_20scan_config_selectorIfEEZZNS1_9scan_implILNS1_25lookback_scan_determinismE0ELb0ELb0ES3_PKfPffZZZN2at6native31launch_logcumsumexp_cuda_kernelERKNSB_10TensorBaseESF_lENKUlvE_clEvENKUlvE0_clEvEUlffE_fEEDaPvRmT3_T4_T5_mT6_P12ihipStream_tbENKUlT_T0_E_clISt17integral_constantIbLb0EESV_IbLb1EEEEDaSR_SS_EUlSR_E_NS1_11comp_targetILNS1_3genE10ELNS1_11target_archE1201ELNS1_3gpuE5ELNS1_3repE0EEENS1_30default_config_static_selectorELNS0_4arch9wavefront6targetE1EEEvT1_,comdat
.Lfunc_end166:
	.size	_ZN7rocprim17ROCPRIM_400000_NS6detail17trampoline_kernelINS0_14default_configENS1_20scan_config_selectorIfEEZZNS1_9scan_implILNS1_25lookback_scan_determinismE0ELb0ELb0ES3_PKfPffZZZN2at6native31launch_logcumsumexp_cuda_kernelERKNSB_10TensorBaseESF_lENKUlvE_clEvENKUlvE0_clEvEUlffE_fEEDaPvRmT3_T4_T5_mT6_P12ihipStream_tbENKUlT_T0_E_clISt17integral_constantIbLb0EESV_IbLb1EEEEDaSR_SS_EUlSR_E_NS1_11comp_targetILNS1_3genE10ELNS1_11target_archE1201ELNS1_3gpuE5ELNS1_3repE0EEENS1_30default_config_static_selectorELNS0_4arch9wavefront6targetE1EEEvT1_, .Lfunc_end166-_ZN7rocprim17ROCPRIM_400000_NS6detail17trampoline_kernelINS0_14default_configENS1_20scan_config_selectorIfEEZZNS1_9scan_implILNS1_25lookback_scan_determinismE0ELb0ELb0ES3_PKfPffZZZN2at6native31launch_logcumsumexp_cuda_kernelERKNSB_10TensorBaseESF_lENKUlvE_clEvENKUlvE0_clEvEUlffE_fEEDaPvRmT3_T4_T5_mT6_P12ihipStream_tbENKUlT_T0_E_clISt17integral_constantIbLb0EESV_IbLb1EEEEDaSR_SS_EUlSR_E_NS1_11comp_targetILNS1_3genE10ELNS1_11target_archE1201ELNS1_3gpuE5ELNS1_3repE0EEENS1_30default_config_static_selectorELNS0_4arch9wavefront6targetE1EEEvT1_
                                        ; -- End function
	.section	.AMDGPU.csdata,"",@progbits
; Kernel info:
; codeLenInByte = 0
; NumSgprs: 6
; NumVgprs: 0
; NumAgprs: 0
; TotalNumVgprs: 0
; ScratchSize: 0
; MemoryBound: 0
; FloatMode: 240
; IeeeMode: 1
; LDSByteSize: 0 bytes/workgroup (compile time only)
; SGPRBlocks: 0
; VGPRBlocks: 0
; NumSGPRsForWavesPerEU: 6
; NumVGPRsForWavesPerEU: 1
; AccumOffset: 4
; Occupancy: 8
; WaveLimiterHint : 0
; COMPUTE_PGM_RSRC2:SCRATCH_EN: 0
; COMPUTE_PGM_RSRC2:USER_SGPR: 2
; COMPUTE_PGM_RSRC2:TRAP_HANDLER: 0
; COMPUTE_PGM_RSRC2:TGID_X_EN: 1
; COMPUTE_PGM_RSRC2:TGID_Y_EN: 0
; COMPUTE_PGM_RSRC2:TGID_Z_EN: 0
; COMPUTE_PGM_RSRC2:TIDIG_COMP_CNT: 0
; COMPUTE_PGM_RSRC3_GFX90A:ACCUM_OFFSET: 0
; COMPUTE_PGM_RSRC3_GFX90A:TG_SPLIT: 0
	.section	.text._ZN7rocprim17ROCPRIM_400000_NS6detail17trampoline_kernelINS0_14default_configENS1_20scan_config_selectorIfEEZZNS1_9scan_implILNS1_25lookback_scan_determinismE0ELb0ELb0ES3_PKfPffZZZN2at6native31launch_logcumsumexp_cuda_kernelERKNSB_10TensorBaseESF_lENKUlvE_clEvENKUlvE0_clEvEUlffE_fEEDaPvRmT3_T4_T5_mT6_P12ihipStream_tbENKUlT_T0_E_clISt17integral_constantIbLb0EESV_IbLb1EEEEDaSR_SS_EUlSR_E_NS1_11comp_targetILNS1_3genE10ELNS1_11target_archE1200ELNS1_3gpuE4ELNS1_3repE0EEENS1_30default_config_static_selectorELNS0_4arch9wavefront6targetE1EEEvT1_,"axG",@progbits,_ZN7rocprim17ROCPRIM_400000_NS6detail17trampoline_kernelINS0_14default_configENS1_20scan_config_selectorIfEEZZNS1_9scan_implILNS1_25lookback_scan_determinismE0ELb0ELb0ES3_PKfPffZZZN2at6native31launch_logcumsumexp_cuda_kernelERKNSB_10TensorBaseESF_lENKUlvE_clEvENKUlvE0_clEvEUlffE_fEEDaPvRmT3_T4_T5_mT6_P12ihipStream_tbENKUlT_T0_E_clISt17integral_constantIbLb0EESV_IbLb1EEEEDaSR_SS_EUlSR_E_NS1_11comp_targetILNS1_3genE10ELNS1_11target_archE1200ELNS1_3gpuE4ELNS1_3repE0EEENS1_30default_config_static_selectorELNS0_4arch9wavefront6targetE1EEEvT1_,comdat
	.globl	_ZN7rocprim17ROCPRIM_400000_NS6detail17trampoline_kernelINS0_14default_configENS1_20scan_config_selectorIfEEZZNS1_9scan_implILNS1_25lookback_scan_determinismE0ELb0ELb0ES3_PKfPffZZZN2at6native31launch_logcumsumexp_cuda_kernelERKNSB_10TensorBaseESF_lENKUlvE_clEvENKUlvE0_clEvEUlffE_fEEDaPvRmT3_T4_T5_mT6_P12ihipStream_tbENKUlT_T0_E_clISt17integral_constantIbLb0EESV_IbLb1EEEEDaSR_SS_EUlSR_E_NS1_11comp_targetILNS1_3genE10ELNS1_11target_archE1200ELNS1_3gpuE4ELNS1_3repE0EEENS1_30default_config_static_selectorELNS0_4arch9wavefront6targetE1EEEvT1_ ; -- Begin function _ZN7rocprim17ROCPRIM_400000_NS6detail17trampoline_kernelINS0_14default_configENS1_20scan_config_selectorIfEEZZNS1_9scan_implILNS1_25lookback_scan_determinismE0ELb0ELb0ES3_PKfPffZZZN2at6native31launch_logcumsumexp_cuda_kernelERKNSB_10TensorBaseESF_lENKUlvE_clEvENKUlvE0_clEvEUlffE_fEEDaPvRmT3_T4_T5_mT6_P12ihipStream_tbENKUlT_T0_E_clISt17integral_constantIbLb0EESV_IbLb1EEEEDaSR_SS_EUlSR_E_NS1_11comp_targetILNS1_3genE10ELNS1_11target_archE1200ELNS1_3gpuE4ELNS1_3repE0EEENS1_30default_config_static_selectorELNS0_4arch9wavefront6targetE1EEEvT1_
	.p2align	8
	.type	_ZN7rocprim17ROCPRIM_400000_NS6detail17trampoline_kernelINS0_14default_configENS1_20scan_config_selectorIfEEZZNS1_9scan_implILNS1_25lookback_scan_determinismE0ELb0ELb0ES3_PKfPffZZZN2at6native31launch_logcumsumexp_cuda_kernelERKNSB_10TensorBaseESF_lENKUlvE_clEvENKUlvE0_clEvEUlffE_fEEDaPvRmT3_T4_T5_mT6_P12ihipStream_tbENKUlT_T0_E_clISt17integral_constantIbLb0EESV_IbLb1EEEEDaSR_SS_EUlSR_E_NS1_11comp_targetILNS1_3genE10ELNS1_11target_archE1200ELNS1_3gpuE4ELNS1_3repE0EEENS1_30default_config_static_selectorELNS0_4arch9wavefront6targetE1EEEvT1_,@function
_ZN7rocprim17ROCPRIM_400000_NS6detail17trampoline_kernelINS0_14default_configENS1_20scan_config_selectorIfEEZZNS1_9scan_implILNS1_25lookback_scan_determinismE0ELb0ELb0ES3_PKfPffZZZN2at6native31launch_logcumsumexp_cuda_kernelERKNSB_10TensorBaseESF_lENKUlvE_clEvENKUlvE0_clEvEUlffE_fEEDaPvRmT3_T4_T5_mT6_P12ihipStream_tbENKUlT_T0_E_clISt17integral_constantIbLb0EESV_IbLb1EEEEDaSR_SS_EUlSR_E_NS1_11comp_targetILNS1_3genE10ELNS1_11target_archE1200ELNS1_3gpuE4ELNS1_3repE0EEENS1_30default_config_static_selectorELNS0_4arch9wavefront6targetE1EEEvT1_: ; @_ZN7rocprim17ROCPRIM_400000_NS6detail17trampoline_kernelINS0_14default_configENS1_20scan_config_selectorIfEEZZNS1_9scan_implILNS1_25lookback_scan_determinismE0ELb0ELb0ES3_PKfPffZZZN2at6native31launch_logcumsumexp_cuda_kernelERKNSB_10TensorBaseESF_lENKUlvE_clEvENKUlvE0_clEvEUlffE_fEEDaPvRmT3_T4_T5_mT6_P12ihipStream_tbENKUlT_T0_E_clISt17integral_constantIbLb0EESV_IbLb1EEEEDaSR_SS_EUlSR_E_NS1_11comp_targetILNS1_3genE10ELNS1_11target_archE1200ELNS1_3gpuE4ELNS1_3repE0EEENS1_30default_config_static_selectorELNS0_4arch9wavefront6targetE1EEEvT1_
; %bb.0:
	.section	.rodata,"a",@progbits
	.p2align	6, 0x0
	.amdhsa_kernel _ZN7rocprim17ROCPRIM_400000_NS6detail17trampoline_kernelINS0_14default_configENS1_20scan_config_selectorIfEEZZNS1_9scan_implILNS1_25lookback_scan_determinismE0ELb0ELb0ES3_PKfPffZZZN2at6native31launch_logcumsumexp_cuda_kernelERKNSB_10TensorBaseESF_lENKUlvE_clEvENKUlvE0_clEvEUlffE_fEEDaPvRmT3_T4_T5_mT6_P12ihipStream_tbENKUlT_T0_E_clISt17integral_constantIbLb0EESV_IbLb1EEEEDaSR_SS_EUlSR_E_NS1_11comp_targetILNS1_3genE10ELNS1_11target_archE1200ELNS1_3gpuE4ELNS1_3repE0EEENS1_30default_config_static_selectorELNS0_4arch9wavefront6targetE1EEEvT1_
		.amdhsa_group_segment_fixed_size 0
		.amdhsa_private_segment_fixed_size 0
		.amdhsa_kernarg_size 96
		.amdhsa_user_sgpr_count 2
		.amdhsa_user_sgpr_dispatch_ptr 0
		.amdhsa_user_sgpr_queue_ptr 0
		.amdhsa_user_sgpr_kernarg_segment_ptr 1
		.amdhsa_user_sgpr_dispatch_id 0
		.amdhsa_user_sgpr_kernarg_preload_length 0
		.amdhsa_user_sgpr_kernarg_preload_offset 0
		.amdhsa_user_sgpr_private_segment_size 0
		.amdhsa_uses_dynamic_stack 0
		.amdhsa_enable_private_segment 0
		.amdhsa_system_sgpr_workgroup_id_x 1
		.amdhsa_system_sgpr_workgroup_id_y 0
		.amdhsa_system_sgpr_workgroup_id_z 0
		.amdhsa_system_sgpr_workgroup_info 0
		.amdhsa_system_vgpr_workitem_id 0
		.amdhsa_next_free_vgpr 1
		.amdhsa_next_free_sgpr 0
		.amdhsa_accum_offset 4
		.amdhsa_reserve_vcc 0
		.amdhsa_float_round_mode_32 0
		.amdhsa_float_round_mode_16_64 0
		.amdhsa_float_denorm_mode_32 3
		.amdhsa_float_denorm_mode_16_64 3
		.amdhsa_dx10_clamp 1
		.amdhsa_ieee_mode 1
		.amdhsa_fp16_overflow 0
		.amdhsa_tg_split 0
		.amdhsa_exception_fp_ieee_invalid_op 0
		.amdhsa_exception_fp_denorm_src 0
		.amdhsa_exception_fp_ieee_div_zero 0
		.amdhsa_exception_fp_ieee_overflow 0
		.amdhsa_exception_fp_ieee_underflow 0
		.amdhsa_exception_fp_ieee_inexact 0
		.amdhsa_exception_int_div_zero 0
	.end_amdhsa_kernel
	.section	.text._ZN7rocprim17ROCPRIM_400000_NS6detail17trampoline_kernelINS0_14default_configENS1_20scan_config_selectorIfEEZZNS1_9scan_implILNS1_25lookback_scan_determinismE0ELb0ELb0ES3_PKfPffZZZN2at6native31launch_logcumsumexp_cuda_kernelERKNSB_10TensorBaseESF_lENKUlvE_clEvENKUlvE0_clEvEUlffE_fEEDaPvRmT3_T4_T5_mT6_P12ihipStream_tbENKUlT_T0_E_clISt17integral_constantIbLb0EESV_IbLb1EEEEDaSR_SS_EUlSR_E_NS1_11comp_targetILNS1_3genE10ELNS1_11target_archE1200ELNS1_3gpuE4ELNS1_3repE0EEENS1_30default_config_static_selectorELNS0_4arch9wavefront6targetE1EEEvT1_,"axG",@progbits,_ZN7rocprim17ROCPRIM_400000_NS6detail17trampoline_kernelINS0_14default_configENS1_20scan_config_selectorIfEEZZNS1_9scan_implILNS1_25lookback_scan_determinismE0ELb0ELb0ES3_PKfPffZZZN2at6native31launch_logcumsumexp_cuda_kernelERKNSB_10TensorBaseESF_lENKUlvE_clEvENKUlvE0_clEvEUlffE_fEEDaPvRmT3_T4_T5_mT6_P12ihipStream_tbENKUlT_T0_E_clISt17integral_constantIbLb0EESV_IbLb1EEEEDaSR_SS_EUlSR_E_NS1_11comp_targetILNS1_3genE10ELNS1_11target_archE1200ELNS1_3gpuE4ELNS1_3repE0EEENS1_30default_config_static_selectorELNS0_4arch9wavefront6targetE1EEEvT1_,comdat
.Lfunc_end167:
	.size	_ZN7rocprim17ROCPRIM_400000_NS6detail17trampoline_kernelINS0_14default_configENS1_20scan_config_selectorIfEEZZNS1_9scan_implILNS1_25lookback_scan_determinismE0ELb0ELb0ES3_PKfPffZZZN2at6native31launch_logcumsumexp_cuda_kernelERKNSB_10TensorBaseESF_lENKUlvE_clEvENKUlvE0_clEvEUlffE_fEEDaPvRmT3_T4_T5_mT6_P12ihipStream_tbENKUlT_T0_E_clISt17integral_constantIbLb0EESV_IbLb1EEEEDaSR_SS_EUlSR_E_NS1_11comp_targetILNS1_3genE10ELNS1_11target_archE1200ELNS1_3gpuE4ELNS1_3repE0EEENS1_30default_config_static_selectorELNS0_4arch9wavefront6targetE1EEEvT1_, .Lfunc_end167-_ZN7rocprim17ROCPRIM_400000_NS6detail17trampoline_kernelINS0_14default_configENS1_20scan_config_selectorIfEEZZNS1_9scan_implILNS1_25lookback_scan_determinismE0ELb0ELb0ES3_PKfPffZZZN2at6native31launch_logcumsumexp_cuda_kernelERKNSB_10TensorBaseESF_lENKUlvE_clEvENKUlvE0_clEvEUlffE_fEEDaPvRmT3_T4_T5_mT6_P12ihipStream_tbENKUlT_T0_E_clISt17integral_constantIbLb0EESV_IbLb1EEEEDaSR_SS_EUlSR_E_NS1_11comp_targetILNS1_3genE10ELNS1_11target_archE1200ELNS1_3gpuE4ELNS1_3repE0EEENS1_30default_config_static_selectorELNS0_4arch9wavefront6targetE1EEEvT1_
                                        ; -- End function
	.section	.AMDGPU.csdata,"",@progbits
; Kernel info:
; codeLenInByte = 0
; NumSgprs: 6
; NumVgprs: 0
; NumAgprs: 0
; TotalNumVgprs: 0
; ScratchSize: 0
; MemoryBound: 0
; FloatMode: 240
; IeeeMode: 1
; LDSByteSize: 0 bytes/workgroup (compile time only)
; SGPRBlocks: 0
; VGPRBlocks: 0
; NumSGPRsForWavesPerEU: 6
; NumVGPRsForWavesPerEU: 1
; AccumOffset: 4
; Occupancy: 8
; WaveLimiterHint : 0
; COMPUTE_PGM_RSRC2:SCRATCH_EN: 0
; COMPUTE_PGM_RSRC2:USER_SGPR: 2
; COMPUTE_PGM_RSRC2:TRAP_HANDLER: 0
; COMPUTE_PGM_RSRC2:TGID_X_EN: 1
; COMPUTE_PGM_RSRC2:TGID_Y_EN: 0
; COMPUTE_PGM_RSRC2:TGID_Z_EN: 0
; COMPUTE_PGM_RSRC2:TIDIG_COMP_CNT: 0
; COMPUTE_PGM_RSRC3_GFX90A:ACCUM_OFFSET: 0
; COMPUTE_PGM_RSRC3_GFX90A:TG_SPLIT: 0
	.section	.text._ZN7rocprim17ROCPRIM_400000_NS6detail17trampoline_kernelINS0_14default_configENS1_20scan_config_selectorIfEEZZNS1_9scan_implILNS1_25lookback_scan_determinismE0ELb0ELb0ES3_PKfPffZZZN2at6native31launch_logcumsumexp_cuda_kernelERKNSB_10TensorBaseESF_lENKUlvE_clEvENKUlvE0_clEvEUlffE_fEEDaPvRmT3_T4_T5_mT6_P12ihipStream_tbENKUlT_T0_E_clISt17integral_constantIbLb0EESV_IbLb1EEEEDaSR_SS_EUlSR_E_NS1_11comp_targetILNS1_3genE9ELNS1_11target_archE1100ELNS1_3gpuE3ELNS1_3repE0EEENS1_30default_config_static_selectorELNS0_4arch9wavefront6targetE1EEEvT1_,"axG",@progbits,_ZN7rocprim17ROCPRIM_400000_NS6detail17trampoline_kernelINS0_14default_configENS1_20scan_config_selectorIfEEZZNS1_9scan_implILNS1_25lookback_scan_determinismE0ELb0ELb0ES3_PKfPffZZZN2at6native31launch_logcumsumexp_cuda_kernelERKNSB_10TensorBaseESF_lENKUlvE_clEvENKUlvE0_clEvEUlffE_fEEDaPvRmT3_T4_T5_mT6_P12ihipStream_tbENKUlT_T0_E_clISt17integral_constantIbLb0EESV_IbLb1EEEEDaSR_SS_EUlSR_E_NS1_11comp_targetILNS1_3genE9ELNS1_11target_archE1100ELNS1_3gpuE3ELNS1_3repE0EEENS1_30default_config_static_selectorELNS0_4arch9wavefront6targetE1EEEvT1_,comdat
	.globl	_ZN7rocprim17ROCPRIM_400000_NS6detail17trampoline_kernelINS0_14default_configENS1_20scan_config_selectorIfEEZZNS1_9scan_implILNS1_25lookback_scan_determinismE0ELb0ELb0ES3_PKfPffZZZN2at6native31launch_logcumsumexp_cuda_kernelERKNSB_10TensorBaseESF_lENKUlvE_clEvENKUlvE0_clEvEUlffE_fEEDaPvRmT3_T4_T5_mT6_P12ihipStream_tbENKUlT_T0_E_clISt17integral_constantIbLb0EESV_IbLb1EEEEDaSR_SS_EUlSR_E_NS1_11comp_targetILNS1_3genE9ELNS1_11target_archE1100ELNS1_3gpuE3ELNS1_3repE0EEENS1_30default_config_static_selectorELNS0_4arch9wavefront6targetE1EEEvT1_ ; -- Begin function _ZN7rocprim17ROCPRIM_400000_NS6detail17trampoline_kernelINS0_14default_configENS1_20scan_config_selectorIfEEZZNS1_9scan_implILNS1_25lookback_scan_determinismE0ELb0ELb0ES3_PKfPffZZZN2at6native31launch_logcumsumexp_cuda_kernelERKNSB_10TensorBaseESF_lENKUlvE_clEvENKUlvE0_clEvEUlffE_fEEDaPvRmT3_T4_T5_mT6_P12ihipStream_tbENKUlT_T0_E_clISt17integral_constantIbLb0EESV_IbLb1EEEEDaSR_SS_EUlSR_E_NS1_11comp_targetILNS1_3genE9ELNS1_11target_archE1100ELNS1_3gpuE3ELNS1_3repE0EEENS1_30default_config_static_selectorELNS0_4arch9wavefront6targetE1EEEvT1_
	.p2align	8
	.type	_ZN7rocprim17ROCPRIM_400000_NS6detail17trampoline_kernelINS0_14default_configENS1_20scan_config_selectorIfEEZZNS1_9scan_implILNS1_25lookback_scan_determinismE0ELb0ELb0ES3_PKfPffZZZN2at6native31launch_logcumsumexp_cuda_kernelERKNSB_10TensorBaseESF_lENKUlvE_clEvENKUlvE0_clEvEUlffE_fEEDaPvRmT3_T4_T5_mT6_P12ihipStream_tbENKUlT_T0_E_clISt17integral_constantIbLb0EESV_IbLb1EEEEDaSR_SS_EUlSR_E_NS1_11comp_targetILNS1_3genE9ELNS1_11target_archE1100ELNS1_3gpuE3ELNS1_3repE0EEENS1_30default_config_static_selectorELNS0_4arch9wavefront6targetE1EEEvT1_,@function
_ZN7rocprim17ROCPRIM_400000_NS6detail17trampoline_kernelINS0_14default_configENS1_20scan_config_selectorIfEEZZNS1_9scan_implILNS1_25lookback_scan_determinismE0ELb0ELb0ES3_PKfPffZZZN2at6native31launch_logcumsumexp_cuda_kernelERKNSB_10TensorBaseESF_lENKUlvE_clEvENKUlvE0_clEvEUlffE_fEEDaPvRmT3_T4_T5_mT6_P12ihipStream_tbENKUlT_T0_E_clISt17integral_constantIbLb0EESV_IbLb1EEEEDaSR_SS_EUlSR_E_NS1_11comp_targetILNS1_3genE9ELNS1_11target_archE1100ELNS1_3gpuE3ELNS1_3repE0EEENS1_30default_config_static_selectorELNS0_4arch9wavefront6targetE1EEEvT1_: ; @_ZN7rocprim17ROCPRIM_400000_NS6detail17trampoline_kernelINS0_14default_configENS1_20scan_config_selectorIfEEZZNS1_9scan_implILNS1_25lookback_scan_determinismE0ELb0ELb0ES3_PKfPffZZZN2at6native31launch_logcumsumexp_cuda_kernelERKNSB_10TensorBaseESF_lENKUlvE_clEvENKUlvE0_clEvEUlffE_fEEDaPvRmT3_T4_T5_mT6_P12ihipStream_tbENKUlT_T0_E_clISt17integral_constantIbLb0EESV_IbLb1EEEEDaSR_SS_EUlSR_E_NS1_11comp_targetILNS1_3genE9ELNS1_11target_archE1100ELNS1_3gpuE3ELNS1_3repE0EEENS1_30default_config_static_selectorELNS0_4arch9wavefront6targetE1EEEvT1_
; %bb.0:
	.section	.rodata,"a",@progbits
	.p2align	6, 0x0
	.amdhsa_kernel _ZN7rocprim17ROCPRIM_400000_NS6detail17trampoline_kernelINS0_14default_configENS1_20scan_config_selectorIfEEZZNS1_9scan_implILNS1_25lookback_scan_determinismE0ELb0ELb0ES3_PKfPffZZZN2at6native31launch_logcumsumexp_cuda_kernelERKNSB_10TensorBaseESF_lENKUlvE_clEvENKUlvE0_clEvEUlffE_fEEDaPvRmT3_T4_T5_mT6_P12ihipStream_tbENKUlT_T0_E_clISt17integral_constantIbLb0EESV_IbLb1EEEEDaSR_SS_EUlSR_E_NS1_11comp_targetILNS1_3genE9ELNS1_11target_archE1100ELNS1_3gpuE3ELNS1_3repE0EEENS1_30default_config_static_selectorELNS0_4arch9wavefront6targetE1EEEvT1_
		.amdhsa_group_segment_fixed_size 0
		.amdhsa_private_segment_fixed_size 0
		.amdhsa_kernarg_size 96
		.amdhsa_user_sgpr_count 2
		.amdhsa_user_sgpr_dispatch_ptr 0
		.amdhsa_user_sgpr_queue_ptr 0
		.amdhsa_user_sgpr_kernarg_segment_ptr 1
		.amdhsa_user_sgpr_dispatch_id 0
		.amdhsa_user_sgpr_kernarg_preload_length 0
		.amdhsa_user_sgpr_kernarg_preload_offset 0
		.amdhsa_user_sgpr_private_segment_size 0
		.amdhsa_uses_dynamic_stack 0
		.amdhsa_enable_private_segment 0
		.amdhsa_system_sgpr_workgroup_id_x 1
		.amdhsa_system_sgpr_workgroup_id_y 0
		.amdhsa_system_sgpr_workgroup_id_z 0
		.amdhsa_system_sgpr_workgroup_info 0
		.amdhsa_system_vgpr_workitem_id 0
		.amdhsa_next_free_vgpr 1
		.amdhsa_next_free_sgpr 0
		.amdhsa_accum_offset 4
		.amdhsa_reserve_vcc 0
		.amdhsa_float_round_mode_32 0
		.amdhsa_float_round_mode_16_64 0
		.amdhsa_float_denorm_mode_32 3
		.amdhsa_float_denorm_mode_16_64 3
		.amdhsa_dx10_clamp 1
		.amdhsa_ieee_mode 1
		.amdhsa_fp16_overflow 0
		.amdhsa_tg_split 0
		.amdhsa_exception_fp_ieee_invalid_op 0
		.amdhsa_exception_fp_denorm_src 0
		.amdhsa_exception_fp_ieee_div_zero 0
		.amdhsa_exception_fp_ieee_overflow 0
		.amdhsa_exception_fp_ieee_underflow 0
		.amdhsa_exception_fp_ieee_inexact 0
		.amdhsa_exception_int_div_zero 0
	.end_amdhsa_kernel
	.section	.text._ZN7rocprim17ROCPRIM_400000_NS6detail17trampoline_kernelINS0_14default_configENS1_20scan_config_selectorIfEEZZNS1_9scan_implILNS1_25lookback_scan_determinismE0ELb0ELb0ES3_PKfPffZZZN2at6native31launch_logcumsumexp_cuda_kernelERKNSB_10TensorBaseESF_lENKUlvE_clEvENKUlvE0_clEvEUlffE_fEEDaPvRmT3_T4_T5_mT6_P12ihipStream_tbENKUlT_T0_E_clISt17integral_constantIbLb0EESV_IbLb1EEEEDaSR_SS_EUlSR_E_NS1_11comp_targetILNS1_3genE9ELNS1_11target_archE1100ELNS1_3gpuE3ELNS1_3repE0EEENS1_30default_config_static_selectorELNS0_4arch9wavefront6targetE1EEEvT1_,"axG",@progbits,_ZN7rocprim17ROCPRIM_400000_NS6detail17trampoline_kernelINS0_14default_configENS1_20scan_config_selectorIfEEZZNS1_9scan_implILNS1_25lookback_scan_determinismE0ELb0ELb0ES3_PKfPffZZZN2at6native31launch_logcumsumexp_cuda_kernelERKNSB_10TensorBaseESF_lENKUlvE_clEvENKUlvE0_clEvEUlffE_fEEDaPvRmT3_T4_T5_mT6_P12ihipStream_tbENKUlT_T0_E_clISt17integral_constantIbLb0EESV_IbLb1EEEEDaSR_SS_EUlSR_E_NS1_11comp_targetILNS1_3genE9ELNS1_11target_archE1100ELNS1_3gpuE3ELNS1_3repE0EEENS1_30default_config_static_selectorELNS0_4arch9wavefront6targetE1EEEvT1_,comdat
.Lfunc_end168:
	.size	_ZN7rocprim17ROCPRIM_400000_NS6detail17trampoline_kernelINS0_14default_configENS1_20scan_config_selectorIfEEZZNS1_9scan_implILNS1_25lookback_scan_determinismE0ELb0ELb0ES3_PKfPffZZZN2at6native31launch_logcumsumexp_cuda_kernelERKNSB_10TensorBaseESF_lENKUlvE_clEvENKUlvE0_clEvEUlffE_fEEDaPvRmT3_T4_T5_mT6_P12ihipStream_tbENKUlT_T0_E_clISt17integral_constantIbLb0EESV_IbLb1EEEEDaSR_SS_EUlSR_E_NS1_11comp_targetILNS1_3genE9ELNS1_11target_archE1100ELNS1_3gpuE3ELNS1_3repE0EEENS1_30default_config_static_selectorELNS0_4arch9wavefront6targetE1EEEvT1_, .Lfunc_end168-_ZN7rocprim17ROCPRIM_400000_NS6detail17trampoline_kernelINS0_14default_configENS1_20scan_config_selectorIfEEZZNS1_9scan_implILNS1_25lookback_scan_determinismE0ELb0ELb0ES3_PKfPffZZZN2at6native31launch_logcumsumexp_cuda_kernelERKNSB_10TensorBaseESF_lENKUlvE_clEvENKUlvE0_clEvEUlffE_fEEDaPvRmT3_T4_T5_mT6_P12ihipStream_tbENKUlT_T0_E_clISt17integral_constantIbLb0EESV_IbLb1EEEEDaSR_SS_EUlSR_E_NS1_11comp_targetILNS1_3genE9ELNS1_11target_archE1100ELNS1_3gpuE3ELNS1_3repE0EEENS1_30default_config_static_selectorELNS0_4arch9wavefront6targetE1EEEvT1_
                                        ; -- End function
	.section	.AMDGPU.csdata,"",@progbits
; Kernel info:
; codeLenInByte = 0
; NumSgprs: 6
; NumVgprs: 0
; NumAgprs: 0
; TotalNumVgprs: 0
; ScratchSize: 0
; MemoryBound: 0
; FloatMode: 240
; IeeeMode: 1
; LDSByteSize: 0 bytes/workgroup (compile time only)
; SGPRBlocks: 0
; VGPRBlocks: 0
; NumSGPRsForWavesPerEU: 6
; NumVGPRsForWavesPerEU: 1
; AccumOffset: 4
; Occupancy: 8
; WaveLimiterHint : 0
; COMPUTE_PGM_RSRC2:SCRATCH_EN: 0
; COMPUTE_PGM_RSRC2:USER_SGPR: 2
; COMPUTE_PGM_RSRC2:TRAP_HANDLER: 0
; COMPUTE_PGM_RSRC2:TGID_X_EN: 1
; COMPUTE_PGM_RSRC2:TGID_Y_EN: 0
; COMPUTE_PGM_RSRC2:TGID_Z_EN: 0
; COMPUTE_PGM_RSRC2:TIDIG_COMP_CNT: 0
; COMPUTE_PGM_RSRC3_GFX90A:ACCUM_OFFSET: 0
; COMPUTE_PGM_RSRC3_GFX90A:TG_SPLIT: 0
	.section	.text._ZN7rocprim17ROCPRIM_400000_NS6detail17trampoline_kernelINS0_14default_configENS1_20scan_config_selectorIfEEZZNS1_9scan_implILNS1_25lookback_scan_determinismE0ELb0ELb0ES3_PKfPffZZZN2at6native31launch_logcumsumexp_cuda_kernelERKNSB_10TensorBaseESF_lENKUlvE_clEvENKUlvE0_clEvEUlffE_fEEDaPvRmT3_T4_T5_mT6_P12ihipStream_tbENKUlT_T0_E_clISt17integral_constantIbLb0EESV_IbLb1EEEEDaSR_SS_EUlSR_E_NS1_11comp_targetILNS1_3genE8ELNS1_11target_archE1030ELNS1_3gpuE2ELNS1_3repE0EEENS1_30default_config_static_selectorELNS0_4arch9wavefront6targetE1EEEvT1_,"axG",@progbits,_ZN7rocprim17ROCPRIM_400000_NS6detail17trampoline_kernelINS0_14default_configENS1_20scan_config_selectorIfEEZZNS1_9scan_implILNS1_25lookback_scan_determinismE0ELb0ELb0ES3_PKfPffZZZN2at6native31launch_logcumsumexp_cuda_kernelERKNSB_10TensorBaseESF_lENKUlvE_clEvENKUlvE0_clEvEUlffE_fEEDaPvRmT3_T4_T5_mT6_P12ihipStream_tbENKUlT_T0_E_clISt17integral_constantIbLb0EESV_IbLb1EEEEDaSR_SS_EUlSR_E_NS1_11comp_targetILNS1_3genE8ELNS1_11target_archE1030ELNS1_3gpuE2ELNS1_3repE0EEENS1_30default_config_static_selectorELNS0_4arch9wavefront6targetE1EEEvT1_,comdat
	.globl	_ZN7rocprim17ROCPRIM_400000_NS6detail17trampoline_kernelINS0_14default_configENS1_20scan_config_selectorIfEEZZNS1_9scan_implILNS1_25lookback_scan_determinismE0ELb0ELb0ES3_PKfPffZZZN2at6native31launch_logcumsumexp_cuda_kernelERKNSB_10TensorBaseESF_lENKUlvE_clEvENKUlvE0_clEvEUlffE_fEEDaPvRmT3_T4_T5_mT6_P12ihipStream_tbENKUlT_T0_E_clISt17integral_constantIbLb0EESV_IbLb1EEEEDaSR_SS_EUlSR_E_NS1_11comp_targetILNS1_3genE8ELNS1_11target_archE1030ELNS1_3gpuE2ELNS1_3repE0EEENS1_30default_config_static_selectorELNS0_4arch9wavefront6targetE1EEEvT1_ ; -- Begin function _ZN7rocprim17ROCPRIM_400000_NS6detail17trampoline_kernelINS0_14default_configENS1_20scan_config_selectorIfEEZZNS1_9scan_implILNS1_25lookback_scan_determinismE0ELb0ELb0ES3_PKfPffZZZN2at6native31launch_logcumsumexp_cuda_kernelERKNSB_10TensorBaseESF_lENKUlvE_clEvENKUlvE0_clEvEUlffE_fEEDaPvRmT3_T4_T5_mT6_P12ihipStream_tbENKUlT_T0_E_clISt17integral_constantIbLb0EESV_IbLb1EEEEDaSR_SS_EUlSR_E_NS1_11comp_targetILNS1_3genE8ELNS1_11target_archE1030ELNS1_3gpuE2ELNS1_3repE0EEENS1_30default_config_static_selectorELNS0_4arch9wavefront6targetE1EEEvT1_
	.p2align	8
	.type	_ZN7rocprim17ROCPRIM_400000_NS6detail17trampoline_kernelINS0_14default_configENS1_20scan_config_selectorIfEEZZNS1_9scan_implILNS1_25lookback_scan_determinismE0ELb0ELb0ES3_PKfPffZZZN2at6native31launch_logcumsumexp_cuda_kernelERKNSB_10TensorBaseESF_lENKUlvE_clEvENKUlvE0_clEvEUlffE_fEEDaPvRmT3_T4_T5_mT6_P12ihipStream_tbENKUlT_T0_E_clISt17integral_constantIbLb0EESV_IbLb1EEEEDaSR_SS_EUlSR_E_NS1_11comp_targetILNS1_3genE8ELNS1_11target_archE1030ELNS1_3gpuE2ELNS1_3repE0EEENS1_30default_config_static_selectorELNS0_4arch9wavefront6targetE1EEEvT1_,@function
_ZN7rocprim17ROCPRIM_400000_NS6detail17trampoline_kernelINS0_14default_configENS1_20scan_config_selectorIfEEZZNS1_9scan_implILNS1_25lookback_scan_determinismE0ELb0ELb0ES3_PKfPffZZZN2at6native31launch_logcumsumexp_cuda_kernelERKNSB_10TensorBaseESF_lENKUlvE_clEvENKUlvE0_clEvEUlffE_fEEDaPvRmT3_T4_T5_mT6_P12ihipStream_tbENKUlT_T0_E_clISt17integral_constantIbLb0EESV_IbLb1EEEEDaSR_SS_EUlSR_E_NS1_11comp_targetILNS1_3genE8ELNS1_11target_archE1030ELNS1_3gpuE2ELNS1_3repE0EEENS1_30default_config_static_selectorELNS0_4arch9wavefront6targetE1EEEvT1_: ; @_ZN7rocprim17ROCPRIM_400000_NS6detail17trampoline_kernelINS0_14default_configENS1_20scan_config_selectorIfEEZZNS1_9scan_implILNS1_25lookback_scan_determinismE0ELb0ELb0ES3_PKfPffZZZN2at6native31launch_logcumsumexp_cuda_kernelERKNSB_10TensorBaseESF_lENKUlvE_clEvENKUlvE0_clEvEUlffE_fEEDaPvRmT3_T4_T5_mT6_P12ihipStream_tbENKUlT_T0_E_clISt17integral_constantIbLb0EESV_IbLb1EEEEDaSR_SS_EUlSR_E_NS1_11comp_targetILNS1_3genE8ELNS1_11target_archE1030ELNS1_3gpuE2ELNS1_3repE0EEENS1_30default_config_static_selectorELNS0_4arch9wavefront6targetE1EEEvT1_
; %bb.0:
	.section	.rodata,"a",@progbits
	.p2align	6, 0x0
	.amdhsa_kernel _ZN7rocprim17ROCPRIM_400000_NS6detail17trampoline_kernelINS0_14default_configENS1_20scan_config_selectorIfEEZZNS1_9scan_implILNS1_25lookback_scan_determinismE0ELb0ELb0ES3_PKfPffZZZN2at6native31launch_logcumsumexp_cuda_kernelERKNSB_10TensorBaseESF_lENKUlvE_clEvENKUlvE0_clEvEUlffE_fEEDaPvRmT3_T4_T5_mT6_P12ihipStream_tbENKUlT_T0_E_clISt17integral_constantIbLb0EESV_IbLb1EEEEDaSR_SS_EUlSR_E_NS1_11comp_targetILNS1_3genE8ELNS1_11target_archE1030ELNS1_3gpuE2ELNS1_3repE0EEENS1_30default_config_static_selectorELNS0_4arch9wavefront6targetE1EEEvT1_
		.amdhsa_group_segment_fixed_size 0
		.amdhsa_private_segment_fixed_size 0
		.amdhsa_kernarg_size 96
		.amdhsa_user_sgpr_count 2
		.amdhsa_user_sgpr_dispatch_ptr 0
		.amdhsa_user_sgpr_queue_ptr 0
		.amdhsa_user_sgpr_kernarg_segment_ptr 1
		.amdhsa_user_sgpr_dispatch_id 0
		.amdhsa_user_sgpr_kernarg_preload_length 0
		.amdhsa_user_sgpr_kernarg_preload_offset 0
		.amdhsa_user_sgpr_private_segment_size 0
		.amdhsa_uses_dynamic_stack 0
		.amdhsa_enable_private_segment 0
		.amdhsa_system_sgpr_workgroup_id_x 1
		.amdhsa_system_sgpr_workgroup_id_y 0
		.amdhsa_system_sgpr_workgroup_id_z 0
		.amdhsa_system_sgpr_workgroup_info 0
		.amdhsa_system_vgpr_workitem_id 0
		.amdhsa_next_free_vgpr 1
		.amdhsa_next_free_sgpr 0
		.amdhsa_accum_offset 4
		.amdhsa_reserve_vcc 0
		.amdhsa_float_round_mode_32 0
		.amdhsa_float_round_mode_16_64 0
		.amdhsa_float_denorm_mode_32 3
		.amdhsa_float_denorm_mode_16_64 3
		.amdhsa_dx10_clamp 1
		.amdhsa_ieee_mode 1
		.amdhsa_fp16_overflow 0
		.amdhsa_tg_split 0
		.amdhsa_exception_fp_ieee_invalid_op 0
		.amdhsa_exception_fp_denorm_src 0
		.amdhsa_exception_fp_ieee_div_zero 0
		.amdhsa_exception_fp_ieee_overflow 0
		.amdhsa_exception_fp_ieee_underflow 0
		.amdhsa_exception_fp_ieee_inexact 0
		.amdhsa_exception_int_div_zero 0
	.end_amdhsa_kernel
	.section	.text._ZN7rocprim17ROCPRIM_400000_NS6detail17trampoline_kernelINS0_14default_configENS1_20scan_config_selectorIfEEZZNS1_9scan_implILNS1_25lookback_scan_determinismE0ELb0ELb0ES3_PKfPffZZZN2at6native31launch_logcumsumexp_cuda_kernelERKNSB_10TensorBaseESF_lENKUlvE_clEvENKUlvE0_clEvEUlffE_fEEDaPvRmT3_T4_T5_mT6_P12ihipStream_tbENKUlT_T0_E_clISt17integral_constantIbLb0EESV_IbLb1EEEEDaSR_SS_EUlSR_E_NS1_11comp_targetILNS1_3genE8ELNS1_11target_archE1030ELNS1_3gpuE2ELNS1_3repE0EEENS1_30default_config_static_selectorELNS0_4arch9wavefront6targetE1EEEvT1_,"axG",@progbits,_ZN7rocprim17ROCPRIM_400000_NS6detail17trampoline_kernelINS0_14default_configENS1_20scan_config_selectorIfEEZZNS1_9scan_implILNS1_25lookback_scan_determinismE0ELb0ELb0ES3_PKfPffZZZN2at6native31launch_logcumsumexp_cuda_kernelERKNSB_10TensorBaseESF_lENKUlvE_clEvENKUlvE0_clEvEUlffE_fEEDaPvRmT3_T4_T5_mT6_P12ihipStream_tbENKUlT_T0_E_clISt17integral_constantIbLb0EESV_IbLb1EEEEDaSR_SS_EUlSR_E_NS1_11comp_targetILNS1_3genE8ELNS1_11target_archE1030ELNS1_3gpuE2ELNS1_3repE0EEENS1_30default_config_static_selectorELNS0_4arch9wavefront6targetE1EEEvT1_,comdat
.Lfunc_end169:
	.size	_ZN7rocprim17ROCPRIM_400000_NS6detail17trampoline_kernelINS0_14default_configENS1_20scan_config_selectorIfEEZZNS1_9scan_implILNS1_25lookback_scan_determinismE0ELb0ELb0ES3_PKfPffZZZN2at6native31launch_logcumsumexp_cuda_kernelERKNSB_10TensorBaseESF_lENKUlvE_clEvENKUlvE0_clEvEUlffE_fEEDaPvRmT3_T4_T5_mT6_P12ihipStream_tbENKUlT_T0_E_clISt17integral_constantIbLb0EESV_IbLb1EEEEDaSR_SS_EUlSR_E_NS1_11comp_targetILNS1_3genE8ELNS1_11target_archE1030ELNS1_3gpuE2ELNS1_3repE0EEENS1_30default_config_static_selectorELNS0_4arch9wavefront6targetE1EEEvT1_, .Lfunc_end169-_ZN7rocprim17ROCPRIM_400000_NS6detail17trampoline_kernelINS0_14default_configENS1_20scan_config_selectorIfEEZZNS1_9scan_implILNS1_25lookback_scan_determinismE0ELb0ELb0ES3_PKfPffZZZN2at6native31launch_logcumsumexp_cuda_kernelERKNSB_10TensorBaseESF_lENKUlvE_clEvENKUlvE0_clEvEUlffE_fEEDaPvRmT3_T4_T5_mT6_P12ihipStream_tbENKUlT_T0_E_clISt17integral_constantIbLb0EESV_IbLb1EEEEDaSR_SS_EUlSR_E_NS1_11comp_targetILNS1_3genE8ELNS1_11target_archE1030ELNS1_3gpuE2ELNS1_3repE0EEENS1_30default_config_static_selectorELNS0_4arch9wavefront6targetE1EEEvT1_
                                        ; -- End function
	.section	.AMDGPU.csdata,"",@progbits
; Kernel info:
; codeLenInByte = 0
; NumSgprs: 6
; NumVgprs: 0
; NumAgprs: 0
; TotalNumVgprs: 0
; ScratchSize: 0
; MemoryBound: 0
; FloatMode: 240
; IeeeMode: 1
; LDSByteSize: 0 bytes/workgroup (compile time only)
; SGPRBlocks: 0
; VGPRBlocks: 0
; NumSGPRsForWavesPerEU: 6
; NumVGPRsForWavesPerEU: 1
; AccumOffset: 4
; Occupancy: 8
; WaveLimiterHint : 0
; COMPUTE_PGM_RSRC2:SCRATCH_EN: 0
; COMPUTE_PGM_RSRC2:USER_SGPR: 2
; COMPUTE_PGM_RSRC2:TRAP_HANDLER: 0
; COMPUTE_PGM_RSRC2:TGID_X_EN: 1
; COMPUTE_PGM_RSRC2:TGID_Y_EN: 0
; COMPUTE_PGM_RSRC2:TGID_Z_EN: 0
; COMPUTE_PGM_RSRC2:TIDIG_COMP_CNT: 0
; COMPUTE_PGM_RSRC3_GFX90A:ACCUM_OFFSET: 0
; COMPUTE_PGM_RSRC3_GFX90A:TG_SPLIT: 0
	.section	.text._ZN7rocprim17ROCPRIM_400000_NS6detail17trampoline_kernelINS0_14default_configENS1_20scan_config_selectorIfEEZZNS1_9scan_implILNS1_25lookback_scan_determinismE0ELb0ELb0ES3_PKfPffZZZN2at6native31launch_logcumsumexp_cuda_kernelERKNSB_10TensorBaseESF_lENKUlvE_clEvENKUlvE0_clEvEUlffE_fEEDaPvRmT3_T4_T5_mT6_P12ihipStream_tbENKUlT_T0_E_clISt17integral_constantIbLb0EESV_IbLb1EEEEDaSR_SS_EUlSR_E0_NS1_11comp_targetILNS1_3genE0ELNS1_11target_archE4294967295ELNS1_3gpuE0ELNS1_3repE0EEENS1_30default_config_static_selectorELNS0_4arch9wavefront6targetE1EEEvT1_,"axG",@progbits,_ZN7rocprim17ROCPRIM_400000_NS6detail17trampoline_kernelINS0_14default_configENS1_20scan_config_selectorIfEEZZNS1_9scan_implILNS1_25lookback_scan_determinismE0ELb0ELb0ES3_PKfPffZZZN2at6native31launch_logcumsumexp_cuda_kernelERKNSB_10TensorBaseESF_lENKUlvE_clEvENKUlvE0_clEvEUlffE_fEEDaPvRmT3_T4_T5_mT6_P12ihipStream_tbENKUlT_T0_E_clISt17integral_constantIbLb0EESV_IbLb1EEEEDaSR_SS_EUlSR_E0_NS1_11comp_targetILNS1_3genE0ELNS1_11target_archE4294967295ELNS1_3gpuE0ELNS1_3repE0EEENS1_30default_config_static_selectorELNS0_4arch9wavefront6targetE1EEEvT1_,comdat
	.globl	_ZN7rocprim17ROCPRIM_400000_NS6detail17trampoline_kernelINS0_14default_configENS1_20scan_config_selectorIfEEZZNS1_9scan_implILNS1_25lookback_scan_determinismE0ELb0ELb0ES3_PKfPffZZZN2at6native31launch_logcumsumexp_cuda_kernelERKNSB_10TensorBaseESF_lENKUlvE_clEvENKUlvE0_clEvEUlffE_fEEDaPvRmT3_T4_T5_mT6_P12ihipStream_tbENKUlT_T0_E_clISt17integral_constantIbLb0EESV_IbLb1EEEEDaSR_SS_EUlSR_E0_NS1_11comp_targetILNS1_3genE0ELNS1_11target_archE4294967295ELNS1_3gpuE0ELNS1_3repE0EEENS1_30default_config_static_selectorELNS0_4arch9wavefront6targetE1EEEvT1_ ; -- Begin function _ZN7rocprim17ROCPRIM_400000_NS6detail17trampoline_kernelINS0_14default_configENS1_20scan_config_selectorIfEEZZNS1_9scan_implILNS1_25lookback_scan_determinismE0ELb0ELb0ES3_PKfPffZZZN2at6native31launch_logcumsumexp_cuda_kernelERKNSB_10TensorBaseESF_lENKUlvE_clEvENKUlvE0_clEvEUlffE_fEEDaPvRmT3_T4_T5_mT6_P12ihipStream_tbENKUlT_T0_E_clISt17integral_constantIbLb0EESV_IbLb1EEEEDaSR_SS_EUlSR_E0_NS1_11comp_targetILNS1_3genE0ELNS1_11target_archE4294967295ELNS1_3gpuE0ELNS1_3repE0EEENS1_30default_config_static_selectorELNS0_4arch9wavefront6targetE1EEEvT1_
	.p2align	8
	.type	_ZN7rocprim17ROCPRIM_400000_NS6detail17trampoline_kernelINS0_14default_configENS1_20scan_config_selectorIfEEZZNS1_9scan_implILNS1_25lookback_scan_determinismE0ELb0ELb0ES3_PKfPffZZZN2at6native31launch_logcumsumexp_cuda_kernelERKNSB_10TensorBaseESF_lENKUlvE_clEvENKUlvE0_clEvEUlffE_fEEDaPvRmT3_T4_T5_mT6_P12ihipStream_tbENKUlT_T0_E_clISt17integral_constantIbLb0EESV_IbLb1EEEEDaSR_SS_EUlSR_E0_NS1_11comp_targetILNS1_3genE0ELNS1_11target_archE4294967295ELNS1_3gpuE0ELNS1_3repE0EEENS1_30default_config_static_selectorELNS0_4arch9wavefront6targetE1EEEvT1_,@function
_ZN7rocprim17ROCPRIM_400000_NS6detail17trampoline_kernelINS0_14default_configENS1_20scan_config_selectorIfEEZZNS1_9scan_implILNS1_25lookback_scan_determinismE0ELb0ELb0ES3_PKfPffZZZN2at6native31launch_logcumsumexp_cuda_kernelERKNSB_10TensorBaseESF_lENKUlvE_clEvENKUlvE0_clEvEUlffE_fEEDaPvRmT3_T4_T5_mT6_P12ihipStream_tbENKUlT_T0_E_clISt17integral_constantIbLb0EESV_IbLb1EEEEDaSR_SS_EUlSR_E0_NS1_11comp_targetILNS1_3genE0ELNS1_11target_archE4294967295ELNS1_3gpuE0ELNS1_3repE0EEENS1_30default_config_static_selectorELNS0_4arch9wavefront6targetE1EEEvT1_: ; @_ZN7rocprim17ROCPRIM_400000_NS6detail17trampoline_kernelINS0_14default_configENS1_20scan_config_selectorIfEEZZNS1_9scan_implILNS1_25lookback_scan_determinismE0ELb0ELb0ES3_PKfPffZZZN2at6native31launch_logcumsumexp_cuda_kernelERKNSB_10TensorBaseESF_lENKUlvE_clEvENKUlvE0_clEvEUlffE_fEEDaPvRmT3_T4_T5_mT6_P12ihipStream_tbENKUlT_T0_E_clISt17integral_constantIbLb0EESV_IbLb1EEEEDaSR_SS_EUlSR_E0_NS1_11comp_targetILNS1_3genE0ELNS1_11target_archE4294967295ELNS1_3gpuE0ELNS1_3repE0EEENS1_30default_config_static_selectorELNS0_4arch9wavefront6targetE1EEEvT1_
; %bb.0:
	.section	.rodata,"a",@progbits
	.p2align	6, 0x0
	.amdhsa_kernel _ZN7rocprim17ROCPRIM_400000_NS6detail17trampoline_kernelINS0_14default_configENS1_20scan_config_selectorIfEEZZNS1_9scan_implILNS1_25lookback_scan_determinismE0ELb0ELb0ES3_PKfPffZZZN2at6native31launch_logcumsumexp_cuda_kernelERKNSB_10TensorBaseESF_lENKUlvE_clEvENKUlvE0_clEvEUlffE_fEEDaPvRmT3_T4_T5_mT6_P12ihipStream_tbENKUlT_T0_E_clISt17integral_constantIbLb0EESV_IbLb1EEEEDaSR_SS_EUlSR_E0_NS1_11comp_targetILNS1_3genE0ELNS1_11target_archE4294967295ELNS1_3gpuE0ELNS1_3repE0EEENS1_30default_config_static_selectorELNS0_4arch9wavefront6targetE1EEEvT1_
		.amdhsa_group_segment_fixed_size 0
		.amdhsa_private_segment_fixed_size 0
		.amdhsa_kernarg_size 32
		.amdhsa_user_sgpr_count 2
		.amdhsa_user_sgpr_dispatch_ptr 0
		.amdhsa_user_sgpr_queue_ptr 0
		.amdhsa_user_sgpr_kernarg_segment_ptr 1
		.amdhsa_user_sgpr_dispatch_id 0
		.amdhsa_user_sgpr_kernarg_preload_length 0
		.amdhsa_user_sgpr_kernarg_preload_offset 0
		.amdhsa_user_sgpr_private_segment_size 0
		.amdhsa_uses_dynamic_stack 0
		.amdhsa_enable_private_segment 0
		.amdhsa_system_sgpr_workgroup_id_x 1
		.amdhsa_system_sgpr_workgroup_id_y 0
		.amdhsa_system_sgpr_workgroup_id_z 0
		.amdhsa_system_sgpr_workgroup_info 0
		.amdhsa_system_vgpr_workitem_id 0
		.amdhsa_next_free_vgpr 1
		.amdhsa_next_free_sgpr 0
		.amdhsa_accum_offset 4
		.amdhsa_reserve_vcc 0
		.amdhsa_float_round_mode_32 0
		.amdhsa_float_round_mode_16_64 0
		.amdhsa_float_denorm_mode_32 3
		.amdhsa_float_denorm_mode_16_64 3
		.amdhsa_dx10_clamp 1
		.amdhsa_ieee_mode 1
		.amdhsa_fp16_overflow 0
		.amdhsa_tg_split 0
		.amdhsa_exception_fp_ieee_invalid_op 0
		.amdhsa_exception_fp_denorm_src 0
		.amdhsa_exception_fp_ieee_div_zero 0
		.amdhsa_exception_fp_ieee_overflow 0
		.amdhsa_exception_fp_ieee_underflow 0
		.amdhsa_exception_fp_ieee_inexact 0
		.amdhsa_exception_int_div_zero 0
	.end_amdhsa_kernel
	.section	.text._ZN7rocprim17ROCPRIM_400000_NS6detail17trampoline_kernelINS0_14default_configENS1_20scan_config_selectorIfEEZZNS1_9scan_implILNS1_25lookback_scan_determinismE0ELb0ELb0ES3_PKfPffZZZN2at6native31launch_logcumsumexp_cuda_kernelERKNSB_10TensorBaseESF_lENKUlvE_clEvENKUlvE0_clEvEUlffE_fEEDaPvRmT3_T4_T5_mT6_P12ihipStream_tbENKUlT_T0_E_clISt17integral_constantIbLb0EESV_IbLb1EEEEDaSR_SS_EUlSR_E0_NS1_11comp_targetILNS1_3genE0ELNS1_11target_archE4294967295ELNS1_3gpuE0ELNS1_3repE0EEENS1_30default_config_static_selectorELNS0_4arch9wavefront6targetE1EEEvT1_,"axG",@progbits,_ZN7rocprim17ROCPRIM_400000_NS6detail17trampoline_kernelINS0_14default_configENS1_20scan_config_selectorIfEEZZNS1_9scan_implILNS1_25lookback_scan_determinismE0ELb0ELb0ES3_PKfPffZZZN2at6native31launch_logcumsumexp_cuda_kernelERKNSB_10TensorBaseESF_lENKUlvE_clEvENKUlvE0_clEvEUlffE_fEEDaPvRmT3_T4_T5_mT6_P12ihipStream_tbENKUlT_T0_E_clISt17integral_constantIbLb0EESV_IbLb1EEEEDaSR_SS_EUlSR_E0_NS1_11comp_targetILNS1_3genE0ELNS1_11target_archE4294967295ELNS1_3gpuE0ELNS1_3repE0EEENS1_30default_config_static_selectorELNS0_4arch9wavefront6targetE1EEEvT1_,comdat
.Lfunc_end170:
	.size	_ZN7rocprim17ROCPRIM_400000_NS6detail17trampoline_kernelINS0_14default_configENS1_20scan_config_selectorIfEEZZNS1_9scan_implILNS1_25lookback_scan_determinismE0ELb0ELb0ES3_PKfPffZZZN2at6native31launch_logcumsumexp_cuda_kernelERKNSB_10TensorBaseESF_lENKUlvE_clEvENKUlvE0_clEvEUlffE_fEEDaPvRmT3_T4_T5_mT6_P12ihipStream_tbENKUlT_T0_E_clISt17integral_constantIbLb0EESV_IbLb1EEEEDaSR_SS_EUlSR_E0_NS1_11comp_targetILNS1_3genE0ELNS1_11target_archE4294967295ELNS1_3gpuE0ELNS1_3repE0EEENS1_30default_config_static_selectorELNS0_4arch9wavefront6targetE1EEEvT1_, .Lfunc_end170-_ZN7rocprim17ROCPRIM_400000_NS6detail17trampoline_kernelINS0_14default_configENS1_20scan_config_selectorIfEEZZNS1_9scan_implILNS1_25lookback_scan_determinismE0ELb0ELb0ES3_PKfPffZZZN2at6native31launch_logcumsumexp_cuda_kernelERKNSB_10TensorBaseESF_lENKUlvE_clEvENKUlvE0_clEvEUlffE_fEEDaPvRmT3_T4_T5_mT6_P12ihipStream_tbENKUlT_T0_E_clISt17integral_constantIbLb0EESV_IbLb1EEEEDaSR_SS_EUlSR_E0_NS1_11comp_targetILNS1_3genE0ELNS1_11target_archE4294967295ELNS1_3gpuE0ELNS1_3repE0EEENS1_30default_config_static_selectorELNS0_4arch9wavefront6targetE1EEEvT1_
                                        ; -- End function
	.section	.AMDGPU.csdata,"",@progbits
; Kernel info:
; codeLenInByte = 0
; NumSgprs: 6
; NumVgprs: 0
; NumAgprs: 0
; TotalNumVgprs: 0
; ScratchSize: 0
; MemoryBound: 0
; FloatMode: 240
; IeeeMode: 1
; LDSByteSize: 0 bytes/workgroup (compile time only)
; SGPRBlocks: 0
; VGPRBlocks: 0
; NumSGPRsForWavesPerEU: 6
; NumVGPRsForWavesPerEU: 1
; AccumOffset: 4
; Occupancy: 8
; WaveLimiterHint : 0
; COMPUTE_PGM_RSRC2:SCRATCH_EN: 0
; COMPUTE_PGM_RSRC2:USER_SGPR: 2
; COMPUTE_PGM_RSRC2:TRAP_HANDLER: 0
; COMPUTE_PGM_RSRC2:TGID_X_EN: 1
; COMPUTE_PGM_RSRC2:TGID_Y_EN: 0
; COMPUTE_PGM_RSRC2:TGID_Z_EN: 0
; COMPUTE_PGM_RSRC2:TIDIG_COMP_CNT: 0
; COMPUTE_PGM_RSRC3_GFX90A:ACCUM_OFFSET: 0
; COMPUTE_PGM_RSRC3_GFX90A:TG_SPLIT: 0
	.section	.text._ZN7rocprim17ROCPRIM_400000_NS6detail17trampoline_kernelINS0_14default_configENS1_20scan_config_selectorIfEEZZNS1_9scan_implILNS1_25lookback_scan_determinismE0ELb0ELb0ES3_PKfPffZZZN2at6native31launch_logcumsumexp_cuda_kernelERKNSB_10TensorBaseESF_lENKUlvE_clEvENKUlvE0_clEvEUlffE_fEEDaPvRmT3_T4_T5_mT6_P12ihipStream_tbENKUlT_T0_E_clISt17integral_constantIbLb0EESV_IbLb1EEEEDaSR_SS_EUlSR_E0_NS1_11comp_targetILNS1_3genE5ELNS1_11target_archE942ELNS1_3gpuE9ELNS1_3repE0EEENS1_30default_config_static_selectorELNS0_4arch9wavefront6targetE1EEEvT1_,"axG",@progbits,_ZN7rocprim17ROCPRIM_400000_NS6detail17trampoline_kernelINS0_14default_configENS1_20scan_config_selectorIfEEZZNS1_9scan_implILNS1_25lookback_scan_determinismE0ELb0ELb0ES3_PKfPffZZZN2at6native31launch_logcumsumexp_cuda_kernelERKNSB_10TensorBaseESF_lENKUlvE_clEvENKUlvE0_clEvEUlffE_fEEDaPvRmT3_T4_T5_mT6_P12ihipStream_tbENKUlT_T0_E_clISt17integral_constantIbLb0EESV_IbLb1EEEEDaSR_SS_EUlSR_E0_NS1_11comp_targetILNS1_3genE5ELNS1_11target_archE942ELNS1_3gpuE9ELNS1_3repE0EEENS1_30default_config_static_selectorELNS0_4arch9wavefront6targetE1EEEvT1_,comdat
	.globl	_ZN7rocprim17ROCPRIM_400000_NS6detail17trampoline_kernelINS0_14default_configENS1_20scan_config_selectorIfEEZZNS1_9scan_implILNS1_25lookback_scan_determinismE0ELb0ELb0ES3_PKfPffZZZN2at6native31launch_logcumsumexp_cuda_kernelERKNSB_10TensorBaseESF_lENKUlvE_clEvENKUlvE0_clEvEUlffE_fEEDaPvRmT3_T4_T5_mT6_P12ihipStream_tbENKUlT_T0_E_clISt17integral_constantIbLb0EESV_IbLb1EEEEDaSR_SS_EUlSR_E0_NS1_11comp_targetILNS1_3genE5ELNS1_11target_archE942ELNS1_3gpuE9ELNS1_3repE0EEENS1_30default_config_static_selectorELNS0_4arch9wavefront6targetE1EEEvT1_ ; -- Begin function _ZN7rocprim17ROCPRIM_400000_NS6detail17trampoline_kernelINS0_14default_configENS1_20scan_config_selectorIfEEZZNS1_9scan_implILNS1_25lookback_scan_determinismE0ELb0ELb0ES3_PKfPffZZZN2at6native31launch_logcumsumexp_cuda_kernelERKNSB_10TensorBaseESF_lENKUlvE_clEvENKUlvE0_clEvEUlffE_fEEDaPvRmT3_T4_T5_mT6_P12ihipStream_tbENKUlT_T0_E_clISt17integral_constantIbLb0EESV_IbLb1EEEEDaSR_SS_EUlSR_E0_NS1_11comp_targetILNS1_3genE5ELNS1_11target_archE942ELNS1_3gpuE9ELNS1_3repE0EEENS1_30default_config_static_selectorELNS0_4arch9wavefront6targetE1EEEvT1_
	.p2align	8
	.type	_ZN7rocprim17ROCPRIM_400000_NS6detail17trampoline_kernelINS0_14default_configENS1_20scan_config_selectorIfEEZZNS1_9scan_implILNS1_25lookback_scan_determinismE0ELb0ELb0ES3_PKfPffZZZN2at6native31launch_logcumsumexp_cuda_kernelERKNSB_10TensorBaseESF_lENKUlvE_clEvENKUlvE0_clEvEUlffE_fEEDaPvRmT3_T4_T5_mT6_P12ihipStream_tbENKUlT_T0_E_clISt17integral_constantIbLb0EESV_IbLb1EEEEDaSR_SS_EUlSR_E0_NS1_11comp_targetILNS1_3genE5ELNS1_11target_archE942ELNS1_3gpuE9ELNS1_3repE0EEENS1_30default_config_static_selectorELNS0_4arch9wavefront6targetE1EEEvT1_,@function
_ZN7rocprim17ROCPRIM_400000_NS6detail17trampoline_kernelINS0_14default_configENS1_20scan_config_selectorIfEEZZNS1_9scan_implILNS1_25lookback_scan_determinismE0ELb0ELb0ES3_PKfPffZZZN2at6native31launch_logcumsumexp_cuda_kernelERKNSB_10TensorBaseESF_lENKUlvE_clEvENKUlvE0_clEvEUlffE_fEEDaPvRmT3_T4_T5_mT6_P12ihipStream_tbENKUlT_T0_E_clISt17integral_constantIbLb0EESV_IbLb1EEEEDaSR_SS_EUlSR_E0_NS1_11comp_targetILNS1_3genE5ELNS1_11target_archE942ELNS1_3gpuE9ELNS1_3repE0EEENS1_30default_config_static_selectorELNS0_4arch9wavefront6targetE1EEEvT1_: ; @_ZN7rocprim17ROCPRIM_400000_NS6detail17trampoline_kernelINS0_14default_configENS1_20scan_config_selectorIfEEZZNS1_9scan_implILNS1_25lookback_scan_determinismE0ELb0ELb0ES3_PKfPffZZZN2at6native31launch_logcumsumexp_cuda_kernelERKNSB_10TensorBaseESF_lENKUlvE_clEvENKUlvE0_clEvEUlffE_fEEDaPvRmT3_T4_T5_mT6_P12ihipStream_tbENKUlT_T0_E_clISt17integral_constantIbLb0EESV_IbLb1EEEEDaSR_SS_EUlSR_E0_NS1_11comp_targetILNS1_3genE5ELNS1_11target_archE942ELNS1_3gpuE9ELNS1_3repE0EEENS1_30default_config_static_selectorELNS0_4arch9wavefront6targetE1EEEvT1_
; %bb.0:
	s_load_dwordx4 s[48:51], s[0:1], 0x0
	v_lshlrev_b32_e32 v26, 2, v0
	s_waitcnt lgkmcnt(0)
	s_load_dword s4, s[48:49], 0x0
	v_cmp_gt_u32_e64 s[6:7], s50, v0
	s_waitcnt lgkmcnt(0)
	v_mov_b32_e32 v1, s4
	s_mov_b64 s[2:3], exec
                                        ; implicit-def: $vgpr77 : SGPR spill to VGPR lane
	v_writelane_b32 v77, s6, 0
	s_nop 1
	v_writelane_b32 v77, s7, 1
	s_and_b64 s[6:7], s[2:3], s[6:7]
	s_mov_b64 exec, s[6:7]
	s_cbranch_execz .LBB171_2
; %bb.1:
	global_load_dword v1, v26, s[48:49]
.LBB171_2:
	s_or_b64 exec, exec, s[2:3]
	v_or_b32_e32 v2, 0x100, v0
	v_cmp_gt_u32_e64 s[6:7], s50, v2
	v_mov_b32_e32 v2, s4
	s_mov_b64 s[2:3], exec
	v_writelane_b32 v77, s6, 2
	s_nop 1
	v_writelane_b32 v77, s7, 3
	s_and_b64 s[6:7], s[2:3], s[6:7]
	s_mov_b64 exec, s[6:7]
	s_cbranch_execz .LBB171_4
; %bb.3:
	global_load_dword v2, v26, s[48:49] offset:1024
.LBB171_4:
	s_or_b64 exec, exec, s[2:3]
	v_or_b32_e32 v3, 0x200, v0
	v_cmp_gt_u32_e64 s[6:7], s50, v3
	v_mov_b32_e32 v3, s4
	s_mov_b64 s[2:3], exec
	v_writelane_b32 v77, s6, 4
	s_nop 1
	v_writelane_b32 v77, s7, 5
	s_and_b64 s[6:7], s[2:3], s[6:7]
	s_mov_b64 exec, s[6:7]
	s_cbranch_execz .LBB171_6
; %bb.5:
	global_load_dword v3, v26, s[48:49] offset:2048
.LBB171_6:
	;; [unrolled: 14-line block ×3, first 2 shown]
	s_or_b64 exec, exec, s[2:3]
	v_or_b32_e32 v6, 0x400, v0
	v_cmp_gt_u32_e64 s[6:7], s50, v6
	v_mov_b32_e32 v5, s4
	s_nop 0
	v_writelane_b32 v77, s6, 8
	s_nop 1
	v_writelane_b32 v77, s7, 9
	s_and_saveexec_b64 s[2:3], s[6:7]
	s_cbranch_execz .LBB171_10
; %bb.9:
	v_lshlrev_b32_e32 v5, 2, v6
	global_load_dword v5, v5, s[48:49]
.LBB171_10:
	s_or_b64 exec, exec, s[2:3]
	v_or_b32_e32 v7, 0x500, v0
	v_cmp_gt_u32_e64 s[8:9], s50, v7
	v_mov_b32_e32 v6, s4
	s_and_saveexec_b64 s[2:3], s[8:9]
	s_cbranch_execz .LBB171_12
; %bb.11:
	v_lshlrev_b32_e32 v6, 2, v7
	global_load_dword v6, v6, s[48:49]
.LBB171_12:
	s_or_b64 exec, exec, s[2:3]
	v_or_b32_e32 v8, 0x600, v0
	v_cmp_gt_u32_e64 s[10:11], s50, v8
	v_mov_b32_e32 v7, s4
	;; [unrolled: 10-line block ×19, first 2 shown]
	s_and_saveexec_b64 s[2:3], s[46:47]
	s_cbranch_execz .LBB171_48
; %bb.47:
	v_lshlrev_b32_e32 v24, 2, v25
	global_load_dword v24, v24, s[48:49]
.LBB171_48:
	s_or_b64 exec, exec, s[2:3]
	s_movk_i32 s2, 0x5c
	s_waitcnt vmcnt(0)
	ds_write2st64_b32 v26, v1, v2 offset1:4
	ds_write2st64_b32 v26, v3, v4 offset0:8 offset1:12
	ds_write2st64_b32 v26, v5, v6 offset0:16 offset1:20
	;; [unrolled: 1-line block ×11, first 2 shown]
	v_mad_u32_u24 v1, v0, s2, v26
	s_waitcnt lgkmcnt(0)
	s_barrier
	ds_read_b128 v[2:5], v1
	ds_read_b128 v[22:25], v1 offset:16
	ds_read_b128 v[18:21], v1 offset:32
	ds_read_b128 v[14:17], v1 offset:48
	ds_read_b128 v[10:13], v1 offset:64
	ds_read_b128 v[6:9], v1 offset:80
	s_waitcnt lgkmcnt(5)
	v_max_f32_e32 v34, v3, v3
	v_max_f32_e32 v53, v2, v2
	v_min_f32_e32 v51, v53, v34
	v_cmp_u_f32_e64 s[96:97], v2, v2
	v_cmp_u_f32_e64 s[50:51], v3, v3
	v_max_f32_e32 v52, v53, v34
	v_cndmask_b32_e64 v1, v51, v2, s[96:97]
	v_cndmask_b32_e64 v27, v1, v3, s[50:51]
	v_cndmask_b32_e64 v1, v52, v2, s[96:97]
	v_cndmask_b32_e64 v1, v1, v3, s[50:51]
	s_movk_i32 s4, 0x1f8
	v_cmp_neq_f32_e64 s[52:53], v27, v1
	v_cmp_class_f32_e64 s[2:3], v27, s4
	s_or_b64 s[48:49], s[52:53], s[2:3]
	v_mov_b32_e32 v54, v2
	s_waitcnt lgkmcnt(0)
	s_barrier
	s_and_saveexec_b64 s[2:3], s[48:49]
	s_cbranch_execz .LBB171_50
; %bb.49:
	v_sub_f32_e32 v27, v27, v1
	s_mov_b32 s5, 0x3fb8aa3b
	v_mul_f32_e32 v28, 0x3fb8aa3b, v27
	v_fma_f32 v29, v27, s5, -v28
	v_rndne_f32_e32 v30, v28
	v_fmamk_f32 v29, v27, 0x32a5705f, v29
	v_sub_f32_e32 v28, v28, v30
	v_add_f32_e32 v28, v28, v29
	v_exp_f32_e32 v28, v28
	v_cvt_i32_f32_e32 v29, v30
	s_mov_b32 s5, 0xc2ce8ed0
	v_cmp_ngt_f32_e64 s[52:53], s5, v27
	s_mov_b32 s5, 0x42b17218
	v_ldexp_f32 v28, v28, v29
	v_cndmask_b32_e64 v28, 0, v28, s[52:53]
	v_mov_b32_e32 v29, 0x7f800000
	v_cmp_nlt_f32_e64 s[52:53], s5, v27
	s_mov_b32 s5, 0x3f2aaaab
	s_mov_b32 s6, 0x7f800000
	v_cndmask_b32_e64 v35, v29, v28, s[52:53]
	v_add_f32_e32 v27, 1.0, v35
	v_add_f32_e32 v28, -1.0, v27
	v_sub_f32_e32 v29, v28, v27
	v_add_f32_e32 v29, 1.0, v29
	v_sub_f32_e32 v28, v35, v28
	v_add_f32_e32 v30, v28, v29
	v_frexp_mant_f32_e32 v31, v27
	v_cvt_f64_f32_e32 v[28:29], v27
	v_frexp_exp_i32_f64_e32 v28, v[28:29]
	v_cmp_gt_f32_e64 s[52:53], s5, v31
	s_mov_b32 s5, 0x3f317218
	s_nop 0
	v_subbrev_co_u32_e64 v38, s[52:53], 0, v28, s[52:53]
	v_sub_u32_e32 v28, 0, v38
	v_ldexp_f32 v27, v27, v28
	v_ldexp_f32 v28, v30, v28
	v_add_f32_e32 v30, -1.0, v27
	v_add_f32_e32 v29, 1.0, v30
	v_sub_f32_e32 v29, v27, v29
	v_add_f32_e32 v31, v28, v29
	v_add_f32_e32 v29, 1.0, v27
	v_add_f32_e32 v32, -1.0, v29
	v_sub_f32_e32 v27, v27, v32
	v_add_f32_e32 v27, v28, v27
	v_add_f32_e32 v39, v29, v27
	v_rcp_f32_e32 v40, v39
	v_sub_f32_e32 v28, v29, v39
	v_add_f32_e32 v29, v30, v31
	v_add_f32_e32 v27, v27, v28
	v_mul_f32_e32 v42, v29, v40
	v_sub_f32_e32 v28, v30, v29
	v_mul_f32_e32 v30, v39, v42
	v_fma_f32 v32, v42, v39, -v30
	v_fmac_f32_e32 v32, v42, v27
	v_add_f32_e32 v41, v31, v28
	v_add_f32_e32 v28, v30, v32
	v_sub_f32_e32 v31, v29, v28
	v_pk_add_f32 v[36:37], v[28:29], v[30:31] neg_lo:[0,1] neg_hi:[0,1]
	v_mov_b32_e32 v33, v28
	v_pk_add_f32 v[28:29], v[36:37], v[32:33] neg_lo:[0,1] neg_hi:[0,1]
	v_cmp_eq_f32_e64 s[52:53], s6, v35
	v_add_f32_e32 v29, v41, v29
	v_add_f32_e32 v28, v28, v29
	;; [unrolled: 1-line block ×3, first 2 shown]
	v_mul_f32_e32 v41, v40, v29
	v_mul_f32_e32 v30, v39, v41
	v_fma_f32 v32, v41, v39, -v30
	v_fmac_f32_e32 v32, v41, v27
	v_sub_f32_e32 v27, v31, v29
	v_add_f32_e32 v27, v28, v27
	v_add_f32_e32 v28, v30, v32
	v_sub_f32_e32 v31, v29, v28
	v_pk_add_f32 v[36:37], v[28:29], v[30:31] neg_lo:[0,1] neg_hi:[0,1]
	v_mov_b32_e32 v33, v28
	v_pk_add_f32 v[28:29], v[36:37], v[32:33] neg_lo:[0,1] neg_hi:[0,1]
	v_cvt_f32_i32_e32 v30, v38
	v_add_f32_e32 v27, v27, v29
	v_add_f32_e32 v27, v28, v27
	;; [unrolled: 1-line block ×4, first 2 shown]
	v_sub_f32_e32 v29, v28, v42
	v_mul_f32_e32 v27, v40, v27
	v_sub_f32_e32 v29, v41, v29
	v_add_f32_e32 v27, v29, v27
	v_add_f32_e32 v31, v28, v27
	v_mul_f32_e32 v32, v31, v31
	v_mov_b32_e32 v29, 0x3ecc95a3
	v_fmac_f32_e32 v29, 0x3e9b6dac, v32
	v_sub_f32_e32 v28, v31, v28
	v_fmaak_f32 v29, v32, v29, 0x3f2aaada
	v_sub_f32_e32 v27, v27, v28
	v_ldexp_f32 v33, v31, 1
	v_mul_f32_e32 v31, v31, v32
	v_mov_b32_e32 v28, 0x3f317218
	v_pk_mul_f32 v[28:29], v[30:31], v[28:29]
	v_ldexp_f32 v27, v27, 1
	v_fma_f32 v31, v30, s5, -v28
	v_fmamk_f32 v32, v30, 0xb102e308, v31
	v_pk_add_f32 v[30:31], v[28:29], v[32:33]
	v_mov_b32_e32 v36, v28
	v_sub_f32_e32 v33, v31, v33
	v_sub_f32_e32 v33, v29, v33
	v_add_f32_e32 v37, v27, v33
	v_pk_add_f32 v[28:29], v[30:31], v[28:29] neg_lo:[0,1] neg_hi:[0,1]
	v_pk_add_f32 v[38:39], v[30:31], v[36:37]
	v_mov_b32_e32 v33, v30
	v_mov_b32_e32 v29, v39
	v_pk_add_f32 v[40:41], v[32:33], v[28:29] neg_lo:[0,1] neg_hi:[0,1]
	v_pk_add_f32 v[28:29], v[32:33], v[28:29]
	v_mov_b32_e32 v36, v37
	v_mov_b32_e32 v32, v29
	v_pk_add_f32 v[42:43], v[32:33], v[30:31] neg_lo:[0,1] neg_hi:[0,1]
	v_mov_b32_e32 v28, v39
	v_mov_b32_e32 v27, v42
	v_pk_add_f32 v[44:45], v[38:39], v[26:27] neg_lo:[0,1] neg_hi:[0,1]
	v_mov_b32_e32 v38, v31
	v_mov_b32_e32 v39, v42
	;; [unrolled: 1-line block ×3, first 2 shown]
	v_pk_add_f32 v[28:29], v[28:29], v[38:39] neg_lo:[0,1] neg_hi:[0,1]
	v_mov_b32_e32 v37, v30
	v_pk_add_f32 v[28:29], v[36:37], v[28:29] neg_lo:[0,1] neg_hi:[0,1]
	v_mov_b32_e32 v44, v40
	v_pk_add_f32 v[30:31], v[44:45], v[28:29]
	s_mov_b32 s5, 0x33800000
	v_mov_b32_e32 v36, v31
	v_pk_add_f32 v[36:37], v[30:31], v[36:37]
	v_cmp_lt_f32_e64 s[48:49], |v35|, s5
	v_pk_add_f32 v[32:33], v[32:33], v[36:37]
	v_mov_b32_e32 v29, v36
	v_mov_b32_e32 v31, v32
	v_pk_add_f32 v[38:39], v[30:31], v[40:41] neg_lo:[0,1] neg_hi:[0,1]
	s_or_b64 s[52:53], s[52:53], s[48:49]
	v_sub_f32_e32 v27, v30, v38
	v_pk_add_f32 v[28:29], v[28:29], v[38:39] neg_lo:[0,1] neg_hi:[0,1]
	v_sub_f32_e32 v27, v40, v27
	v_add_f32_e32 v27, v28, v27
	v_add_f32_e32 v27, v27, v29
	;; [unrolled: 1-line block ×3, first 2 shown]
	v_cndmask_b32_e64 v27, v27, v35, s[52:53]
	v_add_f32_e32 v54, v1, v27
.LBB171_50:
	s_or_b64 exec, exec, s[2:3]
	v_max_f32_e32 v27, v54, v54
	v_max_f32_e32 v1, v4, v4
	v_min_f32_e32 v28, v27, v1
	v_cmp_u_f32_e64 s[54:55], v54, v54
	v_max_f32_e32 v27, v27, v1
	v_cmp_u_f32_e64 s[52:53], v4, v4
	v_cndmask_b32_e64 v28, v28, v54, s[54:55]
	v_cndmask_b32_e64 v27, v27, v54, s[54:55]
	;; [unrolled: 1-line block ×4, first 2 shown]
	v_cmp_neq_f32_e64 s[54:55], v28, v27
	v_cmp_class_f32_e64 s[2:3], v28, s4
	s_or_b64 s[4:5], s[54:55], s[2:3]
	s_and_saveexec_b64 s[2:3], s[4:5]
	s_cbranch_execz .LBB171_52
; %bb.51:
	v_sub_f32_e32 v28, v28, v27
	s_mov_b32 s4, 0x3fb8aa3b
	v_mul_f32_e32 v29, 0x3fb8aa3b, v28
	v_fma_f32 v30, v28, s4, -v29
	v_rndne_f32_e32 v31, v29
	v_fmamk_f32 v30, v28, 0x32a5705f, v30
	v_sub_f32_e32 v29, v29, v31
	v_add_f32_e32 v29, v29, v30
	v_exp_f32_e32 v29, v29
	v_cvt_i32_f32_e32 v30, v31
	s_mov_b32 s4, 0xc2ce8ed0
	v_cmp_ngt_f32_e64 s[54:55], s4, v28
	s_mov_b32 s4, 0x42b17218
	v_ldexp_f32 v29, v29, v30
	v_cndmask_b32_e64 v29, 0, v29, s[54:55]
	v_mov_b32_e32 v30, 0x7f800000
	v_cmp_nlt_f32_e64 s[54:55], s4, v28
	s_mov_b32 s4, 0x3f2aaaab
	s_mov_b32 s5, 0x7f800000
	v_cndmask_b32_e64 v35, v30, v29, s[54:55]
	v_add_f32_e32 v30, 1.0, v35
	v_add_f32_e32 v28, -1.0, v30
	v_sub_f32_e32 v29, v28, v30
	v_add_f32_e32 v29, 1.0, v29
	v_sub_f32_e32 v28, v35, v28
	v_add_f32_e32 v31, v28, v29
	v_frexp_mant_f32_e32 v32, v30
	v_cvt_f64_f32_e32 v[28:29], v30
	v_frexp_exp_i32_f64_e32 v28, v[28:29]
	v_cmp_gt_f32_e64 s[54:55], s4, v32
	s_mov_b32 s4, 0x3f317218
	s_nop 0
	v_subbrev_co_u32_e64 v38, s[54:55], 0, v28, s[54:55]
	v_sub_u32_e32 v28, 0, v38
	v_ldexp_f32 v29, v30, v28
	v_add_f32_e32 v30, -1.0, v29
	v_add_f32_e32 v32, 1.0, v29
	v_ldexp_f32 v28, v31, v28
	v_add_f32_e32 v31, 1.0, v30
	v_add_f32_e32 v33, -1.0, v32
	v_sub_f32_e32 v31, v29, v31
	v_sub_f32_e32 v29, v29, v33
	v_add_f32_e32 v31, v28, v31
	v_add_f32_e32 v28, v28, v29
	;; [unrolled: 1-line block ×3, first 2 shown]
	v_rcp_f32_e32 v41, v39
	v_sub_f32_e32 v29, v32, v39
	v_add_f32_e32 v40, v28, v29
	v_add_f32_e32 v29, v30, v31
	v_mul_f32_e32 v43, v29, v41
	v_sub_f32_e32 v28, v30, v29
	v_mul_f32_e32 v30, v39, v43
	v_fma_f32 v32, v43, v39, -v30
	v_fmac_f32_e32 v32, v43, v40
	v_add_f32_e32 v42, v31, v28
	v_add_f32_e32 v28, v30, v32
	v_sub_f32_e32 v31, v29, v28
	v_pk_add_f32 v[36:37], v[28:29], v[30:31] neg_lo:[0,1] neg_hi:[0,1]
	v_mov_b32_e32 v33, v28
	v_pk_add_f32 v[28:29], v[36:37], v[32:33] neg_lo:[0,1] neg_hi:[0,1]
	v_cmp_eq_f32_e64 s[54:55], s5, v35
	v_add_f32_e32 v29, v42, v29
	v_add_f32_e32 v28, v28, v29
	;; [unrolled: 1-line block ×3, first 2 shown]
	v_mul_f32_e32 v42, v41, v29
	v_mul_f32_e32 v30, v39, v42
	v_fma_f32 v32, v42, v39, -v30
	v_fmac_f32_e32 v32, v42, v40
	v_sub_f32_e32 v31, v31, v29
	v_add_f32_e32 v39, v28, v31
	v_add_f32_e32 v28, v30, v32
	v_sub_f32_e32 v31, v29, v28
	v_pk_add_f32 v[36:37], v[28:29], v[30:31] neg_lo:[0,1] neg_hi:[0,1]
	v_mov_b32_e32 v33, v28
	v_pk_add_f32 v[28:29], v[36:37], v[32:33] neg_lo:[0,1] neg_hi:[0,1]
	v_cvt_f32_i32_e32 v30, v38
	v_add_f32_e32 v29, v39, v29
	v_add_f32_e32 v28, v28, v29
	;; [unrolled: 1-line block ×4, first 2 shown]
	v_sub_f32_e32 v29, v31, v43
	v_mul_f32_e32 v28, v41, v28
	v_sub_f32_e32 v29, v42, v29
	v_add_f32_e32 v28, v29, v28
	v_add_f32_e32 v32, v31, v28
	v_mul_f32_e32 v36, v32, v32
	v_mov_b32_e32 v29, 0x3ecc95a3
	v_sub_f32_e32 v31, v32, v31
	v_fmac_f32_e32 v29, 0x3e9b6dac, v36
	v_sub_f32_e32 v28, v28, v31
	v_fmaak_f32 v29, v36, v29, 0x3f2aaada
	v_ldexp_f32 v37, v28, 1
	v_mul_f32_e32 v31, v32, v36
	v_mov_b32_e32 v28, 0x3f317218
	v_pk_mul_f32 v[28:29], v[30:31], v[28:29]
	v_ldexp_f32 v33, v32, 1
	v_fma_f32 v31, v30, s4, -v28
	v_fmamk_f32 v32, v30, 0xb102e308, v31
	v_pk_add_f32 v[30:31], v[28:29], v[32:33]
	v_mov_b32_e32 v36, v28
	v_sub_f32_e32 v33, v31, v33
	v_sub_f32_e32 v33, v29, v33
	v_add_f32_e32 v37, v37, v33
	v_pk_add_f32 v[28:29], v[30:31], v[28:29] neg_lo:[0,1] neg_hi:[0,1]
	v_pk_add_f32 v[38:39], v[30:31], v[36:37]
	v_mov_b32_e32 v33, v30
	v_mov_b32_e32 v29, v39
	v_pk_add_f32 v[40:41], v[32:33], v[28:29] neg_lo:[0,1] neg_hi:[0,1]
	v_pk_add_f32 v[28:29], v[32:33], v[28:29]
	v_mov_b32_e32 v36, v37
	v_mov_b32_e32 v32, v29
	v_pk_add_f32 v[42:43], v[32:33], v[30:31] neg_lo:[0,1] neg_hi:[0,1]
	v_mov_b32_e32 v28, v39
	v_mov_b32_e32 v33, v42
	v_pk_add_f32 v[44:45], v[38:39], v[32:33] neg_lo:[0,1] neg_hi:[0,1]
	v_mov_b32_e32 v38, v31
	v_mov_b32_e32 v39, v42
	;; [unrolled: 1-line block ×3, first 2 shown]
	v_pk_add_f32 v[28:29], v[28:29], v[38:39] neg_lo:[0,1] neg_hi:[0,1]
	v_mov_b32_e32 v37, v30
	v_pk_add_f32 v[28:29], v[36:37], v[28:29] neg_lo:[0,1] neg_hi:[0,1]
	v_mov_b32_e32 v44, v40
	v_pk_add_f32 v[30:31], v[44:45], v[28:29]
	s_mov_b32 s4, 0x33800000
	v_mov_b32_e32 v36, v31
	v_pk_add_f32 v[36:37], v[30:31], v[36:37]
	v_cmp_lt_f32_e64 s[4:5], |v35|, s4
	v_pk_add_f32 v[32:33], v[32:33], v[36:37]
	v_mov_b32_e32 v29, v36
	v_mov_b32_e32 v31, v32
	v_pk_add_f32 v[38:39], v[30:31], v[40:41] neg_lo:[0,1] neg_hi:[0,1]
	s_or_b64 s[54:55], s[54:55], s[4:5]
	v_sub_f32_e32 v30, v30, v38
	v_pk_add_f32 v[28:29], v[28:29], v[38:39] neg_lo:[0,1] neg_hi:[0,1]
	v_sub_f32_e32 v30, v40, v30
	v_add_f32_e32 v28, v28, v30
	v_add_f32_e32 v28, v28, v29
	;; [unrolled: 1-line block ×3, first 2 shown]
	v_cndmask_b32_e64 v28, v28, v35, s[54:55]
	v_add_f32_e32 v54, v27, v28
.LBB171_52:
	s_or_b64 exec, exec, s[2:3]
	v_max_f32_e32 v28, v54, v54
	v_max_f32_e32 v27, v5, v5
	v_min_f32_e32 v29, v28, v27
	v_cmp_u_f32_e64 s[56:57], v54, v54
	v_max_f32_e32 v28, v28, v27
	v_cmp_u_f32_e64 s[54:55], v5, v5
	v_cndmask_b32_e64 v29, v29, v54, s[56:57]
	v_cndmask_b32_e64 v28, v28, v54, s[56:57]
	;; [unrolled: 1-line block ×4, first 2 shown]
	s_movk_i32 s4, 0x1f8
	v_cmp_neq_f32_e64 s[56:57], v29, v28
	v_cmp_class_f32_e64 s[2:3], v29, s4
	s_or_b64 s[48:49], s[56:57], s[2:3]
	s_and_saveexec_b64 s[2:3], s[48:49]
	s_cbranch_execz .LBB171_54
; %bb.53:
	v_sub_f32_e32 v29, v29, v28
	s_mov_b32 s5, 0x3fb8aa3b
	v_mul_f32_e32 v30, 0x3fb8aa3b, v29
	v_fma_f32 v31, v29, s5, -v30
	v_rndne_f32_e32 v32, v30
	v_fmamk_f32 v31, v29, 0x32a5705f, v31
	v_sub_f32_e32 v30, v30, v32
	v_add_f32_e32 v30, v30, v31
	v_exp_f32_e32 v30, v30
	v_cvt_i32_f32_e32 v31, v32
	s_mov_b32 s5, 0xc2ce8ed0
	v_cmp_ngt_f32_e64 s[56:57], s5, v29
	s_mov_b32 s5, 0x42b17218
	v_ldexp_f32 v30, v30, v31
	v_cndmask_b32_e64 v30, 0, v30, s[56:57]
	v_mov_b32_e32 v31, 0x7f800000
	v_cmp_nlt_f32_e64 s[56:57], s5, v29
	s_mov_b32 s5, 0x3f2aaaab
	s_mov_b32 s6, 0x7f800000
	v_cndmask_b32_e64 v35, v31, v30, s[56:57]
	v_add_f32_e32 v29, 1.0, v35
	v_add_f32_e32 v30, -1.0, v29
	v_sub_f32_e32 v31, v30, v29
	v_add_f32_e32 v31, 1.0, v31
	v_sub_f32_e32 v30, v35, v30
	v_add_f32_e32 v32, v30, v31
	v_frexp_mant_f32_e32 v33, v29
	v_cvt_f64_f32_e32 v[30:31], v29
	v_frexp_exp_i32_f64_e32 v30, v[30:31]
	v_cmp_gt_f32_e64 s[56:57], s5, v33
	s_mov_b32 s5, 0x3f317218
	s_nop 0
	v_subbrev_co_u32_e64 v40, s[56:57], 0, v30, s[56:57]
	v_sub_u32_e32 v30, 0, v40
	v_ldexp_f32 v29, v29, v30
	v_ldexp_f32 v30, v32, v30
	v_add_f32_e32 v32, -1.0, v29
	v_add_f32_e32 v31, 1.0, v32
	v_sub_f32_e32 v31, v29, v31
	v_add_f32_e32 v33, v30, v31
	v_add_f32_e32 v31, 1.0, v29
	v_add_f32_e32 v36, -1.0, v31
	v_sub_f32_e32 v29, v29, v36
	v_add_f32_e32 v29, v30, v29
	v_add_f32_e32 v41, v31, v29
	v_rcp_f32_e32 v42, v41
	v_sub_f32_e32 v30, v31, v41
	v_add_f32_e32 v31, v32, v33
	v_add_f32_e32 v29, v29, v30
	v_mul_f32_e32 v44, v31, v42
	v_sub_f32_e32 v30, v32, v31
	v_mul_f32_e32 v32, v41, v44
	v_fma_f32 v36, v44, v41, -v32
	v_fmac_f32_e32 v36, v44, v29
	v_add_f32_e32 v43, v33, v30
	v_add_f32_e32 v30, v32, v36
	v_sub_f32_e32 v33, v31, v30
	v_pk_add_f32 v[38:39], v[30:31], v[32:33] neg_lo:[0,1] neg_hi:[0,1]
	v_mov_b32_e32 v37, v30
	v_pk_add_f32 v[30:31], v[38:39], v[36:37] neg_lo:[0,1] neg_hi:[0,1]
	v_cmp_eq_f32_e64 s[56:57], s6, v35
	v_add_f32_e32 v31, v43, v31
	v_add_f32_e32 v30, v30, v31
	;; [unrolled: 1-line block ×3, first 2 shown]
	v_mul_f32_e32 v43, v42, v31
	v_mul_f32_e32 v32, v41, v43
	v_fma_f32 v36, v43, v41, -v32
	v_fmac_f32_e32 v36, v43, v29
	v_sub_f32_e32 v29, v33, v31
	v_add_f32_e32 v29, v30, v29
	v_add_f32_e32 v30, v32, v36
	v_sub_f32_e32 v33, v31, v30
	v_pk_add_f32 v[38:39], v[30:31], v[32:33] neg_lo:[0,1] neg_hi:[0,1]
	v_mov_b32_e32 v37, v30
	v_pk_add_f32 v[30:31], v[38:39], v[36:37] neg_lo:[0,1] neg_hi:[0,1]
	v_cvt_f32_i32_e32 v32, v40
	v_add_f32_e32 v29, v29, v31
	v_add_f32_e32 v29, v30, v29
	v_add_f32_e32 v30, v44, v43
	v_add_f32_e32 v29, v33, v29
	v_sub_f32_e32 v31, v30, v44
	v_mul_f32_e32 v29, v42, v29
	v_sub_f32_e32 v31, v43, v31
	v_add_f32_e32 v29, v31, v29
	v_add_f32_e32 v33, v30, v29
	v_mul_f32_e32 v36, v33, v33
	v_mov_b32_e32 v31, 0x3ecc95a3
	v_fmac_f32_e32 v31, 0x3e9b6dac, v36
	v_sub_f32_e32 v30, v33, v30
	v_fmaak_f32 v31, v36, v31, 0x3f2aaada
	v_sub_f32_e32 v29, v29, v30
	v_ldexp_f32 v37, v33, 1
	v_mul_f32_e32 v33, v33, v36
	v_mov_b32_e32 v30, 0x3f317218
	v_pk_mul_f32 v[30:31], v[32:33], v[30:31]
	v_ldexp_f32 v29, v29, 1
	v_fma_f32 v33, v32, s5, -v30
	v_fmamk_f32 v36, v32, 0xb102e308, v33
	v_pk_add_f32 v[32:33], v[30:31], v[36:37]
	v_mov_b32_e32 v38, v30
	v_sub_f32_e32 v37, v33, v37
	v_sub_f32_e32 v37, v31, v37
	v_add_f32_e32 v39, v29, v37
	v_pk_add_f32 v[30:31], v[32:33], v[30:31] neg_lo:[0,1] neg_hi:[0,1]
	v_pk_add_f32 v[40:41], v[32:33], v[38:39]
	v_mov_b32_e32 v37, v32
	v_mov_b32_e32 v31, v41
	v_pk_add_f32 v[42:43], v[36:37], v[30:31] neg_lo:[0,1] neg_hi:[0,1]
	v_pk_add_f32 v[30:31], v[36:37], v[30:31]
	v_mov_b32_e32 v38, v39
	v_mov_b32_e32 v36, v31
	v_pk_add_f32 v[44:45], v[36:37], v[32:33] neg_lo:[0,1] neg_hi:[0,1]
	v_mov_b32_e32 v30, v41
	v_mov_b32_e32 v29, v44
	v_pk_add_f32 v[46:47], v[40:41], v[28:29] neg_lo:[0,1] neg_hi:[0,1]
	v_mov_b32_e32 v40, v33
	v_mov_b32_e32 v41, v44
	;; [unrolled: 1-line block ×3, first 2 shown]
	v_pk_add_f32 v[30:31], v[30:31], v[40:41] neg_lo:[0,1] neg_hi:[0,1]
	v_mov_b32_e32 v39, v32
	v_pk_add_f32 v[30:31], v[38:39], v[30:31] neg_lo:[0,1] neg_hi:[0,1]
	v_mov_b32_e32 v46, v42
	v_pk_add_f32 v[32:33], v[46:47], v[30:31]
	s_mov_b32 s5, 0x33800000
	v_mov_b32_e32 v38, v33
	v_pk_add_f32 v[38:39], v[32:33], v[38:39]
	v_cmp_lt_f32_e64 s[48:49], |v35|, s5
	v_pk_add_f32 v[36:37], v[36:37], v[38:39]
	v_mov_b32_e32 v31, v38
	v_mov_b32_e32 v33, v36
	v_pk_add_f32 v[40:41], v[32:33], v[42:43] neg_lo:[0,1] neg_hi:[0,1]
	s_or_b64 s[56:57], s[56:57], s[48:49]
	v_sub_f32_e32 v29, v32, v40
	v_pk_add_f32 v[30:31], v[30:31], v[40:41] neg_lo:[0,1] neg_hi:[0,1]
	v_sub_f32_e32 v29, v42, v29
	v_add_f32_e32 v29, v30, v29
	v_add_f32_e32 v29, v29, v31
	;; [unrolled: 1-line block ×3, first 2 shown]
	v_cndmask_b32_e64 v29, v29, v35, s[56:57]
	v_add_f32_e32 v54, v28, v29
.LBB171_54:
	s_or_b64 exec, exec, s[2:3]
	v_max_f32_e32 v28, v54, v54
	v_max_f32_e32 v30, v22, v22
	v_min_f32_e32 v29, v28, v30
	v_cmp_u_f32_e64 s[58:59], v54, v54
	v_max_f32_e32 v28, v28, v30
	v_cmp_u_f32_e64 s[56:57], v22, v22
	v_cndmask_b32_e64 v29, v29, v54, s[58:59]
	v_cndmask_b32_e64 v28, v28, v54, s[58:59]
	;; [unrolled: 1-line block ×4, first 2 shown]
	v_cmp_neq_f32_e64 s[58:59], v29, v28
	v_cmp_class_f32_e64 s[2:3], v29, s4
	s_or_b64 s[4:5], s[58:59], s[2:3]
	s_and_saveexec_b64 s[2:3], s[4:5]
	s_cbranch_execz .LBB171_56
; %bb.55:
	v_sub_f32_e32 v29, v29, v28
	s_mov_b32 s4, 0x3fb8aa3b
	v_mul_f32_e32 v31, 0x3fb8aa3b, v29
	v_fma_f32 v32, v29, s4, -v31
	v_rndne_f32_e32 v33, v31
	v_fmamk_f32 v32, v29, 0x32a5705f, v32
	v_sub_f32_e32 v31, v31, v33
	v_add_f32_e32 v31, v31, v32
	v_exp_f32_e32 v31, v31
	v_cvt_i32_f32_e32 v32, v33
	s_mov_b32 s4, 0xc2ce8ed0
	v_cmp_ngt_f32_e64 s[58:59], s4, v29
	s_mov_b32 s4, 0x42b17218
	v_ldexp_f32 v31, v31, v32
	v_cndmask_b32_e64 v31, 0, v31, s[58:59]
	v_mov_b32_e32 v32, 0x7f800000
	v_cmp_nlt_f32_e64 s[58:59], s4, v29
	s_mov_b32 s4, 0x3f2aaaab
	s_mov_b32 s5, 0x7f800000
	v_cndmask_b32_e64 v31, v32, v31, s[58:59]
	v_add_f32_e32 v29, 1.0, v31
	v_add_f32_e32 v32, -1.0, v29
	v_sub_f32_e32 v33, v32, v29
	v_add_f32_e32 v33, 1.0, v33
	v_sub_f32_e32 v32, v31, v32
	v_add_f32_e32 v35, v32, v33
	v_frexp_mant_f32_e32 v36, v29
	v_cvt_f64_f32_e32 v[32:33], v29
	v_frexp_exp_i32_f64_e32 v32, v[32:33]
	v_cmp_gt_f32_e64 s[58:59], s4, v36
	s_mov_b32 s4, 0x3f317218
	s_nop 0
	v_subbrev_co_u32_e64 v42, s[58:59], 0, v32, s[58:59]
	v_sub_u32_e32 v32, 0, v42
	v_ldexp_f32 v29, v29, v32
	v_ldexp_f32 v32, v35, v32
	v_add_f32_e32 v35, -1.0, v29
	v_add_f32_e32 v33, 1.0, v35
	v_sub_f32_e32 v33, v29, v33
	v_add_f32_e32 v36, v32, v33
	v_add_f32_e32 v33, 1.0, v29
	v_add_f32_e32 v37, -1.0, v33
	v_sub_f32_e32 v29, v29, v37
	v_add_f32_e32 v29, v32, v29
	v_add_f32_e32 v43, v33, v29
	v_rcp_f32_e32 v44, v43
	v_sub_f32_e32 v32, v33, v43
	v_add_f32_e32 v33, v35, v36
	v_add_f32_e32 v29, v29, v32
	v_sub_f32_e32 v32, v35, v33
	v_mul_f32_e32 v45, v33, v44
	v_add_f32_e32 v35, v36, v32
	v_mul_f32_e32 v36, v43, v45
	v_fma_f32 v38, v45, v43, -v36
	v_fmac_f32_e32 v38, v45, v29
	v_add_f32_e32 v32, v36, v38
	v_sub_f32_e32 v37, v33, v32
	v_pk_add_f32 v[40:41], v[32:33], v[36:37] neg_lo:[0,1] neg_hi:[0,1]
	v_mov_b32_e32 v39, v32
	v_pk_add_f32 v[32:33], v[40:41], v[38:39] neg_lo:[0,1] neg_hi:[0,1]
	v_cmp_eq_f32_e64 s[58:59], s5, v31
	v_add_f32_e32 v33, v35, v33
	v_add_f32_e32 v32, v32, v33
	;; [unrolled: 1-line block ×3, first 2 shown]
	v_mul_f32_e32 v35, v44, v33
	v_mul_f32_e32 v36, v43, v35
	v_fma_f32 v38, v35, v43, -v36
	v_fmac_f32_e32 v38, v35, v29
	v_sub_f32_e32 v29, v37, v33
	v_add_f32_e32 v29, v32, v29
	v_add_f32_e32 v32, v36, v38
	v_sub_f32_e32 v37, v33, v32
	v_pk_add_f32 v[40:41], v[32:33], v[36:37] neg_lo:[0,1] neg_hi:[0,1]
	v_mov_b32_e32 v39, v32
	v_pk_add_f32 v[32:33], v[40:41], v[38:39] neg_lo:[0,1] neg_hi:[0,1]
	v_cvt_f32_i32_e32 v36, v42
	v_add_f32_e32 v29, v29, v33
	v_add_f32_e32 v29, v32, v29
	;; [unrolled: 1-line block ×4, first 2 shown]
	v_sub_f32_e32 v33, v32, v45
	v_mul_f32_e32 v29, v44, v29
	v_sub_f32_e32 v33, v35, v33
	v_add_f32_e32 v29, v33, v29
	v_add_f32_e32 v35, v32, v29
	v_mul_f32_e32 v37, v35, v35
	v_mov_b32_e32 v33, 0x3ecc95a3
	v_fmac_f32_e32 v33, 0x3e9b6dac, v37
	v_sub_f32_e32 v32, v35, v32
	v_fmaak_f32 v33, v37, v33, 0x3f2aaada
	v_sub_f32_e32 v29, v29, v32
	v_mul_f32_e32 v37, v35, v37
	v_mov_b32_e32 v32, 0x3f317218
	v_pk_mul_f32 v[32:33], v[36:37], v[32:33]
	v_ldexp_f32 v39, v35, 1
	v_fma_f32 v35, v36, s4, -v32
	v_fmamk_f32 v38, v36, 0xb102e308, v35
	v_pk_add_f32 v[36:37], v[32:33], v[38:39]
	v_ldexp_f32 v29, v29, 1
	v_sub_f32_e32 v35, v37, v39
	v_sub_f32_e32 v35, v33, v35
	v_add_f32_e32 v41, v29, v35
	v_mov_b32_e32 v40, v32
	v_pk_add_f32 v[32:33], v[36:37], v[32:33] neg_lo:[0,1] neg_hi:[0,1]
	v_pk_add_f32 v[42:43], v[36:37], v[40:41]
	v_mov_b32_e32 v39, v36
	v_mov_b32_e32 v33, v43
	v_pk_add_f32 v[44:45], v[38:39], v[32:33] neg_lo:[0,1] neg_hi:[0,1]
	v_pk_add_f32 v[32:33], v[38:39], v[32:33]
	v_mov_b32_e32 v40, v41
	v_mov_b32_e32 v38, v33
	v_pk_add_f32 v[46:47], v[38:39], v[36:37] neg_lo:[0,1] neg_hi:[0,1]
	v_mov_b32_e32 v32, v43
	v_mov_b32_e32 v29, v46
	v_pk_add_f32 v[48:49], v[42:43], v[28:29] neg_lo:[0,1] neg_hi:[0,1]
	v_mov_b32_e32 v42, v37
	v_mov_b32_e32 v43, v46
	;; [unrolled: 1-line block ×3, first 2 shown]
	v_pk_add_f32 v[32:33], v[32:33], v[42:43] neg_lo:[0,1] neg_hi:[0,1]
	v_mov_b32_e32 v41, v36
	v_pk_add_f32 v[32:33], v[40:41], v[32:33] neg_lo:[0,1] neg_hi:[0,1]
	v_mov_b32_e32 v48, v44
	v_pk_add_f32 v[36:37], v[48:49], v[32:33]
	s_mov_b32 s4, 0x33800000
	v_mov_b32_e32 v40, v37
	v_pk_add_f32 v[40:41], v[36:37], v[40:41]
	v_cmp_lt_f32_e64 s[4:5], |v31|, s4
	v_pk_add_f32 v[38:39], v[38:39], v[40:41]
	v_mov_b32_e32 v33, v40
	v_mov_b32_e32 v37, v38
	v_pk_add_f32 v[42:43], v[36:37], v[44:45] neg_lo:[0,1] neg_hi:[0,1]
	s_or_b64 s[58:59], s[58:59], s[4:5]
	v_sub_f32_e32 v29, v36, v42
	v_pk_add_f32 v[32:33], v[32:33], v[42:43] neg_lo:[0,1] neg_hi:[0,1]
	v_sub_f32_e32 v29, v44, v29
	v_add_f32_e32 v29, v32, v29
	v_add_f32_e32 v29, v29, v33
	v_add_f32_e32 v29, v38, v29
	v_cndmask_b32_e64 v29, v29, v31, s[58:59]
	v_add_f32_e32 v54, v28, v29
.LBB171_56:
	s_or_b64 exec, exec, s[2:3]
	v_max_f32_e32 v28, v54, v54
	v_max_f32_e32 v31, v23, v23
	v_min_f32_e32 v29, v28, v31
	v_cmp_u_f32_e64 s[60:61], v54, v54
	v_max_f32_e32 v28, v28, v31
	v_cmp_u_f32_e64 s[58:59], v23, v23
	v_cndmask_b32_e64 v29, v29, v54, s[60:61]
	v_cndmask_b32_e64 v28, v28, v54, s[60:61]
	;; [unrolled: 1-line block ×4, first 2 shown]
	s_movk_i32 s4, 0x1f8
	v_cmp_neq_f32_e64 s[60:61], v29, v28
	v_cmp_class_f32_e64 s[2:3], v29, s4
	s_or_b64 s[48:49], s[60:61], s[2:3]
	s_and_saveexec_b64 s[2:3], s[48:49]
	s_cbranch_execz .LBB171_58
; %bb.57:
	v_sub_f32_e32 v29, v29, v28
	s_mov_b32 s5, 0x3fb8aa3b
	v_mul_f32_e32 v32, 0x3fb8aa3b, v29
	v_fma_f32 v33, v29, s5, -v32
	v_rndne_f32_e32 v35, v32
	v_fmamk_f32 v33, v29, 0x32a5705f, v33
	v_sub_f32_e32 v32, v32, v35
	v_add_f32_e32 v32, v32, v33
	v_exp_f32_e32 v32, v32
	v_cvt_i32_f32_e32 v33, v35
	s_mov_b32 s5, 0xc2ce8ed0
	v_cmp_ngt_f32_e64 s[60:61], s5, v29
	s_mov_b32 s5, 0x42b17218
	v_ldexp_f32 v32, v32, v33
	v_cndmask_b32_e64 v32, 0, v32, s[60:61]
	v_mov_b32_e32 v33, 0x7f800000
	v_cmp_nlt_f32_e64 s[60:61], s5, v29
	s_mov_b32 s5, 0x3f2aaaab
	s_mov_b32 s6, 0x7f800000
	v_cndmask_b32_e64 v35, v33, v32, s[60:61]
	v_add_f32_e32 v29, 1.0, v35
	v_add_f32_e32 v32, -1.0, v29
	v_sub_f32_e32 v33, v32, v29
	v_add_f32_e32 v33, 1.0, v33
	v_sub_f32_e32 v32, v35, v32
	v_add_f32_e32 v36, v32, v33
	v_frexp_mant_f32_e32 v37, v29
	v_cvt_f64_f32_e32 v[32:33], v29
	v_frexp_exp_i32_f64_e32 v32, v[32:33]
	v_cmp_gt_f32_e64 s[60:61], s5, v37
	s_mov_b32 s5, 0x3f317218
	s_nop 0
	v_subbrev_co_u32_e64 v42, s[60:61], 0, v32, s[60:61]
	v_sub_u32_e32 v32, 0, v42
	v_ldexp_f32 v29, v29, v32
	v_ldexp_f32 v32, v36, v32
	v_add_f32_e32 v36, -1.0, v29
	v_add_f32_e32 v33, 1.0, v36
	v_sub_f32_e32 v33, v29, v33
	v_add_f32_e32 v37, v32, v33
	v_add_f32_e32 v33, 1.0, v29
	v_add_f32_e32 v38, -1.0, v33
	v_sub_f32_e32 v29, v29, v38
	v_add_f32_e32 v29, v32, v29
	v_add_f32_e32 v43, v33, v29
	v_rcp_f32_e32 v44, v43
	v_sub_f32_e32 v32, v33, v43
	v_add_f32_e32 v33, v36, v37
	v_add_f32_e32 v29, v29, v32
	v_mul_f32_e32 v46, v33, v44
	v_sub_f32_e32 v32, v36, v33
	v_mul_f32_e32 v36, v43, v46
	v_fma_f32 v38, v46, v43, -v36
	v_fmac_f32_e32 v38, v46, v29
	v_add_f32_e32 v45, v37, v32
	v_add_f32_e32 v32, v36, v38
	v_sub_f32_e32 v37, v33, v32
	v_pk_add_f32 v[40:41], v[32:33], v[36:37] neg_lo:[0,1] neg_hi:[0,1]
	v_mov_b32_e32 v39, v32
	v_pk_add_f32 v[32:33], v[40:41], v[38:39] neg_lo:[0,1] neg_hi:[0,1]
	v_cmp_eq_f32_e64 s[60:61], s6, v35
	v_add_f32_e32 v33, v45, v33
	v_add_f32_e32 v32, v32, v33
	;; [unrolled: 1-line block ×3, first 2 shown]
	v_mul_f32_e32 v45, v44, v33
	v_mul_f32_e32 v36, v43, v45
	v_fma_f32 v38, v45, v43, -v36
	v_fmac_f32_e32 v38, v45, v29
	v_sub_f32_e32 v29, v37, v33
	v_add_f32_e32 v29, v32, v29
	v_add_f32_e32 v32, v36, v38
	v_sub_f32_e32 v37, v33, v32
	v_pk_add_f32 v[40:41], v[32:33], v[36:37] neg_lo:[0,1] neg_hi:[0,1]
	v_mov_b32_e32 v39, v32
	v_pk_add_f32 v[32:33], v[40:41], v[38:39] neg_lo:[0,1] neg_hi:[0,1]
	v_cvt_f32_i32_e32 v36, v42
	v_add_f32_e32 v29, v29, v33
	v_add_f32_e32 v29, v32, v29
	;; [unrolled: 1-line block ×4, first 2 shown]
	v_sub_f32_e32 v33, v32, v46
	v_mul_f32_e32 v29, v44, v29
	v_sub_f32_e32 v33, v45, v33
	v_add_f32_e32 v29, v33, v29
	v_add_f32_e32 v37, v32, v29
	v_mul_f32_e32 v38, v37, v37
	v_mov_b32_e32 v33, 0x3ecc95a3
	v_fmac_f32_e32 v33, 0x3e9b6dac, v38
	v_sub_f32_e32 v32, v37, v32
	v_fmaak_f32 v33, v38, v33, 0x3f2aaada
	v_sub_f32_e32 v29, v29, v32
	v_ldexp_f32 v39, v37, 1
	v_mul_f32_e32 v37, v37, v38
	v_mov_b32_e32 v32, 0x3f317218
	v_pk_mul_f32 v[32:33], v[36:37], v[32:33]
	v_ldexp_f32 v29, v29, 1
	v_fma_f32 v37, v36, s5, -v32
	v_fmamk_f32 v38, v36, 0xb102e308, v37
	v_pk_add_f32 v[36:37], v[32:33], v[38:39]
	v_mov_b32_e32 v40, v32
	v_sub_f32_e32 v39, v37, v39
	v_sub_f32_e32 v39, v33, v39
	v_add_f32_e32 v41, v29, v39
	v_pk_add_f32 v[32:33], v[36:37], v[32:33] neg_lo:[0,1] neg_hi:[0,1]
	v_pk_add_f32 v[42:43], v[36:37], v[40:41]
	v_mov_b32_e32 v39, v36
	v_mov_b32_e32 v33, v43
	v_pk_add_f32 v[44:45], v[38:39], v[32:33] neg_lo:[0,1] neg_hi:[0,1]
	v_pk_add_f32 v[32:33], v[38:39], v[32:33]
	v_mov_b32_e32 v40, v41
	v_mov_b32_e32 v38, v33
	v_pk_add_f32 v[46:47], v[38:39], v[36:37] neg_lo:[0,1] neg_hi:[0,1]
	v_mov_b32_e32 v32, v43
	v_mov_b32_e32 v29, v46
	v_pk_add_f32 v[48:49], v[42:43], v[28:29] neg_lo:[0,1] neg_hi:[0,1]
	v_mov_b32_e32 v42, v37
	v_mov_b32_e32 v43, v46
	;; [unrolled: 1-line block ×3, first 2 shown]
	v_pk_add_f32 v[32:33], v[32:33], v[42:43] neg_lo:[0,1] neg_hi:[0,1]
	v_mov_b32_e32 v41, v36
	v_pk_add_f32 v[32:33], v[40:41], v[32:33] neg_lo:[0,1] neg_hi:[0,1]
	v_mov_b32_e32 v48, v44
	v_pk_add_f32 v[36:37], v[48:49], v[32:33]
	s_mov_b32 s5, 0x33800000
	v_mov_b32_e32 v40, v37
	v_pk_add_f32 v[40:41], v[36:37], v[40:41]
	v_cmp_lt_f32_e64 s[48:49], |v35|, s5
	v_pk_add_f32 v[38:39], v[38:39], v[40:41]
	v_mov_b32_e32 v33, v40
	v_mov_b32_e32 v37, v38
	v_pk_add_f32 v[42:43], v[36:37], v[44:45] neg_lo:[0,1] neg_hi:[0,1]
	s_or_b64 s[60:61], s[60:61], s[48:49]
	v_sub_f32_e32 v29, v36, v42
	v_pk_add_f32 v[32:33], v[32:33], v[42:43] neg_lo:[0,1] neg_hi:[0,1]
	v_sub_f32_e32 v29, v44, v29
	v_add_f32_e32 v29, v32, v29
	v_add_f32_e32 v29, v29, v33
	v_add_f32_e32 v29, v38, v29
	v_cndmask_b32_e64 v29, v29, v35, s[60:61]
	v_add_f32_e32 v54, v28, v29
.LBB171_58:
	s_or_b64 exec, exec, s[2:3]
	v_max_f32_e32 v28, v54, v54
	v_max_f32_e32 v32, v24, v24
	v_min_f32_e32 v29, v28, v32
	v_cmp_u_f32_e64 s[62:63], v54, v54
	v_max_f32_e32 v28, v28, v32
	v_cmp_u_f32_e64 s[60:61], v24, v24
	v_cndmask_b32_e64 v29, v29, v54, s[62:63]
	v_cndmask_b32_e64 v28, v28, v54, s[62:63]
	;; [unrolled: 1-line block ×4, first 2 shown]
	v_cmp_neq_f32_e64 s[62:63], v29, v28
	v_cmp_class_f32_e64 s[2:3], v29, s4
	s_or_b64 s[4:5], s[62:63], s[2:3]
	s_and_saveexec_b64 s[2:3], s[4:5]
	s_cbranch_execz .LBB171_60
; %bb.59:
	v_sub_f32_e32 v29, v29, v28
	s_mov_b32 s4, 0x3fb8aa3b
	v_mul_f32_e32 v33, 0x3fb8aa3b, v29
	v_fma_f32 v35, v29, s4, -v33
	v_rndne_f32_e32 v36, v33
	v_fmamk_f32 v35, v29, 0x32a5705f, v35
	v_sub_f32_e32 v33, v33, v36
	v_add_f32_e32 v33, v33, v35
	v_exp_f32_e32 v33, v33
	v_cvt_i32_f32_e32 v35, v36
	s_mov_b32 s4, 0xc2ce8ed0
	v_cmp_ngt_f32_e64 s[62:63], s4, v29
	s_mov_b32 s4, 0x42b17218
	v_ldexp_f32 v33, v33, v35
	v_cndmask_b32_e64 v33, 0, v33, s[62:63]
	v_mov_b32_e32 v35, 0x7f800000
	v_cmp_nlt_f32_e64 s[62:63], s4, v29
	s_mov_b32 s4, 0x3f2aaaab
	s_mov_b32 s5, 0x7f800000
	v_cndmask_b32_e64 v33, v35, v33, s[62:63]
	v_add_f32_e32 v29, 1.0, v33
	v_add_f32_e32 v35, -1.0, v29
	v_sub_f32_e32 v36, v35, v29
	v_add_f32_e32 v36, 1.0, v36
	v_sub_f32_e32 v35, v33, v35
	v_add_f32_e32 v35, v35, v36
	v_frexp_mant_f32_e32 v38, v29
	v_cvt_f64_f32_e32 v[36:37], v29
	v_frexp_exp_i32_f64_e32 v36, v[36:37]
	v_cmp_gt_f32_e64 s[62:63], s4, v38
	s_mov_b32 s4, 0x3f317218
	s_nop 0
	v_subbrev_co_u32_e64 v44, s[62:63], 0, v36, s[62:63]
	v_sub_u32_e32 v36, 0, v44
	v_ldexp_f32 v29, v29, v36
	v_ldexp_f32 v35, v35, v36
	v_add_f32_e32 v36, -1.0, v29
	v_add_f32_e32 v37, 1.0, v36
	v_sub_f32_e32 v37, v29, v37
	v_add_f32_e32 v38, v35, v37
	v_add_f32_e32 v37, 1.0, v29
	v_add_f32_e32 v39, -1.0, v37
	v_sub_f32_e32 v29, v29, v39
	v_add_f32_e32 v29, v35, v29
	v_add_f32_e32 v35, v37, v29
	v_rcp_f32_e32 v45, v35
	v_sub_f32_e32 v37, v37, v35
	v_add_f32_e32 v29, v29, v37
	v_add_f32_e32 v37, v36, v38
	v_sub_f32_e32 v36, v36, v37
	v_mul_f32_e32 v47, v37, v45
	v_add_f32_e32 v46, v38, v36
	v_mul_f32_e32 v38, v35, v47
	v_fma_f32 v40, v47, v35, -v38
	v_fmac_f32_e32 v40, v47, v29
	v_add_f32_e32 v36, v38, v40
	v_sub_f32_e32 v39, v37, v36
	v_pk_add_f32 v[42:43], v[36:37], v[38:39] neg_lo:[0,1] neg_hi:[0,1]
	v_mov_b32_e32 v41, v36
	v_pk_add_f32 v[36:37], v[42:43], v[40:41] neg_lo:[0,1] neg_hi:[0,1]
	v_cmp_eq_f32_e64 s[62:63], s5, v33
	v_add_f32_e32 v37, v46, v37
	v_add_f32_e32 v36, v36, v37
	;; [unrolled: 1-line block ×3, first 2 shown]
	v_mul_f32_e32 v46, v45, v37
	v_mul_f32_e32 v38, v35, v46
	v_fma_f32 v40, v46, v35, -v38
	v_fmac_f32_e32 v40, v46, v29
	v_sub_f32_e32 v29, v39, v37
	v_add_f32_e32 v29, v36, v29
	v_add_f32_e32 v36, v38, v40
	v_sub_f32_e32 v39, v37, v36
	v_pk_add_f32 v[42:43], v[36:37], v[38:39] neg_lo:[0,1] neg_hi:[0,1]
	v_mov_b32_e32 v41, v36
	v_pk_add_f32 v[36:37], v[42:43], v[40:41] neg_lo:[0,1] neg_hi:[0,1]
	v_add_f32_e32 v35, v47, v46
	v_add_f32_e32 v29, v29, v37
	;; [unrolled: 1-line block ×4, first 2 shown]
	v_sub_f32_e32 v36, v35, v47
	v_mul_f32_e32 v29, v45, v29
	v_sub_f32_e32 v36, v46, v36
	v_add_f32_e32 v29, v36, v29
	v_add_f32_e32 v36, v35, v29
	v_cvt_f32_i32_e32 v38, v44
	v_mul_f32_e32 v39, v36, v36
	v_mov_b32_e32 v37, 0x3ecc95a3
	v_fmac_f32_e32 v37, 0x3e9b6dac, v39
	v_fmaak_f32 v37, v39, v37, 0x3f2aaada
	v_sub_f32_e32 v35, v36, v35
	v_ldexp_f32 v41, v36, 1
	v_mul_f32_e32 v39, v36, v39
	v_mov_b32_e32 v36, 0x3f317218
	v_pk_mul_f32 v[36:37], v[38:39], v[36:37]
	v_sub_f32_e32 v29, v29, v35
	v_fma_f32 v35, v38, s4, -v36
	v_fmamk_f32 v40, v38, 0xb102e308, v35
	v_pk_add_f32 v[38:39], v[36:37], v[40:41]
	v_ldexp_f32 v29, v29, 1
	v_sub_f32_e32 v35, v39, v41
	v_sub_f32_e32 v35, v37, v35
	v_add_f32_e32 v43, v29, v35
	v_mov_b32_e32 v42, v36
	v_pk_add_f32 v[36:37], v[38:39], v[36:37] neg_lo:[0,1] neg_hi:[0,1]
	v_pk_add_f32 v[44:45], v[38:39], v[42:43]
	v_mov_b32_e32 v41, v38
	v_mov_b32_e32 v37, v45
	v_pk_add_f32 v[46:47], v[40:41], v[36:37] neg_lo:[0,1] neg_hi:[0,1]
	v_pk_add_f32 v[36:37], v[40:41], v[36:37]
	v_mov_b32_e32 v42, v43
	v_mov_b32_e32 v40, v37
	v_pk_add_f32 v[48:49], v[40:41], v[38:39] neg_lo:[0,1] neg_hi:[0,1]
	v_mov_b32_e32 v36, v45
	v_mov_b32_e32 v29, v48
	v_pk_add_f32 v[54:55], v[44:45], v[28:29] neg_lo:[0,1] neg_hi:[0,1]
	v_mov_b32_e32 v44, v39
	v_mov_b32_e32 v45, v48
	;; [unrolled: 1-line block ×3, first 2 shown]
	v_pk_add_f32 v[36:37], v[36:37], v[44:45] neg_lo:[0,1] neg_hi:[0,1]
	v_mov_b32_e32 v43, v38
	v_pk_add_f32 v[36:37], v[42:43], v[36:37] neg_lo:[0,1] neg_hi:[0,1]
	v_mov_b32_e32 v54, v46
	v_pk_add_f32 v[38:39], v[54:55], v[36:37]
	s_mov_b32 s4, 0x33800000
	v_mov_b32_e32 v42, v39
	v_pk_add_f32 v[42:43], v[38:39], v[42:43]
	v_cmp_lt_f32_e64 s[4:5], |v33|, s4
	v_pk_add_f32 v[40:41], v[40:41], v[42:43]
	v_mov_b32_e32 v37, v42
	v_mov_b32_e32 v39, v40
	v_pk_add_f32 v[44:45], v[38:39], v[46:47] neg_lo:[0,1] neg_hi:[0,1]
	s_or_b64 s[62:63], s[62:63], s[4:5]
	v_sub_f32_e32 v29, v38, v44
	v_pk_add_f32 v[36:37], v[36:37], v[44:45] neg_lo:[0,1] neg_hi:[0,1]
	v_sub_f32_e32 v29, v46, v29
	v_add_f32_e32 v29, v36, v29
	v_add_f32_e32 v29, v29, v37
	;; [unrolled: 1-line block ×3, first 2 shown]
	v_cndmask_b32_e64 v29, v29, v33, s[62:63]
	v_add_f32_e32 v54, v28, v29
.LBB171_60:
	s_or_b64 exec, exec, s[2:3]
	v_max_f32_e32 v28, v54, v54
	v_max_f32_e32 v33, v25, v25
	v_min_f32_e32 v29, v28, v33
	v_cmp_u_f32_e64 s[64:65], v54, v54
	v_max_f32_e32 v28, v28, v33
	v_cmp_u_f32_e64 s[62:63], v25, v25
	v_cndmask_b32_e64 v29, v29, v54, s[64:65]
	v_cndmask_b32_e64 v28, v28, v54, s[64:65]
	v_cndmask_b32_e64 v29, v29, v25, s[62:63]
	v_cndmask_b32_e64 v28, v28, v25, s[62:63]
	s_movk_i32 s4, 0x1f8
	v_cmp_neq_f32_e64 s[64:65], v29, v28
	v_cmp_class_f32_e64 s[2:3], v29, s4
	s_or_b64 s[48:49], s[64:65], s[2:3]
	s_and_saveexec_b64 s[2:3], s[48:49]
	s_cbranch_execz .LBB171_62
; %bb.61:
	v_sub_f32_e32 v29, v29, v28
	s_mov_b32 s5, 0x3fb8aa3b
	v_mul_f32_e32 v35, 0x3fb8aa3b, v29
	v_fma_f32 v36, v29, s5, -v35
	v_rndne_f32_e32 v37, v35
	v_fmamk_f32 v36, v29, 0x32a5705f, v36
	v_sub_f32_e32 v35, v35, v37
	v_add_f32_e32 v35, v35, v36
	v_exp_f32_e32 v35, v35
	v_cvt_i32_f32_e32 v36, v37
	s_mov_b32 s5, 0xc2ce8ed0
	v_cmp_ngt_f32_e64 s[64:65], s5, v29
	s_mov_b32 s5, 0x42b17218
	v_ldexp_f32 v35, v35, v36
	v_cndmask_b32_e64 v35, 0, v35, s[64:65]
	v_mov_b32_e32 v36, 0x7f800000
	v_cmp_nlt_f32_e64 s[64:65], s5, v29
	s_mov_b32 s5, 0x3f2aaaab
	s_mov_b32 s6, 0x7f800000
	v_cndmask_b32_e64 v35, v36, v35, s[64:65]
	v_add_f32_e32 v29, 1.0, v35
	v_add_f32_e32 v36, -1.0, v29
	v_sub_f32_e32 v37, v36, v29
	v_add_f32_e32 v37, 1.0, v37
	v_sub_f32_e32 v36, v35, v36
	v_add_f32_e32 v38, v36, v37
	v_frexp_mant_f32_e32 v39, v29
	v_cvt_f64_f32_e32 v[36:37], v29
	v_frexp_exp_i32_f64_e32 v36, v[36:37]
	v_cmp_gt_f32_e64 s[64:65], s5, v39
	s_mov_b32 s5, 0x3f317218
	s_nop 0
	v_subbrev_co_u32_e64 v44, s[64:65], 0, v36, s[64:65]
	v_sub_u32_e32 v36, 0, v44
	v_ldexp_f32 v29, v29, v36
	v_ldexp_f32 v36, v38, v36
	v_add_f32_e32 v38, -1.0, v29
	v_add_f32_e32 v37, 1.0, v38
	v_sub_f32_e32 v37, v29, v37
	v_add_f32_e32 v39, v36, v37
	v_add_f32_e32 v37, 1.0, v29
	v_add_f32_e32 v40, -1.0, v37
	v_sub_f32_e32 v29, v29, v40
	v_add_f32_e32 v29, v36, v29
	v_add_f32_e32 v45, v37, v29
	v_rcp_f32_e32 v46, v45
	v_sub_f32_e32 v36, v37, v45
	v_add_f32_e32 v37, v38, v39
	v_add_f32_e32 v29, v29, v36
	v_mul_f32_e32 v48, v37, v46
	v_sub_f32_e32 v36, v38, v37
	v_mul_f32_e32 v38, v45, v48
	v_fma_f32 v40, v48, v45, -v38
	v_fmac_f32_e32 v40, v48, v29
	v_add_f32_e32 v47, v39, v36
	v_add_f32_e32 v36, v38, v40
	v_sub_f32_e32 v39, v37, v36
	v_pk_add_f32 v[42:43], v[36:37], v[38:39] neg_lo:[0,1] neg_hi:[0,1]
	v_mov_b32_e32 v41, v36
	v_pk_add_f32 v[36:37], v[42:43], v[40:41] neg_lo:[0,1] neg_hi:[0,1]
	v_cmp_eq_f32_e64 s[64:65], s6, v35
	v_add_f32_e32 v37, v47, v37
	v_add_f32_e32 v36, v36, v37
	;; [unrolled: 1-line block ×3, first 2 shown]
	v_mul_f32_e32 v47, v46, v37
	v_mul_f32_e32 v38, v45, v47
	v_fma_f32 v40, v47, v45, -v38
	v_fmac_f32_e32 v40, v47, v29
	v_sub_f32_e32 v29, v39, v37
	v_add_f32_e32 v29, v36, v29
	v_add_f32_e32 v36, v38, v40
	v_sub_f32_e32 v39, v37, v36
	v_pk_add_f32 v[42:43], v[36:37], v[38:39] neg_lo:[0,1] neg_hi:[0,1]
	v_mov_b32_e32 v41, v36
	v_pk_add_f32 v[36:37], v[42:43], v[40:41] neg_lo:[0,1] neg_hi:[0,1]
	v_cvt_f32_i32_e32 v38, v44
	v_add_f32_e32 v29, v29, v37
	v_add_f32_e32 v29, v36, v29
	;; [unrolled: 1-line block ×4, first 2 shown]
	v_sub_f32_e32 v37, v36, v48
	v_mul_f32_e32 v29, v46, v29
	v_sub_f32_e32 v37, v47, v37
	v_add_f32_e32 v29, v37, v29
	v_add_f32_e32 v39, v36, v29
	v_mul_f32_e32 v40, v39, v39
	v_mov_b32_e32 v37, 0x3ecc95a3
	v_fmac_f32_e32 v37, 0x3e9b6dac, v40
	v_sub_f32_e32 v36, v39, v36
	v_fmaak_f32 v37, v40, v37, 0x3f2aaada
	v_sub_f32_e32 v29, v29, v36
	v_ldexp_f32 v41, v39, 1
	v_mul_f32_e32 v39, v39, v40
	v_mov_b32_e32 v36, 0x3f317218
	v_pk_mul_f32 v[36:37], v[38:39], v[36:37]
	v_ldexp_f32 v29, v29, 1
	v_fma_f32 v39, v38, s5, -v36
	v_fmamk_f32 v40, v38, 0xb102e308, v39
	v_pk_add_f32 v[38:39], v[36:37], v[40:41]
	v_mov_b32_e32 v42, v36
	v_sub_f32_e32 v41, v39, v41
	v_sub_f32_e32 v41, v37, v41
	v_add_f32_e32 v43, v29, v41
	v_pk_add_f32 v[36:37], v[38:39], v[36:37] neg_lo:[0,1] neg_hi:[0,1]
	v_pk_add_f32 v[44:45], v[38:39], v[42:43]
	v_mov_b32_e32 v41, v38
	v_mov_b32_e32 v37, v45
	v_pk_add_f32 v[46:47], v[40:41], v[36:37] neg_lo:[0,1] neg_hi:[0,1]
	v_pk_add_f32 v[36:37], v[40:41], v[36:37]
	v_mov_b32_e32 v42, v43
	v_mov_b32_e32 v40, v37
	v_pk_add_f32 v[48:49], v[40:41], v[38:39] neg_lo:[0,1] neg_hi:[0,1]
	v_mov_b32_e32 v36, v45
	v_mov_b32_e32 v29, v48
	v_pk_add_f32 v[54:55], v[44:45], v[28:29] neg_lo:[0,1] neg_hi:[0,1]
	v_mov_b32_e32 v44, v39
	v_mov_b32_e32 v45, v48
	;; [unrolled: 1-line block ×3, first 2 shown]
	v_pk_add_f32 v[36:37], v[36:37], v[44:45] neg_lo:[0,1] neg_hi:[0,1]
	v_mov_b32_e32 v43, v38
	v_pk_add_f32 v[36:37], v[42:43], v[36:37] neg_lo:[0,1] neg_hi:[0,1]
	v_mov_b32_e32 v54, v46
	v_pk_add_f32 v[38:39], v[54:55], v[36:37]
	s_mov_b32 s5, 0x33800000
	v_mov_b32_e32 v42, v39
	v_pk_add_f32 v[42:43], v[38:39], v[42:43]
	v_cmp_lt_f32_e64 s[48:49], |v35|, s5
	v_pk_add_f32 v[40:41], v[40:41], v[42:43]
	v_mov_b32_e32 v37, v42
	v_mov_b32_e32 v39, v40
	v_pk_add_f32 v[44:45], v[38:39], v[46:47] neg_lo:[0,1] neg_hi:[0,1]
	s_or_b64 s[64:65], s[64:65], s[48:49]
	v_sub_f32_e32 v29, v38, v44
	v_pk_add_f32 v[36:37], v[36:37], v[44:45] neg_lo:[0,1] neg_hi:[0,1]
	v_sub_f32_e32 v29, v46, v29
	v_add_f32_e32 v29, v36, v29
	v_add_f32_e32 v29, v29, v37
	;; [unrolled: 1-line block ×3, first 2 shown]
	v_cndmask_b32_e64 v29, v29, v35, s[64:65]
	v_add_f32_e32 v54, v28, v29
.LBB171_62:
	s_or_b64 exec, exec, s[2:3]
	v_max_f32_e32 v28, v54, v54
	v_max_f32_e32 v35, v18, v18
	v_min_f32_e32 v29, v28, v35
	v_cmp_u_f32_e64 s[66:67], v54, v54
	v_max_f32_e32 v28, v28, v35
	v_cmp_u_f32_e64 s[64:65], v18, v18
	v_cndmask_b32_e64 v29, v29, v54, s[66:67]
	v_cndmask_b32_e64 v28, v28, v54, s[66:67]
	v_cndmask_b32_e64 v29, v29, v18, s[64:65]
	v_cndmask_b32_e64 v28, v28, v18, s[64:65]
	v_cmp_neq_f32_e64 s[66:67], v29, v28
	v_cmp_class_f32_e64 s[2:3], v29, s4
	s_or_b64 s[4:5], s[66:67], s[2:3]
	s_and_saveexec_b64 s[2:3], s[4:5]
	s_cbranch_execz .LBB171_64
; %bb.63:
	v_sub_f32_e32 v29, v29, v28
	s_mov_b32 s4, 0x3fb8aa3b
	v_mul_f32_e32 v36, 0x3fb8aa3b, v29
	v_fma_f32 v37, v29, s4, -v36
	v_rndne_f32_e32 v38, v36
	v_fmamk_f32 v37, v29, 0x32a5705f, v37
	v_sub_f32_e32 v36, v36, v38
	v_add_f32_e32 v36, v36, v37
	v_exp_f32_e32 v36, v36
	v_cvt_i32_f32_e32 v37, v38
	s_mov_b32 s4, 0xc2ce8ed0
	v_cmp_ngt_f32_e64 s[66:67], s4, v29
	s_mov_b32 s4, 0x42b17218
	v_ldexp_f32 v36, v36, v37
	v_cndmask_b32_e64 v36, 0, v36, s[66:67]
	v_mov_b32_e32 v37, 0x7f800000
	v_cmp_nlt_f32_e64 s[66:67], s4, v29
	s_mov_b32 s4, 0x3f2aaaab
	s_mov_b32 s5, 0x7f800000
	v_cndmask_b32_e64 v50, v37, v36, s[66:67]
	v_add_f32_e32 v29, 1.0, v50
	v_add_f32_e32 v36, -1.0, v29
	v_sub_f32_e32 v37, v36, v29
	v_add_f32_e32 v37, 1.0, v37
	v_sub_f32_e32 v36, v50, v36
	v_add_f32_e32 v38, v36, v37
	v_frexp_mant_f32_e32 v39, v29
	v_cvt_f64_f32_e32 v[36:37], v29
	v_frexp_exp_i32_f64_e32 v36, v[36:37]
	v_cmp_gt_f32_e64 s[66:67], s4, v39
	s_mov_b32 s4, 0x3f317218
	s_nop 0
	v_subbrev_co_u32_e64 v44, s[66:67], 0, v36, s[66:67]
	v_sub_u32_e32 v36, 0, v44
	v_ldexp_f32 v29, v29, v36
	v_ldexp_f32 v36, v38, v36
	v_add_f32_e32 v38, -1.0, v29
	v_add_f32_e32 v37, 1.0, v38
	v_sub_f32_e32 v37, v29, v37
	v_add_f32_e32 v39, v36, v37
	v_add_f32_e32 v37, 1.0, v29
	v_add_f32_e32 v40, -1.0, v37
	v_sub_f32_e32 v29, v29, v40
	v_add_f32_e32 v29, v36, v29
	v_add_f32_e32 v45, v37, v29
	v_rcp_f32_e32 v46, v45
	v_sub_f32_e32 v36, v37, v45
	v_add_f32_e32 v37, v38, v39
	v_add_f32_e32 v29, v29, v36
	v_mul_f32_e32 v48, v37, v46
	v_sub_f32_e32 v36, v38, v37
	v_mul_f32_e32 v38, v45, v48
	v_fma_f32 v40, v48, v45, -v38
	v_fmac_f32_e32 v40, v48, v29
	v_add_f32_e32 v47, v39, v36
	v_add_f32_e32 v36, v38, v40
	v_sub_f32_e32 v39, v37, v36
	v_pk_add_f32 v[42:43], v[36:37], v[38:39] neg_lo:[0,1] neg_hi:[0,1]
	v_mov_b32_e32 v41, v36
	v_pk_add_f32 v[36:37], v[42:43], v[40:41] neg_lo:[0,1] neg_hi:[0,1]
	v_cmp_eq_f32_e64 s[66:67], s5, v50
	v_add_f32_e32 v37, v47, v37
	v_add_f32_e32 v36, v36, v37
	;; [unrolled: 1-line block ×3, first 2 shown]
	v_mul_f32_e32 v47, v46, v37
	v_mul_f32_e32 v38, v45, v47
	v_fma_f32 v40, v47, v45, -v38
	v_fmac_f32_e32 v40, v47, v29
	v_sub_f32_e32 v29, v39, v37
	v_add_f32_e32 v29, v36, v29
	v_add_f32_e32 v36, v38, v40
	v_sub_f32_e32 v39, v37, v36
	v_pk_add_f32 v[42:43], v[36:37], v[38:39] neg_lo:[0,1] neg_hi:[0,1]
	v_mov_b32_e32 v41, v36
	v_pk_add_f32 v[36:37], v[42:43], v[40:41] neg_lo:[0,1] neg_hi:[0,1]
	v_cvt_f32_i32_e32 v38, v44
	v_add_f32_e32 v29, v29, v37
	v_add_f32_e32 v29, v36, v29
	v_add_f32_e32 v36, v48, v47
	v_add_f32_e32 v29, v39, v29
	v_sub_f32_e32 v37, v36, v48
	v_mul_f32_e32 v29, v46, v29
	v_sub_f32_e32 v37, v47, v37
	v_add_f32_e32 v29, v37, v29
	v_add_f32_e32 v39, v36, v29
	v_mul_f32_e32 v40, v39, v39
	v_mov_b32_e32 v37, 0x3ecc95a3
	v_fmac_f32_e32 v37, 0x3e9b6dac, v40
	v_sub_f32_e32 v36, v39, v36
	v_fmaak_f32 v37, v40, v37, 0x3f2aaada
	v_sub_f32_e32 v29, v29, v36
	v_ldexp_f32 v41, v39, 1
	v_mul_f32_e32 v39, v39, v40
	v_mov_b32_e32 v36, 0x3f317218
	v_pk_mul_f32 v[36:37], v[38:39], v[36:37]
	v_ldexp_f32 v29, v29, 1
	v_fma_f32 v39, v38, s4, -v36
	v_fmamk_f32 v40, v38, 0xb102e308, v39
	v_pk_add_f32 v[38:39], v[36:37], v[40:41]
	v_mov_b32_e32 v42, v36
	v_sub_f32_e32 v41, v39, v41
	v_sub_f32_e32 v41, v37, v41
	v_add_f32_e32 v43, v29, v41
	v_pk_add_f32 v[36:37], v[38:39], v[36:37] neg_lo:[0,1] neg_hi:[0,1]
	v_pk_add_f32 v[44:45], v[38:39], v[42:43]
	v_mov_b32_e32 v41, v38
	v_mov_b32_e32 v37, v45
	v_pk_add_f32 v[46:47], v[40:41], v[36:37] neg_lo:[0,1] neg_hi:[0,1]
	v_pk_add_f32 v[36:37], v[40:41], v[36:37]
	v_mov_b32_e32 v42, v43
	v_mov_b32_e32 v40, v37
	v_pk_add_f32 v[48:49], v[40:41], v[38:39] neg_lo:[0,1] neg_hi:[0,1]
	v_mov_b32_e32 v36, v45
	v_mov_b32_e32 v29, v48
	v_pk_add_f32 v[54:55], v[44:45], v[28:29] neg_lo:[0,1] neg_hi:[0,1]
	v_mov_b32_e32 v44, v39
	v_mov_b32_e32 v45, v48
	;; [unrolled: 1-line block ×3, first 2 shown]
	v_pk_add_f32 v[36:37], v[36:37], v[44:45] neg_lo:[0,1] neg_hi:[0,1]
	v_mov_b32_e32 v43, v38
	v_pk_add_f32 v[36:37], v[42:43], v[36:37] neg_lo:[0,1] neg_hi:[0,1]
	v_mov_b32_e32 v54, v46
	v_pk_add_f32 v[38:39], v[54:55], v[36:37]
	s_mov_b32 s4, 0x33800000
	v_mov_b32_e32 v42, v39
	v_pk_add_f32 v[42:43], v[38:39], v[42:43]
	v_cmp_lt_f32_e64 s[4:5], |v50|, s4
	v_pk_add_f32 v[40:41], v[40:41], v[42:43]
	v_mov_b32_e32 v37, v42
	v_mov_b32_e32 v39, v40
	v_pk_add_f32 v[44:45], v[38:39], v[46:47] neg_lo:[0,1] neg_hi:[0,1]
	s_or_b64 s[66:67], s[66:67], s[4:5]
	v_sub_f32_e32 v29, v38, v44
	v_pk_add_f32 v[36:37], v[36:37], v[44:45] neg_lo:[0,1] neg_hi:[0,1]
	v_sub_f32_e32 v29, v46, v29
	v_add_f32_e32 v29, v36, v29
	v_add_f32_e32 v29, v29, v37
	;; [unrolled: 1-line block ×3, first 2 shown]
	v_cndmask_b32_e64 v29, v29, v50, s[66:67]
	v_add_f32_e32 v54, v28, v29
.LBB171_64:
	s_or_b64 exec, exec, s[2:3]
	v_max_f32_e32 v28, v54, v54
	v_max_f32_e32 v36, v19, v19
	v_min_f32_e32 v29, v28, v36
	v_cmp_u_f32_e64 s[68:69], v54, v54
	v_max_f32_e32 v28, v28, v36
	v_cmp_u_f32_e64 s[66:67], v19, v19
	v_cndmask_b32_e64 v29, v29, v54, s[68:69]
	v_cndmask_b32_e64 v28, v28, v54, s[68:69]
	;; [unrolled: 1-line block ×4, first 2 shown]
	s_movk_i32 s4, 0x1f8
	v_cmp_neq_f32_e64 s[68:69], v29, v28
	v_cmp_class_f32_e64 s[2:3], v29, s4
	s_or_b64 s[48:49], s[68:69], s[2:3]
	s_and_saveexec_b64 s[2:3], s[48:49]
	s_cbranch_execz .LBB171_66
; %bb.65:
	v_sub_f32_e32 v29, v29, v28
	s_mov_b32 s5, 0x3fb8aa3b
	v_mul_f32_e32 v37, 0x3fb8aa3b, v29
	v_fma_f32 v38, v29, s5, -v37
	v_rndne_f32_e32 v39, v37
	v_fmamk_f32 v38, v29, 0x32a5705f, v38
	v_sub_f32_e32 v37, v37, v39
	v_add_f32_e32 v37, v37, v38
	v_exp_f32_e32 v37, v37
	v_cvt_i32_f32_e32 v38, v39
	s_mov_b32 s5, 0xc2ce8ed0
	v_cmp_ngt_f32_e64 s[68:69], s5, v29
	s_mov_b32 s5, 0x42b17218
	v_ldexp_f32 v37, v37, v38
	v_cndmask_b32_e64 v37, 0, v37, s[68:69]
	v_mov_b32_e32 v38, 0x7f800000
	v_cmp_nlt_f32_e64 s[68:69], s5, v29
	s_mov_b32 s5, 0x3f2aaaab
	s_mov_b32 s6, 0x7f800000
	v_cndmask_b32_e64 v37, v38, v37, s[68:69]
	v_add_f32_e32 v29, 1.0, v37
	v_add_f32_e32 v38, -1.0, v29
	v_sub_f32_e32 v39, v38, v29
	v_add_f32_e32 v39, 1.0, v39
	v_sub_f32_e32 v38, v37, v38
	v_add_f32_e32 v40, v38, v39
	v_frexp_mant_f32_e32 v41, v29
	v_cvt_f64_f32_e32 v[38:39], v29
	v_frexp_exp_i32_f64_e32 v38, v[38:39]
	v_cmp_gt_f32_e64 s[68:69], s5, v41
	s_mov_b32 s5, 0x3f317218
	s_nop 0
	v_subbrev_co_u32_e64 v46, s[68:69], 0, v38, s[68:69]
	v_sub_u32_e32 v38, 0, v46
	v_ldexp_f32 v29, v29, v38
	v_ldexp_f32 v38, v40, v38
	v_add_f32_e32 v40, -1.0, v29
	v_add_f32_e32 v39, 1.0, v40
	v_sub_f32_e32 v39, v29, v39
	v_add_f32_e32 v41, v38, v39
	v_add_f32_e32 v39, 1.0, v29
	v_add_f32_e32 v42, -1.0, v39
	v_sub_f32_e32 v29, v29, v42
	v_add_f32_e32 v29, v38, v29
	v_add_f32_e32 v47, v39, v29
	v_rcp_f32_e32 v48, v47
	v_sub_f32_e32 v38, v39, v47
	v_add_f32_e32 v39, v40, v41
	v_add_f32_e32 v29, v29, v38
	v_mul_f32_e32 v50, v39, v48
	v_sub_f32_e32 v38, v40, v39
	v_mul_f32_e32 v40, v47, v50
	v_fma_f32 v42, v50, v47, -v40
	v_fmac_f32_e32 v42, v50, v29
	v_add_f32_e32 v49, v41, v38
	v_add_f32_e32 v38, v40, v42
	v_sub_f32_e32 v41, v39, v38
	v_pk_add_f32 v[44:45], v[38:39], v[40:41] neg_lo:[0,1] neg_hi:[0,1]
	v_mov_b32_e32 v43, v38
	v_pk_add_f32 v[38:39], v[44:45], v[42:43] neg_lo:[0,1] neg_hi:[0,1]
	v_cmp_eq_f32_e64 s[68:69], s6, v37
	v_add_f32_e32 v39, v49, v39
	v_add_f32_e32 v38, v38, v39
	;; [unrolled: 1-line block ×3, first 2 shown]
	v_mul_f32_e32 v49, v48, v39
	v_mul_f32_e32 v40, v47, v49
	v_fma_f32 v42, v49, v47, -v40
	v_fmac_f32_e32 v42, v49, v29
	v_sub_f32_e32 v29, v41, v39
	v_add_f32_e32 v29, v38, v29
	v_add_f32_e32 v38, v40, v42
	v_sub_f32_e32 v41, v39, v38
	v_pk_add_f32 v[44:45], v[38:39], v[40:41] neg_lo:[0,1] neg_hi:[0,1]
	v_mov_b32_e32 v43, v38
	v_pk_add_f32 v[38:39], v[44:45], v[42:43] neg_lo:[0,1] neg_hi:[0,1]
	v_cvt_f32_i32_e32 v40, v46
	v_add_f32_e32 v29, v29, v39
	v_add_f32_e32 v29, v38, v29
	;; [unrolled: 1-line block ×4, first 2 shown]
	v_sub_f32_e32 v39, v38, v50
	v_mul_f32_e32 v29, v48, v29
	v_sub_f32_e32 v39, v49, v39
	v_add_f32_e32 v29, v39, v29
	v_add_f32_e32 v41, v38, v29
	v_mul_f32_e32 v42, v41, v41
	v_mov_b32_e32 v39, 0x3ecc95a3
	v_fmac_f32_e32 v39, 0x3e9b6dac, v42
	v_sub_f32_e32 v38, v41, v38
	v_fmaak_f32 v39, v42, v39, 0x3f2aaada
	v_sub_f32_e32 v29, v29, v38
	v_ldexp_f32 v43, v41, 1
	v_mul_f32_e32 v41, v41, v42
	v_mov_b32_e32 v38, 0x3f317218
	v_pk_mul_f32 v[38:39], v[40:41], v[38:39]
	v_ldexp_f32 v29, v29, 1
	v_fma_f32 v41, v40, s5, -v38
	v_fmamk_f32 v42, v40, 0xb102e308, v41
	v_pk_add_f32 v[40:41], v[38:39], v[42:43]
	v_mov_b32_e32 v44, v38
	v_sub_f32_e32 v43, v41, v43
	v_sub_f32_e32 v43, v39, v43
	v_add_f32_e32 v45, v29, v43
	v_pk_add_f32 v[38:39], v[40:41], v[38:39] neg_lo:[0,1] neg_hi:[0,1]
	v_pk_add_f32 v[46:47], v[40:41], v[44:45]
	v_mov_b32_e32 v43, v40
	v_mov_b32_e32 v39, v47
	v_pk_add_f32 v[48:49], v[42:43], v[38:39] neg_lo:[0,1] neg_hi:[0,1]
	v_pk_add_f32 v[38:39], v[42:43], v[38:39]
	v_mov_b32_e32 v44, v45
	v_mov_b32_e32 v42, v39
	v_pk_add_f32 v[54:55], v[42:43], v[40:41] neg_lo:[0,1] neg_hi:[0,1]
	v_mov_b32_e32 v38, v47
	v_mov_b32_e32 v29, v54
	v_pk_add_f32 v[56:57], v[46:47], v[28:29] neg_lo:[0,1] neg_hi:[0,1]
	v_mov_b32_e32 v46, v41
	v_mov_b32_e32 v47, v54
	;; [unrolled: 1-line block ×3, first 2 shown]
	v_pk_add_f32 v[38:39], v[38:39], v[46:47] neg_lo:[0,1] neg_hi:[0,1]
	v_mov_b32_e32 v45, v40
	v_pk_add_f32 v[38:39], v[44:45], v[38:39] neg_lo:[0,1] neg_hi:[0,1]
	v_mov_b32_e32 v56, v48
	v_pk_add_f32 v[40:41], v[56:57], v[38:39]
	s_mov_b32 s5, 0x33800000
	v_mov_b32_e32 v44, v41
	v_pk_add_f32 v[44:45], v[40:41], v[44:45]
	v_cmp_lt_f32_e64 s[48:49], |v37|, s5
	v_pk_add_f32 v[42:43], v[42:43], v[44:45]
	v_mov_b32_e32 v39, v44
	v_mov_b32_e32 v41, v42
	v_pk_add_f32 v[46:47], v[40:41], v[48:49] neg_lo:[0,1] neg_hi:[0,1]
	s_or_b64 s[68:69], s[68:69], s[48:49]
	v_sub_f32_e32 v29, v40, v46
	v_pk_add_f32 v[38:39], v[38:39], v[46:47] neg_lo:[0,1] neg_hi:[0,1]
	v_sub_f32_e32 v29, v48, v29
	v_add_f32_e32 v29, v38, v29
	v_add_f32_e32 v29, v29, v39
	;; [unrolled: 1-line block ×3, first 2 shown]
	v_cndmask_b32_e64 v29, v29, v37, s[68:69]
	v_add_f32_e32 v54, v28, v29
.LBB171_66:
	s_or_b64 exec, exec, s[2:3]
	v_max_f32_e32 v28, v54, v54
	v_max_f32_e32 v37, v20, v20
	v_min_f32_e32 v29, v28, v37
	v_cmp_u_f32_e64 s[70:71], v54, v54
	v_max_f32_e32 v28, v28, v37
	v_cmp_u_f32_e64 s[68:69], v20, v20
	v_cndmask_b32_e64 v29, v29, v54, s[70:71]
	v_cndmask_b32_e64 v28, v28, v54, s[70:71]
	;; [unrolled: 1-line block ×4, first 2 shown]
	v_cmp_neq_f32_e64 s[70:71], v29, v28
	v_cmp_class_f32_e64 s[2:3], v29, s4
	s_or_b64 s[4:5], s[70:71], s[2:3]
	s_and_saveexec_b64 s[2:3], s[4:5]
	s_cbranch_execz .LBB171_68
; %bb.67:
	v_sub_f32_e32 v29, v29, v28
	s_mov_b32 s4, 0x3fb8aa3b
	v_mul_f32_e32 v38, 0x3fb8aa3b, v29
	v_fma_f32 v39, v29, s4, -v38
	v_rndne_f32_e32 v40, v38
	v_fmamk_f32 v39, v29, 0x32a5705f, v39
	v_sub_f32_e32 v38, v38, v40
	v_add_f32_e32 v38, v38, v39
	v_exp_f32_e32 v38, v38
	v_cvt_i32_f32_e32 v39, v40
	s_mov_b32 s4, 0xc2ce8ed0
	v_cmp_ngt_f32_e64 s[70:71], s4, v29
	s_mov_b32 s4, 0x42b17218
	v_ldexp_f32 v38, v38, v39
	v_cndmask_b32_e64 v38, 0, v38, s[70:71]
	v_mov_b32_e32 v39, 0x7f800000
	v_cmp_nlt_f32_e64 s[70:71], s4, v29
	s_mov_b32 s4, 0x3f2aaaab
	s_mov_b32 s5, 0x7f800000
	v_cndmask_b32_e64 v50, v39, v38, s[70:71]
	v_add_f32_e32 v29, 1.0, v50
	v_add_f32_e32 v38, -1.0, v29
	v_sub_f32_e32 v39, v38, v29
	v_add_f32_e32 v39, 1.0, v39
	v_sub_f32_e32 v38, v50, v38
	v_add_f32_e32 v40, v38, v39
	v_frexp_mant_f32_e32 v41, v29
	v_cvt_f64_f32_e32 v[38:39], v29
	v_frexp_exp_i32_f64_e32 v38, v[38:39]
	v_cmp_gt_f32_e64 s[70:71], s4, v41
	s_mov_b32 s4, 0x3f317218
	s_nop 0
	v_subbrev_co_u32_e64 v46, s[70:71], 0, v38, s[70:71]
	v_sub_u32_e32 v38, 0, v46
	v_ldexp_f32 v29, v29, v38
	v_ldexp_f32 v38, v40, v38
	v_add_f32_e32 v40, -1.0, v29
	v_add_f32_e32 v39, 1.0, v40
	v_sub_f32_e32 v39, v29, v39
	v_add_f32_e32 v41, v38, v39
	v_add_f32_e32 v39, 1.0, v29
	v_add_f32_e32 v42, -1.0, v39
	v_sub_f32_e32 v29, v29, v42
	v_add_f32_e32 v29, v38, v29
	v_add_f32_e32 v47, v39, v29
	v_rcp_f32_e32 v48, v47
	v_sub_f32_e32 v38, v39, v47
	v_add_f32_e32 v39, v40, v41
	v_add_f32_e32 v29, v29, v38
	v_mul_f32_e32 v54, v39, v48
	v_sub_f32_e32 v38, v40, v39
	v_mul_f32_e32 v40, v47, v54
	v_fma_f32 v42, v54, v47, -v40
	v_fmac_f32_e32 v42, v54, v29
	v_add_f32_e32 v49, v41, v38
	v_add_f32_e32 v38, v40, v42
	v_sub_f32_e32 v41, v39, v38
	v_pk_add_f32 v[44:45], v[38:39], v[40:41] neg_lo:[0,1] neg_hi:[0,1]
	v_mov_b32_e32 v43, v38
	v_pk_add_f32 v[38:39], v[44:45], v[42:43] neg_lo:[0,1] neg_hi:[0,1]
	v_cmp_eq_f32_e64 s[70:71], s5, v50
	v_add_f32_e32 v39, v49, v39
	v_add_f32_e32 v38, v38, v39
	;; [unrolled: 1-line block ×3, first 2 shown]
	v_mul_f32_e32 v49, v48, v39
	v_mul_f32_e32 v40, v47, v49
	v_fma_f32 v42, v49, v47, -v40
	v_fmac_f32_e32 v42, v49, v29
	v_sub_f32_e32 v29, v41, v39
	v_add_f32_e32 v29, v38, v29
	v_add_f32_e32 v38, v40, v42
	v_sub_f32_e32 v41, v39, v38
	v_pk_add_f32 v[44:45], v[38:39], v[40:41] neg_lo:[0,1] neg_hi:[0,1]
	v_mov_b32_e32 v43, v38
	v_pk_add_f32 v[38:39], v[44:45], v[42:43] neg_lo:[0,1] neg_hi:[0,1]
	v_cvt_f32_i32_e32 v40, v46
	v_add_f32_e32 v29, v29, v39
	v_add_f32_e32 v29, v38, v29
	v_add_f32_e32 v38, v54, v49
	v_add_f32_e32 v29, v41, v29
	v_sub_f32_e32 v39, v38, v54
	v_mul_f32_e32 v29, v48, v29
	v_sub_f32_e32 v39, v49, v39
	v_add_f32_e32 v29, v39, v29
	v_add_f32_e32 v41, v38, v29
	v_mul_f32_e32 v42, v41, v41
	v_mov_b32_e32 v39, 0x3ecc95a3
	v_fmac_f32_e32 v39, 0x3e9b6dac, v42
	v_sub_f32_e32 v38, v41, v38
	v_fmaak_f32 v39, v42, v39, 0x3f2aaada
	v_sub_f32_e32 v29, v29, v38
	v_ldexp_f32 v43, v41, 1
	v_mul_f32_e32 v41, v41, v42
	v_mov_b32_e32 v38, 0x3f317218
	v_pk_mul_f32 v[38:39], v[40:41], v[38:39]
	v_ldexp_f32 v29, v29, 1
	v_fma_f32 v41, v40, s4, -v38
	v_fmamk_f32 v42, v40, 0xb102e308, v41
	v_pk_add_f32 v[40:41], v[38:39], v[42:43]
	v_mov_b32_e32 v44, v38
	v_sub_f32_e32 v43, v41, v43
	v_sub_f32_e32 v43, v39, v43
	v_add_f32_e32 v45, v29, v43
	v_pk_add_f32 v[38:39], v[40:41], v[38:39] neg_lo:[0,1] neg_hi:[0,1]
	v_pk_add_f32 v[46:47], v[40:41], v[44:45]
	v_mov_b32_e32 v43, v40
	v_mov_b32_e32 v39, v47
	v_pk_add_f32 v[48:49], v[42:43], v[38:39] neg_lo:[0,1] neg_hi:[0,1]
	v_pk_add_f32 v[38:39], v[42:43], v[38:39]
	v_mov_b32_e32 v44, v45
	v_mov_b32_e32 v42, v39
	v_pk_add_f32 v[54:55], v[42:43], v[40:41] neg_lo:[0,1] neg_hi:[0,1]
	v_mov_b32_e32 v38, v47
	v_mov_b32_e32 v29, v54
	v_pk_add_f32 v[56:57], v[46:47], v[28:29] neg_lo:[0,1] neg_hi:[0,1]
	v_mov_b32_e32 v46, v41
	v_mov_b32_e32 v47, v54
	;; [unrolled: 1-line block ×3, first 2 shown]
	v_pk_add_f32 v[38:39], v[38:39], v[46:47] neg_lo:[0,1] neg_hi:[0,1]
	v_mov_b32_e32 v45, v40
	v_pk_add_f32 v[38:39], v[44:45], v[38:39] neg_lo:[0,1] neg_hi:[0,1]
	v_mov_b32_e32 v56, v48
	v_pk_add_f32 v[40:41], v[56:57], v[38:39]
	s_mov_b32 s4, 0x33800000
	v_mov_b32_e32 v44, v41
	v_pk_add_f32 v[44:45], v[40:41], v[44:45]
	v_cmp_lt_f32_e64 s[4:5], |v50|, s4
	v_pk_add_f32 v[42:43], v[42:43], v[44:45]
	v_mov_b32_e32 v39, v44
	v_mov_b32_e32 v41, v42
	v_pk_add_f32 v[46:47], v[40:41], v[48:49] neg_lo:[0,1] neg_hi:[0,1]
	s_or_b64 s[70:71], s[70:71], s[4:5]
	v_sub_f32_e32 v29, v40, v46
	v_pk_add_f32 v[38:39], v[38:39], v[46:47] neg_lo:[0,1] neg_hi:[0,1]
	v_sub_f32_e32 v29, v48, v29
	v_add_f32_e32 v29, v38, v29
	v_add_f32_e32 v29, v29, v39
	v_add_f32_e32 v29, v42, v29
	v_cndmask_b32_e64 v29, v29, v50, s[70:71]
	v_add_f32_e32 v54, v28, v29
.LBB171_68:
	s_or_b64 exec, exec, s[2:3]
	v_max_f32_e32 v28, v54, v54
	v_max_f32_e32 v38, v21, v21
	v_min_f32_e32 v29, v28, v38
	v_cmp_u_f32_e64 s[72:73], v54, v54
	v_max_f32_e32 v28, v28, v38
	v_cmp_u_f32_e64 s[70:71], v21, v21
	v_cndmask_b32_e64 v29, v29, v54, s[72:73]
	v_cndmask_b32_e64 v28, v28, v54, s[72:73]
	;; [unrolled: 1-line block ×4, first 2 shown]
	s_movk_i32 s4, 0x1f8
	v_cmp_neq_f32_e64 s[72:73], v29, v28
	v_cmp_class_f32_e64 s[2:3], v29, s4
	s_or_b64 s[48:49], s[72:73], s[2:3]
	s_and_saveexec_b64 s[2:3], s[48:49]
	s_cbranch_execz .LBB171_70
; %bb.69:
	v_sub_f32_e32 v29, v29, v28
	s_mov_b32 s5, 0x3fb8aa3b
	v_mul_f32_e32 v39, 0x3fb8aa3b, v29
	v_fma_f32 v40, v29, s5, -v39
	v_rndne_f32_e32 v41, v39
	v_fmamk_f32 v40, v29, 0x32a5705f, v40
	v_sub_f32_e32 v39, v39, v41
	v_add_f32_e32 v39, v39, v40
	v_exp_f32_e32 v39, v39
	v_cvt_i32_f32_e32 v40, v41
	s_mov_b32 s5, 0xc2ce8ed0
	v_cmp_ngt_f32_e64 s[72:73], s5, v29
	s_mov_b32 s5, 0x42b17218
	v_ldexp_f32 v39, v39, v40
	v_cndmask_b32_e64 v39, 0, v39, s[72:73]
	v_mov_b32_e32 v40, 0x7f800000
	v_cmp_nlt_f32_e64 s[72:73], s5, v29
	s_mov_b32 s5, 0x3f2aaaab
	s_mov_b32 s6, 0x7f800000
	v_cndmask_b32_e64 v39, v40, v39, s[72:73]
	v_add_f32_e32 v29, 1.0, v39
	v_add_f32_e32 v40, -1.0, v29
	v_sub_f32_e32 v41, v40, v29
	v_add_f32_e32 v41, 1.0, v41
	v_sub_f32_e32 v40, v39, v40
	v_add_f32_e32 v42, v40, v41
	v_frexp_mant_f32_e32 v43, v29
	v_cvt_f64_f32_e32 v[40:41], v29
	v_frexp_exp_i32_f64_e32 v40, v[40:41]
	v_cmp_gt_f32_e64 s[72:73], s5, v43
	s_mov_b32 s5, 0x3f317218
	s_nop 0
	v_subbrev_co_u32_e64 v48, s[72:73], 0, v40, s[72:73]
	v_sub_u32_e32 v40, 0, v48
	v_ldexp_f32 v29, v29, v40
	v_ldexp_f32 v40, v42, v40
	v_add_f32_e32 v42, -1.0, v29
	v_add_f32_e32 v41, 1.0, v42
	v_sub_f32_e32 v41, v29, v41
	v_add_f32_e32 v43, v40, v41
	v_add_f32_e32 v41, 1.0, v29
	v_add_f32_e32 v44, -1.0, v41
	v_sub_f32_e32 v29, v29, v44
	v_add_f32_e32 v29, v40, v29
	v_add_f32_e32 v49, v41, v29
	v_rcp_f32_e32 v50, v49
	v_sub_f32_e32 v40, v41, v49
	v_add_f32_e32 v41, v42, v43
	v_add_f32_e32 v29, v29, v40
	v_mul_f32_e32 v55, v41, v50
	v_sub_f32_e32 v40, v42, v41
	v_mul_f32_e32 v42, v49, v55
	v_fma_f32 v44, v55, v49, -v42
	v_fmac_f32_e32 v44, v55, v29
	v_add_f32_e32 v54, v43, v40
	v_add_f32_e32 v40, v42, v44
	v_sub_f32_e32 v43, v41, v40
	v_pk_add_f32 v[46:47], v[40:41], v[42:43] neg_lo:[0,1] neg_hi:[0,1]
	v_mov_b32_e32 v45, v40
	v_pk_add_f32 v[40:41], v[46:47], v[44:45] neg_lo:[0,1] neg_hi:[0,1]
	v_cmp_eq_f32_e64 s[72:73], s6, v39
	v_add_f32_e32 v41, v54, v41
	v_add_f32_e32 v40, v40, v41
	;; [unrolled: 1-line block ×3, first 2 shown]
	v_mul_f32_e32 v54, v50, v41
	v_mul_f32_e32 v42, v49, v54
	v_fma_f32 v44, v54, v49, -v42
	v_fmac_f32_e32 v44, v54, v29
	v_sub_f32_e32 v29, v43, v41
	v_add_f32_e32 v29, v40, v29
	v_add_f32_e32 v40, v42, v44
	v_sub_f32_e32 v43, v41, v40
	v_pk_add_f32 v[46:47], v[40:41], v[42:43] neg_lo:[0,1] neg_hi:[0,1]
	v_mov_b32_e32 v45, v40
	v_pk_add_f32 v[40:41], v[46:47], v[44:45] neg_lo:[0,1] neg_hi:[0,1]
	v_cvt_f32_i32_e32 v42, v48
	v_add_f32_e32 v29, v29, v41
	v_add_f32_e32 v29, v40, v29
	v_add_f32_e32 v40, v55, v54
	v_add_f32_e32 v29, v43, v29
	v_sub_f32_e32 v41, v40, v55
	v_mul_f32_e32 v29, v50, v29
	v_sub_f32_e32 v41, v54, v41
	v_add_f32_e32 v29, v41, v29
	v_add_f32_e32 v43, v40, v29
	v_mul_f32_e32 v44, v43, v43
	v_mov_b32_e32 v41, 0x3ecc95a3
	v_fmac_f32_e32 v41, 0x3e9b6dac, v44
	v_sub_f32_e32 v40, v43, v40
	v_fmaak_f32 v41, v44, v41, 0x3f2aaada
	v_sub_f32_e32 v29, v29, v40
	v_ldexp_f32 v45, v43, 1
	v_mul_f32_e32 v43, v43, v44
	v_mov_b32_e32 v40, 0x3f317218
	v_pk_mul_f32 v[40:41], v[42:43], v[40:41]
	v_ldexp_f32 v29, v29, 1
	v_fma_f32 v43, v42, s5, -v40
	v_fmamk_f32 v44, v42, 0xb102e308, v43
	v_pk_add_f32 v[42:43], v[40:41], v[44:45]
	v_mov_b32_e32 v46, v40
	v_sub_f32_e32 v45, v43, v45
	v_sub_f32_e32 v45, v41, v45
	v_add_f32_e32 v47, v29, v45
	v_pk_add_f32 v[40:41], v[42:43], v[40:41] neg_lo:[0,1] neg_hi:[0,1]
	v_pk_add_f32 v[48:49], v[42:43], v[46:47]
	v_mov_b32_e32 v45, v42
	v_mov_b32_e32 v41, v49
	v_pk_add_f32 v[54:55], v[44:45], v[40:41] neg_lo:[0,1] neg_hi:[0,1]
	v_pk_add_f32 v[40:41], v[44:45], v[40:41]
	v_mov_b32_e32 v46, v47
	v_mov_b32_e32 v44, v41
	v_pk_add_f32 v[56:57], v[44:45], v[42:43] neg_lo:[0,1] neg_hi:[0,1]
	v_mov_b32_e32 v40, v49
	v_mov_b32_e32 v29, v56
	v_pk_add_f32 v[58:59], v[48:49], v[28:29] neg_lo:[0,1] neg_hi:[0,1]
	v_mov_b32_e32 v48, v43
	v_mov_b32_e32 v49, v56
	v_mov_b32_e32 v55, v41
	v_pk_add_f32 v[40:41], v[40:41], v[48:49] neg_lo:[0,1] neg_hi:[0,1]
	v_mov_b32_e32 v47, v42
	v_pk_add_f32 v[40:41], v[46:47], v[40:41] neg_lo:[0,1] neg_hi:[0,1]
	v_mov_b32_e32 v58, v54
	v_pk_add_f32 v[42:43], v[58:59], v[40:41]
	s_mov_b32 s5, 0x33800000
	v_mov_b32_e32 v46, v43
	v_pk_add_f32 v[46:47], v[42:43], v[46:47]
	v_cmp_lt_f32_e64 s[48:49], |v39|, s5
	v_pk_add_f32 v[44:45], v[44:45], v[46:47]
	v_mov_b32_e32 v41, v46
	v_mov_b32_e32 v43, v44
	v_pk_add_f32 v[48:49], v[42:43], v[54:55] neg_lo:[0,1] neg_hi:[0,1]
	s_or_b64 s[72:73], s[72:73], s[48:49]
	v_sub_f32_e32 v29, v42, v48
	v_pk_add_f32 v[40:41], v[40:41], v[48:49] neg_lo:[0,1] neg_hi:[0,1]
	v_sub_f32_e32 v29, v54, v29
	v_add_f32_e32 v29, v40, v29
	v_add_f32_e32 v29, v29, v41
	;; [unrolled: 1-line block ×3, first 2 shown]
	v_cndmask_b32_e64 v29, v29, v39, s[72:73]
	v_add_f32_e32 v54, v28, v29
.LBB171_70:
	s_or_b64 exec, exec, s[2:3]
	v_max_f32_e32 v28, v54, v54
	v_max_f32_e32 v39, v14, v14
	v_min_f32_e32 v29, v28, v39
	v_cmp_u_f32_e64 s[74:75], v54, v54
	v_max_f32_e32 v28, v28, v39
	v_cmp_u_f32_e64 s[72:73], v14, v14
	v_cndmask_b32_e64 v29, v29, v54, s[74:75]
	v_cndmask_b32_e64 v28, v28, v54, s[74:75]
	;; [unrolled: 1-line block ×4, first 2 shown]
	v_cmp_neq_f32_e64 s[74:75], v29, v28
	v_cmp_class_f32_e64 s[2:3], v29, s4
	s_or_b64 s[4:5], s[74:75], s[2:3]
	s_and_saveexec_b64 s[2:3], s[4:5]
	s_cbranch_execz .LBB171_72
; %bb.71:
	v_sub_f32_e32 v29, v29, v28
	s_mov_b32 s4, 0x3fb8aa3b
	v_mul_f32_e32 v40, 0x3fb8aa3b, v29
	v_fma_f32 v41, v29, s4, -v40
	v_rndne_f32_e32 v42, v40
	v_fmamk_f32 v41, v29, 0x32a5705f, v41
	v_sub_f32_e32 v40, v40, v42
	v_add_f32_e32 v40, v40, v41
	v_exp_f32_e32 v40, v40
	v_cvt_i32_f32_e32 v41, v42
	s_mov_b32 s4, 0xc2ce8ed0
	v_cmp_ngt_f32_e64 s[74:75], s4, v29
	s_mov_b32 s4, 0x42b17218
	v_ldexp_f32 v40, v40, v41
	v_cndmask_b32_e64 v40, 0, v40, s[74:75]
	v_mov_b32_e32 v41, 0x7f800000
	v_cmp_nlt_f32_e64 s[74:75], s4, v29
	s_mov_b32 s4, 0x3f2aaaab
	s_mov_b32 s5, 0x7f800000
	v_cndmask_b32_e64 v50, v41, v40, s[74:75]
	v_add_f32_e32 v29, 1.0, v50
	v_add_f32_e32 v40, -1.0, v29
	v_sub_f32_e32 v41, v40, v29
	v_add_f32_e32 v41, 1.0, v41
	v_sub_f32_e32 v40, v50, v40
	v_add_f32_e32 v42, v40, v41
	v_frexp_mant_f32_e32 v43, v29
	v_cvt_f64_f32_e32 v[40:41], v29
	v_frexp_exp_i32_f64_e32 v40, v[40:41]
	v_cmp_gt_f32_e64 s[74:75], s4, v43
	s_mov_b32 s4, 0x3f317218
	s_nop 0
	v_subbrev_co_u32_e64 v48, s[74:75], 0, v40, s[74:75]
	v_sub_u32_e32 v40, 0, v48
	v_ldexp_f32 v29, v29, v40
	v_ldexp_f32 v40, v42, v40
	v_add_f32_e32 v42, -1.0, v29
	v_add_f32_e32 v41, 1.0, v42
	v_sub_f32_e32 v41, v29, v41
	v_add_f32_e32 v43, v40, v41
	v_add_f32_e32 v41, 1.0, v29
	v_add_f32_e32 v44, -1.0, v41
	v_sub_f32_e32 v29, v29, v44
	v_add_f32_e32 v29, v40, v29
	v_add_f32_e32 v49, v41, v29
	v_rcp_f32_e32 v54, v49
	v_sub_f32_e32 v40, v41, v49
	v_add_f32_e32 v41, v42, v43
	v_add_f32_e32 v29, v29, v40
	v_mul_f32_e32 v56, v41, v54
	v_sub_f32_e32 v40, v42, v41
	v_mul_f32_e32 v42, v49, v56
	v_fma_f32 v44, v56, v49, -v42
	v_fmac_f32_e32 v44, v56, v29
	v_add_f32_e32 v55, v43, v40
	v_add_f32_e32 v40, v42, v44
	v_sub_f32_e32 v43, v41, v40
	v_pk_add_f32 v[46:47], v[40:41], v[42:43] neg_lo:[0,1] neg_hi:[0,1]
	v_mov_b32_e32 v45, v40
	v_pk_add_f32 v[40:41], v[46:47], v[44:45] neg_lo:[0,1] neg_hi:[0,1]
	v_cmp_eq_f32_e64 s[74:75], s5, v50
	v_add_f32_e32 v41, v55, v41
	v_add_f32_e32 v40, v40, v41
	;; [unrolled: 1-line block ×3, first 2 shown]
	v_mul_f32_e32 v55, v54, v41
	v_mul_f32_e32 v42, v49, v55
	v_fma_f32 v44, v55, v49, -v42
	v_fmac_f32_e32 v44, v55, v29
	v_sub_f32_e32 v29, v43, v41
	v_add_f32_e32 v29, v40, v29
	v_add_f32_e32 v40, v42, v44
	v_sub_f32_e32 v43, v41, v40
	v_pk_add_f32 v[46:47], v[40:41], v[42:43] neg_lo:[0,1] neg_hi:[0,1]
	v_mov_b32_e32 v45, v40
	v_pk_add_f32 v[40:41], v[46:47], v[44:45] neg_lo:[0,1] neg_hi:[0,1]
	v_cvt_f32_i32_e32 v42, v48
	v_add_f32_e32 v29, v29, v41
	v_add_f32_e32 v29, v40, v29
	;; [unrolled: 1-line block ×4, first 2 shown]
	v_sub_f32_e32 v41, v40, v56
	v_mul_f32_e32 v29, v54, v29
	v_sub_f32_e32 v41, v55, v41
	v_add_f32_e32 v29, v41, v29
	v_add_f32_e32 v43, v40, v29
	v_mul_f32_e32 v44, v43, v43
	v_mov_b32_e32 v41, 0x3ecc95a3
	v_fmac_f32_e32 v41, 0x3e9b6dac, v44
	v_sub_f32_e32 v40, v43, v40
	v_fmaak_f32 v41, v44, v41, 0x3f2aaada
	v_sub_f32_e32 v29, v29, v40
	v_ldexp_f32 v45, v43, 1
	v_mul_f32_e32 v43, v43, v44
	v_mov_b32_e32 v40, 0x3f317218
	v_pk_mul_f32 v[40:41], v[42:43], v[40:41]
	v_ldexp_f32 v29, v29, 1
	v_fma_f32 v43, v42, s4, -v40
	v_fmamk_f32 v44, v42, 0xb102e308, v43
	v_pk_add_f32 v[42:43], v[40:41], v[44:45]
	v_mov_b32_e32 v46, v40
	v_sub_f32_e32 v45, v43, v45
	v_sub_f32_e32 v45, v41, v45
	v_add_f32_e32 v47, v29, v45
	v_pk_add_f32 v[40:41], v[42:43], v[40:41] neg_lo:[0,1] neg_hi:[0,1]
	v_pk_add_f32 v[48:49], v[42:43], v[46:47]
	v_mov_b32_e32 v45, v42
	v_mov_b32_e32 v41, v49
	v_pk_add_f32 v[54:55], v[44:45], v[40:41] neg_lo:[0,1] neg_hi:[0,1]
	v_pk_add_f32 v[40:41], v[44:45], v[40:41]
	v_mov_b32_e32 v46, v47
	v_mov_b32_e32 v44, v41
	v_pk_add_f32 v[56:57], v[44:45], v[42:43] neg_lo:[0,1] neg_hi:[0,1]
	v_mov_b32_e32 v40, v49
	v_mov_b32_e32 v29, v56
	v_pk_add_f32 v[58:59], v[48:49], v[28:29] neg_lo:[0,1] neg_hi:[0,1]
	v_mov_b32_e32 v48, v43
	v_mov_b32_e32 v49, v56
	;; [unrolled: 1-line block ×3, first 2 shown]
	v_pk_add_f32 v[40:41], v[40:41], v[48:49] neg_lo:[0,1] neg_hi:[0,1]
	v_mov_b32_e32 v47, v42
	v_pk_add_f32 v[40:41], v[46:47], v[40:41] neg_lo:[0,1] neg_hi:[0,1]
	v_mov_b32_e32 v58, v54
	v_pk_add_f32 v[42:43], v[58:59], v[40:41]
	s_mov_b32 s4, 0x33800000
	v_mov_b32_e32 v46, v43
	v_pk_add_f32 v[46:47], v[42:43], v[46:47]
	v_cmp_lt_f32_e64 s[4:5], |v50|, s4
	v_pk_add_f32 v[44:45], v[44:45], v[46:47]
	v_mov_b32_e32 v41, v46
	v_mov_b32_e32 v43, v44
	v_pk_add_f32 v[48:49], v[42:43], v[54:55] neg_lo:[0,1] neg_hi:[0,1]
	s_or_b64 s[74:75], s[74:75], s[4:5]
	v_sub_f32_e32 v29, v42, v48
	v_pk_add_f32 v[40:41], v[40:41], v[48:49] neg_lo:[0,1] neg_hi:[0,1]
	v_sub_f32_e32 v29, v54, v29
	v_add_f32_e32 v29, v40, v29
	v_add_f32_e32 v29, v29, v41
	;; [unrolled: 1-line block ×3, first 2 shown]
	v_cndmask_b32_e64 v29, v29, v50, s[74:75]
	v_add_f32_e32 v54, v28, v29
.LBB171_72:
	s_or_b64 exec, exec, s[2:3]
	v_max_f32_e32 v28, v54, v54
	v_max_f32_e32 v40, v15, v15
	v_min_f32_e32 v29, v28, v40
	v_cmp_u_f32_e64 s[76:77], v54, v54
	v_max_f32_e32 v28, v28, v40
	v_cmp_u_f32_e64 s[74:75], v15, v15
	v_cndmask_b32_e64 v29, v29, v54, s[76:77]
	v_cndmask_b32_e64 v28, v28, v54, s[76:77]
	v_cndmask_b32_e64 v29, v29, v15, s[74:75]
	v_cndmask_b32_e64 v28, v28, v15, s[74:75]
	s_movk_i32 s4, 0x1f8
	v_cmp_neq_f32_e64 s[76:77], v29, v28
	v_cmp_class_f32_e64 s[2:3], v29, s4
	s_or_b64 s[48:49], s[76:77], s[2:3]
	s_and_saveexec_b64 s[2:3], s[48:49]
	s_cbranch_execz .LBB171_74
; %bb.73:
	v_sub_f32_e32 v29, v29, v28
	s_mov_b32 s5, 0x3fb8aa3b
	v_mul_f32_e32 v41, 0x3fb8aa3b, v29
	v_fma_f32 v42, v29, s5, -v41
	v_rndne_f32_e32 v43, v41
	v_fmamk_f32 v42, v29, 0x32a5705f, v42
	v_sub_f32_e32 v41, v41, v43
	v_add_f32_e32 v41, v41, v42
	v_exp_f32_e32 v41, v41
	v_cvt_i32_f32_e32 v42, v43
	s_mov_b32 s5, 0xc2ce8ed0
	v_cmp_ngt_f32_e64 s[76:77], s5, v29
	s_mov_b32 s5, 0x42b17218
	v_ldexp_f32 v41, v41, v42
	v_cndmask_b32_e64 v41, 0, v41, s[76:77]
	v_mov_b32_e32 v42, 0x7f800000
	v_cmp_nlt_f32_e64 s[76:77], s5, v29
	s_mov_b32 s5, 0x3f2aaaab
	s_mov_b32 s6, 0x7f800000
	v_cndmask_b32_e64 v41, v42, v41, s[76:77]
	v_add_f32_e32 v29, 1.0, v41
	v_add_f32_e32 v42, -1.0, v29
	v_sub_f32_e32 v43, v42, v29
	v_add_f32_e32 v43, 1.0, v43
	v_sub_f32_e32 v42, v41, v42
	v_add_f32_e32 v44, v42, v43
	v_frexp_mant_f32_e32 v45, v29
	v_cvt_f64_f32_e32 v[42:43], v29
	v_frexp_exp_i32_f64_e32 v42, v[42:43]
	v_cmp_gt_f32_e64 s[76:77], s5, v45
	s_mov_b32 s5, 0x3f317218
	s_nop 0
	v_subbrev_co_u32_e64 v50, s[76:77], 0, v42, s[76:77]
	v_sub_u32_e32 v42, 0, v50
	v_ldexp_f32 v29, v29, v42
	v_ldexp_f32 v42, v44, v42
	v_add_f32_e32 v44, -1.0, v29
	v_add_f32_e32 v43, 1.0, v44
	v_sub_f32_e32 v43, v29, v43
	v_add_f32_e32 v45, v42, v43
	v_add_f32_e32 v43, 1.0, v29
	v_add_f32_e32 v46, -1.0, v43
	v_sub_f32_e32 v29, v29, v46
	v_add_f32_e32 v29, v42, v29
	v_add_f32_e32 v54, v43, v29
	v_rcp_f32_e32 v55, v54
	v_sub_f32_e32 v42, v43, v54
	v_add_f32_e32 v43, v44, v45
	v_add_f32_e32 v29, v29, v42
	v_mul_f32_e32 v57, v43, v55
	v_sub_f32_e32 v42, v44, v43
	v_mul_f32_e32 v44, v54, v57
	v_fma_f32 v46, v57, v54, -v44
	v_fmac_f32_e32 v46, v57, v29
	v_add_f32_e32 v56, v45, v42
	v_add_f32_e32 v42, v44, v46
	v_sub_f32_e32 v45, v43, v42
	v_pk_add_f32 v[48:49], v[42:43], v[44:45] neg_lo:[0,1] neg_hi:[0,1]
	v_mov_b32_e32 v47, v42
	v_pk_add_f32 v[42:43], v[48:49], v[46:47] neg_lo:[0,1] neg_hi:[0,1]
	v_cmp_eq_f32_e64 s[76:77], s6, v41
	v_add_f32_e32 v43, v56, v43
	v_add_f32_e32 v42, v42, v43
	;; [unrolled: 1-line block ×3, first 2 shown]
	v_mul_f32_e32 v56, v55, v43
	v_mul_f32_e32 v44, v54, v56
	v_fma_f32 v46, v56, v54, -v44
	v_fmac_f32_e32 v46, v56, v29
	v_sub_f32_e32 v29, v45, v43
	v_add_f32_e32 v29, v42, v29
	v_add_f32_e32 v42, v44, v46
	v_sub_f32_e32 v45, v43, v42
	v_pk_add_f32 v[48:49], v[42:43], v[44:45] neg_lo:[0,1] neg_hi:[0,1]
	v_mov_b32_e32 v47, v42
	v_pk_add_f32 v[42:43], v[48:49], v[46:47] neg_lo:[0,1] neg_hi:[0,1]
	v_cvt_f32_i32_e32 v44, v50
	v_add_f32_e32 v29, v29, v43
	v_add_f32_e32 v29, v42, v29
	;; [unrolled: 1-line block ×4, first 2 shown]
	v_sub_f32_e32 v43, v42, v57
	v_mul_f32_e32 v29, v55, v29
	v_sub_f32_e32 v43, v56, v43
	v_add_f32_e32 v29, v43, v29
	v_add_f32_e32 v45, v42, v29
	v_mul_f32_e32 v46, v45, v45
	v_mov_b32_e32 v43, 0x3ecc95a3
	v_fmac_f32_e32 v43, 0x3e9b6dac, v46
	v_sub_f32_e32 v42, v45, v42
	v_fmaak_f32 v43, v46, v43, 0x3f2aaada
	v_sub_f32_e32 v29, v29, v42
	v_ldexp_f32 v47, v45, 1
	v_mul_f32_e32 v45, v45, v46
	v_mov_b32_e32 v42, 0x3f317218
	v_pk_mul_f32 v[42:43], v[44:45], v[42:43]
	v_ldexp_f32 v29, v29, 1
	v_fma_f32 v45, v44, s5, -v42
	v_fmamk_f32 v46, v44, 0xb102e308, v45
	v_pk_add_f32 v[44:45], v[42:43], v[46:47]
	v_mov_b32_e32 v48, v42
	v_sub_f32_e32 v47, v45, v47
	v_sub_f32_e32 v47, v43, v47
	v_add_f32_e32 v49, v29, v47
	v_pk_add_f32 v[42:43], v[44:45], v[42:43] neg_lo:[0,1] neg_hi:[0,1]
	v_pk_add_f32 v[54:55], v[44:45], v[48:49]
	v_mov_b32_e32 v47, v44
	v_mov_b32_e32 v43, v55
	v_pk_add_f32 v[56:57], v[46:47], v[42:43] neg_lo:[0,1] neg_hi:[0,1]
	v_pk_add_f32 v[42:43], v[46:47], v[42:43]
	v_mov_b32_e32 v48, v49
	v_mov_b32_e32 v46, v43
	v_pk_add_f32 v[58:59], v[46:47], v[44:45] neg_lo:[0,1] neg_hi:[0,1]
	v_mov_b32_e32 v42, v55
	v_mov_b32_e32 v29, v58
	v_pk_add_f32 v[60:61], v[54:55], v[28:29] neg_lo:[0,1] neg_hi:[0,1]
	v_mov_b32_e32 v54, v45
	v_mov_b32_e32 v55, v58
	;; [unrolled: 1-line block ×3, first 2 shown]
	v_pk_add_f32 v[42:43], v[42:43], v[54:55] neg_lo:[0,1] neg_hi:[0,1]
	v_mov_b32_e32 v49, v44
	v_pk_add_f32 v[42:43], v[48:49], v[42:43] neg_lo:[0,1] neg_hi:[0,1]
	v_mov_b32_e32 v60, v56
	v_pk_add_f32 v[44:45], v[60:61], v[42:43]
	s_mov_b32 s5, 0x33800000
	v_mov_b32_e32 v48, v45
	v_pk_add_f32 v[48:49], v[44:45], v[48:49]
	v_cmp_lt_f32_e64 s[48:49], |v41|, s5
	v_pk_add_f32 v[46:47], v[46:47], v[48:49]
	v_mov_b32_e32 v43, v48
	v_mov_b32_e32 v45, v46
	v_pk_add_f32 v[54:55], v[44:45], v[56:57] neg_lo:[0,1] neg_hi:[0,1]
	s_or_b64 s[76:77], s[76:77], s[48:49]
	v_sub_f32_e32 v29, v44, v54
	v_pk_add_f32 v[42:43], v[42:43], v[54:55] neg_lo:[0,1] neg_hi:[0,1]
	v_sub_f32_e32 v29, v56, v29
	v_add_f32_e32 v29, v42, v29
	v_add_f32_e32 v29, v29, v43
	;; [unrolled: 1-line block ×3, first 2 shown]
	v_cndmask_b32_e64 v29, v29, v41, s[76:77]
	v_add_f32_e32 v54, v28, v29
.LBB171_74:
	s_or_b64 exec, exec, s[2:3]
	v_max_f32_e32 v28, v54, v54
	v_max_f32_e32 v41, v16, v16
	v_min_f32_e32 v29, v28, v41
	v_cmp_u_f32_e64 s[78:79], v54, v54
	v_max_f32_e32 v28, v28, v41
	v_cmp_u_f32_e64 s[76:77], v16, v16
	v_cndmask_b32_e64 v29, v29, v54, s[78:79]
	v_cndmask_b32_e64 v28, v28, v54, s[78:79]
	;; [unrolled: 1-line block ×4, first 2 shown]
	v_cmp_neq_f32_e64 s[78:79], v29, v28
	v_cmp_class_f32_e64 s[2:3], v29, s4
	s_or_b64 s[4:5], s[78:79], s[2:3]
	s_and_saveexec_b64 s[2:3], s[4:5]
	s_cbranch_execz .LBB171_76
; %bb.75:
	v_sub_f32_e32 v29, v29, v28
	s_mov_b32 s4, 0x3fb8aa3b
	v_mul_f32_e32 v42, 0x3fb8aa3b, v29
	v_fma_f32 v43, v29, s4, -v42
	v_rndne_f32_e32 v44, v42
	v_fmamk_f32 v43, v29, 0x32a5705f, v43
	v_sub_f32_e32 v42, v42, v44
	v_add_f32_e32 v42, v42, v43
	v_exp_f32_e32 v42, v42
	v_cvt_i32_f32_e32 v43, v44
	s_mov_b32 s4, 0xc2ce8ed0
	v_cmp_ngt_f32_e64 s[78:79], s4, v29
	s_mov_b32 s4, 0x42b17218
	v_ldexp_f32 v42, v42, v43
	v_cndmask_b32_e64 v42, 0, v42, s[78:79]
	v_mov_b32_e32 v43, 0x7f800000
	v_cmp_nlt_f32_e64 s[78:79], s4, v29
	s_mov_b32 s4, 0x3f2aaaab
	s_mov_b32 s5, 0x7f800000
	v_cndmask_b32_e64 v50, v43, v42, s[78:79]
	v_add_f32_e32 v29, 1.0, v50
	v_add_f32_e32 v42, -1.0, v29
	v_sub_f32_e32 v43, v42, v29
	v_add_f32_e32 v43, 1.0, v43
	v_sub_f32_e32 v42, v50, v42
	v_add_f32_e32 v44, v42, v43
	v_frexp_mant_f32_e32 v45, v29
	v_cvt_f64_f32_e32 v[42:43], v29
	v_frexp_exp_i32_f64_e32 v42, v[42:43]
	v_cmp_gt_f32_e64 s[78:79], s4, v45
	s_mov_b32 s4, 0x3f317218
	s_nop 0
	v_subbrev_co_u32_e64 v54, s[78:79], 0, v42, s[78:79]
	v_sub_u32_e32 v42, 0, v54
	v_ldexp_f32 v29, v29, v42
	v_ldexp_f32 v42, v44, v42
	v_add_f32_e32 v44, -1.0, v29
	v_add_f32_e32 v43, 1.0, v44
	v_sub_f32_e32 v43, v29, v43
	v_add_f32_e32 v45, v42, v43
	v_add_f32_e32 v43, 1.0, v29
	v_add_f32_e32 v46, -1.0, v43
	v_sub_f32_e32 v29, v29, v46
	v_add_f32_e32 v29, v42, v29
	v_add_f32_e32 v55, v43, v29
	v_rcp_f32_e32 v56, v55
	v_sub_f32_e32 v42, v43, v55
	v_add_f32_e32 v43, v44, v45
	v_add_f32_e32 v29, v29, v42
	v_mul_f32_e32 v58, v43, v56
	v_sub_f32_e32 v42, v44, v43
	v_mul_f32_e32 v44, v55, v58
	v_fma_f32 v46, v58, v55, -v44
	v_fmac_f32_e32 v46, v58, v29
	v_add_f32_e32 v57, v45, v42
	v_add_f32_e32 v42, v44, v46
	v_sub_f32_e32 v45, v43, v42
	v_pk_add_f32 v[48:49], v[42:43], v[44:45] neg_lo:[0,1] neg_hi:[0,1]
	v_mov_b32_e32 v47, v42
	v_pk_add_f32 v[42:43], v[48:49], v[46:47] neg_lo:[0,1] neg_hi:[0,1]
	v_cmp_eq_f32_e64 s[78:79], s5, v50
	v_add_f32_e32 v43, v57, v43
	v_add_f32_e32 v42, v42, v43
	;; [unrolled: 1-line block ×3, first 2 shown]
	v_mul_f32_e32 v57, v56, v43
	v_mul_f32_e32 v44, v55, v57
	v_fma_f32 v46, v57, v55, -v44
	v_fmac_f32_e32 v46, v57, v29
	v_sub_f32_e32 v29, v45, v43
	v_add_f32_e32 v29, v42, v29
	v_add_f32_e32 v42, v44, v46
	v_sub_f32_e32 v45, v43, v42
	v_pk_add_f32 v[48:49], v[42:43], v[44:45] neg_lo:[0,1] neg_hi:[0,1]
	v_mov_b32_e32 v47, v42
	v_pk_add_f32 v[42:43], v[48:49], v[46:47] neg_lo:[0,1] neg_hi:[0,1]
	v_cvt_f32_i32_e32 v44, v54
	v_add_f32_e32 v29, v29, v43
	v_add_f32_e32 v29, v42, v29
	;; [unrolled: 1-line block ×4, first 2 shown]
	v_sub_f32_e32 v43, v42, v58
	v_mul_f32_e32 v29, v56, v29
	v_sub_f32_e32 v43, v57, v43
	v_add_f32_e32 v29, v43, v29
	v_add_f32_e32 v45, v42, v29
	v_mul_f32_e32 v46, v45, v45
	v_mov_b32_e32 v43, 0x3ecc95a3
	v_fmac_f32_e32 v43, 0x3e9b6dac, v46
	v_sub_f32_e32 v42, v45, v42
	v_fmaak_f32 v43, v46, v43, 0x3f2aaada
	v_sub_f32_e32 v29, v29, v42
	v_ldexp_f32 v47, v45, 1
	v_mul_f32_e32 v45, v45, v46
	v_mov_b32_e32 v42, 0x3f317218
	v_pk_mul_f32 v[42:43], v[44:45], v[42:43]
	v_ldexp_f32 v29, v29, 1
	v_fma_f32 v45, v44, s4, -v42
	v_fmamk_f32 v46, v44, 0xb102e308, v45
	v_pk_add_f32 v[44:45], v[42:43], v[46:47]
	v_mov_b32_e32 v48, v42
	v_sub_f32_e32 v47, v45, v47
	v_sub_f32_e32 v47, v43, v47
	v_add_f32_e32 v49, v29, v47
	v_pk_add_f32 v[42:43], v[44:45], v[42:43] neg_lo:[0,1] neg_hi:[0,1]
	v_pk_add_f32 v[54:55], v[44:45], v[48:49]
	v_mov_b32_e32 v47, v44
	v_mov_b32_e32 v43, v55
	v_pk_add_f32 v[56:57], v[46:47], v[42:43] neg_lo:[0,1] neg_hi:[0,1]
	v_pk_add_f32 v[42:43], v[46:47], v[42:43]
	v_mov_b32_e32 v48, v49
	v_mov_b32_e32 v46, v43
	v_pk_add_f32 v[58:59], v[46:47], v[44:45] neg_lo:[0,1] neg_hi:[0,1]
	v_mov_b32_e32 v42, v55
	v_mov_b32_e32 v29, v58
	v_pk_add_f32 v[60:61], v[54:55], v[28:29] neg_lo:[0,1] neg_hi:[0,1]
	v_mov_b32_e32 v54, v45
	v_mov_b32_e32 v55, v58
	;; [unrolled: 1-line block ×3, first 2 shown]
	v_pk_add_f32 v[42:43], v[42:43], v[54:55] neg_lo:[0,1] neg_hi:[0,1]
	v_mov_b32_e32 v49, v44
	v_pk_add_f32 v[42:43], v[48:49], v[42:43] neg_lo:[0,1] neg_hi:[0,1]
	v_mov_b32_e32 v60, v56
	v_pk_add_f32 v[44:45], v[60:61], v[42:43]
	s_mov_b32 s4, 0x33800000
	v_mov_b32_e32 v48, v45
	v_pk_add_f32 v[48:49], v[44:45], v[48:49]
	v_cmp_lt_f32_e64 s[4:5], |v50|, s4
	v_pk_add_f32 v[46:47], v[46:47], v[48:49]
	v_mov_b32_e32 v43, v48
	v_mov_b32_e32 v45, v46
	v_pk_add_f32 v[54:55], v[44:45], v[56:57] neg_lo:[0,1] neg_hi:[0,1]
	s_or_b64 s[78:79], s[78:79], s[4:5]
	v_sub_f32_e32 v29, v44, v54
	v_pk_add_f32 v[42:43], v[42:43], v[54:55] neg_lo:[0,1] neg_hi:[0,1]
	v_sub_f32_e32 v29, v56, v29
	v_add_f32_e32 v29, v42, v29
	v_add_f32_e32 v29, v29, v43
	;; [unrolled: 1-line block ×3, first 2 shown]
	v_cndmask_b32_e64 v29, v29, v50, s[78:79]
	v_add_f32_e32 v54, v28, v29
.LBB171_76:
	s_or_b64 exec, exec, s[2:3]
	v_max_f32_e32 v28, v54, v54
	v_max_f32_e32 v42, v17, v17
	v_min_f32_e32 v29, v28, v42
	v_cmp_u_f32_e64 s[80:81], v54, v54
	v_max_f32_e32 v28, v28, v42
	v_cmp_u_f32_e64 s[78:79], v17, v17
	v_cndmask_b32_e64 v29, v29, v54, s[80:81]
	v_cndmask_b32_e64 v28, v28, v54, s[80:81]
	;; [unrolled: 1-line block ×4, first 2 shown]
	s_movk_i32 s4, 0x1f8
	v_cmp_neq_f32_e64 s[80:81], v29, v28
	v_cmp_class_f32_e64 s[2:3], v29, s4
	s_or_b64 s[48:49], s[80:81], s[2:3]
	s_and_saveexec_b64 s[2:3], s[48:49]
	s_cbranch_execz .LBB171_78
; %bb.77:
	v_sub_f32_e32 v29, v29, v28
	s_mov_b32 s5, 0x3fb8aa3b
	v_mul_f32_e32 v43, 0x3fb8aa3b, v29
	v_fma_f32 v44, v29, s5, -v43
	v_rndne_f32_e32 v45, v43
	v_fmamk_f32 v44, v29, 0x32a5705f, v44
	v_sub_f32_e32 v43, v43, v45
	v_add_f32_e32 v43, v43, v44
	v_exp_f32_e32 v43, v43
	v_cvt_i32_f32_e32 v44, v45
	s_mov_b32 s5, 0xc2ce8ed0
	v_cmp_ngt_f32_e64 s[80:81], s5, v29
	s_mov_b32 s5, 0x42b17218
	v_ldexp_f32 v43, v43, v44
	v_cndmask_b32_e64 v43, 0, v43, s[80:81]
	v_mov_b32_e32 v44, 0x7f800000
	v_cmp_nlt_f32_e64 s[80:81], s5, v29
	s_mov_b32 s5, 0x3f2aaaab
	s_mov_b32 s6, 0x7f800000
	v_cndmask_b32_e64 v43, v44, v43, s[80:81]
	v_add_f32_e32 v29, 1.0, v43
	v_add_f32_e32 v44, -1.0, v29
	v_sub_f32_e32 v45, v44, v29
	v_add_f32_e32 v45, 1.0, v45
	v_sub_f32_e32 v44, v43, v44
	v_add_f32_e32 v46, v44, v45
	v_frexp_mant_f32_e32 v47, v29
	v_cvt_f64_f32_e32 v[44:45], v29
	v_frexp_exp_i32_f64_e32 v44, v[44:45]
	v_cmp_gt_f32_e64 s[80:81], s5, v47
	s_mov_b32 s5, 0x3f317218
	s_nop 0
	v_subbrev_co_u32_e64 v50, s[80:81], 0, v44, s[80:81]
	v_sub_u32_e32 v44, 0, v50
	v_ldexp_f32 v29, v29, v44
	v_ldexp_f32 v44, v46, v44
	v_add_f32_e32 v46, -1.0, v29
	v_add_f32_e32 v45, 1.0, v46
	v_sub_f32_e32 v45, v29, v45
	v_add_f32_e32 v47, v44, v45
	v_add_f32_e32 v45, 1.0, v29
	v_add_f32_e32 v48, -1.0, v45
	v_sub_f32_e32 v29, v29, v48
	v_add_f32_e32 v29, v44, v29
	v_add_f32_e32 v56, v45, v29
	v_rcp_f32_e32 v57, v56
	v_sub_f32_e32 v44, v45, v56
	v_add_f32_e32 v45, v46, v47
	v_add_f32_e32 v29, v29, v44
	v_mul_f32_e32 v59, v45, v57
	v_sub_f32_e32 v44, v46, v45
	v_mul_f32_e32 v46, v56, v59
	v_fma_f32 v48, v59, v56, -v46
	v_fmac_f32_e32 v48, v59, v29
	v_add_f32_e32 v58, v47, v44
	v_add_f32_e32 v44, v46, v48
	v_sub_f32_e32 v47, v45, v44
	v_pk_add_f32 v[54:55], v[44:45], v[46:47] neg_lo:[0,1] neg_hi:[0,1]
	v_mov_b32_e32 v49, v44
	v_pk_add_f32 v[44:45], v[54:55], v[48:49] neg_lo:[0,1] neg_hi:[0,1]
	v_cmp_eq_f32_e64 s[80:81], s6, v43
	v_add_f32_e32 v45, v58, v45
	v_add_f32_e32 v44, v44, v45
	;; [unrolled: 1-line block ×3, first 2 shown]
	v_mul_f32_e32 v58, v57, v45
	v_mul_f32_e32 v46, v56, v58
	v_fma_f32 v48, v58, v56, -v46
	v_fmac_f32_e32 v48, v58, v29
	v_sub_f32_e32 v29, v47, v45
	v_add_f32_e32 v29, v44, v29
	v_add_f32_e32 v44, v46, v48
	v_sub_f32_e32 v47, v45, v44
	v_pk_add_f32 v[54:55], v[44:45], v[46:47] neg_lo:[0,1] neg_hi:[0,1]
	v_mov_b32_e32 v49, v44
	v_pk_add_f32 v[44:45], v[54:55], v[48:49] neg_lo:[0,1] neg_hi:[0,1]
	v_cvt_f32_i32_e32 v46, v50
	v_add_f32_e32 v29, v29, v45
	v_add_f32_e32 v29, v44, v29
	;; [unrolled: 1-line block ×4, first 2 shown]
	v_sub_f32_e32 v45, v44, v59
	v_mul_f32_e32 v29, v57, v29
	v_sub_f32_e32 v45, v58, v45
	v_add_f32_e32 v29, v45, v29
	v_add_f32_e32 v47, v44, v29
	v_mul_f32_e32 v48, v47, v47
	v_mov_b32_e32 v45, 0x3ecc95a3
	v_fmac_f32_e32 v45, 0x3e9b6dac, v48
	v_sub_f32_e32 v44, v47, v44
	v_fmaak_f32 v45, v48, v45, 0x3f2aaada
	v_sub_f32_e32 v29, v29, v44
	v_ldexp_f32 v49, v47, 1
	v_mul_f32_e32 v47, v47, v48
	v_mov_b32_e32 v44, 0x3f317218
	v_pk_mul_f32 v[44:45], v[46:47], v[44:45]
	v_ldexp_f32 v29, v29, 1
	v_fma_f32 v47, v46, s5, -v44
	v_fmamk_f32 v48, v46, 0xb102e308, v47
	v_pk_add_f32 v[46:47], v[44:45], v[48:49]
	v_mov_b32_e32 v54, v44
	v_sub_f32_e32 v49, v47, v49
	v_sub_f32_e32 v49, v45, v49
	v_add_f32_e32 v55, v29, v49
	v_pk_add_f32 v[44:45], v[46:47], v[44:45] neg_lo:[0,1] neg_hi:[0,1]
	v_pk_add_f32 v[56:57], v[46:47], v[54:55]
	v_mov_b32_e32 v49, v46
	v_mov_b32_e32 v45, v57
	v_pk_add_f32 v[58:59], v[48:49], v[44:45] neg_lo:[0,1] neg_hi:[0,1]
	v_pk_add_f32 v[44:45], v[48:49], v[44:45]
	v_mov_b32_e32 v54, v55
	v_mov_b32_e32 v48, v45
	v_pk_add_f32 v[60:61], v[48:49], v[46:47] neg_lo:[0,1] neg_hi:[0,1]
	v_mov_b32_e32 v44, v57
	v_mov_b32_e32 v29, v60
	v_pk_add_f32 v[62:63], v[56:57], v[28:29] neg_lo:[0,1] neg_hi:[0,1]
	v_mov_b32_e32 v56, v47
	v_mov_b32_e32 v57, v60
	;; [unrolled: 1-line block ×3, first 2 shown]
	v_pk_add_f32 v[44:45], v[44:45], v[56:57] neg_lo:[0,1] neg_hi:[0,1]
	v_mov_b32_e32 v55, v46
	v_pk_add_f32 v[44:45], v[54:55], v[44:45] neg_lo:[0,1] neg_hi:[0,1]
	v_mov_b32_e32 v62, v58
	v_pk_add_f32 v[46:47], v[62:63], v[44:45]
	s_mov_b32 s5, 0x33800000
	v_mov_b32_e32 v50, v47
	v_pk_add_f32 v[54:55], v[46:47], v[50:51]
	v_cmp_lt_f32_e64 s[48:49], |v43|, s5
	v_pk_add_f32 v[48:49], v[48:49], v[54:55]
	v_mov_b32_e32 v45, v54
	v_mov_b32_e32 v47, v48
	v_pk_add_f32 v[56:57], v[46:47], v[58:59] neg_lo:[0,1] neg_hi:[0,1]
	s_or_b64 s[80:81], s[80:81], s[48:49]
	v_sub_f32_e32 v29, v46, v56
	v_pk_add_f32 v[44:45], v[44:45], v[56:57] neg_lo:[0,1] neg_hi:[0,1]
	v_sub_f32_e32 v29, v58, v29
	v_add_f32_e32 v29, v44, v29
	v_add_f32_e32 v29, v29, v45
	;; [unrolled: 1-line block ×3, first 2 shown]
	v_cndmask_b32_e64 v29, v29, v43, s[80:81]
	v_add_f32_e32 v54, v28, v29
.LBB171_78:
	s_or_b64 exec, exec, s[2:3]
	v_max_f32_e32 v28, v54, v54
	v_max_f32_e32 v43, v10, v10
	v_min_f32_e32 v29, v28, v43
	v_cmp_u_f32_e64 s[82:83], v54, v54
	v_max_f32_e32 v28, v28, v43
	v_cmp_u_f32_e64 s[80:81], v10, v10
	v_cndmask_b32_e64 v29, v29, v54, s[82:83]
	v_cndmask_b32_e64 v28, v28, v54, s[82:83]
	;; [unrolled: 1-line block ×4, first 2 shown]
	v_cmp_neq_f32_e64 s[82:83], v29, v28
	v_cmp_class_f32_e64 s[2:3], v29, s4
	s_or_b64 s[4:5], s[82:83], s[2:3]
	s_and_saveexec_b64 s[2:3], s[4:5]
	s_cbranch_execz .LBB171_80
; %bb.79:
	v_sub_f32_e32 v29, v29, v28
	s_mov_b32 s4, 0x3fb8aa3b
	v_mul_f32_e32 v44, 0x3fb8aa3b, v29
	v_fma_f32 v45, v29, s4, -v44
	v_rndne_f32_e32 v46, v44
	v_fmamk_f32 v45, v29, 0x32a5705f, v45
	v_sub_f32_e32 v44, v44, v46
	v_add_f32_e32 v44, v44, v45
	v_exp_f32_e32 v44, v44
	v_cvt_i32_f32_e32 v45, v46
	s_mov_b32 s4, 0xc2ce8ed0
	v_cmp_ngt_f32_e64 s[82:83], s4, v29
	s_mov_b32 s4, 0x42b17218
	v_ldexp_f32 v44, v44, v45
	v_cndmask_b32_e64 v44, 0, v44, s[82:83]
	v_mov_b32_e32 v45, 0x7f800000
	v_cmp_nlt_f32_e64 s[82:83], s4, v29
	s_mov_b32 s4, 0x3f2aaaab
	s_mov_b32 s5, 0x7f800000
	v_cndmask_b32_e64 v64, v45, v44, s[82:83]
	v_add_f32_e32 v29, 1.0, v64
	v_add_f32_e32 v44, -1.0, v29
	v_sub_f32_e32 v45, v44, v29
	v_add_f32_e32 v45, 1.0, v45
	v_sub_f32_e32 v44, v64, v44
	v_add_f32_e32 v46, v44, v45
	v_frexp_mant_f32_e32 v47, v29
	v_cvt_f64_f32_e32 v[44:45], v29
	v_frexp_exp_i32_f64_e32 v44, v[44:45]
	v_cmp_gt_f32_e64 s[82:83], s4, v47
	s_mov_b32 s4, 0x3f317218
	s_nop 0
	v_subbrev_co_u32_e64 v50, s[82:83], 0, v44, s[82:83]
	v_sub_u32_e32 v44, 0, v50
	v_ldexp_f32 v29, v29, v44
	v_ldexp_f32 v44, v46, v44
	v_add_f32_e32 v46, -1.0, v29
	v_add_f32_e32 v45, 1.0, v46
	v_sub_f32_e32 v45, v29, v45
	v_add_f32_e32 v47, v44, v45
	v_add_f32_e32 v45, 1.0, v29
	v_add_f32_e32 v48, -1.0, v45
	v_sub_f32_e32 v29, v29, v48
	v_add_f32_e32 v29, v44, v29
	v_add_f32_e32 v56, v45, v29
	v_rcp_f32_e32 v57, v56
	v_sub_f32_e32 v44, v45, v56
	v_add_f32_e32 v45, v46, v47
	v_add_f32_e32 v29, v29, v44
	v_mul_f32_e32 v59, v45, v57
	v_sub_f32_e32 v44, v46, v45
	v_mul_f32_e32 v46, v56, v59
	v_fma_f32 v48, v59, v56, -v46
	v_fmac_f32_e32 v48, v59, v29
	v_add_f32_e32 v58, v47, v44
	v_add_f32_e32 v44, v46, v48
	v_sub_f32_e32 v47, v45, v44
	v_pk_add_f32 v[54:55], v[44:45], v[46:47] neg_lo:[0,1] neg_hi:[0,1]
	v_mov_b32_e32 v49, v44
	v_pk_add_f32 v[44:45], v[54:55], v[48:49] neg_lo:[0,1] neg_hi:[0,1]
	v_cmp_eq_f32_e64 s[82:83], s5, v64
	v_add_f32_e32 v45, v58, v45
	v_add_f32_e32 v44, v44, v45
	;; [unrolled: 1-line block ×3, first 2 shown]
	v_mul_f32_e32 v58, v57, v45
	v_mul_f32_e32 v46, v56, v58
	v_fma_f32 v48, v58, v56, -v46
	v_fmac_f32_e32 v48, v58, v29
	v_sub_f32_e32 v29, v47, v45
	v_add_f32_e32 v29, v44, v29
	v_add_f32_e32 v44, v46, v48
	v_sub_f32_e32 v47, v45, v44
	v_pk_add_f32 v[54:55], v[44:45], v[46:47] neg_lo:[0,1] neg_hi:[0,1]
	v_mov_b32_e32 v49, v44
	v_pk_add_f32 v[44:45], v[54:55], v[48:49] neg_lo:[0,1] neg_hi:[0,1]
	v_cvt_f32_i32_e32 v46, v50
	v_add_f32_e32 v29, v29, v45
	v_add_f32_e32 v29, v44, v29
	;; [unrolled: 1-line block ×4, first 2 shown]
	v_sub_f32_e32 v45, v44, v59
	v_mul_f32_e32 v29, v57, v29
	v_sub_f32_e32 v45, v58, v45
	v_add_f32_e32 v29, v45, v29
	v_add_f32_e32 v47, v44, v29
	v_mul_f32_e32 v48, v47, v47
	v_mov_b32_e32 v45, 0x3ecc95a3
	v_fmac_f32_e32 v45, 0x3e9b6dac, v48
	v_sub_f32_e32 v44, v47, v44
	v_fmaak_f32 v45, v48, v45, 0x3f2aaada
	v_sub_f32_e32 v29, v29, v44
	v_ldexp_f32 v49, v47, 1
	v_mul_f32_e32 v47, v47, v48
	v_mov_b32_e32 v44, 0x3f317218
	v_pk_mul_f32 v[44:45], v[46:47], v[44:45]
	v_ldexp_f32 v29, v29, 1
	v_fma_f32 v47, v46, s4, -v44
	v_fmamk_f32 v48, v46, 0xb102e308, v47
	v_pk_add_f32 v[46:47], v[44:45], v[48:49]
	v_mov_b32_e32 v54, v44
	v_sub_f32_e32 v49, v47, v49
	v_sub_f32_e32 v49, v45, v49
	v_add_f32_e32 v55, v29, v49
	v_pk_add_f32 v[44:45], v[46:47], v[44:45] neg_lo:[0,1] neg_hi:[0,1]
	v_pk_add_f32 v[56:57], v[46:47], v[54:55]
	v_mov_b32_e32 v49, v46
	v_mov_b32_e32 v45, v57
	v_pk_add_f32 v[58:59], v[48:49], v[44:45] neg_lo:[0,1] neg_hi:[0,1]
	v_pk_add_f32 v[44:45], v[48:49], v[44:45]
	v_mov_b32_e32 v54, v55
	v_mov_b32_e32 v48, v45
	v_pk_add_f32 v[60:61], v[48:49], v[46:47] neg_lo:[0,1] neg_hi:[0,1]
	v_mov_b32_e32 v44, v57
	v_mov_b32_e32 v29, v60
	v_pk_add_f32 v[62:63], v[56:57], v[28:29] neg_lo:[0,1] neg_hi:[0,1]
	v_mov_b32_e32 v56, v47
	v_mov_b32_e32 v57, v60
	;; [unrolled: 1-line block ×3, first 2 shown]
	v_pk_add_f32 v[44:45], v[44:45], v[56:57] neg_lo:[0,1] neg_hi:[0,1]
	v_mov_b32_e32 v55, v46
	v_pk_add_f32 v[44:45], v[54:55], v[44:45] neg_lo:[0,1] neg_hi:[0,1]
	v_mov_b32_e32 v62, v58
	v_pk_add_f32 v[46:47], v[62:63], v[44:45]
	s_mov_b32 s4, 0x33800000
	v_mov_b32_e32 v50, v47
	v_pk_add_f32 v[54:55], v[46:47], v[50:51]
	v_cmp_lt_f32_e64 s[4:5], |v64|, s4
	v_pk_add_f32 v[48:49], v[48:49], v[54:55]
	v_mov_b32_e32 v45, v54
	v_mov_b32_e32 v47, v48
	v_pk_add_f32 v[56:57], v[46:47], v[58:59] neg_lo:[0,1] neg_hi:[0,1]
	s_or_b64 s[82:83], s[82:83], s[4:5]
	v_sub_f32_e32 v29, v46, v56
	v_pk_add_f32 v[44:45], v[44:45], v[56:57] neg_lo:[0,1] neg_hi:[0,1]
	v_sub_f32_e32 v29, v58, v29
	v_add_f32_e32 v29, v44, v29
	v_add_f32_e32 v29, v29, v45
	v_add_f32_e32 v29, v48, v29
	v_cndmask_b32_e64 v29, v29, v64, s[82:83]
	v_add_f32_e32 v54, v28, v29
.LBB171_80:
	s_or_b64 exec, exec, s[2:3]
	v_max_f32_e32 v28, v54, v54
	v_max_f32_e32 v44, v11, v11
	v_min_f32_e32 v29, v28, v44
	v_cmp_u_f32_e64 s[84:85], v54, v54
	v_max_f32_e32 v28, v28, v44
	v_cmp_u_f32_e64 s[82:83], v11, v11
	v_cndmask_b32_e64 v29, v29, v54, s[84:85]
	v_cndmask_b32_e64 v28, v28, v54, s[84:85]
	;; [unrolled: 1-line block ×4, first 2 shown]
	s_movk_i32 s4, 0x1f8
	v_cmp_neq_f32_e64 s[84:85], v29, v28
	v_cmp_class_f32_e64 s[2:3], v29, s4
	s_or_b64 s[48:49], s[84:85], s[2:3]
	s_and_saveexec_b64 s[2:3], s[48:49]
	s_cbranch_execz .LBB171_82
; %bb.81:
	v_sub_f32_e32 v29, v29, v28
	s_mov_b32 s5, 0x3fb8aa3b
	v_mul_f32_e32 v45, 0x3fb8aa3b, v29
	v_fma_f32 v46, v29, s5, -v45
	v_rndne_f32_e32 v47, v45
	v_fmamk_f32 v46, v29, 0x32a5705f, v46
	v_sub_f32_e32 v45, v45, v47
	v_add_f32_e32 v45, v45, v46
	v_exp_f32_e32 v45, v45
	v_cvt_i32_f32_e32 v46, v47
	s_mov_b32 s5, 0xc2ce8ed0
	v_cmp_ngt_f32_e64 s[84:85], s5, v29
	s_mov_b32 s5, 0x42b17218
	v_ldexp_f32 v45, v45, v46
	v_cndmask_b32_e64 v45, 0, v45, s[84:85]
	v_mov_b32_e32 v46, 0x7f800000
	v_cmp_nlt_f32_e64 s[84:85], s5, v29
	s_mov_b32 s5, 0x3f2aaaab
	s_mov_b32 s6, 0x7f800000
	v_cndmask_b32_e64 v45, v46, v45, s[84:85]
	v_add_f32_e32 v29, 1.0, v45
	v_add_f32_e32 v46, -1.0, v29
	v_sub_f32_e32 v47, v46, v29
	v_add_f32_e32 v47, 1.0, v47
	v_sub_f32_e32 v46, v45, v46
	v_add_f32_e32 v48, v46, v47
	v_frexp_mant_f32_e32 v49, v29
	v_cvt_f64_f32_e32 v[46:47], v29
	v_frexp_exp_i32_f64_e32 v46, v[46:47]
	v_cmp_gt_f32_e64 s[84:85], s5, v49
	s_mov_b32 s5, 0x3f317218
	s_nop 0
	v_subbrev_co_u32_e64 v50, s[84:85], 0, v46, s[84:85]
	v_sub_u32_e32 v46, 0, v50
	v_ldexp_f32 v29, v29, v46
	v_ldexp_f32 v46, v48, v46
	v_add_f32_e32 v48, -1.0, v29
	v_add_f32_e32 v47, 1.0, v48
	v_sub_f32_e32 v47, v29, v47
	v_add_f32_e32 v49, v46, v47
	v_add_f32_e32 v47, 1.0, v29
	v_add_f32_e32 v54, -1.0, v47
	v_sub_f32_e32 v29, v29, v54
	v_add_f32_e32 v29, v46, v29
	v_add_f32_e32 v58, v47, v29
	v_rcp_f32_e32 v59, v58
	v_sub_f32_e32 v46, v47, v58
	v_add_f32_e32 v47, v48, v49
	v_add_f32_e32 v29, v29, v46
	v_mul_f32_e32 v61, v47, v59
	v_sub_f32_e32 v46, v48, v47
	v_mul_f32_e32 v48, v58, v61
	v_fma_f32 v54, v61, v58, -v48
	v_fmac_f32_e32 v54, v61, v29
	v_add_f32_e32 v60, v49, v46
	v_add_f32_e32 v46, v48, v54
	v_sub_f32_e32 v49, v47, v46
	v_pk_add_f32 v[56:57], v[46:47], v[48:49] neg_lo:[0,1] neg_hi:[0,1]
	v_mov_b32_e32 v55, v46
	v_pk_add_f32 v[46:47], v[56:57], v[54:55] neg_lo:[0,1] neg_hi:[0,1]
	v_cmp_eq_f32_e64 s[84:85], s6, v45
	v_add_f32_e32 v47, v60, v47
	v_add_f32_e32 v46, v46, v47
	;; [unrolled: 1-line block ×3, first 2 shown]
	v_mul_f32_e32 v60, v59, v47
	v_mul_f32_e32 v48, v58, v60
	v_fma_f32 v54, v60, v58, -v48
	v_fmac_f32_e32 v54, v60, v29
	v_sub_f32_e32 v29, v49, v47
	v_add_f32_e32 v29, v46, v29
	v_add_f32_e32 v46, v48, v54
	v_sub_f32_e32 v49, v47, v46
	v_pk_add_f32 v[56:57], v[46:47], v[48:49] neg_lo:[0,1] neg_hi:[0,1]
	v_mov_b32_e32 v55, v46
	v_pk_add_f32 v[46:47], v[56:57], v[54:55] neg_lo:[0,1] neg_hi:[0,1]
	v_cvt_f32_i32_e32 v48, v50
	v_add_f32_e32 v29, v29, v47
	v_add_f32_e32 v29, v46, v29
	;; [unrolled: 1-line block ×4, first 2 shown]
	v_sub_f32_e32 v47, v46, v61
	v_mul_f32_e32 v29, v59, v29
	v_sub_f32_e32 v47, v60, v47
	v_add_f32_e32 v29, v47, v29
	v_add_f32_e32 v49, v46, v29
	v_mul_f32_e32 v54, v49, v49
	v_mov_b32_e32 v47, 0x3ecc95a3
	v_fmac_f32_e32 v47, 0x3e9b6dac, v54
	v_sub_f32_e32 v46, v49, v46
	v_fmaak_f32 v47, v54, v47, 0x3f2aaada
	v_sub_f32_e32 v29, v29, v46
	v_ldexp_f32 v55, v49, 1
	v_mul_f32_e32 v49, v49, v54
	v_mov_b32_e32 v46, 0x3f317218
	v_pk_mul_f32 v[46:47], v[48:49], v[46:47]
	v_ldexp_f32 v29, v29, 1
	v_fma_f32 v49, v48, s5, -v46
	v_fmamk_f32 v54, v48, 0xb102e308, v49
	v_pk_add_f32 v[48:49], v[46:47], v[54:55]
	v_mov_b32_e32 v56, v46
	v_sub_f32_e32 v50, v49, v55
	v_sub_f32_e32 v50, v47, v50
	v_add_f32_e32 v57, v29, v50
	v_pk_add_f32 v[46:47], v[48:49], v[46:47] neg_lo:[0,1] neg_hi:[0,1]
	v_pk_add_f32 v[58:59], v[48:49], v[56:57]
	v_mov_b32_e32 v55, v48
	v_mov_b32_e32 v47, v59
	v_pk_add_f32 v[60:61], v[54:55], v[46:47] neg_lo:[0,1] neg_hi:[0,1]
	v_pk_add_f32 v[46:47], v[54:55], v[46:47]
	s_mov_b32 s5, 0x33800000
	v_mov_b32_e32 v50, v47
	v_pk_add_f32 v[54:55], v[50:51], v[48:49] neg_lo:[0,1] neg_hi:[0,1]
	v_mov_b32_e32 v46, v59
	v_mov_b32_e32 v29, v54
	v_pk_add_f32 v[62:63], v[58:59], v[28:29] neg_lo:[0,1] neg_hi:[0,1]
	v_mov_b32_e32 v58, v49
	v_mov_b32_e32 v59, v54
	;; [unrolled: 1-line block ×3, first 2 shown]
	v_pk_add_f32 v[46:47], v[46:47], v[58:59] neg_lo:[0,1] neg_hi:[0,1]
	v_mov_b32_e32 v54, v57
	v_mov_b32_e32 v55, v48
	v_pk_add_f32 v[46:47], v[54:55], v[46:47] neg_lo:[0,1] neg_hi:[0,1]
	v_mov_b32_e32 v62, v60
	v_pk_add_f32 v[48:49], v[62:63], v[46:47]
	v_cmp_lt_f32_e64 s[48:49], |v45|, s5
	v_mov_b32_e32 v54, v49
	v_pk_add_f32 v[54:55], v[48:49], v[54:55]
	s_or_b64 s[84:85], s[84:85], s[48:49]
	v_pk_add_f32 v[56:57], v[50:51], v[54:55]
	v_mov_b32_e32 v47, v54
	v_mov_b32_e32 v49, v56
	v_pk_add_f32 v[58:59], v[48:49], v[60:61] neg_lo:[0,1] neg_hi:[0,1]
	s_nop 0
	v_sub_f32_e32 v29, v48, v58
	v_pk_add_f32 v[46:47], v[46:47], v[58:59] neg_lo:[0,1] neg_hi:[0,1]
	v_sub_f32_e32 v29, v60, v29
	v_add_f32_e32 v29, v46, v29
	v_add_f32_e32 v29, v29, v47
	;; [unrolled: 1-line block ×3, first 2 shown]
	v_cndmask_b32_e64 v29, v29, v45, s[84:85]
	v_add_f32_e32 v54, v28, v29
.LBB171_82:
	s_or_b64 exec, exec, s[2:3]
	v_max_f32_e32 v28, v54, v54
	v_max_f32_e32 v45, v12, v12
	v_min_f32_e32 v29, v28, v45
	v_cmp_u_f32_e64 s[86:87], v54, v54
	v_max_f32_e32 v28, v28, v45
	v_cmp_u_f32_e64 s[84:85], v12, v12
	v_cndmask_b32_e64 v29, v29, v54, s[86:87]
	v_cndmask_b32_e64 v28, v28, v54, s[86:87]
	;; [unrolled: 1-line block ×4, first 2 shown]
	v_cmp_neq_f32_e64 s[86:87], v29, v28
	v_cmp_class_f32_e64 s[2:3], v29, s4
	s_or_b64 s[4:5], s[86:87], s[2:3]
	s_and_saveexec_b64 s[2:3], s[4:5]
	s_cbranch_execz .LBB171_84
; %bb.83:
	v_sub_f32_e32 v29, v29, v28
	s_mov_b32 s4, 0x3fb8aa3b
	v_mul_f32_e32 v46, 0x3fb8aa3b, v29
	v_fma_f32 v47, v29, s4, -v46
	v_rndne_f32_e32 v48, v46
	v_fmamk_f32 v47, v29, 0x32a5705f, v47
	v_sub_f32_e32 v46, v46, v48
	v_add_f32_e32 v46, v46, v47
	v_exp_f32_e32 v46, v46
	v_cvt_i32_f32_e32 v47, v48
	s_mov_b32 s4, 0xc2ce8ed0
	v_cmp_ngt_f32_e64 s[86:87], s4, v29
	s_mov_b32 s4, 0x42b17218
	v_ldexp_f32 v46, v46, v47
	v_cndmask_b32_e64 v46, 0, v46, s[86:87]
	v_mov_b32_e32 v47, 0x7f800000
	v_cmp_nlt_f32_e64 s[86:87], s4, v29
	s_mov_b32 s4, 0x3f2aaaab
	s_mov_b32 s5, 0x7f800000
	v_cndmask_b32_e64 v64, v47, v46, s[86:87]
	v_add_f32_e32 v29, 1.0, v64
	v_add_f32_e32 v46, -1.0, v29
	v_sub_f32_e32 v47, v46, v29
	v_add_f32_e32 v47, 1.0, v47
	v_sub_f32_e32 v46, v64, v46
	v_add_f32_e32 v48, v46, v47
	v_frexp_mant_f32_e32 v49, v29
	v_cvt_f64_f32_e32 v[46:47], v29
	v_frexp_exp_i32_f64_e32 v46, v[46:47]
	v_cmp_gt_f32_e64 s[86:87], s4, v49
	s_mov_b32 s4, 0x3f317218
	s_nop 0
	v_subbrev_co_u32_e64 v50, s[86:87], 0, v46, s[86:87]
	v_sub_u32_e32 v46, 0, v50
	v_ldexp_f32 v29, v29, v46
	v_ldexp_f32 v46, v48, v46
	v_add_f32_e32 v48, -1.0, v29
	v_add_f32_e32 v47, 1.0, v48
	v_sub_f32_e32 v47, v29, v47
	v_add_f32_e32 v49, v46, v47
	v_add_f32_e32 v47, 1.0, v29
	v_add_f32_e32 v54, -1.0, v47
	v_sub_f32_e32 v29, v29, v54
	v_add_f32_e32 v29, v46, v29
	v_add_f32_e32 v58, v47, v29
	v_rcp_f32_e32 v59, v58
	v_sub_f32_e32 v46, v47, v58
	v_add_f32_e32 v47, v48, v49
	v_add_f32_e32 v29, v29, v46
	v_mul_f32_e32 v61, v47, v59
	v_sub_f32_e32 v46, v48, v47
	v_mul_f32_e32 v48, v58, v61
	v_fma_f32 v54, v61, v58, -v48
	v_fmac_f32_e32 v54, v61, v29
	v_add_f32_e32 v60, v49, v46
	v_add_f32_e32 v46, v48, v54
	v_sub_f32_e32 v49, v47, v46
	v_pk_add_f32 v[56:57], v[46:47], v[48:49] neg_lo:[0,1] neg_hi:[0,1]
	v_mov_b32_e32 v55, v46
	v_pk_add_f32 v[46:47], v[56:57], v[54:55] neg_lo:[0,1] neg_hi:[0,1]
	v_cmp_eq_f32_e64 s[86:87], s5, v64
	v_add_f32_e32 v47, v60, v47
	v_add_f32_e32 v46, v46, v47
	;; [unrolled: 1-line block ×3, first 2 shown]
	v_mul_f32_e32 v60, v59, v47
	v_mul_f32_e32 v48, v58, v60
	v_fma_f32 v54, v60, v58, -v48
	v_fmac_f32_e32 v54, v60, v29
	v_sub_f32_e32 v29, v49, v47
	v_add_f32_e32 v29, v46, v29
	v_add_f32_e32 v46, v48, v54
	v_sub_f32_e32 v49, v47, v46
	v_pk_add_f32 v[56:57], v[46:47], v[48:49] neg_lo:[0,1] neg_hi:[0,1]
	v_mov_b32_e32 v55, v46
	v_pk_add_f32 v[46:47], v[56:57], v[54:55] neg_lo:[0,1] neg_hi:[0,1]
	v_cvt_f32_i32_e32 v48, v50
	v_add_f32_e32 v29, v29, v47
	v_add_f32_e32 v29, v46, v29
	;; [unrolled: 1-line block ×4, first 2 shown]
	v_sub_f32_e32 v47, v46, v61
	v_mul_f32_e32 v29, v59, v29
	v_sub_f32_e32 v47, v60, v47
	v_add_f32_e32 v29, v47, v29
	v_add_f32_e32 v49, v46, v29
	v_mul_f32_e32 v54, v49, v49
	v_mov_b32_e32 v47, 0x3ecc95a3
	v_fmac_f32_e32 v47, 0x3e9b6dac, v54
	v_sub_f32_e32 v46, v49, v46
	v_fmaak_f32 v47, v54, v47, 0x3f2aaada
	v_sub_f32_e32 v29, v29, v46
	v_ldexp_f32 v55, v49, 1
	v_mul_f32_e32 v49, v49, v54
	v_mov_b32_e32 v46, 0x3f317218
	v_pk_mul_f32 v[46:47], v[48:49], v[46:47]
	v_ldexp_f32 v29, v29, 1
	v_fma_f32 v49, v48, s4, -v46
	v_fmamk_f32 v54, v48, 0xb102e308, v49
	v_pk_add_f32 v[48:49], v[46:47], v[54:55]
	v_mov_b32_e32 v56, v46
	v_sub_f32_e32 v50, v49, v55
	v_sub_f32_e32 v50, v47, v50
	v_add_f32_e32 v57, v29, v50
	v_pk_add_f32 v[46:47], v[48:49], v[46:47] neg_lo:[0,1] neg_hi:[0,1]
	v_pk_add_f32 v[58:59], v[48:49], v[56:57]
	v_mov_b32_e32 v55, v48
	v_mov_b32_e32 v47, v59
	v_pk_add_f32 v[60:61], v[54:55], v[46:47] neg_lo:[0,1] neg_hi:[0,1]
	v_pk_add_f32 v[46:47], v[54:55], v[46:47]
	s_mov_b32 s4, 0x33800000
	v_mov_b32_e32 v50, v47
	v_pk_add_f32 v[54:55], v[50:51], v[48:49] neg_lo:[0,1] neg_hi:[0,1]
	v_mov_b32_e32 v46, v59
	v_mov_b32_e32 v29, v54
	v_pk_add_f32 v[62:63], v[58:59], v[28:29] neg_lo:[0,1] neg_hi:[0,1]
	v_mov_b32_e32 v58, v49
	v_mov_b32_e32 v59, v54
	;; [unrolled: 1-line block ×3, first 2 shown]
	v_pk_add_f32 v[46:47], v[46:47], v[58:59] neg_lo:[0,1] neg_hi:[0,1]
	v_mov_b32_e32 v54, v57
	v_mov_b32_e32 v55, v48
	v_pk_add_f32 v[46:47], v[54:55], v[46:47] neg_lo:[0,1] neg_hi:[0,1]
	v_mov_b32_e32 v62, v60
	v_pk_add_f32 v[48:49], v[62:63], v[46:47]
	v_cmp_lt_f32_e64 s[4:5], |v64|, s4
	v_mov_b32_e32 v54, v49
	v_pk_add_f32 v[54:55], v[48:49], v[54:55]
	s_or_b64 s[86:87], s[86:87], s[4:5]
	v_pk_add_f32 v[56:57], v[50:51], v[54:55]
	v_mov_b32_e32 v47, v54
	v_mov_b32_e32 v49, v56
	v_pk_add_f32 v[58:59], v[48:49], v[60:61] neg_lo:[0,1] neg_hi:[0,1]
	s_nop 0
	v_sub_f32_e32 v29, v48, v58
	v_pk_add_f32 v[46:47], v[46:47], v[58:59] neg_lo:[0,1] neg_hi:[0,1]
	v_sub_f32_e32 v29, v60, v29
	v_add_f32_e32 v29, v46, v29
	v_add_f32_e32 v29, v29, v47
	;; [unrolled: 1-line block ×3, first 2 shown]
	v_cndmask_b32_e64 v29, v29, v64, s[86:87]
	v_add_f32_e32 v54, v28, v29
.LBB171_84:
	s_or_b64 exec, exec, s[2:3]
	v_max_f32_e32 v28, v54, v54
	v_max_f32_e32 v46, v13, v13
	v_min_f32_e32 v29, v28, v46
	v_cmp_u_f32_e64 s[88:89], v54, v54
	v_max_f32_e32 v28, v28, v46
	v_cmp_u_f32_e64 s[86:87], v13, v13
	v_cndmask_b32_e64 v29, v29, v54, s[88:89]
	v_cndmask_b32_e64 v28, v28, v54, s[88:89]
	;; [unrolled: 1-line block ×4, first 2 shown]
	s_movk_i32 s4, 0x1f8
	v_cmp_neq_f32_e64 s[88:89], v29, v28
	v_cmp_class_f32_e64 s[2:3], v29, s4
	s_or_b64 s[48:49], s[88:89], s[2:3]
	s_and_saveexec_b64 s[2:3], s[48:49]
	s_cbranch_execz .LBB171_86
; %bb.85:
	v_sub_f32_e32 v29, v29, v28
	s_mov_b32 s5, 0x3fb8aa3b
	v_mul_f32_e32 v47, 0x3fb8aa3b, v29
	v_fma_f32 v48, v29, s5, -v47
	v_rndne_f32_e32 v49, v47
	v_fmamk_f32 v48, v29, 0x32a5705f, v48
	v_sub_f32_e32 v47, v47, v49
	v_add_f32_e32 v47, v47, v48
	v_exp_f32_e32 v47, v47
	v_cvt_i32_f32_e32 v48, v49
	s_mov_b32 s5, 0xc2ce8ed0
	v_cmp_ngt_f32_e64 s[88:89], s5, v29
	s_mov_b32 s5, 0x42b17218
	v_ldexp_f32 v47, v47, v48
	v_cndmask_b32_e64 v47, 0, v47, s[88:89]
	v_mov_b32_e32 v48, 0x7f800000
	v_cmp_nlt_f32_e64 s[88:89], s5, v29
	s_mov_b32 s5, 0x3f2aaaab
	s_mov_b32 s6, 0x7f800000
	v_cndmask_b32_e64 v47, v48, v47, s[88:89]
	v_add_f32_e32 v29, 1.0, v47
	v_add_f32_e32 v48, -1.0, v29
	v_sub_f32_e32 v49, v48, v29
	v_add_f32_e32 v49, 1.0, v49
	v_sub_f32_e32 v48, v47, v48
	v_add_f32_e32 v50, v48, v49
	v_frexp_mant_f32_e32 v54, v29
	v_cvt_f64_f32_e32 v[48:49], v29
	v_frexp_exp_i32_f64_e32 v48, v[48:49]
	v_cmp_gt_f32_e64 s[88:89], s5, v54
	s_mov_b32 s5, 0x3f317218
	s_nop 0
	v_subbrev_co_u32_e64 v60, s[88:89], 0, v48, s[88:89]
	v_sub_u32_e32 v48, 0, v60
	v_ldexp_f32 v29, v29, v48
	v_ldexp_f32 v48, v50, v48
	v_add_f32_e32 v50, -1.0, v29
	v_add_f32_e32 v49, 1.0, v50
	v_sub_f32_e32 v49, v29, v49
	v_add_f32_e32 v54, v48, v49
	v_add_f32_e32 v49, 1.0, v29
	v_add_f32_e32 v55, -1.0, v49
	v_sub_f32_e32 v29, v29, v55
	v_add_f32_e32 v29, v48, v29
	v_add_f32_e32 v61, v49, v29
	v_rcp_f32_e32 v62, v61
	v_sub_f32_e32 v48, v49, v61
	v_add_f32_e32 v49, v50, v54
	v_add_f32_e32 v29, v29, v48
	v_sub_f32_e32 v48, v50, v49
	v_mul_f32_e32 v63, v49, v62
	v_add_f32_e32 v50, v54, v48
	v_mul_f32_e32 v54, v61, v63
	v_fma_f32 v56, v63, v61, -v54
	v_fmac_f32_e32 v56, v63, v29
	v_add_f32_e32 v48, v54, v56
	v_sub_f32_e32 v55, v49, v48
	v_pk_add_f32 v[58:59], v[48:49], v[54:55] neg_lo:[0,1] neg_hi:[0,1]
	v_mov_b32_e32 v57, v48
	v_pk_add_f32 v[48:49], v[58:59], v[56:57] neg_lo:[0,1] neg_hi:[0,1]
	v_cmp_eq_f32_e64 s[88:89], s6, v47
	v_add_f32_e32 v49, v50, v49
	v_add_f32_e32 v48, v48, v49
	v_add_f32_e32 v49, v55, v48
	v_mul_f32_e32 v50, v62, v49
	v_mul_f32_e32 v54, v61, v50
	v_fma_f32 v56, v50, v61, -v54
	v_fmac_f32_e32 v56, v50, v29
	v_sub_f32_e32 v29, v55, v49
	v_add_f32_e32 v29, v48, v29
	v_add_f32_e32 v48, v54, v56
	v_sub_f32_e32 v55, v49, v48
	v_pk_add_f32 v[58:59], v[48:49], v[54:55] neg_lo:[0,1] neg_hi:[0,1]
	v_mov_b32_e32 v57, v48
	v_pk_add_f32 v[48:49], v[58:59], v[56:57] neg_lo:[0,1] neg_hi:[0,1]
	v_cvt_f32_i32_e32 v54, v60
	v_add_f32_e32 v29, v29, v49
	v_add_f32_e32 v29, v48, v29
	;; [unrolled: 1-line block ×4, first 2 shown]
	v_sub_f32_e32 v49, v48, v63
	v_mul_f32_e32 v29, v62, v29
	v_sub_f32_e32 v49, v50, v49
	v_add_f32_e32 v29, v49, v29
	v_add_f32_e32 v50, v48, v29
	v_mul_f32_e32 v55, v50, v50
	v_mov_b32_e32 v49, 0x3ecc95a3
	v_fmac_f32_e32 v49, 0x3e9b6dac, v55
	v_sub_f32_e32 v48, v50, v48
	v_fmaak_f32 v49, v55, v49, 0x3f2aaada
	v_sub_f32_e32 v29, v29, v48
	v_mul_f32_e32 v55, v50, v55
	v_mov_b32_e32 v48, 0x3f317218
	v_pk_mul_f32 v[48:49], v[54:55], v[48:49]
	v_ldexp_f32 v57, v50, 1
	v_fma_f32 v50, v54, s5, -v48
	v_fmamk_f32 v56, v54, 0xb102e308, v50
	v_pk_add_f32 v[54:55], v[48:49], v[56:57]
	v_ldexp_f32 v29, v29, 1
	v_sub_f32_e32 v50, v55, v57
	v_sub_f32_e32 v50, v49, v50
	v_add_f32_e32 v59, v29, v50
	v_mov_b32_e32 v58, v48
	v_pk_add_f32 v[48:49], v[54:55], v[48:49] neg_lo:[0,1] neg_hi:[0,1]
	v_pk_add_f32 v[60:61], v[54:55], v[58:59]
	v_mov_b32_e32 v57, v54
	v_mov_b32_e32 v49, v61
	v_pk_add_f32 v[62:63], v[56:57], v[48:49] neg_lo:[0,1] neg_hi:[0,1]
	v_pk_add_f32 v[48:49], v[56:57], v[48:49]
	s_mov_b32 s5, 0x33800000
	v_mov_b32_e32 v50, v49
	v_pk_add_f32 v[56:57], v[50:51], v[54:55] neg_lo:[0,1] neg_hi:[0,1]
	v_mov_b32_e32 v48, v61
	v_mov_b32_e32 v29, v56
	v_pk_add_f32 v[64:65], v[60:61], v[28:29] neg_lo:[0,1] neg_hi:[0,1]
	v_mov_b32_e32 v60, v55
	v_mov_b32_e32 v61, v56
	;; [unrolled: 1-line block ×3, first 2 shown]
	v_pk_add_f32 v[48:49], v[48:49], v[60:61] neg_lo:[0,1] neg_hi:[0,1]
	v_mov_b32_e32 v56, v59
	v_mov_b32_e32 v57, v54
	v_pk_add_f32 v[48:49], v[56:57], v[48:49] neg_lo:[0,1] neg_hi:[0,1]
	v_mov_b32_e32 v64, v62
	v_pk_add_f32 v[54:55], v[64:65], v[48:49]
	v_cmp_lt_f32_e64 s[48:49], |v47|, s5
	v_mov_b32_e32 v56, v55
	v_pk_add_f32 v[56:57], v[54:55], v[56:57]
	s_or_b64 s[88:89], s[88:89], s[48:49]
	v_pk_add_f32 v[58:59], v[50:51], v[56:57]
	v_mov_b32_e32 v49, v56
	v_mov_b32_e32 v55, v58
	v_pk_add_f32 v[60:61], v[54:55], v[62:63] neg_lo:[0,1] neg_hi:[0,1]
	s_nop 0
	v_sub_f32_e32 v29, v54, v60
	v_pk_add_f32 v[48:49], v[48:49], v[60:61] neg_lo:[0,1] neg_hi:[0,1]
	v_sub_f32_e32 v29, v62, v29
	v_add_f32_e32 v29, v48, v29
	v_add_f32_e32 v29, v29, v49
	;; [unrolled: 1-line block ×3, first 2 shown]
	v_cndmask_b32_e64 v29, v29, v47, s[88:89]
	v_add_f32_e32 v54, v28, v29
.LBB171_86:
	s_or_b64 exec, exec, s[2:3]
	v_max_f32_e32 v28, v54, v54
	v_max_f32_e32 v47, v6, v6
	v_min_f32_e32 v29, v28, v47
	v_cmp_u_f32_e64 s[90:91], v54, v54
	v_max_f32_e32 v28, v28, v47
	v_cmp_u_f32_e64 s[88:89], v6, v6
	v_cndmask_b32_e64 v29, v29, v54, s[90:91]
	v_cndmask_b32_e64 v28, v28, v54, s[90:91]
	;; [unrolled: 1-line block ×4, first 2 shown]
	v_cmp_neq_f32_e64 s[90:91], v29, v28
	v_cmp_class_f32_e64 s[2:3], v29, s4
	s_or_b64 s[4:5], s[90:91], s[2:3]
	s_and_saveexec_b64 s[2:3], s[4:5]
	s_cbranch_execz .LBB171_88
; %bb.87:
	v_sub_f32_e32 v29, v29, v28
	s_mov_b32 s4, 0x3fb8aa3b
	v_mul_f32_e32 v48, 0x3fb8aa3b, v29
	v_fma_f32 v49, v29, s4, -v48
	v_rndne_f32_e32 v50, v48
	v_fmamk_f32 v49, v29, 0x32a5705f, v49
	v_sub_f32_e32 v48, v48, v50
	v_add_f32_e32 v48, v48, v49
	v_exp_f32_e32 v48, v48
	v_cvt_i32_f32_e32 v49, v50
	s_mov_b32 s4, 0xc2ce8ed0
	v_cmp_ngt_f32_e64 s[90:91], s4, v29
	s_mov_b32 s4, 0x42b17218
	v_ldexp_f32 v48, v48, v49
	v_cndmask_b32_e64 v48, 0, v48, s[90:91]
	v_mov_b32_e32 v49, 0x7f800000
	v_cmp_nlt_f32_e64 s[90:91], s4, v29
	s_mov_b32 s4, 0x3f2aaaab
	s_mov_b32 s5, 0x7f800000
	v_cndmask_b32_e64 v66, v49, v48, s[90:91]
	v_add_f32_e32 v29, 1.0, v66
	v_add_f32_e32 v48, -1.0, v29
	v_sub_f32_e32 v49, v48, v29
	v_add_f32_e32 v49, 1.0, v49
	v_sub_f32_e32 v48, v66, v48
	v_add_f32_e32 v50, v48, v49
	v_frexp_mant_f32_e32 v54, v29
	v_cvt_f64_f32_e32 v[48:49], v29
	v_frexp_exp_i32_f64_e32 v48, v[48:49]
	v_cmp_gt_f32_e64 s[90:91], s4, v54
	s_mov_b32 s4, 0x3f317218
	s_nop 0
	v_subbrev_co_u32_e64 v60, s[90:91], 0, v48, s[90:91]
	v_sub_u32_e32 v48, 0, v60
	v_ldexp_f32 v29, v29, v48
	v_ldexp_f32 v48, v50, v48
	v_add_f32_e32 v50, -1.0, v29
	v_add_f32_e32 v49, 1.0, v50
	v_sub_f32_e32 v49, v29, v49
	v_add_f32_e32 v54, v48, v49
	v_add_f32_e32 v49, 1.0, v29
	v_add_f32_e32 v55, -1.0, v49
	v_sub_f32_e32 v29, v29, v55
	v_add_f32_e32 v29, v48, v29
	v_add_f32_e32 v61, v49, v29
	v_rcp_f32_e32 v62, v61
	v_sub_f32_e32 v48, v49, v61
	v_add_f32_e32 v49, v50, v54
	v_add_f32_e32 v29, v29, v48
	v_sub_f32_e32 v48, v50, v49
	v_mul_f32_e32 v63, v49, v62
	v_add_f32_e32 v50, v54, v48
	v_mul_f32_e32 v54, v61, v63
	v_fma_f32 v56, v63, v61, -v54
	v_fmac_f32_e32 v56, v63, v29
	v_add_f32_e32 v48, v54, v56
	v_sub_f32_e32 v55, v49, v48
	v_pk_add_f32 v[58:59], v[48:49], v[54:55] neg_lo:[0,1] neg_hi:[0,1]
	v_mov_b32_e32 v57, v48
	v_pk_add_f32 v[48:49], v[58:59], v[56:57] neg_lo:[0,1] neg_hi:[0,1]
	v_cmp_eq_f32_e64 s[90:91], s5, v66
	v_add_f32_e32 v49, v50, v49
	v_add_f32_e32 v48, v48, v49
	;; [unrolled: 1-line block ×3, first 2 shown]
	v_mul_f32_e32 v50, v62, v49
	v_mul_f32_e32 v54, v61, v50
	v_fma_f32 v56, v50, v61, -v54
	v_fmac_f32_e32 v56, v50, v29
	v_sub_f32_e32 v29, v55, v49
	v_add_f32_e32 v29, v48, v29
	v_add_f32_e32 v48, v54, v56
	v_sub_f32_e32 v55, v49, v48
	v_pk_add_f32 v[58:59], v[48:49], v[54:55] neg_lo:[0,1] neg_hi:[0,1]
	v_mov_b32_e32 v57, v48
	v_pk_add_f32 v[48:49], v[58:59], v[56:57] neg_lo:[0,1] neg_hi:[0,1]
	v_cvt_f32_i32_e32 v54, v60
	v_add_f32_e32 v29, v29, v49
	v_add_f32_e32 v29, v48, v29
	;; [unrolled: 1-line block ×4, first 2 shown]
	v_sub_f32_e32 v49, v48, v63
	v_mul_f32_e32 v29, v62, v29
	v_sub_f32_e32 v49, v50, v49
	v_add_f32_e32 v29, v49, v29
	v_add_f32_e32 v50, v48, v29
	v_mul_f32_e32 v55, v50, v50
	v_mov_b32_e32 v49, 0x3ecc95a3
	v_fmac_f32_e32 v49, 0x3e9b6dac, v55
	v_sub_f32_e32 v48, v50, v48
	v_fmaak_f32 v49, v55, v49, 0x3f2aaada
	v_sub_f32_e32 v29, v29, v48
	v_mul_f32_e32 v55, v50, v55
	v_mov_b32_e32 v48, 0x3f317218
	v_pk_mul_f32 v[48:49], v[54:55], v[48:49]
	v_ldexp_f32 v57, v50, 1
	v_fma_f32 v50, v54, s4, -v48
	v_fmamk_f32 v56, v54, 0xb102e308, v50
	v_pk_add_f32 v[54:55], v[48:49], v[56:57]
	v_ldexp_f32 v29, v29, 1
	v_sub_f32_e32 v50, v55, v57
	v_sub_f32_e32 v50, v49, v50
	v_add_f32_e32 v59, v29, v50
	v_mov_b32_e32 v58, v48
	v_pk_add_f32 v[48:49], v[54:55], v[48:49] neg_lo:[0,1] neg_hi:[0,1]
	v_pk_add_f32 v[60:61], v[54:55], v[58:59]
	v_mov_b32_e32 v57, v54
	v_mov_b32_e32 v49, v61
	v_pk_add_f32 v[62:63], v[56:57], v[48:49] neg_lo:[0,1] neg_hi:[0,1]
	v_pk_add_f32 v[48:49], v[56:57], v[48:49]
	s_mov_b32 s4, 0x33800000
	v_mov_b32_e32 v50, v49
	v_pk_add_f32 v[56:57], v[50:51], v[54:55] neg_lo:[0,1] neg_hi:[0,1]
	v_mov_b32_e32 v48, v61
	v_mov_b32_e32 v29, v56
	v_pk_add_f32 v[64:65], v[60:61], v[28:29] neg_lo:[0,1] neg_hi:[0,1]
	v_mov_b32_e32 v60, v55
	v_mov_b32_e32 v61, v56
	;; [unrolled: 1-line block ×3, first 2 shown]
	v_pk_add_f32 v[48:49], v[48:49], v[60:61] neg_lo:[0,1] neg_hi:[0,1]
	v_mov_b32_e32 v56, v59
	v_mov_b32_e32 v57, v54
	v_pk_add_f32 v[48:49], v[56:57], v[48:49] neg_lo:[0,1] neg_hi:[0,1]
	v_mov_b32_e32 v64, v62
	v_pk_add_f32 v[54:55], v[64:65], v[48:49]
	v_cmp_lt_f32_e64 s[4:5], |v66|, s4
	v_mov_b32_e32 v56, v55
	v_pk_add_f32 v[56:57], v[54:55], v[56:57]
	s_or_b64 s[90:91], s[90:91], s[4:5]
	v_pk_add_f32 v[58:59], v[50:51], v[56:57]
	v_mov_b32_e32 v49, v56
	v_mov_b32_e32 v55, v58
	v_pk_add_f32 v[60:61], v[54:55], v[62:63] neg_lo:[0,1] neg_hi:[0,1]
	s_nop 0
	v_sub_f32_e32 v29, v54, v60
	v_pk_add_f32 v[48:49], v[48:49], v[60:61] neg_lo:[0,1] neg_hi:[0,1]
	v_sub_f32_e32 v29, v62, v29
	v_add_f32_e32 v29, v48, v29
	v_add_f32_e32 v29, v29, v49
	;; [unrolled: 1-line block ×3, first 2 shown]
	v_cndmask_b32_e64 v29, v29, v66, s[90:91]
	v_add_f32_e32 v54, v28, v29
.LBB171_88:
	s_or_b64 exec, exec, s[2:3]
	v_max_f32_e32 v28, v54, v54
	v_max_f32_e32 v48, v7, v7
	v_min_f32_e32 v29, v28, v48
	v_cmp_u_f32_e64 s[92:93], v54, v54
	v_max_f32_e32 v28, v28, v48
	v_cmp_u_f32_e64 s[90:91], v7, v7
	v_cndmask_b32_e64 v29, v29, v54, s[92:93]
	v_cndmask_b32_e64 v28, v28, v54, s[92:93]
	;; [unrolled: 1-line block ×4, first 2 shown]
	s_movk_i32 s4, 0x1f8
	v_cmp_neq_f32_e64 s[92:93], v29, v28
	v_cmp_class_f32_e64 s[2:3], v29, s4
	s_or_b64 s[48:49], s[92:93], s[2:3]
	s_and_saveexec_b64 s[2:3], s[48:49]
	s_cbranch_execz .LBB171_90
; %bb.89:
	v_sub_f32_e32 v29, v29, v28
	s_mov_b32 s5, 0x3fb8aa3b
	v_mul_f32_e32 v49, 0x3fb8aa3b, v29
	v_fma_f32 v50, v29, s5, -v49
	v_rndne_f32_e32 v54, v49
	v_fmamk_f32 v50, v29, 0x32a5705f, v50
	v_sub_f32_e32 v49, v49, v54
	v_add_f32_e32 v49, v49, v50
	v_exp_f32_e32 v49, v49
	v_cvt_i32_f32_e32 v50, v54
	s_mov_b32 s5, 0xc2ce8ed0
	v_cmp_ngt_f32_e64 s[92:93], s5, v29
	s_mov_b32 s5, 0x42b17218
	v_ldexp_f32 v49, v49, v50
	v_cndmask_b32_e64 v49, 0, v49, s[92:93]
	v_mov_b32_e32 v50, 0x7f800000
	v_cmp_nlt_f32_e64 s[92:93], s5, v29
	s_mov_b32 s5, 0x3f2aaaab
	s_mov_b32 s6, 0x7f800000
	v_cndmask_b32_e64 v49, v50, v49, s[92:93]
	v_add_f32_e32 v29, 1.0, v49
	v_add_f32_e32 v50, -1.0, v29
	v_sub_f32_e32 v54, v50, v29
	v_add_f32_e32 v54, 1.0, v54
	v_sub_f32_e32 v50, v49, v50
	v_add_f32_e32 v50, v50, v54
	v_frexp_mant_f32_e32 v56, v29
	v_cvt_f64_f32_e32 v[54:55], v29
	v_frexp_exp_i32_f64_e32 v54, v[54:55]
	v_cmp_gt_f32_e64 s[92:93], s5, v56
	s_mov_b32 s5, 0x3f317218
	s_nop 0
	v_subbrev_co_u32_e64 v62, s[92:93], 0, v54, s[92:93]
	v_sub_u32_e32 v54, 0, v62
	v_ldexp_f32 v29, v29, v54
	v_ldexp_f32 v50, v50, v54
	v_add_f32_e32 v54, -1.0, v29
	v_add_f32_e32 v55, 1.0, v54
	v_sub_f32_e32 v55, v29, v55
	v_add_f32_e32 v56, v50, v55
	v_add_f32_e32 v55, 1.0, v29
	v_add_f32_e32 v57, -1.0, v55
	v_sub_f32_e32 v29, v29, v57
	v_add_f32_e32 v29, v50, v29
	v_add_f32_e32 v50, v55, v29
	v_rcp_f32_e32 v63, v50
	v_sub_f32_e32 v55, v55, v50
	v_add_f32_e32 v29, v29, v55
	v_add_f32_e32 v55, v54, v56
	v_sub_f32_e32 v54, v54, v55
	v_mul_f32_e32 v65, v55, v63
	v_add_f32_e32 v64, v56, v54
	v_mul_f32_e32 v56, v50, v65
	v_fma_f32 v58, v65, v50, -v56
	v_fmac_f32_e32 v58, v65, v29
	v_add_f32_e32 v54, v56, v58
	v_sub_f32_e32 v57, v55, v54
	v_pk_add_f32 v[60:61], v[54:55], v[56:57] neg_lo:[0,1] neg_hi:[0,1]
	v_mov_b32_e32 v59, v54
	v_pk_add_f32 v[54:55], v[60:61], v[58:59] neg_lo:[0,1] neg_hi:[0,1]
	v_cmp_eq_f32_e64 s[92:93], s6, v49
	v_add_f32_e32 v55, v64, v55
	v_add_f32_e32 v54, v54, v55
	v_add_f32_e32 v55, v57, v54
	v_mul_f32_e32 v64, v63, v55
	v_mul_f32_e32 v56, v50, v64
	v_fma_f32 v58, v64, v50, -v56
	v_fmac_f32_e32 v58, v64, v29
	v_sub_f32_e32 v29, v57, v55
	v_add_f32_e32 v29, v54, v29
	v_add_f32_e32 v54, v56, v58
	v_sub_f32_e32 v57, v55, v54
	v_pk_add_f32 v[60:61], v[54:55], v[56:57] neg_lo:[0,1] neg_hi:[0,1]
	v_mov_b32_e32 v59, v54
	v_pk_add_f32 v[54:55], v[60:61], v[58:59] neg_lo:[0,1] neg_hi:[0,1]
	v_add_f32_e32 v50, v65, v64
	v_add_f32_e32 v29, v29, v55
	;; [unrolled: 1-line block ×4, first 2 shown]
	v_sub_f32_e32 v54, v50, v65
	v_mul_f32_e32 v29, v63, v29
	v_sub_f32_e32 v54, v64, v54
	v_add_f32_e32 v29, v54, v29
	v_add_f32_e32 v54, v50, v29
	v_cvt_f32_i32_e32 v56, v62
	v_mul_f32_e32 v57, v54, v54
	v_mov_b32_e32 v55, 0x3ecc95a3
	v_fmac_f32_e32 v55, 0x3e9b6dac, v57
	v_fmaak_f32 v55, v57, v55, 0x3f2aaada
	v_sub_f32_e32 v50, v54, v50
	v_ldexp_f32 v59, v54, 1
	v_mul_f32_e32 v57, v54, v57
	v_mov_b32_e32 v54, 0x3f317218
	v_pk_mul_f32 v[54:55], v[56:57], v[54:55]
	v_sub_f32_e32 v29, v29, v50
	v_fma_f32 v50, v56, s5, -v54
	v_fmamk_f32 v58, v56, 0xb102e308, v50
	v_pk_add_f32 v[56:57], v[54:55], v[58:59]
	v_ldexp_f32 v29, v29, 1
	v_sub_f32_e32 v50, v57, v59
	v_sub_f32_e32 v50, v55, v50
	v_add_f32_e32 v61, v29, v50
	v_mov_b32_e32 v60, v54
	v_pk_add_f32 v[54:55], v[56:57], v[54:55] neg_lo:[0,1] neg_hi:[0,1]
	v_pk_add_f32 v[62:63], v[56:57], v[60:61]
	v_mov_b32_e32 v59, v56
	v_mov_b32_e32 v55, v63
	v_pk_add_f32 v[64:65], v[58:59], v[54:55] neg_lo:[0,1] neg_hi:[0,1]
	v_pk_add_f32 v[54:55], v[58:59], v[54:55]
	s_mov_b32 s5, 0x33800000
	v_mov_b32_e32 v50, v55
	v_pk_add_f32 v[58:59], v[50:51], v[56:57] neg_lo:[0,1] neg_hi:[0,1]
	v_mov_b32_e32 v54, v63
	v_mov_b32_e32 v29, v58
	v_pk_add_f32 v[66:67], v[62:63], v[28:29] neg_lo:[0,1] neg_hi:[0,1]
	v_mov_b32_e32 v62, v57
	v_mov_b32_e32 v63, v58
	;; [unrolled: 1-line block ×3, first 2 shown]
	v_pk_add_f32 v[54:55], v[54:55], v[62:63] neg_lo:[0,1] neg_hi:[0,1]
	v_mov_b32_e32 v58, v61
	v_mov_b32_e32 v59, v56
	v_pk_add_f32 v[54:55], v[58:59], v[54:55] neg_lo:[0,1] neg_hi:[0,1]
	v_mov_b32_e32 v66, v64
	v_pk_add_f32 v[56:57], v[66:67], v[54:55]
	v_cmp_lt_f32_e64 s[48:49], |v49|, s5
	v_mov_b32_e32 v58, v57
	v_pk_add_f32 v[58:59], v[56:57], v[58:59]
	s_or_b64 s[92:93], s[92:93], s[48:49]
	v_pk_add_f32 v[60:61], v[50:51], v[58:59]
	v_mov_b32_e32 v55, v58
	v_mov_b32_e32 v57, v60
	v_pk_add_f32 v[62:63], v[56:57], v[64:65] neg_lo:[0,1] neg_hi:[0,1]
	s_nop 0
	v_sub_f32_e32 v29, v56, v62
	v_pk_add_f32 v[54:55], v[54:55], v[62:63] neg_lo:[0,1] neg_hi:[0,1]
	v_sub_f32_e32 v29, v64, v29
	v_add_f32_e32 v29, v54, v29
	v_add_f32_e32 v29, v29, v55
	v_add_f32_e32 v29, v60, v29
	v_cndmask_b32_e64 v29, v29, v49, s[92:93]
	v_add_f32_e32 v54, v28, v29
.LBB171_90:
	s_or_b64 exec, exec, s[2:3]
	v_max_f32_e32 v28, v54, v54
	v_max_f32_e32 v49, v8, v8
	v_min_f32_e32 v29, v28, v49
	v_cmp_u_f32_e64 s[94:95], v54, v54
	v_max_f32_e32 v28, v28, v49
	v_cmp_u_f32_e64 s[92:93], v8, v8
	v_cndmask_b32_e64 v29, v29, v54, s[94:95]
	v_cndmask_b32_e64 v28, v28, v54, s[94:95]
	;; [unrolled: 1-line block ×4, first 2 shown]
	v_cmp_neq_f32_e64 s[94:95], v29, v28
	v_cmp_class_f32_e64 s[2:3], v29, s4
	s_or_b64 s[4:5], s[94:95], s[2:3]
	s_and_saveexec_b64 s[2:3], s[4:5]
	s_cbranch_execz .LBB171_92
; %bb.91:
	v_sub_f32_e32 v29, v29, v28
	s_mov_b32 s4, 0x3fb8aa3b
	v_mul_f32_e32 v50, 0x3fb8aa3b, v29
	v_fma_f32 v54, v29, s4, -v50
	v_rndne_f32_e32 v55, v50
	v_fmamk_f32 v54, v29, 0x32a5705f, v54
	v_sub_f32_e32 v50, v50, v55
	v_add_f32_e32 v50, v50, v54
	v_exp_f32_e32 v50, v50
	v_cvt_i32_f32_e32 v54, v55
	s_mov_b32 s4, 0xc2ce8ed0
	v_cmp_ngt_f32_e64 s[94:95], s4, v29
	s_mov_b32 s4, 0x42b17218
	v_ldexp_f32 v50, v50, v54
	v_cndmask_b32_e64 v50, 0, v50, s[94:95]
	v_mov_b32_e32 v54, 0x7f800000
	v_cmp_nlt_f32_e64 s[94:95], s4, v29
	s_mov_b32 s4, 0x3f2aaaab
	s_mov_b32 s5, 0x7f800000
	v_cndmask_b32_e64 v68, v54, v50, s[94:95]
	v_add_f32_e32 v29, 1.0, v68
	v_add_f32_e32 v50, -1.0, v29
	v_sub_f32_e32 v54, v50, v29
	v_add_f32_e32 v54, 1.0, v54
	v_sub_f32_e32 v50, v68, v50
	v_add_f32_e32 v50, v50, v54
	v_frexp_mant_f32_e32 v56, v29
	v_cvt_f64_f32_e32 v[54:55], v29
	v_frexp_exp_i32_f64_e32 v54, v[54:55]
	v_cmp_gt_f32_e64 s[94:95], s4, v56
	s_mov_b32 s4, 0x3f317218
	s_nop 0
	v_subbrev_co_u32_e64 v62, s[94:95], 0, v54, s[94:95]
	v_sub_u32_e32 v54, 0, v62
	v_ldexp_f32 v29, v29, v54
	v_ldexp_f32 v50, v50, v54
	v_add_f32_e32 v54, -1.0, v29
	v_add_f32_e32 v55, 1.0, v54
	v_sub_f32_e32 v55, v29, v55
	v_add_f32_e32 v56, v50, v55
	v_add_f32_e32 v55, 1.0, v29
	v_add_f32_e32 v57, -1.0, v55
	v_sub_f32_e32 v29, v29, v57
	v_add_f32_e32 v29, v50, v29
	v_add_f32_e32 v50, v55, v29
	v_rcp_f32_e32 v63, v50
	v_sub_f32_e32 v55, v55, v50
	v_add_f32_e32 v29, v29, v55
	v_add_f32_e32 v55, v54, v56
	v_sub_f32_e32 v54, v54, v55
	v_mul_f32_e32 v65, v55, v63
	v_add_f32_e32 v64, v56, v54
	v_mul_f32_e32 v56, v50, v65
	v_fma_f32 v58, v65, v50, -v56
	v_fmac_f32_e32 v58, v65, v29
	v_add_f32_e32 v54, v56, v58
	v_sub_f32_e32 v57, v55, v54
	v_pk_add_f32 v[60:61], v[54:55], v[56:57] neg_lo:[0,1] neg_hi:[0,1]
	v_mov_b32_e32 v59, v54
	v_pk_add_f32 v[54:55], v[60:61], v[58:59] neg_lo:[0,1] neg_hi:[0,1]
	v_cmp_eq_f32_e64 s[94:95], s5, v68
	v_add_f32_e32 v55, v64, v55
	v_add_f32_e32 v54, v54, v55
	;; [unrolled: 1-line block ×3, first 2 shown]
	v_mul_f32_e32 v64, v63, v55
	v_mul_f32_e32 v56, v50, v64
	v_fma_f32 v58, v64, v50, -v56
	v_fmac_f32_e32 v58, v64, v29
	v_sub_f32_e32 v29, v57, v55
	v_add_f32_e32 v29, v54, v29
	v_add_f32_e32 v54, v56, v58
	v_sub_f32_e32 v57, v55, v54
	v_pk_add_f32 v[60:61], v[54:55], v[56:57] neg_lo:[0,1] neg_hi:[0,1]
	v_mov_b32_e32 v59, v54
	v_pk_add_f32 v[54:55], v[60:61], v[58:59] neg_lo:[0,1] neg_hi:[0,1]
	v_add_f32_e32 v50, v65, v64
	v_add_f32_e32 v29, v29, v55
	;; [unrolled: 1-line block ×4, first 2 shown]
	v_sub_f32_e32 v54, v50, v65
	v_mul_f32_e32 v29, v63, v29
	v_sub_f32_e32 v54, v64, v54
	v_add_f32_e32 v29, v54, v29
	v_add_f32_e32 v54, v50, v29
	v_cvt_f32_i32_e32 v56, v62
	v_mul_f32_e32 v57, v54, v54
	v_mov_b32_e32 v55, 0x3ecc95a3
	v_fmac_f32_e32 v55, 0x3e9b6dac, v57
	v_fmaak_f32 v55, v57, v55, 0x3f2aaada
	v_sub_f32_e32 v50, v54, v50
	v_ldexp_f32 v59, v54, 1
	v_mul_f32_e32 v57, v54, v57
	v_mov_b32_e32 v54, 0x3f317218
	v_pk_mul_f32 v[54:55], v[56:57], v[54:55]
	v_sub_f32_e32 v29, v29, v50
	v_fma_f32 v50, v56, s4, -v54
	v_fmamk_f32 v58, v56, 0xb102e308, v50
	v_pk_add_f32 v[56:57], v[54:55], v[58:59]
	v_ldexp_f32 v29, v29, 1
	v_sub_f32_e32 v50, v57, v59
	v_sub_f32_e32 v50, v55, v50
	v_add_f32_e32 v61, v29, v50
	v_mov_b32_e32 v60, v54
	v_pk_add_f32 v[54:55], v[56:57], v[54:55] neg_lo:[0,1] neg_hi:[0,1]
	v_pk_add_f32 v[62:63], v[56:57], v[60:61]
	v_mov_b32_e32 v59, v56
	v_mov_b32_e32 v55, v63
	v_pk_add_f32 v[64:65], v[58:59], v[54:55] neg_lo:[0,1] neg_hi:[0,1]
	v_pk_add_f32 v[54:55], v[58:59], v[54:55]
	s_mov_b32 s4, 0x33800000
	v_mov_b32_e32 v50, v55
	v_pk_add_f32 v[58:59], v[50:51], v[56:57] neg_lo:[0,1] neg_hi:[0,1]
	v_mov_b32_e32 v54, v63
	v_mov_b32_e32 v29, v58
	v_pk_add_f32 v[66:67], v[62:63], v[28:29] neg_lo:[0,1] neg_hi:[0,1]
	v_mov_b32_e32 v62, v57
	v_mov_b32_e32 v63, v58
	v_mov_b32_e32 v65, v55
	v_pk_add_f32 v[54:55], v[54:55], v[62:63] neg_lo:[0,1] neg_hi:[0,1]
	v_mov_b32_e32 v58, v61
	v_mov_b32_e32 v59, v56
	v_pk_add_f32 v[54:55], v[58:59], v[54:55] neg_lo:[0,1] neg_hi:[0,1]
	v_mov_b32_e32 v66, v64
	v_pk_add_f32 v[56:57], v[66:67], v[54:55]
	v_cmp_lt_f32_e64 s[4:5], |v68|, s4
	v_mov_b32_e32 v58, v57
	v_pk_add_f32 v[58:59], v[56:57], v[58:59]
	s_or_b64 s[94:95], s[94:95], s[4:5]
	v_pk_add_f32 v[60:61], v[50:51], v[58:59]
	v_mov_b32_e32 v55, v58
	v_mov_b32_e32 v57, v60
	v_pk_add_f32 v[62:63], v[56:57], v[64:65] neg_lo:[0,1] neg_hi:[0,1]
	s_nop 0
	v_sub_f32_e32 v29, v56, v62
	v_pk_add_f32 v[54:55], v[54:55], v[62:63] neg_lo:[0,1] neg_hi:[0,1]
	v_sub_f32_e32 v29, v64, v29
	v_add_f32_e32 v29, v54, v29
	v_add_f32_e32 v29, v29, v55
	;; [unrolled: 1-line block ×3, first 2 shown]
	v_cndmask_b32_e64 v29, v29, v68, s[94:95]
	v_add_f32_e32 v54, v28, v29
.LBB171_92:
	s_or_b64 exec, exec, s[2:3]
	v_max_f32_e32 v28, v54, v54
	v_max_f32_e32 v50, v9, v9
	v_min_f32_e32 v29, v28, v50
	v_cmp_u_f32_e64 s[98:99], v54, v54
	v_max_f32_e32 v28, v28, v50
	v_cmp_u_f32_e64 s[94:95], v9, v9
	v_cndmask_b32_e64 v29, v29, v54, s[98:99]
	v_cndmask_b32_e64 v28, v28, v54, s[98:99]
	;; [unrolled: 1-line block ×4, first 2 shown]
	s_movk_i32 s2, 0x1f8
	v_cmp_neq_f32_e64 s[98:99], v29, v28
	v_cmp_class_f32_e64 s[2:3], v29, s2
	s_or_b64 s[4:5], s[98:99], s[2:3]
	s_and_saveexec_b64 s[2:3], s[4:5]
	s_cbranch_execz .LBB171_94
; %bb.93:
	v_sub_f32_e32 v29, v29, v28
	s_mov_b32 s4, 0x3fb8aa3b
	v_mul_f32_e32 v54, 0x3fb8aa3b, v29
	v_fma_f32 v55, v29, s4, -v54
	v_rndne_f32_e32 v56, v54
	v_fmamk_f32 v55, v29, 0x32a5705f, v55
	v_sub_f32_e32 v54, v54, v56
	v_add_f32_e32 v54, v54, v55
	v_exp_f32_e32 v54, v54
	v_cvt_i32_f32_e32 v55, v56
	s_mov_b32 s4, 0xc2ce8ed0
	v_cmp_ngt_f32_e64 s[98:99], s4, v29
	s_mov_b32 s4, 0x42b17218
	v_ldexp_f32 v54, v54, v55
	v_cndmask_b32_e64 v54, 0, v54, s[98:99]
	v_mov_b32_e32 v55, 0x7f800000
	v_cmp_nlt_f32_e64 s[98:99], s4, v29
	s_mov_b32 s4, 0x3f2aaaab
	s_mov_b32 s5, 0x7f800000
	v_cndmask_b32_e64 v70, v55, v54, s[98:99]
	v_add_f32_e32 v29, 1.0, v70
	v_add_f32_e32 v54, -1.0, v29
	v_sub_f32_e32 v55, v54, v29
	v_add_f32_e32 v55, 1.0, v55
	v_sub_f32_e32 v54, v70, v54
	v_add_f32_e32 v56, v54, v55
	v_frexp_mant_f32_e32 v57, v29
	v_cvt_f64_f32_e32 v[54:55], v29
	v_frexp_exp_i32_f64_e32 v54, v[54:55]
	v_cmp_gt_f32_e64 s[98:99], s4, v57
	s_mov_b32 s4, 0x3f317218
	s_nop 0
	v_subbrev_co_u32_e64 v62, s[98:99], 0, v54, s[98:99]
	v_sub_u32_e32 v54, 0, v62
	v_ldexp_f32 v29, v29, v54
	v_ldexp_f32 v54, v56, v54
	v_add_f32_e32 v56, -1.0, v29
	v_add_f32_e32 v55, 1.0, v56
	v_sub_f32_e32 v55, v29, v55
	v_add_f32_e32 v57, v54, v55
	v_add_f32_e32 v55, 1.0, v29
	v_add_f32_e32 v58, -1.0, v55
	v_sub_f32_e32 v29, v29, v58
	v_add_f32_e32 v29, v54, v29
	v_add_f32_e32 v63, v55, v29
	v_rcp_f32_e32 v64, v63
	v_sub_f32_e32 v54, v55, v63
	v_add_f32_e32 v55, v56, v57
	v_add_f32_e32 v29, v29, v54
	v_mul_f32_e32 v66, v55, v64
	v_sub_f32_e32 v54, v56, v55
	v_mul_f32_e32 v56, v63, v66
	v_fma_f32 v58, v66, v63, -v56
	v_fmac_f32_e32 v58, v66, v29
	v_add_f32_e32 v65, v57, v54
	v_add_f32_e32 v54, v56, v58
	v_sub_f32_e32 v57, v55, v54
	v_pk_add_f32 v[60:61], v[54:55], v[56:57] neg_lo:[0,1] neg_hi:[0,1]
	v_mov_b32_e32 v59, v54
	v_pk_add_f32 v[54:55], v[60:61], v[58:59] neg_lo:[0,1] neg_hi:[0,1]
	v_cmp_eq_f32_e64 s[98:99], s5, v70
	v_add_f32_e32 v55, v65, v55
	v_add_f32_e32 v54, v54, v55
	;; [unrolled: 1-line block ×3, first 2 shown]
	v_mul_f32_e32 v65, v64, v55
	v_mul_f32_e32 v56, v63, v65
	v_fma_f32 v58, v65, v63, -v56
	v_fmac_f32_e32 v58, v65, v29
	v_sub_f32_e32 v29, v57, v55
	v_add_f32_e32 v29, v54, v29
	v_add_f32_e32 v54, v56, v58
	v_sub_f32_e32 v57, v55, v54
	v_pk_add_f32 v[60:61], v[54:55], v[56:57] neg_lo:[0,1] neg_hi:[0,1]
	v_mov_b32_e32 v59, v54
	v_pk_add_f32 v[54:55], v[60:61], v[58:59] neg_lo:[0,1] neg_hi:[0,1]
	v_cvt_f32_i32_e32 v56, v62
	v_add_f32_e32 v29, v29, v55
	v_add_f32_e32 v29, v54, v29
	;; [unrolled: 1-line block ×4, first 2 shown]
	v_sub_f32_e32 v55, v54, v66
	v_mul_f32_e32 v29, v64, v29
	v_sub_f32_e32 v55, v65, v55
	v_add_f32_e32 v29, v55, v29
	v_add_f32_e32 v57, v54, v29
	v_mul_f32_e32 v58, v57, v57
	v_mov_b32_e32 v55, 0x3ecc95a3
	v_fmac_f32_e32 v55, 0x3e9b6dac, v58
	v_sub_f32_e32 v54, v57, v54
	v_fmaak_f32 v55, v58, v55, 0x3f2aaada
	v_sub_f32_e32 v29, v29, v54
	v_ldexp_f32 v59, v57, 1
	v_mul_f32_e32 v57, v57, v58
	v_mov_b32_e32 v54, 0x3f317218
	v_pk_mul_f32 v[54:55], v[56:57], v[54:55]
	v_ldexp_f32 v29, v29, 1
	v_fma_f32 v57, v56, s4, -v54
	v_fmamk_f32 v58, v56, 0xb102e308, v57
	v_pk_add_f32 v[56:57], v[54:55], v[58:59]
	v_mov_b32_e32 v60, v54
	v_sub_f32_e32 v59, v57, v59
	v_sub_f32_e32 v59, v55, v59
	v_add_f32_e32 v61, v29, v59
	v_pk_add_f32 v[54:55], v[56:57], v[54:55] neg_lo:[0,1] neg_hi:[0,1]
	v_pk_add_f32 v[62:63], v[56:57], v[60:61]
	v_mov_b32_e32 v59, v56
	v_mov_b32_e32 v55, v63
	v_pk_add_f32 v[64:65], v[58:59], v[54:55] neg_lo:[0,1] neg_hi:[0,1]
	v_pk_add_f32 v[54:55], v[58:59], v[54:55]
	v_mov_b32_e32 v60, v61
	v_mov_b32_e32 v58, v55
	v_pk_add_f32 v[66:67], v[58:59], v[56:57] neg_lo:[0,1] neg_hi:[0,1]
	v_mov_b32_e32 v54, v63
	v_mov_b32_e32 v29, v66
	v_pk_add_f32 v[68:69], v[62:63], v[28:29] neg_lo:[0,1] neg_hi:[0,1]
	v_mov_b32_e32 v62, v57
	v_mov_b32_e32 v63, v66
	;; [unrolled: 1-line block ×3, first 2 shown]
	v_pk_add_f32 v[54:55], v[54:55], v[62:63] neg_lo:[0,1] neg_hi:[0,1]
	v_mov_b32_e32 v61, v56
	v_pk_add_f32 v[54:55], v[60:61], v[54:55] neg_lo:[0,1] neg_hi:[0,1]
	v_mov_b32_e32 v68, v64
	v_pk_add_f32 v[56:57], v[68:69], v[54:55]
	s_mov_b32 s4, 0x33800000
	v_mov_b32_e32 v60, v57
	v_pk_add_f32 v[60:61], v[56:57], v[60:61]
	v_cmp_lt_f32_e64 s[4:5], |v70|, s4
	v_pk_add_f32 v[58:59], v[58:59], v[60:61]
	v_mov_b32_e32 v55, v60
	v_mov_b32_e32 v57, v58
	v_pk_add_f32 v[62:63], v[56:57], v[64:65] neg_lo:[0,1] neg_hi:[0,1]
	s_or_b64 s[98:99], s[98:99], s[4:5]
	v_sub_f32_e32 v29, v56, v62
	v_pk_add_f32 v[54:55], v[54:55], v[62:63] neg_lo:[0,1] neg_hi:[0,1]
	v_sub_f32_e32 v29, v64, v29
	v_add_f32_e32 v29, v54, v29
	v_add_f32_e32 v29, v29, v55
	v_add_f32_e32 v29, v58, v29
	v_cndmask_b32_e64 v29, v29, v70, s[98:99]
	v_add_f32_e32 v54, v28, v29
.LBB171_94:
	s_or_b64 exec, exec, s[2:3]
	v_lshrrev_b32_e32 v28, 3, v0
	v_and_b32_e32 v29, 28, v28
	v_add_u32_e32 v29, v26, v29
	v_cmp_gt_u32_e64 s[98:99], 64, v0
	ds_write_b32 v29, v54
	s_waitcnt lgkmcnt(0)
	s_barrier
	s_and_saveexec_b64 s[2:3], s[98:99]
	s_cbranch_execz .LBB171_134
; %bb.95:
	v_add_lshl_u32 v55, v28, v26, 2
	ds_read2_b32 v[28:29], v55 offset1:1
	s_movk_i32 s33, 0x1f8
	s_waitcnt lgkmcnt(0)
	v_max_f32_e32 v57, v29, v29
	v_max_f32_e32 v56, v28, v28
	v_cmp_u_f32_e64 s[98:99], v28, v28
	v_min_f32_e32 v58, v56, v57
	v_max_f32_e32 v59, v56, v57
	v_cmp_u_f32_e32 vcc, v29, v29
	v_cndmask_b32_e64 v57, v58, v28, s[98:99]
	v_cndmask_b32_e64 v58, v59, v28, s[98:99]
	v_cndmask_b32_e32 v57, v57, v29, vcc
	v_cndmask_b32_e32 v29, v58, v29, vcc
	v_cmp_neq_f32_e32 vcc, v57, v29
	v_cmp_class_f32_e64 s[4:5], v57, s33
	s_or_b64 s[48:49], vcc, s[4:5]
	v_mov_b32_e32 v58, v28
	s_and_saveexec_b64 s[4:5], s[48:49]
	s_cbranch_execz .LBB171_97
; %bb.96:
	v_sub_f32_e32 v57, v57, v29
	s_mov_b32 s6, 0x3fb8aa3b
	v_mul_f32_e32 v58, 0x3fb8aa3b, v57
	v_fma_f32 v59, v57, s6, -v58
	v_rndne_f32_e32 v60, v58
	v_fmamk_f32 v59, v57, 0x32a5705f, v59
	v_sub_f32_e32 v58, v58, v60
	v_add_f32_e32 v58, v58, v59
	v_exp_f32_e32 v58, v58
	v_cvt_i32_f32_e32 v59, v60
	s_mov_b32 s6, 0xc2ce8ed0
	v_cmp_ngt_f32_e32 vcc, s6, v57
	s_mov_b32 s6, 0x42b17218
	v_ldexp_f32 v58, v58, v59
	v_cndmask_b32_e32 v58, 0, v58, vcc
	v_mov_b32_e32 v59, 0x7f800000
	v_cmp_nlt_f32_e32 vcc, s6, v57
	s_mov_b32 s6, 0x3f2aaaab
	s_mov_b32 s7, 0x7f800000
	v_cndmask_b32_e32 v74, v59, v58, vcc
	v_add_f32_e32 v57, 1.0, v74
	v_add_f32_e32 v58, -1.0, v57
	v_sub_f32_e32 v59, v58, v57
	v_add_f32_e32 v59, 1.0, v59
	v_sub_f32_e32 v58, v74, v58
	v_add_f32_e32 v60, v58, v59
	v_frexp_mant_f32_e32 v61, v57
	v_cvt_f64_f32_e32 v[58:59], v57
	v_frexp_exp_i32_f64_e32 v58, v[58:59]
	v_cmp_gt_f32_e32 vcc, s6, v61
	s_mov_b32 s6, 0x3f317218
	s_nop 0
	v_subbrev_co_u32_e32 v66, vcc, 0, v58, vcc
	v_sub_u32_e32 v58, 0, v66
	v_ldexp_f32 v57, v57, v58
	v_ldexp_f32 v58, v60, v58
	v_add_f32_e32 v60, -1.0, v57
	v_add_f32_e32 v59, 1.0, v60
	v_sub_f32_e32 v59, v57, v59
	v_add_f32_e32 v61, v58, v59
	v_add_f32_e32 v59, 1.0, v57
	v_add_f32_e32 v62, -1.0, v59
	v_sub_f32_e32 v57, v57, v62
	v_add_f32_e32 v57, v58, v57
	v_add_f32_e32 v67, v59, v57
	v_rcp_f32_e32 v68, v67
	v_sub_f32_e32 v58, v59, v67
	v_add_f32_e32 v59, v60, v61
	v_add_f32_e32 v57, v57, v58
	v_mul_f32_e32 v70, v59, v68
	v_sub_f32_e32 v58, v60, v59
	v_mul_f32_e32 v60, v67, v70
	v_fma_f32 v62, v70, v67, -v60
	v_fmac_f32_e32 v62, v70, v57
	v_add_f32_e32 v69, v61, v58
	v_add_f32_e32 v58, v60, v62
	v_sub_f32_e32 v61, v59, v58
	v_pk_add_f32 v[64:65], v[58:59], v[60:61] neg_lo:[0,1] neg_hi:[0,1]
	v_mov_b32_e32 v63, v58
	v_pk_add_f32 v[58:59], v[64:65], v[62:63] neg_lo:[0,1] neg_hi:[0,1]
	v_cmp_eq_f32_e32 vcc, s7, v74
	v_add_f32_e32 v59, v69, v59
	v_add_f32_e32 v58, v58, v59
	v_add_f32_e32 v59, v61, v58
	v_mul_f32_e32 v69, v68, v59
	v_mul_f32_e32 v60, v67, v69
	v_fma_f32 v62, v69, v67, -v60
	v_fmac_f32_e32 v62, v69, v57
	v_sub_f32_e32 v57, v61, v59
	v_add_f32_e32 v57, v58, v57
	v_add_f32_e32 v58, v60, v62
	v_sub_f32_e32 v61, v59, v58
	v_pk_add_f32 v[64:65], v[58:59], v[60:61] neg_lo:[0,1] neg_hi:[0,1]
	v_mov_b32_e32 v63, v58
	v_pk_add_f32 v[58:59], v[64:65], v[62:63] neg_lo:[0,1] neg_hi:[0,1]
	v_cvt_f32_i32_e32 v60, v66
	v_add_f32_e32 v57, v57, v59
	v_add_f32_e32 v57, v58, v57
	v_add_f32_e32 v58, v70, v69
	v_add_f32_e32 v57, v61, v57
	v_sub_f32_e32 v59, v58, v70
	v_mul_f32_e32 v57, v68, v57
	v_sub_f32_e32 v59, v69, v59
	v_add_f32_e32 v57, v59, v57
	v_add_f32_e32 v61, v58, v57
	v_mul_f32_e32 v62, v61, v61
	v_mov_b32_e32 v59, 0x3ecc95a3
	v_fmac_f32_e32 v59, 0x3e9b6dac, v62
	v_sub_f32_e32 v58, v61, v58
	v_fmaak_f32 v59, v62, v59, 0x3f2aaada
	v_sub_f32_e32 v57, v57, v58
	v_ldexp_f32 v63, v61, 1
	v_mul_f32_e32 v61, v61, v62
	v_mov_b32_e32 v58, 0x3f317218
	v_pk_mul_f32 v[58:59], v[60:61], v[58:59]
	v_ldexp_f32 v57, v57, 1
	v_fma_f32 v61, v60, s6, -v58
	v_fmamk_f32 v62, v60, 0xb102e308, v61
	v_pk_add_f32 v[60:61], v[58:59], v[62:63]
	v_mov_b32_e32 v64, v58
	v_sub_f32_e32 v63, v61, v63
	v_sub_f32_e32 v63, v59, v63
	v_add_f32_e32 v65, v57, v63
	v_pk_add_f32 v[58:59], v[60:61], v[58:59] neg_lo:[0,1] neg_hi:[0,1]
	v_pk_add_f32 v[66:67], v[60:61], v[64:65]
	v_mov_b32_e32 v63, v60
	v_mov_b32_e32 v59, v67
	v_pk_add_f32 v[68:69], v[62:63], v[58:59] neg_lo:[0,1] neg_hi:[0,1]
	v_pk_add_f32 v[58:59], v[62:63], v[58:59]
	v_mov_b32_e32 v64, v65
	v_mov_b32_e32 v62, v59
	v_pk_add_f32 v[70:71], v[62:63], v[60:61] neg_lo:[0,1] neg_hi:[0,1]
	v_mov_b32_e32 v58, v67
	v_mov_b32_e32 v57, v70
	v_pk_add_f32 v[72:73], v[66:67], v[56:57] neg_lo:[0,1] neg_hi:[0,1]
	v_mov_b32_e32 v66, v61
	v_mov_b32_e32 v67, v70
	;; [unrolled: 1-line block ×3, first 2 shown]
	v_pk_add_f32 v[58:59], v[58:59], v[66:67] neg_lo:[0,1] neg_hi:[0,1]
	v_mov_b32_e32 v65, v60
	v_pk_add_f32 v[58:59], v[64:65], v[58:59] neg_lo:[0,1] neg_hi:[0,1]
	v_mov_b32_e32 v72, v68
	v_pk_add_f32 v[60:61], v[72:73], v[58:59]
	s_mov_b32 s6, 0x33800000
	v_mov_b32_e32 v64, v61
	v_pk_add_f32 v[64:65], v[60:61], v[64:65]
	v_cmp_lt_f32_e64 s[6:7], |v74|, s6
	v_pk_add_f32 v[62:63], v[62:63], v[64:65]
	v_mov_b32_e32 v59, v64
	v_mov_b32_e32 v61, v62
	v_pk_add_f32 v[66:67], v[60:61], v[68:69] neg_lo:[0,1] neg_hi:[0,1]
	s_or_b64 vcc, vcc, s[6:7]
	v_sub_f32_e32 v57, v60, v66
	v_pk_add_f32 v[58:59], v[58:59], v[66:67] neg_lo:[0,1] neg_hi:[0,1]
	v_sub_f32_e32 v57, v68, v57
	v_add_f32_e32 v57, v58, v57
	v_add_f32_e32 v57, v57, v59
	;; [unrolled: 1-line block ×3, first 2 shown]
	v_cndmask_b32_e32 v57, v57, v74, vcc
	v_add_f32_e32 v58, v29, v57
.LBB171_97:
	s_or_b64 exec, exec, s[4:5]
	ds_read_b32 v29, v55 offset:8
	v_max_f32_e32 v57, v58, v58
	v_cmp_u_f32_e32 vcc, v58, v58
	s_waitcnt lgkmcnt(0)
	v_max_f32_e32 v59, v29, v29
	v_min_f32_e32 v60, v57, v59
	v_max_f32_e32 v59, v57, v59
	v_cmp_u_f32_e64 s[48:49], v29, v29
	v_cndmask_b32_e32 v57, v60, v58, vcc
	v_cndmask_b32_e32 v59, v59, v58, vcc
	v_cndmask_b32_e64 v57, v57, v29, s[48:49]
	v_cndmask_b32_e64 v29, v59, v29, s[48:49]
	v_cmp_neq_f32_e32 vcc, v57, v29
	v_cmp_class_f32_e64 s[4:5], v57, s33
	s_or_b64 s[6:7], vcc, s[4:5]
	s_and_saveexec_b64 s[4:5], s[6:7]
	s_cbranch_execz .LBB171_99
; %bb.98:
	v_sub_f32_e32 v57, v57, v29
	s_mov_b32 s6, 0x3fb8aa3b
	v_mul_f32_e32 v58, 0x3fb8aa3b, v57
	v_fma_f32 v59, v57, s6, -v58
	v_rndne_f32_e32 v60, v58
	v_fmamk_f32 v59, v57, 0x32a5705f, v59
	v_sub_f32_e32 v58, v58, v60
	v_add_f32_e32 v58, v58, v59
	v_exp_f32_e32 v58, v58
	v_cvt_i32_f32_e32 v59, v60
	s_mov_b32 s6, 0xc2ce8ed0
	v_cmp_ngt_f32_e32 vcc, s6, v57
	s_mov_b32 s6, 0x42b17218
	v_ldexp_f32 v58, v58, v59
	v_cndmask_b32_e32 v58, 0, v58, vcc
	v_mov_b32_e32 v59, 0x7f800000
	v_cmp_nlt_f32_e32 vcc, s6, v57
	s_mov_b32 s6, 0x3f2aaaab
	s_mov_b32 s7, 0x7f800000
	v_cndmask_b32_e32 v74, v59, v58, vcc
	v_add_f32_e32 v57, 1.0, v74
	v_add_f32_e32 v58, -1.0, v57
	v_sub_f32_e32 v59, v58, v57
	v_add_f32_e32 v59, 1.0, v59
	v_sub_f32_e32 v58, v74, v58
	v_add_f32_e32 v60, v58, v59
	v_frexp_mant_f32_e32 v61, v57
	v_cvt_f64_f32_e32 v[58:59], v57
	v_frexp_exp_i32_f64_e32 v58, v[58:59]
	v_cmp_gt_f32_e32 vcc, s6, v61
	s_mov_b32 s6, 0x3f317218
	s_nop 0
	v_subbrev_co_u32_e32 v66, vcc, 0, v58, vcc
	v_sub_u32_e32 v58, 0, v66
	v_ldexp_f32 v57, v57, v58
	v_ldexp_f32 v58, v60, v58
	v_add_f32_e32 v60, -1.0, v57
	v_add_f32_e32 v59, 1.0, v60
	v_sub_f32_e32 v59, v57, v59
	v_add_f32_e32 v61, v58, v59
	v_add_f32_e32 v59, 1.0, v57
	v_add_f32_e32 v62, -1.0, v59
	v_sub_f32_e32 v57, v57, v62
	v_add_f32_e32 v57, v58, v57
	v_add_f32_e32 v67, v59, v57
	v_rcp_f32_e32 v68, v67
	v_sub_f32_e32 v58, v59, v67
	v_add_f32_e32 v59, v60, v61
	v_add_f32_e32 v57, v57, v58
	v_mul_f32_e32 v70, v59, v68
	v_sub_f32_e32 v58, v60, v59
	v_mul_f32_e32 v60, v67, v70
	v_fma_f32 v62, v70, v67, -v60
	v_fmac_f32_e32 v62, v70, v57
	v_add_f32_e32 v69, v61, v58
	v_add_f32_e32 v58, v60, v62
	v_sub_f32_e32 v61, v59, v58
	v_pk_add_f32 v[64:65], v[58:59], v[60:61] neg_lo:[0,1] neg_hi:[0,1]
	v_mov_b32_e32 v63, v58
	v_pk_add_f32 v[58:59], v[64:65], v[62:63] neg_lo:[0,1] neg_hi:[0,1]
	v_cmp_eq_f32_e32 vcc, s7, v74
	v_add_f32_e32 v59, v69, v59
	v_add_f32_e32 v58, v58, v59
	;; [unrolled: 1-line block ×3, first 2 shown]
	v_mul_f32_e32 v69, v68, v59
	v_mul_f32_e32 v60, v67, v69
	v_fma_f32 v62, v69, v67, -v60
	v_fmac_f32_e32 v62, v69, v57
	v_sub_f32_e32 v57, v61, v59
	v_add_f32_e32 v57, v58, v57
	v_add_f32_e32 v58, v60, v62
	v_sub_f32_e32 v61, v59, v58
	v_pk_add_f32 v[64:65], v[58:59], v[60:61] neg_lo:[0,1] neg_hi:[0,1]
	v_mov_b32_e32 v63, v58
	v_pk_add_f32 v[58:59], v[64:65], v[62:63] neg_lo:[0,1] neg_hi:[0,1]
	v_cvt_f32_i32_e32 v60, v66
	v_add_f32_e32 v57, v57, v59
	v_add_f32_e32 v57, v58, v57
	;; [unrolled: 1-line block ×4, first 2 shown]
	v_sub_f32_e32 v59, v58, v70
	v_mul_f32_e32 v57, v68, v57
	v_sub_f32_e32 v59, v69, v59
	v_add_f32_e32 v57, v59, v57
	v_add_f32_e32 v61, v58, v57
	v_mul_f32_e32 v62, v61, v61
	v_mov_b32_e32 v59, 0x3ecc95a3
	v_fmac_f32_e32 v59, 0x3e9b6dac, v62
	v_sub_f32_e32 v58, v61, v58
	v_fmaak_f32 v59, v62, v59, 0x3f2aaada
	v_sub_f32_e32 v57, v57, v58
	v_ldexp_f32 v63, v61, 1
	v_mul_f32_e32 v61, v61, v62
	v_mov_b32_e32 v58, 0x3f317218
	v_pk_mul_f32 v[58:59], v[60:61], v[58:59]
	v_ldexp_f32 v57, v57, 1
	v_fma_f32 v61, v60, s6, -v58
	v_fmamk_f32 v62, v60, 0xb102e308, v61
	v_pk_add_f32 v[60:61], v[58:59], v[62:63]
	v_mov_b32_e32 v64, v58
	v_sub_f32_e32 v63, v61, v63
	v_sub_f32_e32 v63, v59, v63
	v_add_f32_e32 v65, v57, v63
	v_pk_add_f32 v[58:59], v[60:61], v[58:59] neg_lo:[0,1] neg_hi:[0,1]
	v_pk_add_f32 v[66:67], v[60:61], v[64:65]
	v_mov_b32_e32 v63, v60
	v_mov_b32_e32 v59, v67
	v_pk_add_f32 v[68:69], v[62:63], v[58:59] neg_lo:[0,1] neg_hi:[0,1]
	v_pk_add_f32 v[58:59], v[62:63], v[58:59]
	v_mov_b32_e32 v64, v65
	v_mov_b32_e32 v62, v59
	v_pk_add_f32 v[70:71], v[62:63], v[60:61] neg_lo:[0,1] neg_hi:[0,1]
	v_mov_b32_e32 v58, v67
	v_mov_b32_e32 v57, v70
	v_pk_add_f32 v[72:73], v[66:67], v[56:57] neg_lo:[0,1] neg_hi:[0,1]
	v_mov_b32_e32 v66, v61
	v_mov_b32_e32 v67, v70
	;; [unrolled: 1-line block ×3, first 2 shown]
	v_pk_add_f32 v[58:59], v[58:59], v[66:67] neg_lo:[0,1] neg_hi:[0,1]
	v_mov_b32_e32 v65, v60
	v_pk_add_f32 v[58:59], v[64:65], v[58:59] neg_lo:[0,1] neg_hi:[0,1]
	v_mov_b32_e32 v72, v68
	v_pk_add_f32 v[60:61], v[72:73], v[58:59]
	s_mov_b32 s6, 0x33800000
	v_mov_b32_e32 v64, v61
	v_pk_add_f32 v[64:65], v[60:61], v[64:65]
	v_cmp_lt_f32_e64 s[6:7], |v74|, s6
	v_pk_add_f32 v[62:63], v[62:63], v[64:65]
	v_mov_b32_e32 v59, v64
	v_mov_b32_e32 v61, v62
	v_pk_add_f32 v[66:67], v[60:61], v[68:69] neg_lo:[0,1] neg_hi:[0,1]
	s_or_b64 vcc, vcc, s[6:7]
	v_sub_f32_e32 v57, v60, v66
	v_pk_add_f32 v[58:59], v[58:59], v[66:67] neg_lo:[0,1] neg_hi:[0,1]
	v_sub_f32_e32 v57, v68, v57
	v_add_f32_e32 v57, v58, v57
	v_add_f32_e32 v57, v57, v59
	;; [unrolled: 1-line block ×3, first 2 shown]
	v_cndmask_b32_e32 v57, v57, v74, vcc
	v_add_f32_e32 v58, v29, v57
.LBB171_99:
	s_or_b64 exec, exec, s[4:5]
	ds_read_b32 v29, v55 offset:12
	v_max_f32_e32 v57, v58, v58
	v_cmp_u_f32_e32 vcc, v58, v58
	s_movk_i32 s4, 0x1f8
	s_waitcnt lgkmcnt(0)
	v_max_f32_e32 v59, v29, v29
	v_min_f32_e32 v60, v57, v59
	v_max_f32_e32 v59, v57, v59
	v_cmp_u_f32_e64 s[48:49], v29, v29
	v_cndmask_b32_e32 v57, v60, v58, vcc
	v_cndmask_b32_e32 v59, v59, v58, vcc
	v_cndmask_b32_e64 v57, v57, v29, s[48:49]
	v_cndmask_b32_e64 v29, v59, v29, s[48:49]
	v_cmp_neq_f32_e32 vcc, v57, v29
	v_cmp_class_f32_e64 s[4:5], v57, s4
	s_or_b64 s[6:7], vcc, s[4:5]
	s_and_saveexec_b64 s[4:5], s[6:7]
	s_cbranch_execz .LBB171_101
; %bb.100:
	v_sub_f32_e32 v57, v57, v29
	s_mov_b32 s6, 0x3fb8aa3b
	v_mul_f32_e32 v58, 0x3fb8aa3b, v57
	v_fma_f32 v59, v57, s6, -v58
	v_rndne_f32_e32 v60, v58
	v_fmamk_f32 v59, v57, 0x32a5705f, v59
	v_sub_f32_e32 v58, v58, v60
	v_add_f32_e32 v58, v58, v59
	v_exp_f32_e32 v58, v58
	v_cvt_i32_f32_e32 v59, v60
	s_mov_b32 s6, 0xc2ce8ed0
	v_cmp_ngt_f32_e32 vcc, s6, v57
	s_mov_b32 s6, 0x42b17218
	v_ldexp_f32 v58, v58, v59
	v_cndmask_b32_e32 v58, 0, v58, vcc
	v_mov_b32_e32 v59, 0x7f800000
	v_cmp_nlt_f32_e32 vcc, s6, v57
	s_mov_b32 s6, 0x3f2aaaab
	s_mov_b32 s7, 0x7f800000
	v_cndmask_b32_e32 v74, v59, v58, vcc
	v_add_f32_e32 v57, 1.0, v74
	v_add_f32_e32 v58, -1.0, v57
	v_sub_f32_e32 v59, v58, v57
	v_add_f32_e32 v59, 1.0, v59
	v_sub_f32_e32 v58, v74, v58
	v_add_f32_e32 v60, v58, v59
	v_frexp_mant_f32_e32 v61, v57
	v_cvt_f64_f32_e32 v[58:59], v57
	v_frexp_exp_i32_f64_e32 v58, v[58:59]
	v_cmp_gt_f32_e32 vcc, s6, v61
	s_mov_b32 s6, 0x3f317218
	s_nop 0
	v_subbrev_co_u32_e32 v66, vcc, 0, v58, vcc
	v_sub_u32_e32 v58, 0, v66
	v_ldexp_f32 v57, v57, v58
	v_ldexp_f32 v58, v60, v58
	v_add_f32_e32 v60, -1.0, v57
	v_add_f32_e32 v59, 1.0, v60
	v_sub_f32_e32 v59, v57, v59
	v_add_f32_e32 v61, v58, v59
	v_add_f32_e32 v59, 1.0, v57
	v_add_f32_e32 v62, -1.0, v59
	v_sub_f32_e32 v57, v57, v62
	v_add_f32_e32 v57, v58, v57
	v_add_f32_e32 v67, v59, v57
	v_rcp_f32_e32 v68, v67
	v_sub_f32_e32 v58, v59, v67
	v_add_f32_e32 v59, v60, v61
	v_add_f32_e32 v57, v57, v58
	v_mul_f32_e32 v70, v59, v68
	v_sub_f32_e32 v58, v60, v59
	v_mul_f32_e32 v60, v67, v70
	v_fma_f32 v62, v70, v67, -v60
	v_fmac_f32_e32 v62, v70, v57
	v_add_f32_e32 v69, v61, v58
	v_add_f32_e32 v58, v60, v62
	v_sub_f32_e32 v61, v59, v58
	v_pk_add_f32 v[64:65], v[58:59], v[60:61] neg_lo:[0,1] neg_hi:[0,1]
	v_mov_b32_e32 v63, v58
	v_pk_add_f32 v[58:59], v[64:65], v[62:63] neg_lo:[0,1] neg_hi:[0,1]
	v_cmp_eq_f32_e32 vcc, s7, v74
	v_add_f32_e32 v59, v69, v59
	v_add_f32_e32 v58, v58, v59
	;; [unrolled: 1-line block ×3, first 2 shown]
	v_mul_f32_e32 v69, v68, v59
	v_mul_f32_e32 v60, v67, v69
	v_fma_f32 v62, v69, v67, -v60
	v_fmac_f32_e32 v62, v69, v57
	v_sub_f32_e32 v57, v61, v59
	v_add_f32_e32 v57, v58, v57
	v_add_f32_e32 v58, v60, v62
	v_sub_f32_e32 v61, v59, v58
	v_pk_add_f32 v[64:65], v[58:59], v[60:61] neg_lo:[0,1] neg_hi:[0,1]
	v_mov_b32_e32 v63, v58
	v_pk_add_f32 v[58:59], v[64:65], v[62:63] neg_lo:[0,1] neg_hi:[0,1]
	v_cvt_f32_i32_e32 v60, v66
	v_add_f32_e32 v57, v57, v59
	v_add_f32_e32 v57, v58, v57
	;; [unrolled: 1-line block ×4, first 2 shown]
	v_sub_f32_e32 v59, v58, v70
	v_mul_f32_e32 v57, v68, v57
	v_sub_f32_e32 v59, v69, v59
	v_add_f32_e32 v57, v59, v57
	v_add_f32_e32 v61, v58, v57
	v_mul_f32_e32 v62, v61, v61
	v_mov_b32_e32 v59, 0x3ecc95a3
	v_fmac_f32_e32 v59, 0x3e9b6dac, v62
	v_sub_f32_e32 v58, v61, v58
	v_fmaak_f32 v59, v62, v59, 0x3f2aaada
	v_sub_f32_e32 v57, v57, v58
	v_ldexp_f32 v63, v61, 1
	v_mul_f32_e32 v61, v61, v62
	v_mov_b32_e32 v58, 0x3f317218
	v_pk_mul_f32 v[58:59], v[60:61], v[58:59]
	v_ldexp_f32 v57, v57, 1
	v_fma_f32 v61, v60, s6, -v58
	v_fmamk_f32 v62, v60, 0xb102e308, v61
	v_pk_add_f32 v[60:61], v[58:59], v[62:63]
	v_mov_b32_e32 v64, v58
	v_sub_f32_e32 v63, v61, v63
	v_sub_f32_e32 v63, v59, v63
	v_add_f32_e32 v65, v57, v63
	v_pk_add_f32 v[58:59], v[60:61], v[58:59] neg_lo:[0,1] neg_hi:[0,1]
	v_pk_add_f32 v[66:67], v[60:61], v[64:65]
	v_mov_b32_e32 v63, v60
	v_mov_b32_e32 v59, v67
	v_pk_add_f32 v[68:69], v[62:63], v[58:59] neg_lo:[0,1] neg_hi:[0,1]
	v_pk_add_f32 v[58:59], v[62:63], v[58:59]
	v_mov_b32_e32 v64, v65
	v_mov_b32_e32 v62, v59
	v_pk_add_f32 v[70:71], v[62:63], v[60:61] neg_lo:[0,1] neg_hi:[0,1]
	v_mov_b32_e32 v58, v67
	v_mov_b32_e32 v57, v70
	v_pk_add_f32 v[72:73], v[66:67], v[56:57] neg_lo:[0,1] neg_hi:[0,1]
	v_mov_b32_e32 v66, v61
	v_mov_b32_e32 v67, v70
	;; [unrolled: 1-line block ×3, first 2 shown]
	v_pk_add_f32 v[58:59], v[58:59], v[66:67] neg_lo:[0,1] neg_hi:[0,1]
	v_mov_b32_e32 v65, v60
	v_pk_add_f32 v[58:59], v[64:65], v[58:59] neg_lo:[0,1] neg_hi:[0,1]
	v_mov_b32_e32 v72, v68
	v_pk_add_f32 v[60:61], v[72:73], v[58:59]
	s_mov_b32 s6, 0x33800000
	v_mov_b32_e32 v64, v61
	v_pk_add_f32 v[64:65], v[60:61], v[64:65]
	v_cmp_lt_f32_e64 s[6:7], |v74|, s6
	v_pk_add_f32 v[62:63], v[62:63], v[64:65]
	v_mov_b32_e32 v59, v64
	v_mov_b32_e32 v61, v62
	v_pk_add_f32 v[66:67], v[60:61], v[68:69] neg_lo:[0,1] neg_hi:[0,1]
	s_or_b64 vcc, vcc, s[6:7]
	v_sub_f32_e32 v57, v60, v66
	v_pk_add_f32 v[58:59], v[58:59], v[66:67] neg_lo:[0,1] neg_hi:[0,1]
	v_sub_f32_e32 v57, v68, v57
	v_add_f32_e32 v57, v58, v57
	v_add_f32_e32 v57, v57, v59
	;; [unrolled: 1-line block ×3, first 2 shown]
	v_cndmask_b32_e32 v57, v57, v74, vcc
	v_add_f32_e32 v58, v29, v57
.LBB171_101:
	s_or_b64 exec, exec, s[4:5]
	v_mbcnt_lo_u32_b32 v29, -1, 0
	v_mbcnt_hi_u32_b32 v29, -1, v29
	v_and_b32_e32 v57, 15, v29
	v_mov_b32_dpp v59, v58 row_shr:1 row_mask:0xf bank_mask:0xf
	v_cmp_ne_u32_e32 vcc, 0, v57
	s_and_saveexec_b64 s[4:5], vcc
	s_xor_b64 s[4:5], exec, s[4:5]
	s_cbranch_execz .LBB171_105
; %bb.102:
	v_max_f32_e32 v61, v58, v58
	v_max_f32_e32 v62, v59, v59
	v_min_f32_e32 v60, v62, v61
	v_cmp_u_f32_e64 s[48:49], v59, v59
	v_max_f32_e32 v61, v62, v61
	v_cmp_u_f32_e32 vcc, v58, v58
	v_cndmask_b32_e64 v60, v60, v59, s[48:49]
	v_cndmask_b32_e64 v61, v61, v59, s[48:49]
	v_cndmask_b32_e32 v60, v60, v58, vcc
	v_cndmask_b32_e32 v58, v61, v58, vcc
	s_movk_i32 s6, 0x1f8
	v_cmp_neq_f32_e32 vcc, v60, v58
	v_cmp_class_f32_e64 s[48:49], v60, s6
	s_or_b64 vcc, vcc, s[48:49]
	s_and_saveexec_b64 s[48:49], vcc
	s_cbranch_execz .LBB171_104
; %bb.103:
	v_sub_f32_e32 v59, v60, v58
	s_mov_b32 s6, 0x3fb8aa3b
	v_mul_f32_e32 v60, 0x3fb8aa3b, v59
	v_fma_f32 v61, v59, s6, -v60
	v_rndne_f32_e32 v62, v60
	v_fmamk_f32 v61, v59, 0x32a5705f, v61
	v_sub_f32_e32 v60, v60, v62
	v_add_f32_e32 v60, v60, v61
	v_exp_f32_e32 v60, v60
	v_cvt_i32_f32_e32 v61, v62
	s_mov_b32 s6, 0xc2ce8ed0
	v_cmp_ngt_f32_e32 vcc, s6, v59
	s_mov_b32 s6, 0x42b17218
	v_ldexp_f32 v60, v60, v61
	v_cndmask_b32_e32 v60, 0, v60, vcc
	v_mov_b32_e32 v61, 0x7f800000
	v_cmp_nlt_f32_e32 vcc, s6, v59
	s_mov_b32 s6, 0x3f2aaaab
	s_mov_b32 s7, 0x7f800000
	v_cndmask_b32_e32 v76, v61, v60, vcc
	v_add_f32_e32 v59, 1.0, v76
	v_add_f32_e32 v60, -1.0, v59
	v_sub_f32_e32 v61, v60, v59
	v_add_f32_e32 v61, 1.0, v61
	v_sub_f32_e32 v60, v76, v60
	v_add_f32_e32 v62, v60, v61
	v_frexp_mant_f32_e32 v63, v59
	v_cvt_f64_f32_e32 v[60:61], v59
	v_frexp_exp_i32_f64_e32 v60, v[60:61]
	v_cmp_gt_f32_e32 vcc, s6, v63
	s_mov_b32 s6, 0x3f317218
	s_nop 0
	v_subbrev_co_u32_e32 v68, vcc, 0, v60, vcc
	v_sub_u32_e32 v60, 0, v68
	v_ldexp_f32 v59, v59, v60
	v_ldexp_f32 v60, v62, v60
	v_add_f32_e32 v62, -1.0, v59
	v_add_f32_e32 v61, 1.0, v62
	v_sub_f32_e32 v61, v59, v61
	v_add_f32_e32 v63, v60, v61
	v_add_f32_e32 v61, 1.0, v59
	v_add_f32_e32 v64, -1.0, v61
	v_sub_f32_e32 v59, v59, v64
	v_add_f32_e32 v59, v60, v59
	v_add_f32_e32 v69, v61, v59
	v_rcp_f32_e32 v70, v69
	v_sub_f32_e32 v60, v61, v69
	v_add_f32_e32 v61, v62, v63
	v_add_f32_e32 v59, v59, v60
	v_mul_f32_e32 v72, v61, v70
	v_sub_f32_e32 v60, v62, v61
	v_mul_f32_e32 v62, v69, v72
	v_fma_f32 v64, v72, v69, -v62
	v_fmac_f32_e32 v64, v72, v59
	v_add_f32_e32 v71, v63, v60
	v_add_f32_e32 v60, v62, v64
	v_sub_f32_e32 v63, v61, v60
	v_pk_add_f32 v[66:67], v[60:61], v[62:63] neg_lo:[0,1] neg_hi:[0,1]
	v_mov_b32_e32 v65, v60
	v_pk_add_f32 v[60:61], v[66:67], v[64:65] neg_lo:[0,1] neg_hi:[0,1]
	v_cmp_eq_f32_e32 vcc, s7, v76
	v_add_f32_e32 v61, v71, v61
	v_add_f32_e32 v60, v60, v61
	;; [unrolled: 1-line block ×3, first 2 shown]
	v_mul_f32_e32 v71, v70, v61
	v_mul_f32_e32 v62, v69, v71
	v_fma_f32 v64, v71, v69, -v62
	v_fmac_f32_e32 v64, v71, v59
	v_sub_f32_e32 v59, v63, v61
	v_add_f32_e32 v59, v60, v59
	v_add_f32_e32 v60, v62, v64
	v_sub_f32_e32 v63, v61, v60
	v_pk_add_f32 v[66:67], v[60:61], v[62:63] neg_lo:[0,1] neg_hi:[0,1]
	v_mov_b32_e32 v65, v60
	v_pk_add_f32 v[60:61], v[66:67], v[64:65] neg_lo:[0,1] neg_hi:[0,1]
	v_cvt_f32_i32_e32 v62, v68
	v_add_f32_e32 v59, v59, v61
	v_add_f32_e32 v59, v60, v59
	;; [unrolled: 1-line block ×4, first 2 shown]
	v_sub_f32_e32 v61, v60, v72
	v_mul_f32_e32 v59, v70, v59
	v_sub_f32_e32 v61, v71, v61
	v_add_f32_e32 v59, v61, v59
	v_add_f32_e32 v63, v60, v59
	v_mul_f32_e32 v64, v63, v63
	v_mov_b32_e32 v61, 0x3ecc95a3
	v_fmac_f32_e32 v61, 0x3e9b6dac, v64
	v_sub_f32_e32 v60, v63, v60
	v_fmaak_f32 v61, v64, v61, 0x3f2aaada
	v_sub_f32_e32 v59, v59, v60
	v_ldexp_f32 v65, v63, 1
	v_mul_f32_e32 v63, v63, v64
	v_mov_b32_e32 v60, 0x3f317218
	v_pk_mul_f32 v[60:61], v[62:63], v[60:61]
	v_ldexp_f32 v59, v59, 1
	v_fma_f32 v63, v62, s6, -v60
	v_fmamk_f32 v64, v62, 0xb102e308, v63
	v_pk_add_f32 v[62:63], v[60:61], v[64:65]
	v_mov_b32_e32 v66, v60
	v_sub_f32_e32 v65, v63, v65
	v_sub_f32_e32 v65, v61, v65
	v_add_f32_e32 v67, v59, v65
	v_pk_add_f32 v[60:61], v[62:63], v[60:61] neg_lo:[0,1] neg_hi:[0,1]
	v_pk_add_f32 v[68:69], v[62:63], v[66:67]
	v_mov_b32_e32 v65, v62
	v_mov_b32_e32 v61, v69
	v_pk_add_f32 v[70:71], v[64:65], v[60:61] neg_lo:[0,1] neg_hi:[0,1]
	v_pk_add_f32 v[60:61], v[64:65], v[60:61]
	v_mov_b32_e32 v66, v67
	v_mov_b32_e32 v64, v61
	v_pk_add_f32 v[72:73], v[64:65], v[62:63] neg_lo:[0,1] neg_hi:[0,1]
	v_mov_b32_e32 v60, v69
	v_mov_b32_e32 v59, v72
	v_pk_add_f32 v[74:75], v[68:69], v[58:59] neg_lo:[0,1] neg_hi:[0,1]
	v_mov_b32_e32 v68, v63
	v_mov_b32_e32 v69, v72
	;; [unrolled: 1-line block ×3, first 2 shown]
	v_pk_add_f32 v[60:61], v[60:61], v[68:69] neg_lo:[0,1] neg_hi:[0,1]
	v_mov_b32_e32 v67, v62
	v_pk_add_f32 v[60:61], v[66:67], v[60:61] neg_lo:[0,1] neg_hi:[0,1]
	v_mov_b32_e32 v74, v70
	v_pk_add_f32 v[62:63], v[74:75], v[60:61]
	s_mov_b32 s6, 0x33800000
	v_mov_b32_e32 v66, v63
	v_pk_add_f32 v[66:67], v[62:63], v[66:67]
	v_cmp_lt_f32_e64 s[6:7], |v76|, s6
	v_pk_add_f32 v[64:65], v[64:65], v[66:67]
	v_mov_b32_e32 v61, v66
	v_mov_b32_e32 v63, v64
	v_pk_add_f32 v[68:69], v[62:63], v[70:71] neg_lo:[0,1] neg_hi:[0,1]
	s_or_b64 vcc, vcc, s[6:7]
	v_sub_f32_e32 v59, v62, v68
	v_pk_add_f32 v[60:61], v[60:61], v[68:69] neg_lo:[0,1] neg_hi:[0,1]
	v_sub_f32_e32 v59, v70, v59
	v_add_f32_e32 v59, v60, v59
	v_add_f32_e32 v59, v59, v61
	;; [unrolled: 1-line block ×3, first 2 shown]
	v_cndmask_b32_e32 v59, v59, v76, vcc
	v_add_f32_e32 v59, v58, v59
.LBB171_104:
	s_or_b64 exec, exec, s[48:49]
	v_mov_b32_e32 v58, v59
.LBB171_105:
	s_or_b64 exec, exec, s[4:5]
	s_nop 0
	v_mov_b32_dpp v59, v58 row_shr:2 row_mask:0xf bank_mask:0xf
	v_cmp_lt_u32_e32 vcc, 1, v57
	s_and_saveexec_b64 s[4:5], vcc
	s_cbranch_execz .LBB171_109
; %bb.106:
	v_max_f32_e32 v61, v58, v58
	v_max_f32_e32 v62, v59, v59
	v_min_f32_e32 v60, v62, v61
	v_cmp_u_f32_e32 vcc, v59, v59
	v_max_f32_e32 v61, v62, v61
	v_cmp_u_f32_e64 s[48:49], v58, v58
	v_cndmask_b32_e32 v60, v60, v59, vcc
	v_cndmask_b32_e32 v61, v61, v59, vcc
	v_cndmask_b32_e64 v60, v60, v58, s[48:49]
	v_cndmask_b32_e64 v58, v61, v58, s[48:49]
	s_movk_i32 s6, 0x1f8
	v_cmp_neq_f32_e32 vcc, v60, v58
	v_cmp_class_f32_e64 s[6:7], v60, s6
	s_or_b64 s[6:7], vcc, s[6:7]
	s_and_saveexec_b64 s[48:49], s[6:7]
	s_cbranch_execz .LBB171_108
; %bb.107:
	v_sub_f32_e32 v59, v60, v58
	s_mov_b32 s6, 0x3fb8aa3b
	v_mul_f32_e32 v60, 0x3fb8aa3b, v59
	v_fma_f32 v61, v59, s6, -v60
	v_rndne_f32_e32 v62, v60
	v_fmamk_f32 v61, v59, 0x32a5705f, v61
	v_sub_f32_e32 v60, v60, v62
	v_add_f32_e32 v60, v60, v61
	v_exp_f32_e32 v60, v60
	v_cvt_i32_f32_e32 v61, v62
	s_mov_b32 s6, 0xc2ce8ed0
	v_cmp_ngt_f32_e32 vcc, s6, v59
	s_mov_b32 s6, 0x42b17218
	v_ldexp_f32 v60, v60, v61
	v_cndmask_b32_e32 v60, 0, v60, vcc
	v_mov_b32_e32 v61, 0x7f800000
	v_cmp_nlt_f32_e32 vcc, s6, v59
	s_mov_b32 s6, 0x3f2aaaab
	s_mov_b32 s7, 0x7f800000
	v_cndmask_b32_e32 v76, v61, v60, vcc
	v_add_f32_e32 v59, 1.0, v76
	v_add_f32_e32 v60, -1.0, v59
	v_sub_f32_e32 v61, v60, v59
	v_add_f32_e32 v61, 1.0, v61
	v_sub_f32_e32 v60, v76, v60
	v_add_f32_e32 v62, v60, v61
	v_frexp_mant_f32_e32 v63, v59
	v_cvt_f64_f32_e32 v[60:61], v59
	v_frexp_exp_i32_f64_e32 v60, v[60:61]
	v_cmp_gt_f32_e32 vcc, s6, v63
	s_mov_b32 s6, 0x3f317218
	s_nop 0
	v_subbrev_co_u32_e32 v68, vcc, 0, v60, vcc
	v_sub_u32_e32 v60, 0, v68
	v_ldexp_f32 v59, v59, v60
	v_ldexp_f32 v60, v62, v60
	v_add_f32_e32 v62, -1.0, v59
	v_add_f32_e32 v61, 1.0, v62
	v_sub_f32_e32 v61, v59, v61
	v_add_f32_e32 v63, v60, v61
	v_add_f32_e32 v61, 1.0, v59
	v_add_f32_e32 v64, -1.0, v61
	v_sub_f32_e32 v59, v59, v64
	v_add_f32_e32 v59, v60, v59
	v_add_f32_e32 v69, v61, v59
	v_rcp_f32_e32 v70, v69
	v_sub_f32_e32 v60, v61, v69
	v_add_f32_e32 v61, v62, v63
	v_add_f32_e32 v59, v59, v60
	v_mul_f32_e32 v72, v61, v70
	v_sub_f32_e32 v60, v62, v61
	v_mul_f32_e32 v62, v69, v72
	v_fma_f32 v64, v72, v69, -v62
	v_fmac_f32_e32 v64, v72, v59
	v_add_f32_e32 v71, v63, v60
	v_add_f32_e32 v60, v62, v64
	v_sub_f32_e32 v63, v61, v60
	v_pk_add_f32 v[66:67], v[60:61], v[62:63] neg_lo:[0,1] neg_hi:[0,1]
	v_mov_b32_e32 v65, v60
	v_pk_add_f32 v[60:61], v[66:67], v[64:65] neg_lo:[0,1] neg_hi:[0,1]
	v_cmp_eq_f32_e32 vcc, s7, v76
	v_add_f32_e32 v61, v71, v61
	v_add_f32_e32 v60, v60, v61
	;; [unrolled: 1-line block ×3, first 2 shown]
	v_mul_f32_e32 v71, v70, v61
	v_mul_f32_e32 v62, v69, v71
	v_fma_f32 v64, v71, v69, -v62
	v_fmac_f32_e32 v64, v71, v59
	v_sub_f32_e32 v59, v63, v61
	v_add_f32_e32 v59, v60, v59
	v_add_f32_e32 v60, v62, v64
	v_sub_f32_e32 v63, v61, v60
	v_pk_add_f32 v[66:67], v[60:61], v[62:63] neg_lo:[0,1] neg_hi:[0,1]
	v_mov_b32_e32 v65, v60
	v_pk_add_f32 v[60:61], v[66:67], v[64:65] neg_lo:[0,1] neg_hi:[0,1]
	v_cvt_f32_i32_e32 v62, v68
	v_add_f32_e32 v59, v59, v61
	v_add_f32_e32 v59, v60, v59
	;; [unrolled: 1-line block ×4, first 2 shown]
	v_sub_f32_e32 v61, v60, v72
	v_mul_f32_e32 v59, v70, v59
	v_sub_f32_e32 v61, v71, v61
	v_add_f32_e32 v59, v61, v59
	v_add_f32_e32 v63, v60, v59
	v_mul_f32_e32 v64, v63, v63
	v_mov_b32_e32 v61, 0x3ecc95a3
	v_fmac_f32_e32 v61, 0x3e9b6dac, v64
	v_sub_f32_e32 v60, v63, v60
	v_fmaak_f32 v61, v64, v61, 0x3f2aaada
	v_sub_f32_e32 v59, v59, v60
	v_ldexp_f32 v65, v63, 1
	v_mul_f32_e32 v63, v63, v64
	v_mov_b32_e32 v60, 0x3f317218
	v_pk_mul_f32 v[60:61], v[62:63], v[60:61]
	v_ldexp_f32 v59, v59, 1
	v_fma_f32 v63, v62, s6, -v60
	v_fmamk_f32 v64, v62, 0xb102e308, v63
	v_pk_add_f32 v[62:63], v[60:61], v[64:65]
	v_mov_b32_e32 v66, v60
	v_sub_f32_e32 v65, v63, v65
	v_sub_f32_e32 v65, v61, v65
	v_add_f32_e32 v67, v59, v65
	v_pk_add_f32 v[60:61], v[62:63], v[60:61] neg_lo:[0,1] neg_hi:[0,1]
	v_pk_add_f32 v[68:69], v[62:63], v[66:67]
	v_mov_b32_e32 v65, v62
	v_mov_b32_e32 v61, v69
	v_pk_add_f32 v[70:71], v[64:65], v[60:61] neg_lo:[0,1] neg_hi:[0,1]
	v_pk_add_f32 v[60:61], v[64:65], v[60:61]
	v_mov_b32_e32 v66, v67
	v_mov_b32_e32 v64, v61
	v_pk_add_f32 v[72:73], v[64:65], v[62:63] neg_lo:[0,1] neg_hi:[0,1]
	v_mov_b32_e32 v60, v69
	v_mov_b32_e32 v59, v72
	v_pk_add_f32 v[74:75], v[68:69], v[58:59] neg_lo:[0,1] neg_hi:[0,1]
	v_mov_b32_e32 v68, v63
	v_mov_b32_e32 v69, v72
	;; [unrolled: 1-line block ×3, first 2 shown]
	v_pk_add_f32 v[60:61], v[60:61], v[68:69] neg_lo:[0,1] neg_hi:[0,1]
	v_mov_b32_e32 v67, v62
	v_pk_add_f32 v[60:61], v[66:67], v[60:61] neg_lo:[0,1] neg_hi:[0,1]
	v_mov_b32_e32 v74, v70
	v_pk_add_f32 v[62:63], v[74:75], v[60:61]
	s_mov_b32 s6, 0x33800000
	v_mov_b32_e32 v66, v63
	v_pk_add_f32 v[66:67], v[62:63], v[66:67]
	v_cmp_lt_f32_e64 s[6:7], |v76|, s6
	v_pk_add_f32 v[64:65], v[64:65], v[66:67]
	v_mov_b32_e32 v61, v66
	v_mov_b32_e32 v63, v64
	v_pk_add_f32 v[68:69], v[62:63], v[70:71] neg_lo:[0,1] neg_hi:[0,1]
	s_or_b64 vcc, vcc, s[6:7]
	v_sub_f32_e32 v59, v62, v68
	v_pk_add_f32 v[60:61], v[60:61], v[68:69] neg_lo:[0,1] neg_hi:[0,1]
	v_sub_f32_e32 v59, v70, v59
	v_add_f32_e32 v59, v60, v59
	v_add_f32_e32 v59, v59, v61
	;; [unrolled: 1-line block ×3, first 2 shown]
	v_cndmask_b32_e32 v59, v59, v76, vcc
	v_add_f32_e32 v59, v58, v59
.LBB171_108:
	s_or_b64 exec, exec, s[48:49]
	v_mov_b32_e32 v58, v59
.LBB171_109:
	s_or_b64 exec, exec, s[4:5]
	s_nop 0
	v_mov_b32_dpp v59, v58 row_shr:4 row_mask:0xf bank_mask:0xf
	v_cmp_lt_u32_e32 vcc, 3, v57
	s_and_saveexec_b64 s[4:5], vcc
	s_cbranch_execz .LBB171_113
; %bb.110:
	v_max_f32_e32 v61, v58, v58
	v_max_f32_e32 v62, v59, v59
	v_min_f32_e32 v60, v62, v61
	v_cmp_u_f32_e32 vcc, v59, v59
	v_max_f32_e32 v61, v62, v61
	v_cmp_u_f32_e64 s[48:49], v58, v58
	v_cndmask_b32_e32 v60, v60, v59, vcc
	v_cndmask_b32_e32 v61, v61, v59, vcc
	v_cndmask_b32_e64 v60, v60, v58, s[48:49]
	v_cndmask_b32_e64 v58, v61, v58, s[48:49]
	s_movk_i32 s6, 0x1f8
	v_cmp_neq_f32_e32 vcc, v60, v58
	v_cmp_class_f32_e64 s[6:7], v60, s6
	s_or_b64 s[6:7], vcc, s[6:7]
	s_and_saveexec_b64 s[48:49], s[6:7]
	s_cbranch_execz .LBB171_112
; %bb.111:
	v_sub_f32_e32 v59, v60, v58
	s_mov_b32 s6, 0x3fb8aa3b
	v_mul_f32_e32 v60, 0x3fb8aa3b, v59
	v_fma_f32 v61, v59, s6, -v60
	v_rndne_f32_e32 v62, v60
	v_fmamk_f32 v61, v59, 0x32a5705f, v61
	v_sub_f32_e32 v60, v60, v62
	v_add_f32_e32 v60, v60, v61
	v_exp_f32_e32 v60, v60
	v_cvt_i32_f32_e32 v61, v62
	s_mov_b32 s6, 0xc2ce8ed0
	v_cmp_ngt_f32_e32 vcc, s6, v59
	s_mov_b32 s6, 0x42b17218
	v_ldexp_f32 v60, v60, v61
	v_cndmask_b32_e32 v60, 0, v60, vcc
	v_mov_b32_e32 v61, 0x7f800000
	v_cmp_nlt_f32_e32 vcc, s6, v59
	s_mov_b32 s6, 0x3f2aaaab
	s_mov_b32 s7, 0x7f800000
	v_cndmask_b32_e32 v76, v61, v60, vcc
	v_add_f32_e32 v59, 1.0, v76
	v_add_f32_e32 v60, -1.0, v59
	v_sub_f32_e32 v61, v60, v59
	v_add_f32_e32 v61, 1.0, v61
	v_sub_f32_e32 v60, v76, v60
	v_add_f32_e32 v62, v60, v61
	v_frexp_mant_f32_e32 v63, v59
	v_cvt_f64_f32_e32 v[60:61], v59
	v_frexp_exp_i32_f64_e32 v60, v[60:61]
	v_cmp_gt_f32_e32 vcc, s6, v63
	s_mov_b32 s6, 0x3f317218
	s_nop 0
	v_subbrev_co_u32_e32 v68, vcc, 0, v60, vcc
	v_sub_u32_e32 v60, 0, v68
	v_ldexp_f32 v59, v59, v60
	v_ldexp_f32 v60, v62, v60
	v_add_f32_e32 v62, -1.0, v59
	v_add_f32_e32 v61, 1.0, v62
	v_sub_f32_e32 v61, v59, v61
	v_add_f32_e32 v63, v60, v61
	v_add_f32_e32 v61, 1.0, v59
	v_add_f32_e32 v64, -1.0, v61
	v_sub_f32_e32 v59, v59, v64
	v_add_f32_e32 v59, v60, v59
	v_add_f32_e32 v69, v61, v59
	v_rcp_f32_e32 v70, v69
	v_sub_f32_e32 v60, v61, v69
	v_add_f32_e32 v61, v62, v63
	v_add_f32_e32 v59, v59, v60
	v_mul_f32_e32 v72, v61, v70
	v_sub_f32_e32 v60, v62, v61
	v_mul_f32_e32 v62, v69, v72
	v_fma_f32 v64, v72, v69, -v62
	v_fmac_f32_e32 v64, v72, v59
	v_add_f32_e32 v71, v63, v60
	v_add_f32_e32 v60, v62, v64
	v_sub_f32_e32 v63, v61, v60
	v_pk_add_f32 v[66:67], v[60:61], v[62:63] neg_lo:[0,1] neg_hi:[0,1]
	v_mov_b32_e32 v65, v60
	v_pk_add_f32 v[60:61], v[66:67], v[64:65] neg_lo:[0,1] neg_hi:[0,1]
	v_cmp_eq_f32_e32 vcc, s7, v76
	v_add_f32_e32 v61, v71, v61
	v_add_f32_e32 v60, v60, v61
	;; [unrolled: 1-line block ×3, first 2 shown]
	v_mul_f32_e32 v71, v70, v61
	v_mul_f32_e32 v62, v69, v71
	v_fma_f32 v64, v71, v69, -v62
	v_fmac_f32_e32 v64, v71, v59
	v_sub_f32_e32 v59, v63, v61
	v_add_f32_e32 v59, v60, v59
	v_add_f32_e32 v60, v62, v64
	v_sub_f32_e32 v63, v61, v60
	v_pk_add_f32 v[66:67], v[60:61], v[62:63] neg_lo:[0,1] neg_hi:[0,1]
	v_mov_b32_e32 v65, v60
	v_pk_add_f32 v[60:61], v[66:67], v[64:65] neg_lo:[0,1] neg_hi:[0,1]
	v_cvt_f32_i32_e32 v62, v68
	v_add_f32_e32 v59, v59, v61
	v_add_f32_e32 v59, v60, v59
	;; [unrolled: 1-line block ×4, first 2 shown]
	v_sub_f32_e32 v61, v60, v72
	v_mul_f32_e32 v59, v70, v59
	v_sub_f32_e32 v61, v71, v61
	v_add_f32_e32 v59, v61, v59
	v_add_f32_e32 v63, v60, v59
	v_mul_f32_e32 v64, v63, v63
	v_mov_b32_e32 v61, 0x3ecc95a3
	v_fmac_f32_e32 v61, 0x3e9b6dac, v64
	v_sub_f32_e32 v60, v63, v60
	v_fmaak_f32 v61, v64, v61, 0x3f2aaada
	v_sub_f32_e32 v59, v59, v60
	v_ldexp_f32 v65, v63, 1
	v_mul_f32_e32 v63, v63, v64
	v_mov_b32_e32 v60, 0x3f317218
	v_pk_mul_f32 v[60:61], v[62:63], v[60:61]
	v_ldexp_f32 v59, v59, 1
	v_fma_f32 v63, v62, s6, -v60
	v_fmamk_f32 v64, v62, 0xb102e308, v63
	v_pk_add_f32 v[62:63], v[60:61], v[64:65]
	v_mov_b32_e32 v66, v60
	v_sub_f32_e32 v65, v63, v65
	v_sub_f32_e32 v65, v61, v65
	v_add_f32_e32 v67, v59, v65
	v_pk_add_f32 v[60:61], v[62:63], v[60:61] neg_lo:[0,1] neg_hi:[0,1]
	v_pk_add_f32 v[68:69], v[62:63], v[66:67]
	v_mov_b32_e32 v65, v62
	v_mov_b32_e32 v61, v69
	v_pk_add_f32 v[70:71], v[64:65], v[60:61] neg_lo:[0,1] neg_hi:[0,1]
	v_pk_add_f32 v[60:61], v[64:65], v[60:61]
	v_mov_b32_e32 v66, v67
	v_mov_b32_e32 v64, v61
	v_pk_add_f32 v[72:73], v[64:65], v[62:63] neg_lo:[0,1] neg_hi:[0,1]
	v_mov_b32_e32 v60, v69
	v_mov_b32_e32 v59, v72
	v_pk_add_f32 v[74:75], v[68:69], v[58:59] neg_lo:[0,1] neg_hi:[0,1]
	v_mov_b32_e32 v68, v63
	v_mov_b32_e32 v69, v72
	;; [unrolled: 1-line block ×3, first 2 shown]
	v_pk_add_f32 v[60:61], v[60:61], v[68:69] neg_lo:[0,1] neg_hi:[0,1]
	v_mov_b32_e32 v67, v62
	v_pk_add_f32 v[60:61], v[66:67], v[60:61] neg_lo:[0,1] neg_hi:[0,1]
	v_mov_b32_e32 v74, v70
	v_pk_add_f32 v[62:63], v[74:75], v[60:61]
	s_mov_b32 s6, 0x33800000
	v_mov_b32_e32 v66, v63
	v_pk_add_f32 v[66:67], v[62:63], v[66:67]
	v_cmp_lt_f32_e64 s[6:7], |v76|, s6
	v_pk_add_f32 v[64:65], v[64:65], v[66:67]
	v_mov_b32_e32 v61, v66
	v_mov_b32_e32 v63, v64
	v_pk_add_f32 v[68:69], v[62:63], v[70:71] neg_lo:[0,1] neg_hi:[0,1]
	s_or_b64 vcc, vcc, s[6:7]
	v_sub_f32_e32 v59, v62, v68
	v_pk_add_f32 v[60:61], v[60:61], v[68:69] neg_lo:[0,1] neg_hi:[0,1]
	v_sub_f32_e32 v59, v70, v59
	v_add_f32_e32 v59, v60, v59
	v_add_f32_e32 v59, v59, v61
	v_add_f32_e32 v59, v64, v59
	v_cndmask_b32_e32 v59, v59, v76, vcc
	v_add_f32_e32 v59, v58, v59
.LBB171_112:
	s_or_b64 exec, exec, s[48:49]
	v_mov_b32_e32 v58, v59
.LBB171_113:
	s_or_b64 exec, exec, s[4:5]
	s_nop 0
	v_mov_b32_dpp v59, v58 row_shr:8 row_mask:0xf bank_mask:0xf
	v_cmp_lt_u32_e32 vcc, 7, v57
	s_and_saveexec_b64 s[4:5], vcc
	s_cbranch_execz .LBB171_117
; %bb.114:
	v_max_f32_e32 v57, v58, v58
	v_max_f32_e32 v61, v59, v59
	v_min_f32_e32 v60, v61, v57
	v_cmp_u_f32_e32 vcc, v59, v59
	v_max_f32_e32 v57, v61, v57
	v_cmp_u_f32_e64 s[48:49], v58, v58
	v_cndmask_b32_e32 v60, v60, v59, vcc
	v_cndmask_b32_e32 v57, v57, v59, vcc
	v_cndmask_b32_e64 v60, v60, v58, s[48:49]
	v_cndmask_b32_e64 v57, v57, v58, s[48:49]
	s_movk_i32 s6, 0x1f8
	v_cmp_neq_f32_e32 vcc, v60, v57
	v_cmp_class_f32_e64 s[6:7], v60, s6
	s_or_b64 s[6:7], vcc, s[6:7]
	s_and_saveexec_b64 s[48:49], s[6:7]
	s_cbranch_execz .LBB171_116
; %bb.115:
	v_sub_f32_e32 v58, v60, v57
	s_mov_b32 s6, 0x3fb8aa3b
	v_mul_f32_e32 v59, 0x3fb8aa3b, v58
	v_fma_f32 v60, v58, s6, -v59
	v_rndne_f32_e32 v61, v59
	v_fmamk_f32 v60, v58, 0x32a5705f, v60
	v_sub_f32_e32 v59, v59, v61
	v_add_f32_e32 v59, v59, v60
	v_exp_f32_e32 v59, v59
	v_cvt_i32_f32_e32 v60, v61
	s_mov_b32 s6, 0xc2ce8ed0
	v_cmp_ngt_f32_e32 vcc, s6, v58
	s_mov_b32 s6, 0x42b17218
	v_ldexp_f32 v59, v59, v60
	v_cndmask_b32_e32 v59, 0, v59, vcc
	v_mov_b32_e32 v60, 0x7f800000
	v_cmp_nlt_f32_e32 vcc, s6, v58
	s_mov_b32 s6, 0x3f2aaaab
	s_mov_b32 s7, 0x7f800000
	v_cndmask_b32_e32 v74, v60, v59, vcc
	v_add_f32_e32 v60, 1.0, v74
	v_add_f32_e32 v58, -1.0, v60
	v_sub_f32_e32 v59, v58, v60
	v_add_f32_e32 v59, 1.0, v59
	v_sub_f32_e32 v58, v74, v58
	v_add_f32_e32 v61, v58, v59
	v_frexp_mant_f32_e32 v62, v60
	v_cvt_f64_f32_e32 v[58:59], v60
	v_frexp_exp_i32_f64_e32 v58, v[58:59]
	v_cmp_gt_f32_e32 vcc, s6, v62
	s_mov_b32 s6, 0x3f317218
	s_nop 0
	v_subbrev_co_u32_e32 v66, vcc, 0, v58, vcc
	v_sub_u32_e32 v58, 0, v66
	v_ldexp_f32 v59, v60, v58
	v_add_f32_e32 v60, -1.0, v59
	v_add_f32_e32 v62, 1.0, v59
	v_ldexp_f32 v58, v61, v58
	v_add_f32_e32 v61, 1.0, v60
	v_add_f32_e32 v63, -1.0, v62
	v_sub_f32_e32 v61, v59, v61
	v_sub_f32_e32 v59, v59, v63
	v_add_f32_e32 v61, v58, v61
	v_add_f32_e32 v58, v58, v59
	;; [unrolled: 1-line block ×3, first 2 shown]
	v_rcp_f32_e32 v69, v67
	v_sub_f32_e32 v59, v62, v67
	v_add_f32_e32 v68, v58, v59
	v_add_f32_e32 v59, v60, v61
	v_mul_f32_e32 v71, v59, v69
	v_sub_f32_e32 v58, v60, v59
	v_mul_f32_e32 v60, v67, v71
	v_fma_f32 v62, v71, v67, -v60
	v_fmac_f32_e32 v62, v71, v68
	v_add_f32_e32 v70, v61, v58
	v_add_f32_e32 v58, v60, v62
	v_sub_f32_e32 v61, v59, v58
	v_pk_add_f32 v[64:65], v[58:59], v[60:61] neg_lo:[0,1] neg_hi:[0,1]
	v_mov_b32_e32 v63, v58
	v_pk_add_f32 v[58:59], v[64:65], v[62:63] neg_lo:[0,1] neg_hi:[0,1]
	v_cmp_eq_f32_e32 vcc, s7, v74
	v_add_f32_e32 v59, v70, v59
	v_add_f32_e32 v58, v58, v59
	;; [unrolled: 1-line block ×3, first 2 shown]
	v_mul_f32_e32 v70, v69, v59
	v_mul_f32_e32 v60, v67, v70
	v_fma_f32 v62, v70, v67, -v60
	v_fmac_f32_e32 v62, v70, v68
	v_sub_f32_e32 v61, v61, v59
	v_add_f32_e32 v67, v58, v61
	v_add_f32_e32 v58, v60, v62
	v_sub_f32_e32 v61, v59, v58
	v_pk_add_f32 v[64:65], v[58:59], v[60:61] neg_lo:[0,1] neg_hi:[0,1]
	v_mov_b32_e32 v63, v58
	v_pk_add_f32 v[58:59], v[64:65], v[62:63] neg_lo:[0,1] neg_hi:[0,1]
	v_cvt_f32_i32_e32 v60, v66
	v_add_f32_e32 v59, v67, v59
	v_add_f32_e32 v58, v58, v59
	;; [unrolled: 1-line block ×4, first 2 shown]
	v_sub_f32_e32 v59, v61, v71
	v_mul_f32_e32 v58, v69, v58
	v_sub_f32_e32 v59, v70, v59
	v_add_f32_e32 v58, v59, v58
	v_add_f32_e32 v62, v61, v58
	v_mul_f32_e32 v64, v62, v62
	v_mov_b32_e32 v59, 0x3ecc95a3
	v_sub_f32_e32 v61, v62, v61
	v_fmac_f32_e32 v59, 0x3e9b6dac, v64
	v_sub_f32_e32 v58, v58, v61
	v_fmaak_f32 v59, v64, v59, 0x3f2aaada
	v_ldexp_f32 v65, v58, 1
	v_mul_f32_e32 v61, v62, v64
	v_mov_b32_e32 v58, 0x3f317218
	v_pk_mul_f32 v[58:59], v[60:61], v[58:59]
	v_ldexp_f32 v63, v62, 1
	v_fma_f32 v61, v60, s6, -v58
	v_fmamk_f32 v62, v60, 0xb102e308, v61
	v_pk_add_f32 v[60:61], v[58:59], v[62:63]
	v_mov_b32_e32 v64, v58
	v_sub_f32_e32 v63, v61, v63
	v_sub_f32_e32 v63, v59, v63
	v_add_f32_e32 v65, v65, v63
	v_pk_add_f32 v[58:59], v[60:61], v[58:59] neg_lo:[0,1] neg_hi:[0,1]
	v_pk_add_f32 v[66:67], v[60:61], v[64:65]
	v_mov_b32_e32 v63, v60
	v_mov_b32_e32 v59, v67
	v_pk_add_f32 v[68:69], v[62:63], v[58:59] neg_lo:[0,1] neg_hi:[0,1]
	v_pk_add_f32 v[58:59], v[62:63], v[58:59]
	v_mov_b32_e32 v64, v65
	v_mov_b32_e32 v62, v59
	v_pk_add_f32 v[70:71], v[62:63], v[60:61] neg_lo:[0,1] neg_hi:[0,1]
	v_mov_b32_e32 v58, v67
	v_mov_b32_e32 v63, v70
	v_pk_add_f32 v[72:73], v[66:67], v[62:63] neg_lo:[0,1] neg_hi:[0,1]
	v_mov_b32_e32 v66, v61
	v_mov_b32_e32 v67, v70
	v_mov_b32_e32 v69, v59
	v_pk_add_f32 v[58:59], v[58:59], v[66:67] neg_lo:[0,1] neg_hi:[0,1]
	v_mov_b32_e32 v65, v60
	v_pk_add_f32 v[58:59], v[64:65], v[58:59] neg_lo:[0,1] neg_hi:[0,1]
	v_mov_b32_e32 v72, v68
	v_pk_add_f32 v[60:61], v[72:73], v[58:59]
	s_mov_b32 s6, 0x33800000
	v_mov_b32_e32 v64, v61
	v_pk_add_f32 v[64:65], v[60:61], v[64:65]
	v_cmp_lt_f32_e64 s[6:7], |v74|, s6
	v_pk_add_f32 v[62:63], v[62:63], v[64:65]
	v_mov_b32_e32 v59, v64
	v_mov_b32_e32 v61, v62
	v_pk_add_f32 v[66:67], v[60:61], v[68:69] neg_lo:[0,1] neg_hi:[0,1]
	s_or_b64 vcc, vcc, s[6:7]
	v_sub_f32_e32 v60, v60, v66
	v_pk_add_f32 v[58:59], v[58:59], v[66:67] neg_lo:[0,1] neg_hi:[0,1]
	v_sub_f32_e32 v60, v68, v60
	v_add_f32_e32 v58, v58, v60
	v_add_f32_e32 v58, v58, v59
	;; [unrolled: 1-line block ×3, first 2 shown]
	v_cndmask_b32_e32 v58, v58, v74, vcc
	v_add_f32_e32 v59, v57, v58
.LBB171_116:
	s_or_b64 exec, exec, s[48:49]
	v_mov_b32_e32 v58, v59
.LBB171_117:
	s_or_b64 exec, exec, s[4:5]
	v_and_b32_e32 v57, 16, v29
	v_mov_b32_dpp v59, v58 row_bcast:15 row_mask:0xf bank_mask:0xf
	v_cmp_ne_u32_e32 vcc, 0, v57
	s_and_saveexec_b64 s[4:5], vcc
	s_cbranch_execz .LBB171_121
; %bb.118:
	v_max_f32_e32 v57, v58, v58
	v_max_f32_e32 v61, v59, v59
	v_min_f32_e32 v60, v61, v57
	v_cmp_u_f32_e32 vcc, v59, v59
	v_max_f32_e32 v57, v61, v57
	v_cmp_u_f32_e64 s[48:49], v58, v58
	v_cndmask_b32_e32 v60, v60, v59, vcc
	v_cndmask_b32_e32 v57, v57, v59, vcc
	v_cndmask_b32_e64 v60, v60, v58, s[48:49]
	v_cndmask_b32_e64 v57, v57, v58, s[48:49]
	s_movk_i32 s6, 0x1f8
	v_cmp_neq_f32_e32 vcc, v60, v57
	v_cmp_class_f32_e64 s[6:7], v60, s6
	s_or_b64 s[6:7], vcc, s[6:7]
	s_and_saveexec_b64 s[48:49], s[6:7]
	s_cbranch_execz .LBB171_120
; %bb.119:
	v_sub_f32_e32 v58, v60, v57
	s_mov_b32 s6, 0x3fb8aa3b
	v_mul_f32_e32 v59, 0x3fb8aa3b, v58
	v_fma_f32 v60, v58, s6, -v59
	v_rndne_f32_e32 v61, v59
	v_fmamk_f32 v60, v58, 0x32a5705f, v60
	v_sub_f32_e32 v59, v59, v61
	v_add_f32_e32 v59, v59, v60
	v_exp_f32_e32 v59, v59
	v_cvt_i32_f32_e32 v60, v61
	s_mov_b32 s6, 0xc2ce8ed0
	v_cmp_ngt_f32_e32 vcc, s6, v58
	s_mov_b32 s6, 0x42b17218
	v_ldexp_f32 v59, v59, v60
	v_cndmask_b32_e32 v59, 0, v59, vcc
	v_mov_b32_e32 v60, 0x7f800000
	v_cmp_nlt_f32_e32 vcc, s6, v58
	s_mov_b32 s6, 0x3f2aaaab
	s_mov_b32 s7, 0x7f800000
	v_cndmask_b32_e32 v74, v60, v59, vcc
	v_add_f32_e32 v60, 1.0, v74
	v_add_f32_e32 v58, -1.0, v60
	v_sub_f32_e32 v59, v58, v60
	v_add_f32_e32 v59, 1.0, v59
	v_sub_f32_e32 v58, v74, v58
	v_add_f32_e32 v61, v58, v59
	v_frexp_mant_f32_e32 v62, v60
	v_cvt_f64_f32_e32 v[58:59], v60
	v_frexp_exp_i32_f64_e32 v58, v[58:59]
	v_cmp_gt_f32_e32 vcc, s6, v62
	s_mov_b32 s6, 0x3f317218
	s_nop 0
	v_subbrev_co_u32_e32 v66, vcc, 0, v58, vcc
	v_sub_u32_e32 v58, 0, v66
	v_ldexp_f32 v59, v60, v58
	v_add_f32_e32 v60, -1.0, v59
	v_add_f32_e32 v62, 1.0, v59
	v_ldexp_f32 v58, v61, v58
	v_add_f32_e32 v61, 1.0, v60
	v_add_f32_e32 v63, -1.0, v62
	v_sub_f32_e32 v61, v59, v61
	v_sub_f32_e32 v59, v59, v63
	v_add_f32_e32 v61, v58, v61
	v_add_f32_e32 v58, v58, v59
	v_add_f32_e32 v67, v62, v58
	v_rcp_f32_e32 v69, v67
	v_sub_f32_e32 v59, v62, v67
	v_add_f32_e32 v68, v58, v59
	v_add_f32_e32 v59, v60, v61
	v_mul_f32_e32 v71, v59, v69
	v_sub_f32_e32 v58, v60, v59
	v_mul_f32_e32 v60, v67, v71
	v_fma_f32 v62, v71, v67, -v60
	v_fmac_f32_e32 v62, v71, v68
	v_add_f32_e32 v70, v61, v58
	v_add_f32_e32 v58, v60, v62
	v_sub_f32_e32 v61, v59, v58
	v_pk_add_f32 v[64:65], v[58:59], v[60:61] neg_lo:[0,1] neg_hi:[0,1]
	v_mov_b32_e32 v63, v58
	v_pk_add_f32 v[58:59], v[64:65], v[62:63] neg_lo:[0,1] neg_hi:[0,1]
	v_cmp_eq_f32_e32 vcc, s7, v74
	v_add_f32_e32 v59, v70, v59
	v_add_f32_e32 v58, v58, v59
	;; [unrolled: 1-line block ×3, first 2 shown]
	v_mul_f32_e32 v70, v69, v59
	v_mul_f32_e32 v60, v67, v70
	v_fma_f32 v62, v70, v67, -v60
	v_fmac_f32_e32 v62, v70, v68
	v_sub_f32_e32 v61, v61, v59
	v_add_f32_e32 v67, v58, v61
	v_add_f32_e32 v58, v60, v62
	v_sub_f32_e32 v61, v59, v58
	v_pk_add_f32 v[64:65], v[58:59], v[60:61] neg_lo:[0,1] neg_hi:[0,1]
	v_mov_b32_e32 v63, v58
	v_pk_add_f32 v[58:59], v[64:65], v[62:63] neg_lo:[0,1] neg_hi:[0,1]
	v_cvt_f32_i32_e32 v60, v66
	v_add_f32_e32 v59, v67, v59
	v_add_f32_e32 v58, v58, v59
	;; [unrolled: 1-line block ×4, first 2 shown]
	v_sub_f32_e32 v59, v61, v71
	v_mul_f32_e32 v58, v69, v58
	v_sub_f32_e32 v59, v70, v59
	v_add_f32_e32 v58, v59, v58
	v_add_f32_e32 v62, v61, v58
	v_mul_f32_e32 v64, v62, v62
	v_mov_b32_e32 v59, 0x3ecc95a3
	v_sub_f32_e32 v61, v62, v61
	v_fmac_f32_e32 v59, 0x3e9b6dac, v64
	v_sub_f32_e32 v58, v58, v61
	v_fmaak_f32 v59, v64, v59, 0x3f2aaada
	v_ldexp_f32 v65, v58, 1
	v_mul_f32_e32 v61, v62, v64
	v_mov_b32_e32 v58, 0x3f317218
	v_pk_mul_f32 v[58:59], v[60:61], v[58:59]
	v_ldexp_f32 v63, v62, 1
	v_fma_f32 v61, v60, s6, -v58
	v_fmamk_f32 v62, v60, 0xb102e308, v61
	v_pk_add_f32 v[60:61], v[58:59], v[62:63]
	v_mov_b32_e32 v64, v58
	v_sub_f32_e32 v63, v61, v63
	v_sub_f32_e32 v63, v59, v63
	v_add_f32_e32 v65, v65, v63
	v_pk_add_f32 v[58:59], v[60:61], v[58:59] neg_lo:[0,1] neg_hi:[0,1]
	v_pk_add_f32 v[66:67], v[60:61], v[64:65]
	v_mov_b32_e32 v63, v60
	v_mov_b32_e32 v59, v67
	v_pk_add_f32 v[68:69], v[62:63], v[58:59] neg_lo:[0,1] neg_hi:[0,1]
	v_pk_add_f32 v[58:59], v[62:63], v[58:59]
	v_mov_b32_e32 v64, v65
	v_mov_b32_e32 v62, v59
	v_pk_add_f32 v[70:71], v[62:63], v[60:61] neg_lo:[0,1] neg_hi:[0,1]
	v_mov_b32_e32 v58, v67
	v_mov_b32_e32 v63, v70
	v_pk_add_f32 v[72:73], v[66:67], v[62:63] neg_lo:[0,1] neg_hi:[0,1]
	v_mov_b32_e32 v66, v61
	v_mov_b32_e32 v67, v70
	;; [unrolled: 1-line block ×3, first 2 shown]
	v_pk_add_f32 v[58:59], v[58:59], v[66:67] neg_lo:[0,1] neg_hi:[0,1]
	v_mov_b32_e32 v65, v60
	v_pk_add_f32 v[58:59], v[64:65], v[58:59] neg_lo:[0,1] neg_hi:[0,1]
	v_mov_b32_e32 v72, v68
	v_pk_add_f32 v[60:61], v[72:73], v[58:59]
	s_mov_b32 s6, 0x33800000
	v_mov_b32_e32 v64, v61
	v_pk_add_f32 v[64:65], v[60:61], v[64:65]
	v_cmp_lt_f32_e64 s[6:7], |v74|, s6
	v_pk_add_f32 v[62:63], v[62:63], v[64:65]
	v_mov_b32_e32 v59, v64
	v_mov_b32_e32 v61, v62
	v_pk_add_f32 v[66:67], v[60:61], v[68:69] neg_lo:[0,1] neg_hi:[0,1]
	s_or_b64 vcc, vcc, s[6:7]
	v_sub_f32_e32 v60, v60, v66
	v_pk_add_f32 v[58:59], v[58:59], v[66:67] neg_lo:[0,1] neg_hi:[0,1]
	v_sub_f32_e32 v60, v68, v60
	v_add_f32_e32 v58, v58, v60
	v_add_f32_e32 v58, v58, v59
	;; [unrolled: 1-line block ×3, first 2 shown]
	v_cndmask_b32_e32 v58, v58, v74, vcc
	v_add_f32_e32 v59, v57, v58
.LBB171_120:
	s_or_b64 exec, exec, s[48:49]
	v_mov_b32_e32 v58, v59
.LBB171_121:
	s_or_b64 exec, exec, s[4:5]
	s_nop 0
	v_mov_b32_dpp v59, v58 row_bcast:31 row_mask:0xf bank_mask:0xf
	v_cmp_lt_u32_e32 vcc, 31, v29
	s_and_saveexec_b64 s[4:5], vcc
	s_cbranch_execz .LBB171_125
; %bb.122:
	v_max_f32_e32 v57, v58, v58
	v_max_f32_e32 v61, v59, v59
	v_min_f32_e32 v60, v61, v57
	v_cmp_u_f32_e32 vcc, v59, v59
	v_max_f32_e32 v57, v61, v57
	v_cmp_u_f32_e64 s[48:49], v58, v58
	v_cndmask_b32_e32 v60, v60, v59, vcc
	v_cndmask_b32_e32 v57, v57, v59, vcc
	v_cndmask_b32_e64 v60, v60, v58, s[48:49]
	v_cndmask_b32_e64 v57, v57, v58, s[48:49]
	s_movk_i32 s6, 0x1f8
	v_cmp_neq_f32_e32 vcc, v60, v57
	v_cmp_class_f32_e64 s[6:7], v60, s6
	s_or_b64 s[6:7], vcc, s[6:7]
	s_and_saveexec_b64 s[48:49], s[6:7]
	s_cbranch_execz .LBB171_124
; %bb.123:
	v_sub_f32_e32 v58, v60, v57
	s_mov_b32 s6, 0x3fb8aa3b
	v_mul_f32_e32 v59, 0x3fb8aa3b, v58
	v_fma_f32 v60, v58, s6, -v59
	v_rndne_f32_e32 v61, v59
	v_fmamk_f32 v60, v58, 0x32a5705f, v60
	v_sub_f32_e32 v59, v59, v61
	v_add_f32_e32 v59, v59, v60
	v_exp_f32_e32 v59, v59
	v_cvt_i32_f32_e32 v60, v61
	s_mov_b32 s6, 0xc2ce8ed0
	v_cmp_ngt_f32_e32 vcc, s6, v58
	s_mov_b32 s6, 0x42b17218
	v_ldexp_f32 v59, v59, v60
	v_cndmask_b32_e32 v59, 0, v59, vcc
	v_mov_b32_e32 v60, 0x7f800000
	v_cmp_nlt_f32_e32 vcc, s6, v58
	s_mov_b32 s6, 0x3f2aaaab
	s_mov_b32 s7, 0x7f800000
	v_cndmask_b32_e32 v74, v60, v59, vcc
	v_add_f32_e32 v60, 1.0, v74
	v_add_f32_e32 v58, -1.0, v60
	v_sub_f32_e32 v59, v58, v60
	v_add_f32_e32 v59, 1.0, v59
	v_sub_f32_e32 v58, v74, v58
	v_add_f32_e32 v61, v58, v59
	v_frexp_mant_f32_e32 v62, v60
	v_cvt_f64_f32_e32 v[58:59], v60
	v_frexp_exp_i32_f64_e32 v58, v[58:59]
	v_cmp_gt_f32_e32 vcc, s6, v62
	s_mov_b32 s6, 0x3f317218
	s_nop 0
	v_subbrev_co_u32_e32 v66, vcc, 0, v58, vcc
	v_sub_u32_e32 v58, 0, v66
	v_ldexp_f32 v59, v60, v58
	v_add_f32_e32 v60, -1.0, v59
	v_add_f32_e32 v62, 1.0, v59
	v_ldexp_f32 v58, v61, v58
	v_add_f32_e32 v61, 1.0, v60
	v_add_f32_e32 v63, -1.0, v62
	v_sub_f32_e32 v61, v59, v61
	v_sub_f32_e32 v59, v59, v63
	v_add_f32_e32 v61, v58, v61
	v_add_f32_e32 v58, v58, v59
	;; [unrolled: 1-line block ×3, first 2 shown]
	v_rcp_f32_e32 v69, v67
	v_sub_f32_e32 v59, v62, v67
	v_add_f32_e32 v68, v58, v59
	v_add_f32_e32 v59, v60, v61
	v_mul_f32_e32 v71, v59, v69
	v_sub_f32_e32 v58, v60, v59
	v_mul_f32_e32 v60, v67, v71
	v_fma_f32 v62, v71, v67, -v60
	v_fmac_f32_e32 v62, v71, v68
	v_add_f32_e32 v70, v61, v58
	v_add_f32_e32 v58, v60, v62
	v_sub_f32_e32 v61, v59, v58
	v_pk_add_f32 v[64:65], v[58:59], v[60:61] neg_lo:[0,1] neg_hi:[0,1]
	v_mov_b32_e32 v63, v58
	v_pk_add_f32 v[58:59], v[64:65], v[62:63] neg_lo:[0,1] neg_hi:[0,1]
	v_cmp_eq_f32_e32 vcc, s7, v74
	v_add_f32_e32 v59, v70, v59
	v_add_f32_e32 v58, v58, v59
	;; [unrolled: 1-line block ×3, first 2 shown]
	v_mul_f32_e32 v70, v69, v59
	v_mul_f32_e32 v60, v67, v70
	v_fma_f32 v62, v70, v67, -v60
	v_fmac_f32_e32 v62, v70, v68
	v_sub_f32_e32 v61, v61, v59
	v_add_f32_e32 v67, v58, v61
	v_add_f32_e32 v58, v60, v62
	v_sub_f32_e32 v61, v59, v58
	v_pk_add_f32 v[64:65], v[58:59], v[60:61] neg_lo:[0,1] neg_hi:[0,1]
	v_mov_b32_e32 v63, v58
	v_pk_add_f32 v[58:59], v[64:65], v[62:63] neg_lo:[0,1] neg_hi:[0,1]
	v_cvt_f32_i32_e32 v60, v66
	v_add_f32_e32 v59, v67, v59
	v_add_f32_e32 v58, v58, v59
	;; [unrolled: 1-line block ×4, first 2 shown]
	v_sub_f32_e32 v59, v61, v71
	v_mul_f32_e32 v58, v69, v58
	v_sub_f32_e32 v59, v70, v59
	v_add_f32_e32 v58, v59, v58
	v_add_f32_e32 v62, v61, v58
	v_mul_f32_e32 v64, v62, v62
	v_mov_b32_e32 v59, 0x3ecc95a3
	v_sub_f32_e32 v61, v62, v61
	v_fmac_f32_e32 v59, 0x3e9b6dac, v64
	v_sub_f32_e32 v58, v58, v61
	v_fmaak_f32 v59, v64, v59, 0x3f2aaada
	v_ldexp_f32 v65, v58, 1
	v_mul_f32_e32 v61, v62, v64
	v_mov_b32_e32 v58, 0x3f317218
	v_pk_mul_f32 v[58:59], v[60:61], v[58:59]
	v_ldexp_f32 v63, v62, 1
	v_fma_f32 v61, v60, s6, -v58
	v_fmamk_f32 v62, v60, 0xb102e308, v61
	v_pk_add_f32 v[60:61], v[58:59], v[62:63]
	v_mov_b32_e32 v64, v58
	v_sub_f32_e32 v63, v61, v63
	v_sub_f32_e32 v63, v59, v63
	v_add_f32_e32 v65, v65, v63
	v_pk_add_f32 v[58:59], v[60:61], v[58:59] neg_lo:[0,1] neg_hi:[0,1]
	v_pk_add_f32 v[66:67], v[60:61], v[64:65]
	v_mov_b32_e32 v63, v60
	v_mov_b32_e32 v59, v67
	v_pk_add_f32 v[68:69], v[62:63], v[58:59] neg_lo:[0,1] neg_hi:[0,1]
	v_pk_add_f32 v[58:59], v[62:63], v[58:59]
	v_mov_b32_e32 v64, v65
	v_mov_b32_e32 v62, v59
	v_pk_add_f32 v[70:71], v[62:63], v[60:61] neg_lo:[0,1] neg_hi:[0,1]
	v_mov_b32_e32 v58, v67
	v_mov_b32_e32 v63, v70
	v_pk_add_f32 v[72:73], v[66:67], v[62:63] neg_lo:[0,1] neg_hi:[0,1]
	v_mov_b32_e32 v66, v61
	v_mov_b32_e32 v67, v70
	;; [unrolled: 1-line block ×3, first 2 shown]
	v_pk_add_f32 v[58:59], v[58:59], v[66:67] neg_lo:[0,1] neg_hi:[0,1]
	v_mov_b32_e32 v65, v60
	v_pk_add_f32 v[58:59], v[64:65], v[58:59] neg_lo:[0,1] neg_hi:[0,1]
	v_mov_b32_e32 v72, v68
	v_pk_add_f32 v[60:61], v[72:73], v[58:59]
	s_mov_b32 s6, 0x33800000
	v_mov_b32_e32 v64, v61
	v_pk_add_f32 v[64:65], v[60:61], v[64:65]
	v_cmp_lt_f32_e64 s[6:7], |v74|, s6
	v_pk_add_f32 v[62:63], v[62:63], v[64:65]
	v_mov_b32_e32 v59, v64
	v_mov_b32_e32 v61, v62
	v_pk_add_f32 v[66:67], v[60:61], v[68:69] neg_lo:[0,1] neg_hi:[0,1]
	s_or_b64 vcc, vcc, s[6:7]
	v_sub_f32_e32 v60, v60, v66
	v_pk_add_f32 v[58:59], v[58:59], v[66:67] neg_lo:[0,1] neg_hi:[0,1]
	v_sub_f32_e32 v60, v68, v60
	v_add_f32_e32 v58, v58, v60
	v_add_f32_e32 v58, v58, v59
	;; [unrolled: 1-line block ×3, first 2 shown]
	v_cndmask_b32_e32 v58, v58, v74, vcc
	v_add_f32_e32 v59, v57, v58
.LBB171_124:
	s_or_b64 exec, exec, s[48:49]
	v_mov_b32_e32 v58, v59
.LBB171_125:
	s_or_b64 exec, exec, s[4:5]
	v_add_u32_e32 v57, -1, v29
	v_and_b32_e32 v59, 64, v29
	v_cmp_lt_i32_e32 vcc, v57, v59
	s_nop 1
	v_cndmask_b32_e32 v29, v57, v29, vcc
	v_lshlrev_b32_e32 v29, 2, v29
	ds_bpermute_b32 v29, v29, v58
	s_waitcnt lgkmcnt(0)
	v_max_f32_e32 v57, v29, v29
	v_cmp_u_f32_e32 vcc, v29, v29
	v_min_f32_e32 v58, v57, v56
	v_max_f32_e32 v56, v57, v56
	v_cndmask_b32_e32 v57, v58, v29, vcc
	v_cndmask_b32_e32 v58, v56, v29, vcc
	v_cndmask_b32_e64 v56, v57, v28, s[98:99]
	v_cndmask_b32_e64 v28, v58, v28, s[98:99]
	v_cmp_neq_f32_e32 vcc, v56, v28
	v_cmp_class_f32_e64 s[4:5], v56, s33
	s_or_b64 s[6:7], vcc, s[4:5]
	s_and_saveexec_b64 s[4:5], s[6:7]
	s_cbranch_execz .LBB171_127
; %bb.126:
	v_sub_f32_e32 v29, v56, v28
	s_mov_b32 s6, 0x3fb8aa3b
	v_mul_f32_e32 v56, 0x3fb8aa3b, v29
	v_fma_f32 v57, v29, s6, -v56
	v_rndne_f32_e32 v58, v56
	v_fmamk_f32 v57, v29, 0x32a5705f, v57
	v_sub_f32_e32 v56, v56, v58
	v_add_f32_e32 v56, v56, v57
	v_exp_f32_e32 v56, v56
	v_cvt_i32_f32_e32 v57, v58
	s_mov_b32 s6, 0xc2ce8ed0
	v_cmp_ngt_f32_e32 vcc, s6, v29
	s_mov_b32 s6, 0x42b17218
	v_ldexp_f32 v56, v56, v57
	v_cndmask_b32_e32 v56, 0, v56, vcc
	v_mov_b32_e32 v57, 0x7f800000
	v_cmp_nlt_f32_e32 vcc, s6, v29
	s_mov_b32 s6, 0x3f2aaaab
	s_mov_b32 s7, 0x7f800000
	v_cndmask_b32_e32 v72, v57, v56, vcc
	v_add_f32_e32 v29, 1.0, v72
	v_add_f32_e32 v56, -1.0, v29
	v_sub_f32_e32 v57, v56, v29
	v_add_f32_e32 v57, 1.0, v57
	v_sub_f32_e32 v56, v72, v56
	v_add_f32_e32 v58, v56, v57
	v_frexp_mant_f32_e32 v59, v29
	v_cvt_f64_f32_e32 v[56:57], v29
	v_frexp_exp_i32_f64_e32 v56, v[56:57]
	v_cmp_gt_f32_e32 vcc, s6, v59
	s_mov_b32 s6, 0x3f317218
	s_nop 0
	v_subbrev_co_u32_e32 v64, vcc, 0, v56, vcc
	v_sub_u32_e32 v56, 0, v64
	v_ldexp_f32 v29, v29, v56
	v_ldexp_f32 v56, v58, v56
	v_add_f32_e32 v58, -1.0, v29
	v_add_f32_e32 v57, 1.0, v58
	v_sub_f32_e32 v57, v29, v57
	v_add_f32_e32 v59, v56, v57
	v_add_f32_e32 v57, 1.0, v29
	v_add_f32_e32 v60, -1.0, v57
	v_sub_f32_e32 v29, v29, v60
	v_add_f32_e32 v29, v56, v29
	v_add_f32_e32 v65, v57, v29
	v_rcp_f32_e32 v66, v65
	v_sub_f32_e32 v56, v57, v65
	v_add_f32_e32 v57, v58, v59
	v_add_f32_e32 v29, v29, v56
	v_mul_f32_e32 v68, v57, v66
	v_sub_f32_e32 v56, v58, v57
	v_mul_f32_e32 v58, v65, v68
	v_fma_f32 v60, v68, v65, -v58
	v_fmac_f32_e32 v60, v68, v29
	v_add_f32_e32 v67, v59, v56
	v_add_f32_e32 v56, v58, v60
	v_sub_f32_e32 v59, v57, v56
	v_pk_add_f32 v[62:63], v[56:57], v[58:59] neg_lo:[0,1] neg_hi:[0,1]
	v_mov_b32_e32 v61, v56
	v_pk_add_f32 v[56:57], v[62:63], v[60:61] neg_lo:[0,1] neg_hi:[0,1]
	v_cmp_eq_f32_e32 vcc, s7, v72
	v_add_f32_e32 v57, v67, v57
	v_add_f32_e32 v56, v56, v57
	;; [unrolled: 1-line block ×3, first 2 shown]
	v_mul_f32_e32 v67, v66, v57
	v_mul_f32_e32 v58, v65, v67
	v_fma_f32 v60, v67, v65, -v58
	v_fmac_f32_e32 v60, v67, v29
	v_sub_f32_e32 v29, v59, v57
	v_add_f32_e32 v29, v56, v29
	v_add_f32_e32 v56, v58, v60
	v_sub_f32_e32 v59, v57, v56
	v_pk_add_f32 v[62:63], v[56:57], v[58:59] neg_lo:[0,1] neg_hi:[0,1]
	v_mov_b32_e32 v61, v56
	v_pk_add_f32 v[56:57], v[62:63], v[60:61] neg_lo:[0,1] neg_hi:[0,1]
	v_cvt_f32_i32_e32 v58, v64
	v_add_f32_e32 v29, v29, v57
	v_add_f32_e32 v29, v56, v29
	;; [unrolled: 1-line block ×4, first 2 shown]
	v_sub_f32_e32 v57, v56, v68
	v_mul_f32_e32 v29, v66, v29
	v_sub_f32_e32 v57, v67, v57
	v_add_f32_e32 v29, v57, v29
	v_add_f32_e32 v59, v56, v29
	v_mul_f32_e32 v60, v59, v59
	v_mov_b32_e32 v57, 0x3ecc95a3
	v_fmac_f32_e32 v57, 0x3e9b6dac, v60
	v_sub_f32_e32 v56, v59, v56
	v_fmaak_f32 v57, v60, v57, 0x3f2aaada
	v_sub_f32_e32 v29, v29, v56
	v_ldexp_f32 v61, v59, 1
	v_mul_f32_e32 v59, v59, v60
	v_mov_b32_e32 v56, 0x3f317218
	v_pk_mul_f32 v[56:57], v[58:59], v[56:57]
	v_ldexp_f32 v29, v29, 1
	v_fma_f32 v59, v58, s6, -v56
	v_fmamk_f32 v60, v58, 0xb102e308, v59
	v_pk_add_f32 v[58:59], v[56:57], v[60:61]
	v_mov_b32_e32 v62, v56
	v_sub_f32_e32 v61, v59, v61
	v_sub_f32_e32 v61, v57, v61
	v_add_f32_e32 v63, v29, v61
	v_pk_add_f32 v[56:57], v[58:59], v[56:57] neg_lo:[0,1] neg_hi:[0,1]
	v_pk_add_f32 v[64:65], v[58:59], v[62:63]
	v_mov_b32_e32 v61, v58
	v_mov_b32_e32 v57, v65
	v_pk_add_f32 v[66:67], v[60:61], v[56:57] neg_lo:[0,1] neg_hi:[0,1]
	v_pk_add_f32 v[56:57], v[60:61], v[56:57]
	v_mov_b32_e32 v62, v63
	v_mov_b32_e32 v60, v57
	v_pk_add_f32 v[68:69], v[60:61], v[58:59] neg_lo:[0,1] neg_hi:[0,1]
	v_mov_b32_e32 v56, v65
	v_mov_b32_e32 v29, v68
	v_pk_add_f32 v[70:71], v[64:65], v[28:29] neg_lo:[0,1] neg_hi:[0,1]
	v_mov_b32_e32 v64, v59
	v_mov_b32_e32 v65, v68
	;; [unrolled: 1-line block ×3, first 2 shown]
	v_pk_add_f32 v[56:57], v[56:57], v[64:65] neg_lo:[0,1] neg_hi:[0,1]
	v_mov_b32_e32 v63, v58
	v_pk_add_f32 v[56:57], v[62:63], v[56:57] neg_lo:[0,1] neg_hi:[0,1]
	v_mov_b32_e32 v70, v66
	v_pk_add_f32 v[58:59], v[70:71], v[56:57]
	s_mov_b32 s6, 0x33800000
	v_mov_b32_e32 v62, v59
	v_pk_add_f32 v[62:63], v[58:59], v[62:63]
	v_cmp_lt_f32_e64 s[6:7], |v72|, s6
	v_pk_add_f32 v[60:61], v[60:61], v[62:63]
	v_mov_b32_e32 v57, v62
	v_mov_b32_e32 v59, v60
	v_pk_add_f32 v[64:65], v[58:59], v[66:67] neg_lo:[0,1] neg_hi:[0,1]
	s_or_b64 vcc, vcc, s[6:7]
	v_sub_f32_e32 v29, v58, v64
	v_pk_add_f32 v[56:57], v[56:57], v[64:65] neg_lo:[0,1] neg_hi:[0,1]
	v_sub_f32_e32 v29, v66, v29
	v_add_f32_e32 v29, v56, v29
	v_add_f32_e32 v29, v29, v57
	;; [unrolled: 1-line block ×3, first 2 shown]
	v_cndmask_b32_e32 v29, v29, v72, vcc
	v_add_f32_e32 v29, v28, v29
.LBB171_127:
	s_or_b64 exec, exec, s[4:5]
	v_cmp_eq_u32_e32 vcc, 0, v0
	; wave barrier
	s_nop 1
	v_cndmask_b32_e32 v29, v29, v54, vcc
	ds_write_b32 v55, v29
	; wave barrier
	ds_read_b32 v28, v55 offset:4
	v_max_f32_e32 v57, v29, v29
	v_cmp_u_f32_e32 vcc, v29, v29
	s_waitcnt lgkmcnt(0)
	v_max_f32_e32 v58, v28, v28
	v_min_f32_e32 v56, v57, v58
	v_max_f32_e32 v57, v57, v58
	v_cndmask_b32_e32 v56, v56, v29, vcc
	v_cmp_u_f32_e64 s[48:49], v28, v28
	v_cndmask_b32_e32 v57, v57, v29, vcc
	s_nop 0
	v_cndmask_b32_e64 v56, v56, v28, s[48:49]
	v_cndmask_b32_e64 v28, v57, v28, s[48:49]
	v_cmp_neq_f32_e32 vcc, v56, v28
	v_cmp_class_f32_e64 s[4:5], v56, s33
	s_or_b64 s[6:7], vcc, s[4:5]
	s_and_saveexec_b64 s[4:5], s[6:7]
	s_cbranch_execz .LBB171_129
; %bb.128:
	v_sub_f32_e32 v29, v56, v28
	s_mov_b32 s6, 0x3fb8aa3b
	v_mul_f32_e32 v56, 0x3fb8aa3b, v29
	v_fma_f32 v57, v29, s6, -v56
	v_rndne_f32_e32 v58, v56
	v_fmamk_f32 v57, v29, 0x32a5705f, v57
	v_sub_f32_e32 v56, v56, v58
	v_add_f32_e32 v56, v56, v57
	v_exp_f32_e32 v56, v56
	v_cvt_i32_f32_e32 v57, v58
	s_mov_b32 s6, 0xc2ce8ed0
	v_cmp_ngt_f32_e32 vcc, s6, v29
	s_mov_b32 s6, 0x42b17218
	v_ldexp_f32 v56, v56, v57
	v_cndmask_b32_e32 v56, 0, v56, vcc
	v_mov_b32_e32 v57, 0x7f800000
	v_cmp_nlt_f32_e32 vcc, s6, v29
	s_mov_b32 s6, 0x3f2aaaab
	s_mov_b32 s7, 0x7f800000
	v_cndmask_b32_e32 v72, v57, v56, vcc
	v_add_f32_e32 v29, 1.0, v72
	v_add_f32_e32 v56, -1.0, v29
	v_sub_f32_e32 v57, v56, v29
	v_add_f32_e32 v57, 1.0, v57
	v_sub_f32_e32 v56, v72, v56
	v_add_f32_e32 v58, v56, v57
	v_frexp_mant_f32_e32 v59, v29
	v_cvt_f64_f32_e32 v[56:57], v29
	v_frexp_exp_i32_f64_e32 v56, v[56:57]
	v_cmp_gt_f32_e32 vcc, s6, v59
	s_mov_b32 s6, 0x3f317218
	s_nop 0
	v_subbrev_co_u32_e32 v64, vcc, 0, v56, vcc
	v_sub_u32_e32 v56, 0, v64
	v_ldexp_f32 v29, v29, v56
	v_ldexp_f32 v56, v58, v56
	v_add_f32_e32 v58, -1.0, v29
	v_add_f32_e32 v57, 1.0, v58
	v_sub_f32_e32 v57, v29, v57
	v_add_f32_e32 v59, v56, v57
	v_add_f32_e32 v57, 1.0, v29
	v_add_f32_e32 v60, -1.0, v57
	v_sub_f32_e32 v29, v29, v60
	v_add_f32_e32 v29, v56, v29
	v_add_f32_e32 v65, v57, v29
	v_rcp_f32_e32 v66, v65
	v_sub_f32_e32 v56, v57, v65
	v_add_f32_e32 v57, v58, v59
	v_add_f32_e32 v29, v29, v56
	v_mul_f32_e32 v68, v57, v66
	v_sub_f32_e32 v56, v58, v57
	v_mul_f32_e32 v58, v65, v68
	v_fma_f32 v60, v68, v65, -v58
	v_fmac_f32_e32 v60, v68, v29
	v_add_f32_e32 v67, v59, v56
	v_add_f32_e32 v56, v58, v60
	v_sub_f32_e32 v59, v57, v56
	v_pk_add_f32 v[62:63], v[56:57], v[58:59] neg_lo:[0,1] neg_hi:[0,1]
	v_mov_b32_e32 v61, v56
	v_pk_add_f32 v[56:57], v[62:63], v[60:61] neg_lo:[0,1] neg_hi:[0,1]
	v_cmp_eq_f32_e32 vcc, s7, v72
	v_add_f32_e32 v57, v67, v57
	v_add_f32_e32 v56, v56, v57
	;; [unrolled: 1-line block ×3, first 2 shown]
	v_mul_f32_e32 v67, v66, v57
	v_mul_f32_e32 v58, v65, v67
	v_fma_f32 v60, v67, v65, -v58
	v_fmac_f32_e32 v60, v67, v29
	v_sub_f32_e32 v29, v59, v57
	v_add_f32_e32 v29, v56, v29
	v_add_f32_e32 v56, v58, v60
	v_sub_f32_e32 v59, v57, v56
	v_pk_add_f32 v[62:63], v[56:57], v[58:59] neg_lo:[0,1] neg_hi:[0,1]
	v_mov_b32_e32 v61, v56
	v_pk_add_f32 v[56:57], v[62:63], v[60:61] neg_lo:[0,1] neg_hi:[0,1]
	v_cvt_f32_i32_e32 v58, v64
	v_add_f32_e32 v29, v29, v57
	v_add_f32_e32 v29, v56, v29
	;; [unrolled: 1-line block ×4, first 2 shown]
	v_sub_f32_e32 v57, v56, v68
	v_mul_f32_e32 v29, v66, v29
	v_sub_f32_e32 v57, v67, v57
	v_add_f32_e32 v29, v57, v29
	v_add_f32_e32 v59, v56, v29
	v_mul_f32_e32 v60, v59, v59
	v_mov_b32_e32 v57, 0x3ecc95a3
	v_fmac_f32_e32 v57, 0x3e9b6dac, v60
	v_sub_f32_e32 v56, v59, v56
	v_fmaak_f32 v57, v60, v57, 0x3f2aaada
	v_sub_f32_e32 v29, v29, v56
	v_ldexp_f32 v61, v59, 1
	v_mul_f32_e32 v59, v59, v60
	v_mov_b32_e32 v56, 0x3f317218
	v_pk_mul_f32 v[56:57], v[58:59], v[56:57]
	v_ldexp_f32 v29, v29, 1
	v_fma_f32 v59, v58, s6, -v56
	v_fmamk_f32 v60, v58, 0xb102e308, v59
	v_pk_add_f32 v[58:59], v[56:57], v[60:61]
	v_mov_b32_e32 v62, v56
	v_sub_f32_e32 v61, v59, v61
	v_sub_f32_e32 v61, v57, v61
	v_add_f32_e32 v63, v29, v61
	v_pk_add_f32 v[56:57], v[58:59], v[56:57] neg_lo:[0,1] neg_hi:[0,1]
	v_pk_add_f32 v[64:65], v[58:59], v[62:63]
	v_mov_b32_e32 v61, v58
	v_mov_b32_e32 v57, v65
	v_pk_add_f32 v[66:67], v[60:61], v[56:57] neg_lo:[0,1] neg_hi:[0,1]
	v_pk_add_f32 v[56:57], v[60:61], v[56:57]
	v_mov_b32_e32 v62, v63
	v_mov_b32_e32 v60, v57
	v_pk_add_f32 v[68:69], v[60:61], v[58:59] neg_lo:[0,1] neg_hi:[0,1]
	v_mov_b32_e32 v56, v65
	v_mov_b32_e32 v29, v68
	v_pk_add_f32 v[70:71], v[64:65], v[28:29] neg_lo:[0,1] neg_hi:[0,1]
	v_mov_b32_e32 v64, v59
	v_mov_b32_e32 v65, v68
	;; [unrolled: 1-line block ×3, first 2 shown]
	v_pk_add_f32 v[56:57], v[56:57], v[64:65] neg_lo:[0,1] neg_hi:[0,1]
	v_mov_b32_e32 v63, v58
	v_pk_add_f32 v[56:57], v[62:63], v[56:57] neg_lo:[0,1] neg_hi:[0,1]
	v_mov_b32_e32 v70, v66
	v_pk_add_f32 v[58:59], v[70:71], v[56:57]
	s_mov_b32 s6, 0x33800000
	v_mov_b32_e32 v62, v59
	v_pk_add_f32 v[62:63], v[58:59], v[62:63]
	v_cmp_lt_f32_e64 s[6:7], |v72|, s6
	v_pk_add_f32 v[60:61], v[60:61], v[62:63]
	v_mov_b32_e32 v57, v62
	v_mov_b32_e32 v59, v60
	v_pk_add_f32 v[64:65], v[58:59], v[66:67] neg_lo:[0,1] neg_hi:[0,1]
	s_or_b64 vcc, vcc, s[6:7]
	v_sub_f32_e32 v29, v58, v64
	v_pk_add_f32 v[56:57], v[56:57], v[64:65] neg_lo:[0,1] neg_hi:[0,1]
	v_sub_f32_e32 v29, v66, v29
	v_add_f32_e32 v29, v56, v29
	v_add_f32_e32 v29, v29, v57
	;; [unrolled: 1-line block ×3, first 2 shown]
	v_cndmask_b32_e32 v29, v29, v72, vcc
	v_add_f32_e32 v29, v28, v29
.LBB171_129:
	s_or_b64 exec, exec, s[4:5]
	ds_read_b32 v28, v55 offset:8
	v_max_f32_e32 v57, v29, v29
	v_cmp_u_f32_e32 vcc, v29, v29
	ds_write_b32 v55, v29 offset:4
	s_waitcnt lgkmcnt(1)
	v_max_f32_e32 v58, v28, v28
	v_min_f32_e32 v56, v57, v58
	v_max_f32_e32 v57, v57, v58
	v_cmp_u_f32_e64 s[48:49], v28, v28
	v_cndmask_b32_e32 v56, v56, v29, vcc
	v_cndmask_b32_e32 v57, v57, v29, vcc
	v_cndmask_b32_e64 v56, v56, v28, s[48:49]
	v_cndmask_b32_e64 v28, v57, v28, s[48:49]
	v_cmp_neq_f32_e32 vcc, v56, v28
	v_cmp_class_f32_e64 s[4:5], v56, s33
	s_or_b64 s[6:7], vcc, s[4:5]
	s_and_saveexec_b64 s[4:5], s[6:7]
	s_cbranch_execz .LBB171_131
; %bb.130:
	v_sub_f32_e32 v29, v56, v28
	s_mov_b32 s6, 0x3fb8aa3b
	v_mul_f32_e32 v56, 0x3fb8aa3b, v29
	v_fma_f32 v57, v29, s6, -v56
	v_rndne_f32_e32 v58, v56
	v_fmamk_f32 v57, v29, 0x32a5705f, v57
	v_sub_f32_e32 v56, v56, v58
	v_add_f32_e32 v56, v56, v57
	v_exp_f32_e32 v56, v56
	v_cvt_i32_f32_e32 v57, v58
	s_mov_b32 s6, 0xc2ce8ed0
	v_cmp_ngt_f32_e32 vcc, s6, v29
	s_mov_b32 s6, 0x42b17218
	v_ldexp_f32 v56, v56, v57
	v_cndmask_b32_e32 v56, 0, v56, vcc
	v_mov_b32_e32 v57, 0x7f800000
	v_cmp_nlt_f32_e32 vcc, s6, v29
	s_mov_b32 s6, 0x3f2aaaab
	s_mov_b32 s7, 0x7f800000
	v_cndmask_b32_e32 v72, v57, v56, vcc
	v_add_f32_e32 v29, 1.0, v72
	v_add_f32_e32 v56, -1.0, v29
	v_sub_f32_e32 v57, v56, v29
	v_add_f32_e32 v57, 1.0, v57
	v_sub_f32_e32 v56, v72, v56
	v_add_f32_e32 v58, v56, v57
	v_frexp_mant_f32_e32 v59, v29
	v_cvt_f64_f32_e32 v[56:57], v29
	v_frexp_exp_i32_f64_e32 v56, v[56:57]
	v_cmp_gt_f32_e32 vcc, s6, v59
	s_mov_b32 s6, 0x3f317218
	s_nop 0
	v_subbrev_co_u32_e32 v64, vcc, 0, v56, vcc
	v_sub_u32_e32 v56, 0, v64
	v_ldexp_f32 v29, v29, v56
	v_ldexp_f32 v56, v58, v56
	v_add_f32_e32 v58, -1.0, v29
	v_add_f32_e32 v57, 1.0, v58
	v_sub_f32_e32 v57, v29, v57
	v_add_f32_e32 v59, v56, v57
	v_add_f32_e32 v57, 1.0, v29
	v_add_f32_e32 v60, -1.0, v57
	v_sub_f32_e32 v29, v29, v60
	v_add_f32_e32 v29, v56, v29
	v_add_f32_e32 v65, v57, v29
	v_rcp_f32_e32 v66, v65
	v_sub_f32_e32 v56, v57, v65
	v_add_f32_e32 v57, v58, v59
	v_add_f32_e32 v29, v29, v56
	v_mul_f32_e32 v68, v57, v66
	v_sub_f32_e32 v56, v58, v57
	v_mul_f32_e32 v58, v65, v68
	v_fma_f32 v60, v68, v65, -v58
	v_fmac_f32_e32 v60, v68, v29
	v_add_f32_e32 v67, v59, v56
	v_add_f32_e32 v56, v58, v60
	v_sub_f32_e32 v59, v57, v56
	v_pk_add_f32 v[62:63], v[56:57], v[58:59] neg_lo:[0,1] neg_hi:[0,1]
	v_mov_b32_e32 v61, v56
	v_pk_add_f32 v[56:57], v[62:63], v[60:61] neg_lo:[0,1] neg_hi:[0,1]
	v_cmp_eq_f32_e32 vcc, s7, v72
	v_add_f32_e32 v57, v67, v57
	v_add_f32_e32 v56, v56, v57
	v_add_f32_e32 v57, v59, v56
	v_mul_f32_e32 v67, v66, v57
	v_mul_f32_e32 v58, v65, v67
	v_fma_f32 v60, v67, v65, -v58
	v_fmac_f32_e32 v60, v67, v29
	v_sub_f32_e32 v29, v59, v57
	v_add_f32_e32 v29, v56, v29
	v_add_f32_e32 v56, v58, v60
	v_sub_f32_e32 v59, v57, v56
	v_pk_add_f32 v[62:63], v[56:57], v[58:59] neg_lo:[0,1] neg_hi:[0,1]
	v_mov_b32_e32 v61, v56
	v_pk_add_f32 v[56:57], v[62:63], v[60:61] neg_lo:[0,1] neg_hi:[0,1]
	v_cvt_f32_i32_e32 v58, v64
	v_add_f32_e32 v29, v29, v57
	v_add_f32_e32 v29, v56, v29
	;; [unrolled: 1-line block ×4, first 2 shown]
	v_sub_f32_e32 v57, v56, v68
	v_mul_f32_e32 v29, v66, v29
	v_sub_f32_e32 v57, v67, v57
	v_add_f32_e32 v29, v57, v29
	v_add_f32_e32 v59, v56, v29
	v_mul_f32_e32 v60, v59, v59
	v_mov_b32_e32 v57, 0x3ecc95a3
	v_fmac_f32_e32 v57, 0x3e9b6dac, v60
	v_sub_f32_e32 v56, v59, v56
	v_fmaak_f32 v57, v60, v57, 0x3f2aaada
	v_sub_f32_e32 v29, v29, v56
	v_ldexp_f32 v61, v59, 1
	v_mul_f32_e32 v59, v59, v60
	v_mov_b32_e32 v56, 0x3f317218
	v_pk_mul_f32 v[56:57], v[58:59], v[56:57]
	v_ldexp_f32 v29, v29, 1
	v_fma_f32 v59, v58, s6, -v56
	v_fmamk_f32 v60, v58, 0xb102e308, v59
	v_pk_add_f32 v[58:59], v[56:57], v[60:61]
	v_mov_b32_e32 v62, v56
	v_sub_f32_e32 v61, v59, v61
	v_sub_f32_e32 v61, v57, v61
	v_add_f32_e32 v63, v29, v61
	v_pk_add_f32 v[56:57], v[58:59], v[56:57] neg_lo:[0,1] neg_hi:[0,1]
	v_pk_add_f32 v[64:65], v[58:59], v[62:63]
	v_mov_b32_e32 v61, v58
	v_mov_b32_e32 v57, v65
	v_pk_add_f32 v[66:67], v[60:61], v[56:57] neg_lo:[0,1] neg_hi:[0,1]
	v_pk_add_f32 v[56:57], v[60:61], v[56:57]
	v_mov_b32_e32 v62, v63
	v_mov_b32_e32 v60, v57
	v_pk_add_f32 v[68:69], v[60:61], v[58:59] neg_lo:[0,1] neg_hi:[0,1]
	v_mov_b32_e32 v56, v65
	v_mov_b32_e32 v29, v68
	v_pk_add_f32 v[70:71], v[64:65], v[28:29] neg_lo:[0,1] neg_hi:[0,1]
	v_mov_b32_e32 v64, v59
	v_mov_b32_e32 v65, v68
	v_mov_b32_e32 v67, v57
	v_pk_add_f32 v[56:57], v[56:57], v[64:65] neg_lo:[0,1] neg_hi:[0,1]
	v_mov_b32_e32 v63, v58
	v_pk_add_f32 v[56:57], v[62:63], v[56:57] neg_lo:[0,1] neg_hi:[0,1]
	v_mov_b32_e32 v70, v66
	v_pk_add_f32 v[58:59], v[70:71], v[56:57]
	s_mov_b32 s6, 0x33800000
	v_mov_b32_e32 v62, v59
	v_pk_add_f32 v[62:63], v[58:59], v[62:63]
	v_cmp_lt_f32_e64 s[6:7], |v72|, s6
	v_pk_add_f32 v[60:61], v[60:61], v[62:63]
	v_mov_b32_e32 v57, v62
	v_mov_b32_e32 v59, v60
	v_pk_add_f32 v[64:65], v[58:59], v[66:67] neg_lo:[0,1] neg_hi:[0,1]
	s_or_b64 vcc, vcc, s[6:7]
	v_sub_f32_e32 v29, v58, v64
	v_pk_add_f32 v[56:57], v[56:57], v[64:65] neg_lo:[0,1] neg_hi:[0,1]
	v_sub_f32_e32 v29, v66, v29
	v_add_f32_e32 v29, v56, v29
	v_add_f32_e32 v29, v29, v57
	;; [unrolled: 1-line block ×3, first 2 shown]
	v_cndmask_b32_e32 v29, v29, v72, vcc
	v_add_f32_e32 v29, v28, v29
.LBB171_131:
	s_or_b64 exec, exec, s[4:5]
	ds_read_b32 v28, v55 offset:12
	v_max_f32_e32 v57, v29, v29
	v_cmp_u_f32_e32 vcc, v29, v29
	ds_write_b32 v55, v29 offset:8
	s_waitcnt lgkmcnt(1)
	v_max_f32_e32 v58, v28, v28
	v_min_f32_e32 v56, v57, v58
	v_max_f32_e32 v57, v57, v58
	v_cmp_u_f32_e64 s[48:49], v28, v28
	v_cndmask_b32_e32 v56, v56, v29, vcc
	v_cndmask_b32_e32 v57, v57, v29, vcc
	v_cndmask_b32_e64 v56, v56, v28, s[48:49]
	v_cndmask_b32_e64 v28, v57, v28, s[48:49]
	v_cmp_neq_f32_e32 vcc, v56, v28
	v_cmp_class_f32_e64 s[4:5], v56, s33
	s_or_b64 s[6:7], vcc, s[4:5]
	s_and_saveexec_b64 s[4:5], s[6:7]
	s_cbranch_execz .LBB171_133
; %bb.132:
	v_sub_f32_e32 v29, v56, v28
	s_mov_b32 s6, 0x3fb8aa3b
	v_mul_f32_e32 v56, 0x3fb8aa3b, v29
	v_fma_f32 v57, v29, s6, -v56
	v_rndne_f32_e32 v58, v56
	v_fmamk_f32 v57, v29, 0x32a5705f, v57
	v_sub_f32_e32 v56, v56, v58
	v_add_f32_e32 v56, v56, v57
	v_exp_f32_e32 v56, v56
	v_cvt_i32_f32_e32 v57, v58
	s_mov_b32 s6, 0xc2ce8ed0
	v_cmp_ngt_f32_e32 vcc, s6, v29
	s_mov_b32 s6, 0x42b17218
	v_ldexp_f32 v56, v56, v57
	v_cndmask_b32_e32 v56, 0, v56, vcc
	v_mov_b32_e32 v57, 0x7f800000
	v_cmp_nlt_f32_e32 vcc, s6, v29
	s_mov_b32 s6, 0x3f2aaaab
	s_mov_b32 s7, 0x7f800000
	v_cndmask_b32_e32 v72, v57, v56, vcc
	v_add_f32_e32 v29, 1.0, v72
	v_add_f32_e32 v56, -1.0, v29
	v_sub_f32_e32 v57, v56, v29
	v_add_f32_e32 v57, 1.0, v57
	v_sub_f32_e32 v56, v72, v56
	v_add_f32_e32 v58, v56, v57
	v_frexp_mant_f32_e32 v59, v29
	v_cvt_f64_f32_e32 v[56:57], v29
	v_frexp_exp_i32_f64_e32 v56, v[56:57]
	v_cmp_gt_f32_e32 vcc, s6, v59
	s_mov_b32 s6, 0x3f317218
	s_nop 0
	v_subbrev_co_u32_e32 v64, vcc, 0, v56, vcc
	v_sub_u32_e32 v56, 0, v64
	v_ldexp_f32 v29, v29, v56
	v_ldexp_f32 v56, v58, v56
	v_add_f32_e32 v58, -1.0, v29
	v_add_f32_e32 v57, 1.0, v58
	v_sub_f32_e32 v57, v29, v57
	v_add_f32_e32 v59, v56, v57
	v_add_f32_e32 v57, 1.0, v29
	v_add_f32_e32 v60, -1.0, v57
	v_sub_f32_e32 v29, v29, v60
	v_add_f32_e32 v29, v56, v29
	v_add_f32_e32 v65, v57, v29
	v_rcp_f32_e32 v66, v65
	v_sub_f32_e32 v56, v57, v65
	v_add_f32_e32 v57, v58, v59
	v_add_f32_e32 v29, v29, v56
	v_mul_f32_e32 v68, v57, v66
	v_sub_f32_e32 v56, v58, v57
	v_mul_f32_e32 v58, v65, v68
	v_fma_f32 v60, v68, v65, -v58
	v_fmac_f32_e32 v60, v68, v29
	v_add_f32_e32 v67, v59, v56
	v_add_f32_e32 v56, v58, v60
	v_sub_f32_e32 v59, v57, v56
	v_pk_add_f32 v[62:63], v[56:57], v[58:59] neg_lo:[0,1] neg_hi:[0,1]
	v_mov_b32_e32 v61, v56
	v_pk_add_f32 v[56:57], v[62:63], v[60:61] neg_lo:[0,1] neg_hi:[0,1]
	v_cmp_eq_f32_e32 vcc, s7, v72
	v_add_f32_e32 v57, v67, v57
	v_add_f32_e32 v56, v56, v57
	v_add_f32_e32 v57, v59, v56
	v_mul_f32_e32 v67, v66, v57
	v_mul_f32_e32 v58, v65, v67
	v_fma_f32 v60, v67, v65, -v58
	v_fmac_f32_e32 v60, v67, v29
	v_sub_f32_e32 v29, v59, v57
	v_add_f32_e32 v29, v56, v29
	v_add_f32_e32 v56, v58, v60
	v_sub_f32_e32 v59, v57, v56
	v_pk_add_f32 v[62:63], v[56:57], v[58:59] neg_lo:[0,1] neg_hi:[0,1]
	v_mov_b32_e32 v61, v56
	v_pk_add_f32 v[56:57], v[62:63], v[60:61] neg_lo:[0,1] neg_hi:[0,1]
	v_cvt_f32_i32_e32 v58, v64
	v_add_f32_e32 v29, v29, v57
	v_add_f32_e32 v29, v56, v29
	;; [unrolled: 1-line block ×4, first 2 shown]
	v_sub_f32_e32 v57, v56, v68
	v_mul_f32_e32 v29, v66, v29
	v_sub_f32_e32 v57, v67, v57
	v_add_f32_e32 v29, v57, v29
	v_add_f32_e32 v59, v56, v29
	v_mul_f32_e32 v60, v59, v59
	v_mov_b32_e32 v57, 0x3ecc95a3
	v_fmac_f32_e32 v57, 0x3e9b6dac, v60
	v_sub_f32_e32 v56, v59, v56
	v_fmaak_f32 v57, v60, v57, 0x3f2aaada
	v_sub_f32_e32 v29, v29, v56
	v_ldexp_f32 v61, v59, 1
	v_mul_f32_e32 v59, v59, v60
	v_mov_b32_e32 v56, 0x3f317218
	v_pk_mul_f32 v[56:57], v[58:59], v[56:57]
	v_ldexp_f32 v29, v29, 1
	v_fma_f32 v59, v58, s6, -v56
	v_fmamk_f32 v60, v58, 0xb102e308, v59
	v_pk_add_f32 v[58:59], v[56:57], v[60:61]
	v_mov_b32_e32 v62, v56
	v_sub_f32_e32 v61, v59, v61
	v_sub_f32_e32 v61, v57, v61
	v_add_f32_e32 v63, v29, v61
	v_pk_add_f32 v[56:57], v[58:59], v[56:57] neg_lo:[0,1] neg_hi:[0,1]
	v_pk_add_f32 v[64:65], v[58:59], v[62:63]
	v_mov_b32_e32 v61, v58
	v_mov_b32_e32 v57, v65
	v_pk_add_f32 v[66:67], v[60:61], v[56:57] neg_lo:[0,1] neg_hi:[0,1]
	v_pk_add_f32 v[56:57], v[60:61], v[56:57]
	v_mov_b32_e32 v62, v63
	v_mov_b32_e32 v60, v57
	v_pk_add_f32 v[68:69], v[60:61], v[58:59] neg_lo:[0,1] neg_hi:[0,1]
	v_mov_b32_e32 v56, v65
	v_mov_b32_e32 v29, v68
	v_pk_add_f32 v[70:71], v[64:65], v[28:29] neg_lo:[0,1] neg_hi:[0,1]
	v_mov_b32_e32 v64, v59
	v_mov_b32_e32 v65, v68
	;; [unrolled: 1-line block ×3, first 2 shown]
	v_pk_add_f32 v[56:57], v[56:57], v[64:65] neg_lo:[0,1] neg_hi:[0,1]
	v_mov_b32_e32 v63, v58
	v_pk_add_f32 v[56:57], v[62:63], v[56:57] neg_lo:[0,1] neg_hi:[0,1]
	v_mov_b32_e32 v70, v66
	v_pk_add_f32 v[58:59], v[70:71], v[56:57]
	s_mov_b32 s6, 0x33800000
	v_mov_b32_e32 v62, v59
	v_pk_add_f32 v[62:63], v[58:59], v[62:63]
	v_cmp_lt_f32_e64 s[6:7], |v72|, s6
	v_pk_add_f32 v[60:61], v[60:61], v[62:63]
	v_mov_b32_e32 v57, v62
	v_mov_b32_e32 v59, v60
	v_pk_add_f32 v[64:65], v[58:59], v[66:67] neg_lo:[0,1] neg_hi:[0,1]
	s_or_b64 vcc, vcc, s[6:7]
	v_sub_f32_e32 v29, v58, v64
	v_pk_add_f32 v[56:57], v[56:57], v[64:65] neg_lo:[0,1] neg_hi:[0,1]
	v_sub_f32_e32 v29, v66, v29
	v_add_f32_e32 v29, v56, v29
	v_add_f32_e32 v29, v29, v57
	;; [unrolled: 1-line block ×3, first 2 shown]
	v_cndmask_b32_e32 v29, v29, v72, vcc
	v_add_f32_e32 v29, v28, v29
.LBB171_133:
	s_or_b64 exec, exec, s[4:5]
	ds_write_b32 v55, v29 offset:12
.LBB171_134:
	s_or_b64 exec, exec, s[2:3]
	s_load_dwordx2 s[48:49], s[0:1], 0x18
	v_mul_u32_u24_e32 v28, 0x5c, v0
	v_cmp_ne_u32_e64 s[0:1], 0, v0
	s_waitcnt lgkmcnt(0)
	s_barrier
	s_and_saveexec_b64 s[2:3], s[0:1]
	s_cbranch_execz .LBB171_136
; %bb.135:
	v_add_u32_e32 v0, -1, v0
	v_lshrrev_b32_e32 v29, 5, v0
	v_add_lshl_u32 v0, v29, v0, 2
	ds_read_b32 v54, v0
.LBB171_136:
	s_or_b64 exec, exec, s[2:3]
	s_and_saveexec_b64 s[2:3], s[0:1]
	s_cbranch_execz .LBB171_140
; %bb.137:
	s_waitcnt lgkmcnt(0)
	v_max_f32_e32 v0, v54, v54
	v_min_f32_e32 v29, v0, v53
	v_cmp_u_f32_e32 vcc, v54, v54
	v_max_f32_e32 v0, v0, v53
	s_movk_i32 s0, 0x1f8
	v_cndmask_b32_e32 v29, v29, v54, vcc
	v_cndmask_b32_e32 v0, v0, v54, vcc
	v_cndmask_b32_e64 v29, v29, v2, s[96:97]
	v_cndmask_b32_e64 v0, v0, v2, s[96:97]
	v_cmp_neq_f32_e32 vcc, v29, v0
	v_cmp_class_f32_e64 s[0:1], v29, s0
	s_or_b64 s[4:5], vcc, s[0:1]
	s_and_saveexec_b64 s[0:1], s[4:5]
	s_cbranch_execz .LBB171_139
; %bb.138:
	v_sub_f32_e32 v2, v29, v0
	s_mov_b32 s4, 0x3fb8aa3b
	v_mul_f32_e32 v29, 0x3fb8aa3b, v2
	v_fma_f32 v51, v2, s4, -v29
	v_rndne_f32_e32 v52, v29
	v_fmamk_f32 v51, v2, 0x32a5705f, v51
	v_sub_f32_e32 v29, v29, v52
	v_add_f32_e32 v29, v29, v51
	v_exp_f32_e32 v29, v29
	v_cvt_i32_f32_e32 v51, v52
	s_mov_b32 s4, 0xc2ce8ed0
	v_cmp_ngt_f32_e32 vcc, s4, v2
	s_mov_b32 s4, 0x42b17218
	v_ldexp_f32 v29, v29, v51
	v_cndmask_b32_e32 v29, 0, v29, vcc
	v_mov_b32_e32 v51, 0x7f800000
	v_cmp_nlt_f32_e32 vcc, s4, v2
	s_mov_b32 s4, 0x3f2aaaab
	s_mov_b32 s5, 0x7f800000
	v_cndmask_b32_e32 v51, v51, v29, vcc
	v_add_f32_e32 v2, 1.0, v51
	v_add_f32_e32 v29, -1.0, v2
	v_sub_f32_e32 v52, v29, v2
	v_add_f32_e32 v52, 1.0, v52
	v_sub_f32_e32 v29, v51, v29
	v_add_f32_e32 v29, v29, v52
	v_frexp_mant_f32_e32 v54, v2
	v_cvt_f64_f32_e32 v[52:53], v2
	v_frexp_exp_i32_f64_e32 v52, v[52:53]
	v_cmp_gt_f32_e32 vcc, s4, v54
	s_mov_b32 s4, 0x3f317218
	s_nop 0
	v_subbrev_co_u32_e32 v60, vcc, 0, v52, vcc
	v_sub_u32_e32 v52, 0, v60
	v_ldexp_f32 v2, v2, v52
	v_ldexp_f32 v29, v29, v52
	v_add_f32_e32 v52, -1.0, v2
	v_add_f32_e32 v53, 1.0, v52
	v_sub_f32_e32 v53, v2, v53
	v_add_f32_e32 v54, v29, v53
	v_add_f32_e32 v53, 1.0, v2
	v_add_f32_e32 v55, -1.0, v53
	v_sub_f32_e32 v2, v2, v55
	v_add_f32_e32 v2, v29, v2
	v_add_f32_e32 v29, v53, v2
	v_rcp_f32_e32 v61, v29
	v_sub_f32_e32 v53, v53, v29
	v_add_f32_e32 v2, v2, v53
	v_add_f32_e32 v53, v52, v54
	v_sub_f32_e32 v52, v52, v53
	v_mul_f32_e32 v63, v53, v61
	v_add_f32_e32 v62, v54, v52
	v_mul_f32_e32 v54, v29, v63
	v_fma_f32 v56, v63, v29, -v54
	v_fmac_f32_e32 v56, v63, v2
	v_add_f32_e32 v52, v54, v56
	v_sub_f32_e32 v55, v53, v52
	v_pk_add_f32 v[58:59], v[52:53], v[54:55] neg_lo:[0,1] neg_hi:[0,1]
	v_mov_b32_e32 v57, v52
	v_pk_add_f32 v[52:53], v[58:59], v[56:57] neg_lo:[0,1] neg_hi:[0,1]
	v_cmp_eq_f32_e32 vcc, s5, v51
	v_add_f32_e32 v53, v62, v53
	v_add_f32_e32 v52, v52, v53
	;; [unrolled: 1-line block ×3, first 2 shown]
	v_mul_f32_e32 v62, v61, v53
	v_mul_f32_e32 v54, v29, v62
	v_fma_f32 v56, v62, v29, -v54
	v_fmac_f32_e32 v56, v62, v2
	v_sub_f32_e32 v2, v55, v53
	v_add_f32_e32 v2, v52, v2
	v_add_f32_e32 v52, v54, v56
	v_sub_f32_e32 v55, v53, v52
	v_pk_add_f32 v[58:59], v[52:53], v[54:55] neg_lo:[0,1] neg_hi:[0,1]
	v_mov_b32_e32 v57, v52
	v_pk_add_f32 v[52:53], v[58:59], v[56:57] neg_lo:[0,1] neg_hi:[0,1]
	v_add_f32_e32 v29, v63, v62
	v_add_f32_e32 v2, v2, v53
	;; [unrolled: 1-line block ×4, first 2 shown]
	v_sub_f32_e32 v52, v29, v63
	v_mul_f32_e32 v2, v61, v2
	v_sub_f32_e32 v52, v62, v52
	v_add_f32_e32 v2, v52, v2
	v_add_f32_e32 v52, v29, v2
	v_cvt_f32_i32_e32 v54, v60
	v_mul_f32_e32 v55, v52, v52
	v_mov_b32_e32 v53, 0x3ecc95a3
	v_fmac_f32_e32 v53, 0x3e9b6dac, v55
	v_fmaak_f32 v53, v55, v53, 0x3f2aaada
	v_sub_f32_e32 v29, v52, v29
	v_ldexp_f32 v57, v52, 1
	v_mul_f32_e32 v55, v52, v55
	v_mov_b32_e32 v52, 0x3f317218
	v_pk_mul_f32 v[52:53], v[54:55], v[52:53]
	v_sub_f32_e32 v2, v2, v29
	v_fma_f32 v29, v54, s4, -v52
	v_fmamk_f32 v56, v54, 0xb102e308, v29
	v_pk_add_f32 v[54:55], v[52:53], v[56:57]
	v_ldexp_f32 v2, v2, 1
	v_sub_f32_e32 v29, v55, v57
	v_sub_f32_e32 v29, v53, v29
	v_add_f32_e32 v59, v2, v29
	v_mov_b32_e32 v58, v52
	v_pk_add_f32 v[52:53], v[54:55], v[52:53] neg_lo:[0,1] neg_hi:[0,1]
	v_pk_add_f32 v[60:61], v[54:55], v[58:59]
	v_mov_b32_e32 v57, v54
	v_mov_b32_e32 v53, v61
	v_pk_add_f32 v[62:63], v[56:57], v[52:53] neg_lo:[0,1] neg_hi:[0,1]
	v_pk_add_f32 v[52:53], v[56:57], v[52:53]
	s_mov_b32 s4, 0x33800000
	v_mov_b32_e32 v2, v53
	v_pk_add_f32 v[56:57], v[2:3], v[54:55] neg_lo:[0,1] neg_hi:[0,1]
	v_mov_b32_e32 v52, v61
	v_mov_b32_e32 v29, v56
	v_pk_add_f32 v[64:65], v[60:61], v[28:29] neg_lo:[0,1] neg_hi:[0,1]
	v_mov_b32_e32 v60, v55
	v_mov_b32_e32 v61, v56
	;; [unrolled: 1-line block ×3, first 2 shown]
	v_pk_add_f32 v[52:53], v[52:53], v[60:61] neg_lo:[0,1] neg_hi:[0,1]
	v_mov_b32_e32 v56, v59
	v_mov_b32_e32 v57, v54
	v_pk_add_f32 v[52:53], v[56:57], v[52:53] neg_lo:[0,1] neg_hi:[0,1]
	v_mov_b32_e32 v64, v62
	v_pk_add_f32 v[54:55], v[64:65], v[52:53]
	v_cmp_lt_f32_e64 s[4:5], |v51|, s4
	v_mov_b32_e32 v56, v55
	v_pk_add_f32 v[56:57], v[54:55], v[56:57]
	s_or_b64 vcc, vcc, s[4:5]
	v_pk_add_f32 v[58:59], v[2:3], v[56:57]
	v_mov_b32_e32 v53, v56
	v_mov_b32_e32 v55, v58
	v_pk_add_f32 v[60:61], v[54:55], v[62:63] neg_lo:[0,1] neg_hi:[0,1]
	s_nop 0
	v_sub_f32_e32 v2, v54, v60
	v_pk_add_f32 v[52:53], v[52:53], v[60:61] neg_lo:[0,1] neg_hi:[0,1]
	v_sub_f32_e32 v2, v62, v2
	v_add_f32_e32 v2, v52, v2
	v_add_f32_e32 v2, v2, v53
	;; [unrolled: 1-line block ×3, first 2 shown]
	v_cndmask_b32_e32 v2, v2, v51, vcc
	v_add_f32_e32 v54, v0, v2
.LBB171_139:
	s_or_b64 exec, exec, s[0:1]
	v_max_f32_e32 v0, v54, v54
	v_min_f32_e32 v51, v0, v34
	v_max_f32_e32 v52, v0, v34
	v_mov_b32_e32 v2, v54
	;;#ASMSTART
	;;#ASMEND
.LBB171_140:
	s_or_b64 exec, exec, s[2:3]
	v_cmp_u_f32_e32 vcc, v2, v2
	s_movk_i32 s2, 0x1f8
	s_nop 0
	v_cndmask_b32_e32 v0, v51, v2, vcc
	v_cndmask_b32_e64 v29, v0, v3, s[50:51]
	v_cndmask_b32_e32 v0, v52, v2, vcc
	v_cndmask_b32_e64 v0, v0, v3, s[50:51]
	v_cmp_neq_f32_e32 vcc, v29, v0
	v_cmp_class_f32_e64 s[0:1], v29, s2
	s_or_b64 s[4:5], vcc, s[0:1]
	v_mov_b32_e32 v3, v2
	s_and_saveexec_b64 s[0:1], s[4:5]
	s_cbranch_execz .LBB171_142
; %bb.141:
	v_sub_f32_e32 v3, v29, v0
	s_mov_b32 s3, 0x3fb8aa3b
	v_mul_f32_e32 v29, 0x3fb8aa3b, v3
	v_fma_f32 v34, v3, s3, -v29
	v_rndne_f32_e32 v51, v29
	v_fmamk_f32 v34, v3, 0x32a5705f, v34
	v_sub_f32_e32 v29, v29, v51
	v_add_f32_e32 v29, v29, v34
	v_exp_f32_e32 v29, v29
	v_cvt_i32_f32_e32 v34, v51
	s_mov_b32 s3, 0xc2ce8ed0
	v_cmp_ngt_f32_e32 vcc, s3, v3
	s_mov_b32 s3, 0x42b17218
	v_ldexp_f32 v29, v29, v34
	v_cndmask_b32_e32 v29, 0, v29, vcc
	v_mov_b32_e32 v34, 0x7f800000
	v_cmp_nlt_f32_e32 vcc, s3, v3
	s_mov_b32 s3, 0x3f2aaaab
	s_mov_b32 s4, 0x7f800000
	v_cndmask_b32_e32 v29, v34, v29, vcc
	v_add_f32_e32 v3, 1.0, v29
	v_add_f32_e32 v34, -1.0, v3
	v_sub_f32_e32 v51, v34, v3
	v_add_f32_e32 v51, 1.0, v51
	v_sub_f32_e32 v34, v29, v34
	v_add_f32_e32 v34, v34, v51
	v_frexp_mant_f32_e32 v51, v3
	v_cvt_f64_f32_e32 v[52:53], v3
	v_frexp_exp_i32_f64_e32 v52, v[52:53]
	v_cmp_gt_f32_e32 vcc, s3, v51
	s_mov_b32 s3, 0x3f317218
	s_nop 0
	v_subbrev_co_u32_e32 v51, vcc, 0, v52, vcc
	v_sub_u32_e32 v52, 0, v51
	v_ldexp_f32 v3, v3, v52
	v_ldexp_f32 v34, v34, v52
	v_add_f32_e32 v52, -1.0, v3
	v_add_f32_e32 v53, 1.0, v52
	v_sub_f32_e32 v53, v3, v53
	s_waitcnt lgkmcnt(0)
	v_add_f32_e32 v54, v34, v53
	v_add_f32_e32 v53, 1.0, v3
	v_add_f32_e32 v55, -1.0, v53
	v_sub_f32_e32 v3, v3, v55
	v_add_f32_e32 v3, v34, v3
	v_add_f32_e32 v34, v53, v3
	v_rcp_f32_e32 v60, v34
	v_sub_f32_e32 v53, v53, v34
	v_add_f32_e32 v3, v3, v53
	v_add_f32_e32 v53, v52, v54
	v_sub_f32_e32 v52, v52, v53
	v_mul_f32_e32 v62, v53, v60
	v_add_f32_e32 v61, v54, v52
	v_mul_f32_e32 v54, v34, v62
	v_fma_f32 v56, v62, v34, -v54
	v_fmac_f32_e32 v56, v62, v3
	v_add_f32_e32 v52, v54, v56
	v_sub_f32_e32 v55, v53, v52
	v_pk_add_f32 v[58:59], v[52:53], v[54:55] neg_lo:[0,1] neg_hi:[0,1]
	v_mov_b32_e32 v57, v52
	v_pk_add_f32 v[52:53], v[58:59], v[56:57] neg_lo:[0,1] neg_hi:[0,1]
	v_cmp_eq_f32_e32 vcc, s4, v29
	v_add_f32_e32 v53, v61, v53
	v_add_f32_e32 v52, v52, v53
	;; [unrolled: 1-line block ×3, first 2 shown]
	v_mul_f32_e32 v61, v60, v53
	v_mul_f32_e32 v54, v34, v61
	v_fma_f32 v56, v61, v34, -v54
	v_fmac_f32_e32 v56, v61, v3
	v_sub_f32_e32 v3, v55, v53
	v_add_f32_e32 v3, v52, v3
	v_add_f32_e32 v52, v54, v56
	v_sub_f32_e32 v55, v53, v52
	v_pk_add_f32 v[58:59], v[52:53], v[54:55] neg_lo:[0,1] neg_hi:[0,1]
	v_mov_b32_e32 v57, v52
	v_pk_add_f32 v[52:53], v[58:59], v[56:57] neg_lo:[0,1] neg_hi:[0,1]
	v_add_f32_e32 v34, v62, v61
	v_add_f32_e32 v3, v3, v53
	;; [unrolled: 1-line block ×4, first 2 shown]
	v_sub_f32_e32 v52, v34, v62
	v_mul_f32_e32 v3, v60, v3
	v_sub_f32_e32 v52, v61, v52
	v_add_f32_e32 v3, v52, v3
	v_add_f32_e32 v52, v34, v3
	v_cvt_f32_i32_e32 v54, v51
	v_mul_f32_e32 v55, v52, v52
	v_mov_b32_e32 v53, 0x3ecc95a3
	v_fmac_f32_e32 v53, 0x3e9b6dac, v55
	v_fmaak_f32 v53, v55, v53, 0x3f2aaada
	v_sub_f32_e32 v34, v52, v34
	v_ldexp_f32 v57, v52, 1
	v_mul_f32_e32 v55, v52, v55
	v_mov_b32_e32 v52, 0x3f317218
	v_pk_mul_f32 v[52:53], v[54:55], v[52:53]
	v_sub_f32_e32 v3, v3, v34
	v_fma_f32 v34, v54, s3, -v52
	v_fmamk_f32 v56, v54, 0xb102e308, v34
	v_pk_add_f32 v[54:55], v[52:53], v[56:57]
	v_ldexp_f32 v3, v3, 1
	v_sub_f32_e32 v34, v55, v57
	v_sub_f32_e32 v34, v53, v34
	v_add_f32_e32 v59, v3, v34
	v_mov_b32_e32 v58, v52
	v_pk_add_f32 v[52:53], v[54:55], v[52:53] neg_lo:[0,1] neg_hi:[0,1]
	v_pk_add_f32 v[60:61], v[54:55], v[58:59]
	v_mov_b32_e32 v57, v54
	v_mov_b32_e32 v53, v61
	v_pk_add_f32 v[62:63], v[56:57], v[52:53] neg_lo:[0,1] neg_hi:[0,1]
	v_pk_add_f32 v[52:53], v[56:57], v[52:53]
	s_mov_b32 s3, 0x33800000
	v_mov_b32_e32 v34, v53
	v_pk_add_f32 v[56:57], v[34:35], v[54:55] neg_lo:[0,1] neg_hi:[0,1]
	v_mov_b32_e32 v52, v61
	v_mov_b32_e32 v3, v56
	v_pk_add_f32 v[64:65], v[60:61], v[2:3] neg_lo:[0,1] neg_hi:[0,1]
	v_mov_b32_e32 v60, v55
	v_mov_b32_e32 v61, v56
	;; [unrolled: 1-line block ×3, first 2 shown]
	v_pk_add_f32 v[52:53], v[52:53], v[60:61] neg_lo:[0,1] neg_hi:[0,1]
	v_mov_b32_e32 v56, v59
	v_mov_b32_e32 v57, v54
	v_pk_add_f32 v[52:53], v[56:57], v[52:53] neg_lo:[0,1] neg_hi:[0,1]
	v_mov_b32_e32 v64, v62
	v_pk_add_f32 v[54:55], v[64:65], v[52:53]
	v_cmp_lt_f32_e64 s[4:5], |v29|, s3
	v_mov_b32_e32 v56, v55
	v_pk_add_f32 v[56:57], v[54:55], v[56:57]
	s_or_b64 vcc, vcc, s[4:5]
	v_pk_add_f32 v[58:59], v[34:35], v[56:57]
	v_mov_b32_e32 v53, v56
	v_mov_b32_e32 v55, v58
	v_pk_add_f32 v[60:61], v[54:55], v[62:63] neg_lo:[0,1] neg_hi:[0,1]
	s_nop 0
	v_sub_f32_e32 v3, v54, v60
	v_pk_add_f32 v[52:53], v[52:53], v[60:61] neg_lo:[0,1] neg_hi:[0,1]
	v_sub_f32_e32 v3, v62, v3
	v_add_f32_e32 v3, v52, v3
	v_add_f32_e32 v3, v3, v53
	;; [unrolled: 1-line block ×3, first 2 shown]
	v_cndmask_b32_e32 v3, v3, v29, vcc
	v_add_f32_e32 v3, v0, v3
.LBB171_142:
	s_or_b64 exec, exec, s[0:1]
	v_max_f32_e32 v0, v3, v3
	v_min_f32_e32 v29, v0, v1
	v_cmp_u_f32_e32 vcc, v3, v3
	v_max_f32_e32 v0, v0, v1
	s_nop 0
	v_cndmask_b32_e32 v29, v29, v3, vcc
	v_cndmask_b32_e32 v0, v0, v3, vcc
	v_cndmask_b32_e64 v29, v29, v4, s[52:53]
	v_cndmask_b32_e64 v0, v0, v4, s[52:53]
	v_cmp_neq_f32_e32 vcc, v29, v0
	v_cmp_class_f32_e64 s[0:1], v29, s2
	s_or_b64 s[2:3], vcc, s[0:1]
	v_mov_b32_e32 v4, v3
	s_and_saveexec_b64 s[0:1], s[2:3]
	s_cbranch_execz .LBB171_144
; %bb.143:
	v_sub_f32_e32 v1, v29, v0
	s_mov_b32 s2, 0x3fb8aa3b
	v_mul_f32_e32 v4, 0x3fb8aa3b, v1
	v_fma_f32 v29, v1, s2, -v4
	v_rndne_f32_e32 v34, v4
	v_fmamk_f32 v29, v1, 0x32a5705f, v29
	v_sub_f32_e32 v4, v4, v34
	v_add_f32_e32 v4, v4, v29
	v_exp_f32_e32 v4, v4
	v_cvt_i32_f32_e32 v29, v34
	s_mov_b32 s2, 0xc2ce8ed0
	v_cmp_ngt_f32_e32 vcc, s2, v1
	s_mov_b32 s2, 0x42b17218
	v_ldexp_f32 v4, v4, v29
	v_cndmask_b32_e32 v4, 0, v4, vcc
	v_mov_b32_e32 v29, 0x7f800000
	v_cmp_nlt_f32_e32 vcc, s2, v1
	s_mov_b32 s2, 0x3f2aaaab
	s_mov_b32 s3, 0x7f800000
	v_cndmask_b32_e32 v29, v29, v4, vcc
	v_add_f32_e32 v1, 1.0, v29
	v_add_f32_e32 v4, -1.0, v1
	v_sub_f32_e32 v34, v4, v1
	v_add_f32_e32 v34, 1.0, v34
	v_sub_f32_e32 v4, v29, v4
	v_add_f32_e32 v4, v4, v34
	v_frexp_mant_f32_e32 v34, v1
	v_cvt_f64_f32_e32 v[52:53], v1
	v_frexp_exp_i32_f64_e32 v51, v[52:53]
	v_cmp_gt_f32_e32 vcc, s2, v34
	s_mov_b32 s2, 0x3f317218
	s_nop 0
	v_subbrev_co_u32_e32 v34, vcc, 0, v51, vcc
	v_sub_u32_e32 v51, 0, v34
	v_ldexp_f32 v1, v1, v51
	v_ldexp_f32 v4, v4, v51
	v_add_f32_e32 v51, -1.0, v1
	v_add_f32_e32 v53, 1.0, v1
	v_add_f32_e32 v52, 1.0, v51
	s_waitcnt lgkmcnt(0)
	v_add_f32_e32 v54, -1.0, v53
	v_sub_f32_e32 v52, v1, v52
	v_sub_f32_e32 v1, v1, v54
	v_add_f32_e32 v1, v4, v1
	v_add_f32_e32 v52, v4, v52
	;; [unrolled: 1-line block ×3, first 2 shown]
	v_rcp_f32_e32 v60, v4
	v_sub_f32_e32 v53, v53, v4
	v_add_f32_e32 v1, v1, v53
	v_add_f32_e32 v53, v51, v52
	v_mul_f32_e32 v61, v53, v60
	v_mul_f32_e32 v54, v4, v61
	v_fma_f32 v56, v61, v4, -v54
	v_sub_f32_e32 v51, v51, v53
	v_fmac_f32_e32 v56, v61, v1
	v_add_f32_e32 v51, v52, v51
	v_add_f32_e32 v52, v54, v56
	v_sub_f32_e32 v55, v53, v52
	v_pk_add_f32 v[58:59], v[52:53], v[54:55] neg_lo:[0,1] neg_hi:[0,1]
	v_mov_b32_e32 v57, v52
	v_pk_add_f32 v[52:53], v[58:59], v[56:57] neg_lo:[0,1] neg_hi:[0,1]
	v_cmp_eq_f32_e32 vcc, s3, v29
	v_add_f32_e32 v51, v51, v53
	v_add_f32_e32 v51, v52, v51
	;; [unrolled: 1-line block ×3, first 2 shown]
	v_mul_f32_e32 v62, v60, v53
	v_mul_f32_e32 v54, v4, v62
	v_fma_f32 v56, v62, v4, -v54
	v_fmac_f32_e32 v56, v62, v1
	v_add_f32_e32 v52, v54, v56
	v_sub_f32_e32 v1, v55, v53
	v_sub_f32_e32 v55, v53, v52
	v_pk_add_f32 v[58:59], v[52:53], v[54:55] neg_lo:[0,1] neg_hi:[0,1]
	v_mov_b32_e32 v57, v52
	v_add_f32_e32 v1, v51, v1
	v_pk_add_f32 v[52:53], v[58:59], v[56:57] neg_lo:[0,1] neg_hi:[0,1]
	v_add_f32_e32 v4, v61, v62
	v_add_f32_e32 v1, v1, v53
	;; [unrolled: 1-line block ×4, first 2 shown]
	v_sub_f32_e32 v51, v4, v61
	v_mul_f32_e32 v1, v60, v1
	v_sub_f32_e32 v51, v62, v51
	v_add_f32_e32 v1, v51, v1
	v_add_f32_e32 v51, v4, v1
	v_cvt_f32_i32_e32 v54, v34
	v_mul_f32_e32 v52, v51, v51
	v_mov_b32_e32 v53, 0x3ecc95a3
	v_fmac_f32_e32 v53, 0x3e9b6dac, v52
	v_fmaak_f32 v53, v52, v53, 0x3f2aaada
	v_mul_f32_e32 v55, v51, v52
	v_mov_b32_e32 v52, 0x3f317218
	v_sub_f32_e32 v4, v51, v4
	v_pk_mul_f32 v[52:53], v[54:55], v[52:53]
	v_sub_f32_e32 v1, v1, v4
	v_fma_f32 v4, v54, s2, -v52
	v_ldexp_f32 v57, v51, 1
	v_fmamk_f32 v56, v54, 0xb102e308, v4
	v_pk_add_f32 v[54:55], v[52:53], v[56:57]
	v_ldexp_f32 v1, v1, 1
	v_sub_f32_e32 v4, v55, v57
	v_sub_f32_e32 v4, v53, v4
	v_add_f32_e32 v59, v1, v4
	v_mov_b32_e32 v58, v52
	v_pk_add_f32 v[52:53], v[54:55], v[52:53] neg_lo:[0,1] neg_hi:[0,1]
	v_pk_add_f32 v[60:61], v[54:55], v[58:59]
	v_mov_b32_e32 v57, v54
	v_mov_b32_e32 v53, v61
	v_pk_add_f32 v[62:63], v[56:57], v[52:53] neg_lo:[0,1] neg_hi:[0,1]
	v_pk_add_f32 v[52:53], v[56:57], v[52:53]
	s_mov_b32 s2, 0x33800000
	v_mov_b32_e32 v4, v53
	v_pk_add_f32 v[56:57], v[4:5], v[54:55] neg_lo:[0,1] neg_hi:[0,1]
	v_mov_b32_e32 v52, v61
	v_mov_b32_e32 v1, v56
	v_pk_add_f32 v[64:65], v[60:61], v[0:1] neg_lo:[0,1] neg_hi:[0,1]
	v_mov_b32_e32 v60, v55
	v_mov_b32_e32 v61, v56
	;; [unrolled: 1-line block ×3, first 2 shown]
	v_pk_add_f32 v[52:53], v[52:53], v[60:61] neg_lo:[0,1] neg_hi:[0,1]
	v_mov_b32_e32 v56, v59
	v_mov_b32_e32 v57, v54
	v_pk_add_f32 v[52:53], v[56:57], v[52:53] neg_lo:[0,1] neg_hi:[0,1]
	v_mov_b32_e32 v64, v62
	v_pk_add_f32 v[54:55], v[64:65], v[52:53]
	v_cmp_lt_f32_e64 s[2:3], |v29|, s2
	v_mov_b32_e32 v34, v55
	v_pk_add_f32 v[56:57], v[54:55], v[34:35]
	s_or_b64 vcc, vcc, s[2:3]
	v_pk_add_f32 v[58:59], v[4:5], v[56:57]
	v_mov_b32_e32 v53, v56
	v_mov_b32_e32 v55, v58
	v_pk_add_f32 v[60:61], v[54:55], v[62:63] neg_lo:[0,1] neg_hi:[0,1]
	s_nop 0
	v_sub_f32_e32 v1, v54, v60
	v_pk_add_f32 v[52:53], v[52:53], v[60:61] neg_lo:[0,1] neg_hi:[0,1]
	v_sub_f32_e32 v1, v62, v1
	v_add_f32_e32 v1, v52, v1
	v_add_f32_e32 v1, v1, v53
	;; [unrolled: 1-line block ×3, first 2 shown]
	v_cndmask_b32_e32 v1, v1, v29, vcc
	v_add_f32_e32 v4, v0, v1
.LBB171_144:
	s_or_b64 exec, exec, s[0:1]
	v_max_f32_e32 v0, v4, v4
	v_min_f32_e32 v1, v0, v27
	v_cmp_u_f32_e32 vcc, v4, v4
	v_max_f32_e32 v0, v0, v27
	s_movk_i32 s2, 0x1f8
	v_cndmask_b32_e32 v1, v1, v4, vcc
	v_cndmask_b32_e32 v0, v0, v4, vcc
	v_cndmask_b32_e64 v1, v1, v5, s[54:55]
	v_cndmask_b32_e64 v0, v0, v5, s[54:55]
	v_cmp_neq_f32_e32 vcc, v1, v0
	v_cmp_class_f32_e64 s[0:1], v1, s2
	s_or_b64 s[4:5], vcc, s[0:1]
	v_mov_b32_e32 v5, v4
	s_and_saveexec_b64 s[0:1], s[4:5]
	s_cbranch_execz .LBB171_146
; %bb.145:
	v_sub_f32_e32 v1, v1, v0
	s_mov_b32 s3, 0x3fb8aa3b
	v_mul_f32_e32 v5, 0x3fb8aa3b, v1
	v_fma_f32 v27, v1, s3, -v5
	v_rndne_f32_e32 v29, v5
	v_fmamk_f32 v27, v1, 0x32a5705f, v27
	v_sub_f32_e32 v5, v5, v29
	v_add_f32_e32 v5, v5, v27
	v_exp_f32_e32 v5, v5
	v_cvt_i32_f32_e32 v27, v29
	s_mov_b32 s3, 0xc2ce8ed0
	v_cmp_ngt_f32_e32 vcc, s3, v1
	s_mov_b32 s3, 0x42b17218
	v_ldexp_f32 v5, v5, v27
	v_cndmask_b32_e32 v5, 0, v5, vcc
	v_mov_b32_e32 v27, 0x7f800000
	v_cmp_nlt_f32_e32 vcc, s3, v1
	s_mov_b32 s3, 0x3f2aaaab
	s_mov_b32 s4, 0x7f800000
	v_cndmask_b32_e32 v5, v27, v5, vcc
	v_add_f32_e32 v1, 1.0, v5
	v_add_f32_e32 v27, -1.0, v1
	v_sub_f32_e32 v29, v27, v1
	v_add_f32_e32 v29, 1.0, v29
	v_sub_f32_e32 v27, v5, v27
	v_add_f32_e32 v27, v27, v29
	v_frexp_mant_f32_e32 v29, v1
	v_cvt_f64_f32_e32 v[52:53], v1
	v_frexp_exp_i32_f64_e32 v34, v[52:53]
	v_cmp_gt_f32_e32 vcc, s3, v29
	s_mov_b32 s3, 0x3f317218
	s_nop 0
	v_subbrev_co_u32_e32 v29, vcc, 0, v34, vcc
	v_sub_u32_e32 v34, 0, v29
	v_ldexp_f32 v1, v1, v34
	v_ldexp_f32 v27, v27, v34
	v_add_f32_e32 v34, -1.0, v1
	v_add_f32_e32 v52, 1.0, v1
	v_add_f32_e32 v51, 1.0, v34
	v_add_f32_e32 v53, -1.0, v52
	v_sub_f32_e32 v51, v1, v51
	v_sub_f32_e32 v1, v1, v53
	v_add_f32_e32 v1, v27, v1
	v_add_f32_e32 v51, v27, v51
	;; [unrolled: 1-line block ×3, first 2 shown]
	v_rcp_f32_e32 v60, v27
	v_add_f32_e32 v53, v34, v51
	v_sub_f32_e32 v34, v34, v53
	v_add_f32_e32 v34, v51, v34
	v_mul_f32_e32 v51, v53, v60
	v_sub_f32_e32 v52, v52, v27
	s_waitcnt lgkmcnt(0)
	v_mul_f32_e32 v54, v27, v51
	v_add_f32_e32 v1, v1, v52
	v_fma_f32 v56, v51, v27, -v54
	v_fmac_f32_e32 v56, v51, v1
	v_add_f32_e32 v52, v54, v56
	v_sub_f32_e32 v55, v53, v52
	v_pk_add_f32 v[58:59], v[52:53], v[54:55] neg_lo:[0,1] neg_hi:[0,1]
	v_mov_b32_e32 v57, v52
	v_pk_add_f32 v[52:53], v[58:59], v[56:57] neg_lo:[0,1] neg_hi:[0,1]
	v_cmp_eq_f32_e32 vcc, s4, v5
	v_add_f32_e32 v34, v34, v53
	v_add_f32_e32 v34, v52, v34
	;; [unrolled: 1-line block ×3, first 2 shown]
	v_mul_f32_e32 v61, v60, v53
	v_mul_f32_e32 v54, v27, v61
	v_fma_f32 v56, v61, v27, -v54
	v_fmac_f32_e32 v56, v61, v1
	v_add_f32_e32 v52, v54, v56
	v_sub_f32_e32 v1, v55, v53
	v_sub_f32_e32 v55, v53, v52
	v_pk_add_f32 v[58:59], v[52:53], v[54:55] neg_lo:[0,1] neg_hi:[0,1]
	v_mov_b32_e32 v57, v52
	v_add_f32_e32 v1, v34, v1
	v_pk_add_f32 v[52:53], v[58:59], v[56:57] neg_lo:[0,1] neg_hi:[0,1]
	v_add_f32_e32 v27, v51, v61
	v_add_f32_e32 v1, v1, v53
	;; [unrolled: 1-line block ×4, first 2 shown]
	v_sub_f32_e32 v34, v27, v51
	v_mul_f32_e32 v1, v60, v1
	v_sub_f32_e32 v34, v61, v34
	v_add_f32_e32 v1, v34, v1
	v_add_f32_e32 v34, v27, v1
	v_cvt_f32_i32_e32 v54, v29
	v_mul_f32_e32 v51, v34, v34
	v_mov_b32_e32 v52, 0x3ecc95a3
	v_fmac_f32_e32 v52, 0x3e9b6dac, v51
	v_fmaak_f32 v53, v51, v52, 0x3f2aaada
	v_mul_f32_e32 v55, v34, v51
	v_mov_b32_e32 v52, 0x3f317218
	v_sub_f32_e32 v27, v34, v27
	v_pk_mul_f32 v[52:53], v[54:55], v[52:53]
	v_sub_f32_e32 v1, v1, v27
	v_fma_f32 v27, v54, s3, -v52
	v_ldexp_f32 v57, v34, 1
	v_fmamk_f32 v56, v54, 0xb102e308, v27
	v_pk_add_f32 v[54:55], v[52:53], v[56:57]
	v_ldexp_f32 v1, v1, 1
	v_sub_f32_e32 v27, v55, v57
	v_sub_f32_e32 v27, v53, v27
	v_add_f32_e32 v59, v1, v27
	v_mov_b32_e32 v58, v52
	v_pk_add_f32 v[52:53], v[54:55], v[52:53] neg_lo:[0,1] neg_hi:[0,1]
	v_pk_add_f32 v[60:61], v[54:55], v[58:59]
	v_mov_b32_e32 v57, v54
	v_mov_b32_e32 v53, v61
	v_pk_add_f32 v[62:63], v[56:57], v[52:53] neg_lo:[0,1] neg_hi:[0,1]
	v_pk_add_f32 v[52:53], v[56:57], v[52:53]
	s_mov_b32 s3, 0x33800000
	v_mov_b32_e32 v34, v53
	v_pk_add_f32 v[56:57], v[34:35], v[54:55] neg_lo:[0,1] neg_hi:[0,1]
	v_mov_b32_e32 v52, v61
	v_mov_b32_e32 v1, v56
	v_pk_add_f32 v[64:65], v[60:61], v[0:1] neg_lo:[0,1] neg_hi:[0,1]
	v_mov_b32_e32 v60, v55
	v_mov_b32_e32 v61, v56
	;; [unrolled: 1-line block ×3, first 2 shown]
	v_pk_add_f32 v[52:53], v[52:53], v[60:61] neg_lo:[0,1] neg_hi:[0,1]
	v_mov_b32_e32 v56, v59
	v_mov_b32_e32 v57, v54
	v_pk_add_f32 v[52:53], v[56:57], v[52:53] neg_lo:[0,1] neg_hi:[0,1]
	v_mov_b32_e32 v64, v62
	v_pk_add_f32 v[54:55], v[64:65], v[52:53]
	v_cmp_lt_f32_e64 s[4:5], |v5|, s3
	v_mov_b32_e32 v56, v55
	v_pk_add_f32 v[56:57], v[54:55], v[56:57]
	s_or_b64 vcc, vcc, s[4:5]
	v_pk_add_f32 v[58:59], v[34:35], v[56:57]
	v_mov_b32_e32 v53, v56
	v_mov_b32_e32 v55, v58
	v_pk_add_f32 v[60:61], v[54:55], v[62:63] neg_lo:[0,1] neg_hi:[0,1]
	s_nop 0
	v_sub_f32_e32 v1, v54, v60
	v_pk_add_f32 v[52:53], v[52:53], v[60:61] neg_lo:[0,1] neg_hi:[0,1]
	v_sub_f32_e32 v1, v62, v1
	v_add_f32_e32 v1, v52, v1
	v_add_f32_e32 v1, v1, v53
	;; [unrolled: 1-line block ×3, first 2 shown]
	v_cndmask_b32_e32 v1, v1, v5, vcc
	v_add_f32_e32 v5, v0, v1
.LBB171_146:
	s_or_b64 exec, exec, s[0:1]
	v_max_f32_e32 v0, v5, v5
	v_min_f32_e32 v1, v0, v30
	v_cmp_u_f32_e32 vcc, v5, v5
	v_max_f32_e32 v0, v0, v30
	s_nop 0
	v_cndmask_b32_e32 v1, v1, v5, vcc
	v_cndmask_b32_e32 v0, v0, v5, vcc
	v_cndmask_b32_e64 v1, v1, v22, s[56:57]
	v_cndmask_b32_e64 v0, v0, v22, s[56:57]
	v_cmp_neq_f32_e32 vcc, v1, v0
	v_cmp_class_f32_e64 s[0:1], v1, s2
	s_or_b64 s[2:3], vcc, s[0:1]
	v_mov_b32_e32 v22, v5
	s_and_saveexec_b64 s[0:1], s[2:3]
	s_cbranch_execz .LBB171_148
; %bb.147:
	v_sub_f32_e32 v1, v1, v0
	s_mov_b32 s2, 0x3fb8aa3b
	v_mul_f32_e32 v22, 0x3fb8aa3b, v1
	v_fma_f32 v27, v1, s2, -v22
	v_rndne_f32_e32 v29, v22
	v_fmamk_f32 v27, v1, 0x32a5705f, v27
	v_sub_f32_e32 v22, v22, v29
	v_add_f32_e32 v22, v22, v27
	v_exp_f32_e32 v22, v22
	v_cvt_i32_f32_e32 v27, v29
	s_mov_b32 s2, 0xc2ce8ed0
	v_cmp_ngt_f32_e32 vcc, s2, v1
	s_mov_b32 s2, 0x42b17218
	v_ldexp_f32 v22, v22, v27
	v_cndmask_b32_e32 v22, 0, v22, vcc
	v_mov_b32_e32 v27, 0x7f800000
	v_cmp_nlt_f32_e32 vcc, s2, v1
	s_mov_b32 s2, 0x3f2aaaab
	s_mov_b32 s3, 0x7f800000
	v_cndmask_b32_e32 v27, v27, v22, vcc
	v_add_f32_e32 v1, 1.0, v27
	v_add_f32_e32 v22, -1.0, v1
	v_sub_f32_e32 v29, v22, v1
	v_add_f32_e32 v29, 1.0, v29
	v_sub_f32_e32 v22, v27, v22
	v_add_f32_e32 v22, v22, v29
	v_frexp_mant_f32_e32 v29, v1
	v_cvt_f64_f32_e32 v[52:53], v1
	v_frexp_exp_i32_f64_e32 v30, v[52:53]
	v_cmp_gt_f32_e32 vcc, s2, v29
	s_mov_b32 s2, 0x3f317218
	s_nop 0
	v_subbrev_co_u32_e32 v29, vcc, 0, v30, vcc
	v_sub_u32_e32 v30, 0, v29
	v_ldexp_f32 v1, v1, v30
	v_ldexp_f32 v22, v22, v30
	v_add_f32_e32 v30, -1.0, v1
	v_add_f32_e32 v51, 1.0, v1
	v_add_f32_e32 v34, 1.0, v30
	v_add_f32_e32 v52, -1.0, v51
	v_sub_f32_e32 v34, v1, v34
	v_sub_f32_e32 v1, v1, v52
	v_add_f32_e32 v1, v22, v1
	v_add_f32_e32 v34, v22, v34
	;; [unrolled: 1-line block ×3, first 2 shown]
	v_sub_f32_e32 v51, v51, v22
	v_add_f32_e32 v1, v1, v51
	v_rcp_f32_e32 v51, v22
	v_add_f32_e32 v53, v30, v34
	v_sub_f32_e32 v30, v30, v53
	v_add_f32_e32 v30, v34, v30
	v_mul_f32_e32 v34, v53, v51
	s_waitcnt lgkmcnt(0)
	v_mul_f32_e32 v54, v22, v34
	v_fma_f32 v56, v34, v22, -v54
	v_fmac_f32_e32 v56, v34, v1
	v_add_f32_e32 v52, v54, v56
	v_sub_f32_e32 v55, v53, v52
	v_pk_add_f32 v[58:59], v[52:53], v[54:55] neg_lo:[0,1] neg_hi:[0,1]
	v_mov_b32_e32 v57, v52
	v_pk_add_f32 v[52:53], v[58:59], v[56:57] neg_lo:[0,1] neg_hi:[0,1]
	v_cmp_eq_f32_e32 vcc, s3, v27
	v_add_f32_e32 v30, v30, v53
	v_add_f32_e32 v30, v52, v30
	;; [unrolled: 1-line block ×3, first 2 shown]
	v_mul_f32_e32 v60, v51, v53
	v_mul_f32_e32 v54, v22, v60
	v_fma_f32 v56, v60, v22, -v54
	v_fmac_f32_e32 v56, v60, v1
	v_add_f32_e32 v52, v54, v56
	v_sub_f32_e32 v1, v55, v53
	v_sub_f32_e32 v55, v53, v52
	v_pk_add_f32 v[58:59], v[52:53], v[54:55] neg_lo:[0,1] neg_hi:[0,1]
	v_mov_b32_e32 v57, v52
	v_add_f32_e32 v1, v30, v1
	v_pk_add_f32 v[52:53], v[58:59], v[56:57] neg_lo:[0,1] neg_hi:[0,1]
	v_add_f32_e32 v22, v34, v60
	v_add_f32_e32 v1, v1, v53
	;; [unrolled: 1-line block ×4, first 2 shown]
	v_sub_f32_e32 v30, v22, v34
	v_mul_f32_e32 v1, v51, v1
	v_sub_f32_e32 v30, v60, v30
	v_add_f32_e32 v1, v30, v1
	v_add_f32_e32 v30, v22, v1
	v_cvt_f32_i32_e32 v54, v29
	v_mul_f32_e32 v34, v30, v30
	v_mov_b32_e32 v51, 0x3ecc95a3
	v_fmac_f32_e32 v51, 0x3e9b6dac, v34
	v_fmaak_f32 v53, v34, v51, 0x3f2aaada
	v_mul_f32_e32 v55, v30, v34
	v_mov_b32_e32 v52, 0x3f317218
	v_sub_f32_e32 v22, v30, v22
	v_pk_mul_f32 v[52:53], v[54:55], v[52:53]
	v_sub_f32_e32 v1, v1, v22
	v_fma_f32 v22, v54, s2, -v52
	v_ldexp_f32 v57, v30, 1
	v_fmamk_f32 v56, v54, 0xb102e308, v22
	v_pk_add_f32 v[54:55], v[52:53], v[56:57]
	v_ldexp_f32 v1, v1, 1
	v_sub_f32_e32 v22, v55, v57
	v_sub_f32_e32 v22, v53, v22
	v_add_f32_e32 v59, v1, v22
	v_mov_b32_e32 v58, v52
	v_pk_add_f32 v[52:53], v[54:55], v[52:53] neg_lo:[0,1] neg_hi:[0,1]
	v_pk_add_f32 v[60:61], v[54:55], v[58:59]
	v_mov_b32_e32 v57, v54
	v_mov_b32_e32 v53, v61
	v_pk_add_f32 v[62:63], v[56:57], v[52:53] neg_lo:[0,1] neg_hi:[0,1]
	v_pk_add_f32 v[52:53], v[56:57], v[52:53]
	s_mov_b32 s2, 0x33800000
	v_mov_b32_e32 v22, v53
	v_pk_add_f32 v[56:57], v[22:23], v[54:55] neg_lo:[0,1] neg_hi:[0,1]
	v_mov_b32_e32 v52, v61
	v_mov_b32_e32 v1, v56
	v_pk_add_f32 v[64:65], v[60:61], v[0:1] neg_lo:[0,1] neg_hi:[0,1]
	v_mov_b32_e32 v60, v55
	v_mov_b32_e32 v61, v56
	;; [unrolled: 1-line block ×3, first 2 shown]
	v_pk_add_f32 v[52:53], v[52:53], v[60:61] neg_lo:[0,1] neg_hi:[0,1]
	v_mov_b32_e32 v56, v59
	v_mov_b32_e32 v57, v54
	v_pk_add_f32 v[52:53], v[56:57], v[52:53] neg_lo:[0,1] neg_hi:[0,1]
	v_mov_b32_e32 v64, v62
	v_pk_add_f32 v[54:55], v[64:65], v[52:53]
	v_cmp_lt_f32_e64 s[2:3], |v27|, s2
	v_mov_b32_e32 v30, v55
	v_pk_add_f32 v[56:57], v[54:55], v[30:31]
	s_or_b64 vcc, vcc, s[2:3]
	v_pk_add_f32 v[58:59], v[22:23], v[56:57]
	v_mov_b32_e32 v53, v56
	v_mov_b32_e32 v55, v58
	v_pk_add_f32 v[60:61], v[54:55], v[62:63] neg_lo:[0,1] neg_hi:[0,1]
	s_nop 0
	v_sub_f32_e32 v1, v54, v60
	v_pk_add_f32 v[52:53], v[52:53], v[60:61] neg_lo:[0,1] neg_hi:[0,1]
	v_sub_f32_e32 v1, v62, v1
	v_add_f32_e32 v1, v52, v1
	v_add_f32_e32 v1, v1, v53
	;; [unrolled: 1-line block ×3, first 2 shown]
	v_cndmask_b32_e32 v1, v1, v27, vcc
	v_add_f32_e32 v22, v0, v1
.LBB171_148:
	s_or_b64 exec, exec, s[0:1]
	v_max_f32_e32 v0, v22, v22
	v_min_f32_e32 v1, v0, v31
	v_cmp_u_f32_e32 vcc, v22, v22
	v_max_f32_e32 v0, v0, v31
	s_movk_i32 s2, 0x1f8
	v_cndmask_b32_e32 v1, v1, v22, vcc
	v_cndmask_b32_e32 v0, v0, v22, vcc
	v_cndmask_b32_e64 v1, v1, v23, s[58:59]
	v_cndmask_b32_e64 v0, v0, v23, s[58:59]
	v_cmp_neq_f32_e32 vcc, v1, v0
	v_cmp_class_f32_e64 s[0:1], v1, s2
	s_or_b64 s[4:5], vcc, s[0:1]
	v_mov_b32_e32 v23, v22
	s_and_saveexec_b64 s[0:1], s[4:5]
	s_cbranch_execz .LBB171_150
; %bb.149:
	v_sub_f32_e32 v1, v1, v0
	s_mov_b32 s3, 0x3fb8aa3b
	v_mul_f32_e32 v23, 0x3fb8aa3b, v1
	v_fma_f32 v27, v1, s3, -v23
	v_rndne_f32_e32 v29, v23
	v_fmamk_f32 v27, v1, 0x32a5705f, v27
	v_sub_f32_e32 v23, v23, v29
	v_add_f32_e32 v23, v23, v27
	v_exp_f32_e32 v23, v23
	v_cvt_i32_f32_e32 v27, v29
	s_mov_b32 s3, 0xc2ce8ed0
	v_cmp_ngt_f32_e32 vcc, s3, v1
	s_mov_b32 s3, 0x42b17218
	v_ldexp_f32 v23, v23, v27
	v_cndmask_b32_e32 v23, 0, v23, vcc
	v_mov_b32_e32 v27, 0x7f800000
	v_cmp_nlt_f32_e32 vcc, s3, v1
	s_mov_b32 s3, 0x3f2aaaab
	s_mov_b32 s4, 0x7f800000
	v_cndmask_b32_e32 v23, v27, v23, vcc
	v_add_f32_e32 v1, 1.0, v23
	v_add_f32_e32 v27, -1.0, v1
	v_sub_f32_e32 v29, v27, v1
	v_add_f32_e32 v29, 1.0, v29
	v_sub_f32_e32 v27, v23, v27
	v_add_f32_e32 v27, v27, v29
	v_frexp_mant_f32_e32 v29, v1
	v_cvt_f64_f32_e32 v[30:31], v1
	v_frexp_exp_i32_f64_e32 v30, v[30:31]
	v_cmp_gt_f32_e32 vcc, s3, v29
	s_mov_b32 s3, 0x3f317218
	s_nop 0
	v_subbrev_co_u32_e32 v29, vcc, 0, v30, vcc
	v_sub_u32_e32 v30, 0, v29
	v_ldexp_f32 v1, v1, v30
	v_ldexp_f32 v27, v27, v30
	v_add_f32_e32 v30, -1.0, v1
	v_add_f32_e32 v31, 1.0, v30
	v_sub_f32_e32 v31, v1, v31
	v_add_f32_e32 v34, v27, v31
	v_add_f32_e32 v31, 1.0, v1
	v_add_f32_e32 v51, -1.0, v31
	v_sub_f32_e32 v1, v1, v51
	v_add_f32_e32 v1, v27, v1
	v_add_f32_e32 v27, v31, v1
	v_rcp_f32_e32 v51, v27
	v_sub_f32_e32 v31, v31, v27
	v_add_f32_e32 v1, v1, v31
	v_add_f32_e32 v31, v30, v34
	v_mul_f32_e32 v58, v31, v51
	v_mul_f32_e32 v52, v27, v58
	s_waitcnt lgkmcnt(0)
	v_fma_f32 v54, v58, v27, -v52
	v_sub_f32_e32 v30, v30, v31
	v_fmac_f32_e32 v54, v58, v1
	v_add_f32_e32 v34, v34, v30
	v_add_f32_e32 v30, v52, v54
	v_sub_f32_e32 v53, v31, v30
	v_pk_add_f32 v[56:57], v[30:31], v[52:53] neg_lo:[0,1] neg_hi:[0,1]
	v_mov_b32_e32 v55, v30
	v_pk_add_f32 v[30:31], v[56:57], v[54:55] neg_lo:[0,1] neg_hi:[0,1]
	v_cmp_eq_f32_e32 vcc, s4, v23
	v_add_f32_e32 v31, v34, v31
	v_add_f32_e32 v30, v30, v31
	;; [unrolled: 1-line block ×3, first 2 shown]
	v_mul_f32_e32 v34, v51, v31
	v_mul_f32_e32 v52, v27, v34
	v_fma_f32 v54, v34, v27, -v52
	v_fmac_f32_e32 v54, v34, v1
	v_sub_f32_e32 v1, v53, v31
	v_add_f32_e32 v1, v30, v1
	v_add_f32_e32 v30, v52, v54
	v_sub_f32_e32 v53, v31, v30
	v_pk_add_f32 v[56:57], v[30:31], v[52:53] neg_lo:[0,1] neg_hi:[0,1]
	v_mov_b32_e32 v55, v30
	v_pk_add_f32 v[30:31], v[56:57], v[54:55] neg_lo:[0,1] neg_hi:[0,1]
	v_add_f32_e32 v27, v58, v34
	v_add_f32_e32 v1, v1, v31
	v_add_f32_e32 v1, v30, v1
	v_add_f32_e32 v1, v53, v1
	v_sub_f32_e32 v30, v27, v58
	v_mul_f32_e32 v1, v51, v1
	v_sub_f32_e32 v30, v34, v30
	v_add_f32_e32 v1, v30, v1
	v_add_f32_e32 v30, v27, v1
	v_cvt_f32_i32_e32 v52, v29
	v_mul_f32_e32 v34, v30, v30
	v_mov_b32_e32 v31, 0x3ecc95a3
	v_fmac_f32_e32 v31, 0x3e9b6dac, v34
	v_fmaak_f32 v31, v34, v31, 0x3f2aaada
	v_sub_f32_e32 v27, v30, v27
	v_ldexp_f32 v55, v30, 1
	v_mul_f32_e32 v53, v30, v34
	v_mov_b32_e32 v30, 0x3f317218
	v_pk_mul_f32 v[30:31], v[52:53], v[30:31]
	v_sub_f32_e32 v1, v1, v27
	v_fma_f32 v27, v52, s3, -v30
	v_fmamk_f32 v54, v52, 0xb102e308, v27
	v_pk_add_f32 v[52:53], v[30:31], v[54:55]
	v_ldexp_f32 v1, v1, 1
	v_sub_f32_e32 v27, v53, v55
	v_sub_f32_e32 v27, v31, v27
	v_add_f32_e32 v57, v1, v27
	v_mov_b32_e32 v56, v30
	v_pk_add_f32 v[30:31], v[52:53], v[30:31] neg_lo:[0,1] neg_hi:[0,1]
	v_pk_add_f32 v[58:59], v[52:53], v[56:57]
	v_mov_b32_e32 v55, v52
	v_mov_b32_e32 v31, v59
	v_pk_add_f32 v[60:61], v[54:55], v[30:31] neg_lo:[0,1] neg_hi:[0,1]
	v_pk_add_f32 v[30:31], v[54:55], v[30:31]
	s_mov_b32 s3, 0x33800000
	v_mov_b32_e32 v34, v31
	v_pk_add_f32 v[54:55], v[34:35], v[52:53] neg_lo:[0,1] neg_hi:[0,1]
	v_mov_b32_e32 v30, v59
	v_mov_b32_e32 v1, v54
	v_pk_add_f32 v[62:63], v[58:59], v[0:1] neg_lo:[0,1] neg_hi:[0,1]
	v_mov_b32_e32 v58, v53
	v_mov_b32_e32 v59, v54
	;; [unrolled: 1-line block ×3, first 2 shown]
	v_pk_add_f32 v[30:31], v[30:31], v[58:59] neg_lo:[0,1] neg_hi:[0,1]
	v_mov_b32_e32 v54, v57
	v_mov_b32_e32 v55, v52
	v_pk_add_f32 v[30:31], v[54:55], v[30:31] neg_lo:[0,1] neg_hi:[0,1]
	v_mov_b32_e32 v62, v60
	v_pk_add_f32 v[52:53], v[62:63], v[30:31]
	v_cmp_lt_f32_e64 s[4:5], |v23|, s3
	v_mov_b32_e32 v54, v53
	v_pk_add_f32 v[54:55], v[52:53], v[54:55]
	s_or_b64 vcc, vcc, s[4:5]
	v_pk_add_f32 v[56:57], v[34:35], v[54:55]
	v_mov_b32_e32 v31, v54
	v_mov_b32_e32 v53, v56
	v_pk_add_f32 v[58:59], v[52:53], v[60:61] neg_lo:[0,1] neg_hi:[0,1]
	s_nop 0
	v_sub_f32_e32 v1, v52, v58
	v_pk_add_f32 v[30:31], v[30:31], v[58:59] neg_lo:[0,1] neg_hi:[0,1]
	v_sub_f32_e32 v1, v60, v1
	v_add_f32_e32 v1, v30, v1
	v_add_f32_e32 v1, v1, v31
	;; [unrolled: 1-line block ×3, first 2 shown]
	v_cndmask_b32_e32 v1, v1, v23, vcc
	v_add_f32_e32 v23, v0, v1
.LBB171_150:
	s_or_b64 exec, exec, s[0:1]
	v_max_f32_e32 v0, v23, v23
	v_min_f32_e32 v1, v0, v32
	v_cmp_u_f32_e32 vcc, v23, v23
	v_max_f32_e32 v0, v0, v32
	s_nop 0
	v_cndmask_b32_e32 v1, v1, v23, vcc
	v_cndmask_b32_e32 v0, v0, v23, vcc
	v_cndmask_b32_e64 v1, v1, v24, s[60:61]
	v_cndmask_b32_e64 v0, v0, v24, s[60:61]
	v_cmp_neq_f32_e32 vcc, v1, v0
	v_cmp_class_f32_e64 s[0:1], v1, s2
	s_or_b64 s[2:3], vcc, s[0:1]
	v_mov_b32_e32 v24, v23
	s_and_saveexec_b64 s[0:1], s[2:3]
	s_cbranch_execz .LBB171_152
; %bb.151:
	v_sub_f32_e32 v1, v1, v0
	s_mov_b32 s2, 0x3fb8aa3b
	v_mul_f32_e32 v24, 0x3fb8aa3b, v1
	v_fma_f32 v27, v1, s2, -v24
	v_rndne_f32_e32 v29, v24
	v_fmamk_f32 v27, v1, 0x32a5705f, v27
	v_sub_f32_e32 v24, v24, v29
	v_add_f32_e32 v24, v24, v27
	v_exp_f32_e32 v24, v24
	v_cvt_i32_f32_e32 v27, v29
	s_mov_b32 s2, 0xc2ce8ed0
	v_cmp_ngt_f32_e32 vcc, s2, v1
	s_mov_b32 s2, 0x42b17218
	v_ldexp_f32 v24, v24, v27
	v_cndmask_b32_e32 v24, 0, v24, vcc
	v_mov_b32_e32 v27, 0x7f800000
	v_cmp_nlt_f32_e32 vcc, s2, v1
	s_mov_b32 s2, 0x3f2aaaab
	s_mov_b32 s3, 0x7f800000
	v_cndmask_b32_e32 v27, v27, v24, vcc
	v_add_f32_e32 v1, 1.0, v27
	v_add_f32_e32 v24, -1.0, v1
	v_sub_f32_e32 v29, v24, v1
	v_add_f32_e32 v29, 1.0, v29
	v_sub_f32_e32 v24, v27, v24
	v_add_f32_e32 v24, v24, v29
	v_frexp_mant_f32_e32 v29, v1
	v_cvt_f64_f32_e32 v[30:31], v1
	v_frexp_exp_i32_f64_e32 v30, v[30:31]
	v_cmp_gt_f32_e32 vcc, s2, v29
	s_mov_b32 s2, 0x3f317218
	s_nop 0
	v_subbrev_co_u32_e32 v29, vcc, 0, v30, vcc
	v_sub_u32_e32 v30, 0, v29
	v_ldexp_f32 v1, v1, v30
	v_ldexp_f32 v24, v24, v30
	v_add_f32_e32 v30, -1.0, v1
	v_add_f32_e32 v31, 1.0, v30
	v_sub_f32_e32 v31, v1, v31
	v_add_f32_e32 v32, v24, v31
	v_add_f32_e32 v31, 1.0, v1
	v_add_f32_e32 v34, -1.0, v31
	v_sub_f32_e32 v1, v1, v34
	v_add_f32_e32 v1, v24, v1
	v_add_f32_e32 v24, v31, v1
	v_rcp_f32_e32 v34, v24
	v_sub_f32_e32 v31, v31, v24
	v_add_f32_e32 v1, v1, v31
	v_add_f32_e32 v31, v30, v32
	v_mul_f32_e32 v51, v31, v34
	v_mul_f32_e32 v52, v24, v51
	s_waitcnt lgkmcnt(0)
	v_fma_f32 v54, v51, v24, -v52
	v_sub_f32_e32 v30, v30, v31
	v_fmac_f32_e32 v54, v51, v1
	v_add_f32_e32 v32, v32, v30
	v_add_f32_e32 v30, v52, v54
	v_sub_f32_e32 v53, v31, v30
	v_pk_add_f32 v[56:57], v[30:31], v[52:53] neg_lo:[0,1] neg_hi:[0,1]
	v_mov_b32_e32 v55, v30
	v_pk_add_f32 v[30:31], v[56:57], v[54:55] neg_lo:[0,1] neg_hi:[0,1]
	v_cmp_eq_f32_e32 vcc, s3, v27
	v_add_f32_e32 v31, v32, v31
	v_add_f32_e32 v30, v30, v31
	;; [unrolled: 1-line block ×3, first 2 shown]
	v_mul_f32_e32 v32, v34, v31
	v_mul_f32_e32 v52, v24, v32
	v_fma_f32 v54, v32, v24, -v52
	v_fmac_f32_e32 v54, v32, v1
	v_sub_f32_e32 v1, v53, v31
	v_add_f32_e32 v1, v30, v1
	v_add_f32_e32 v30, v52, v54
	v_sub_f32_e32 v53, v31, v30
	v_pk_add_f32 v[56:57], v[30:31], v[52:53] neg_lo:[0,1] neg_hi:[0,1]
	v_mov_b32_e32 v55, v30
	v_pk_add_f32 v[30:31], v[56:57], v[54:55] neg_lo:[0,1] neg_hi:[0,1]
	v_add_f32_e32 v24, v51, v32
	v_add_f32_e32 v1, v1, v31
	;; [unrolled: 1-line block ×4, first 2 shown]
	v_sub_f32_e32 v30, v24, v51
	v_mul_f32_e32 v1, v34, v1
	v_sub_f32_e32 v30, v32, v30
	v_add_f32_e32 v1, v30, v1
	v_add_f32_e32 v30, v24, v1
	v_cvt_f32_i32_e32 v52, v29
	v_mul_f32_e32 v32, v30, v30
	v_mov_b32_e32 v31, 0x3ecc95a3
	v_fmac_f32_e32 v31, 0x3e9b6dac, v32
	v_fmaak_f32 v31, v32, v31, 0x3f2aaada
	v_sub_f32_e32 v24, v30, v24
	v_ldexp_f32 v55, v30, 1
	v_mul_f32_e32 v53, v30, v32
	v_mov_b32_e32 v30, 0x3f317218
	v_pk_mul_f32 v[30:31], v[52:53], v[30:31]
	v_sub_f32_e32 v1, v1, v24
	v_fma_f32 v24, v52, s2, -v30
	v_fmamk_f32 v54, v52, 0xb102e308, v24
	v_pk_add_f32 v[52:53], v[30:31], v[54:55]
	v_ldexp_f32 v1, v1, 1
	v_sub_f32_e32 v24, v53, v55
	v_sub_f32_e32 v24, v31, v24
	v_add_f32_e32 v57, v1, v24
	v_mov_b32_e32 v56, v30
	v_pk_add_f32 v[30:31], v[52:53], v[30:31] neg_lo:[0,1] neg_hi:[0,1]
	v_pk_add_f32 v[58:59], v[52:53], v[56:57]
	v_mov_b32_e32 v55, v52
	v_mov_b32_e32 v31, v59
	v_pk_add_f32 v[60:61], v[54:55], v[30:31] neg_lo:[0,1] neg_hi:[0,1]
	v_pk_add_f32 v[30:31], v[54:55], v[30:31]
	s_mov_b32 s2, 0x33800000
	v_mov_b32_e32 v24, v31
	v_pk_add_f32 v[54:55], v[24:25], v[52:53] neg_lo:[0,1] neg_hi:[0,1]
	v_mov_b32_e32 v30, v59
	v_mov_b32_e32 v1, v54
	v_pk_add_f32 v[62:63], v[58:59], v[0:1] neg_lo:[0,1] neg_hi:[0,1]
	v_mov_b32_e32 v58, v53
	v_mov_b32_e32 v59, v54
	;; [unrolled: 1-line block ×3, first 2 shown]
	v_pk_add_f32 v[30:31], v[30:31], v[58:59] neg_lo:[0,1] neg_hi:[0,1]
	v_mov_b32_e32 v54, v57
	v_mov_b32_e32 v55, v52
	v_pk_add_f32 v[30:31], v[54:55], v[30:31] neg_lo:[0,1] neg_hi:[0,1]
	v_mov_b32_e32 v62, v60
	v_pk_add_f32 v[52:53], v[62:63], v[30:31]
	v_cmp_lt_f32_e64 s[2:3], |v27|, s2
	v_mov_b32_e32 v32, v53
	v_pk_add_f32 v[54:55], v[52:53], v[32:33]
	s_or_b64 vcc, vcc, s[2:3]
	v_pk_add_f32 v[56:57], v[24:25], v[54:55]
	v_mov_b32_e32 v31, v54
	v_mov_b32_e32 v53, v56
	v_pk_add_f32 v[58:59], v[52:53], v[60:61] neg_lo:[0,1] neg_hi:[0,1]
	s_nop 0
	v_sub_f32_e32 v1, v52, v58
	v_pk_add_f32 v[30:31], v[30:31], v[58:59] neg_lo:[0,1] neg_hi:[0,1]
	v_sub_f32_e32 v1, v60, v1
	v_add_f32_e32 v1, v30, v1
	v_add_f32_e32 v1, v1, v31
	;; [unrolled: 1-line block ×3, first 2 shown]
	v_cndmask_b32_e32 v1, v1, v27, vcc
	v_add_f32_e32 v24, v0, v1
.LBB171_152:
	s_or_b64 exec, exec, s[0:1]
	v_max_f32_e32 v0, v24, v24
	v_min_f32_e32 v1, v0, v33
	v_cmp_u_f32_e32 vcc, v24, v24
	v_max_f32_e32 v0, v0, v33
	s_movk_i32 s2, 0x1f8
	v_cndmask_b32_e32 v1, v1, v24, vcc
	v_cndmask_b32_e32 v0, v0, v24, vcc
	v_cndmask_b32_e64 v1, v1, v25, s[62:63]
	v_cndmask_b32_e64 v0, v0, v25, s[62:63]
	v_cmp_neq_f32_e32 vcc, v1, v0
	v_cmp_class_f32_e64 s[0:1], v1, s2
	s_or_b64 s[4:5], vcc, s[0:1]
	v_mov_b32_e32 v25, v24
	s_and_saveexec_b64 s[0:1], s[4:5]
	s_cbranch_execz .LBB171_154
; %bb.153:
	v_sub_f32_e32 v1, v1, v0
	s_mov_b32 s3, 0x3fb8aa3b
	v_mul_f32_e32 v25, 0x3fb8aa3b, v1
	v_fma_f32 v27, v1, s3, -v25
	v_rndne_f32_e32 v29, v25
	v_fmamk_f32 v27, v1, 0x32a5705f, v27
	v_sub_f32_e32 v25, v25, v29
	v_add_f32_e32 v25, v25, v27
	v_exp_f32_e32 v25, v25
	v_cvt_i32_f32_e32 v27, v29
	s_mov_b32 s3, 0xc2ce8ed0
	v_cmp_ngt_f32_e32 vcc, s3, v1
	s_mov_b32 s3, 0x42b17218
	v_ldexp_f32 v25, v25, v27
	v_cndmask_b32_e32 v25, 0, v25, vcc
	v_mov_b32_e32 v27, 0x7f800000
	v_cmp_nlt_f32_e32 vcc, s3, v1
	s_mov_b32 s3, 0x3f2aaaab
	s_mov_b32 s4, 0x7f800000
	v_cndmask_b32_e32 v25, v27, v25, vcc
	v_add_f32_e32 v1, 1.0, v25
	v_add_f32_e32 v27, -1.0, v1
	v_sub_f32_e32 v29, v27, v1
	v_add_f32_e32 v29, 1.0, v29
	v_sub_f32_e32 v27, v25, v27
	v_add_f32_e32 v27, v27, v29
	v_frexp_mant_f32_e32 v29, v1
	v_cvt_f64_f32_e32 v[30:31], v1
	v_frexp_exp_i32_f64_e32 v30, v[30:31]
	v_cmp_gt_f32_e32 vcc, s3, v29
	s_mov_b32 s3, 0x3f317218
	s_nop 0
	v_subbrev_co_u32_e32 v29, vcc, 0, v30, vcc
	v_sub_u32_e32 v30, 0, v29
	v_ldexp_f32 v1, v1, v30
	v_ldexp_f32 v27, v27, v30
	v_add_f32_e32 v30, -1.0, v1
	v_add_f32_e32 v31, 1.0, v30
	v_sub_f32_e32 v31, v1, v31
	v_add_f32_e32 v32, v27, v31
	v_add_f32_e32 v31, 1.0, v1
	v_add_f32_e32 v33, -1.0, v31
	v_sub_f32_e32 v1, v1, v33
	v_add_f32_e32 v1, v27, v1
	v_add_f32_e32 v27, v31, v1
	v_rcp_f32_e32 v34, v27
	v_sub_f32_e32 v31, v31, v27
	v_add_f32_e32 v1, v1, v31
	v_add_f32_e32 v31, v30, v32
	v_sub_f32_e32 v30, v30, v31
	v_mul_f32_e32 v56, v31, v34
	v_add_f32_e32 v51, v32, v30
	v_mul_f32_e32 v32, v27, v56
	v_fma_f32 v52, v56, v27, -v32
	v_fmac_f32_e32 v52, v56, v1
	v_add_f32_e32 v30, v32, v52
	v_sub_f32_e32 v33, v31, v30
	s_waitcnt lgkmcnt(0)
	v_pk_add_f32 v[54:55], v[30:31], v[32:33] neg_lo:[0,1] neg_hi:[0,1]
	v_mov_b32_e32 v53, v30
	v_pk_add_f32 v[30:31], v[54:55], v[52:53] neg_lo:[0,1] neg_hi:[0,1]
	v_cmp_eq_f32_e32 vcc, s4, v25
	v_add_f32_e32 v31, v51, v31
	v_add_f32_e32 v30, v30, v31
	;; [unrolled: 1-line block ×3, first 2 shown]
	v_mul_f32_e32 v51, v34, v31
	v_mul_f32_e32 v32, v27, v51
	v_fma_f32 v52, v51, v27, -v32
	v_fmac_f32_e32 v52, v51, v1
	v_sub_f32_e32 v1, v33, v31
	v_add_f32_e32 v1, v30, v1
	v_add_f32_e32 v30, v32, v52
	v_sub_f32_e32 v33, v31, v30
	v_pk_add_f32 v[54:55], v[30:31], v[32:33] neg_lo:[0,1] neg_hi:[0,1]
	v_mov_b32_e32 v53, v30
	v_pk_add_f32 v[30:31], v[54:55], v[52:53] neg_lo:[0,1] neg_hi:[0,1]
	v_add_f32_e32 v27, v56, v51
	v_add_f32_e32 v1, v1, v31
	v_add_f32_e32 v1, v30, v1
	v_add_f32_e32 v1, v33, v1
	v_sub_f32_e32 v30, v27, v56
	v_mul_f32_e32 v1, v34, v1
	v_sub_f32_e32 v30, v51, v30
	v_add_f32_e32 v1, v30, v1
	v_add_f32_e32 v30, v27, v1
	v_cvt_f32_i32_e32 v32, v29
	v_mul_f32_e32 v33, v30, v30
	v_mov_b32_e32 v31, 0x3ecc95a3
	v_fmac_f32_e32 v31, 0x3e9b6dac, v33
	v_fmaak_f32 v31, v33, v31, 0x3f2aaada
	v_sub_f32_e32 v27, v30, v27
	v_ldexp_f32 v53, v30, 1
	v_mul_f32_e32 v33, v30, v33
	v_mov_b32_e32 v30, 0x3f317218
	v_pk_mul_f32 v[30:31], v[32:33], v[30:31]
	v_sub_f32_e32 v1, v1, v27
	v_fma_f32 v27, v32, s3, -v30
	v_fmamk_f32 v52, v32, 0xb102e308, v27
	v_pk_add_f32 v[32:33], v[30:31], v[52:53]
	v_ldexp_f32 v1, v1, 1
	v_sub_f32_e32 v27, v33, v53
	v_sub_f32_e32 v27, v31, v27
	v_add_f32_e32 v55, v1, v27
	v_mov_b32_e32 v54, v30
	v_pk_add_f32 v[30:31], v[32:33], v[30:31] neg_lo:[0,1] neg_hi:[0,1]
	v_pk_add_f32 v[56:57], v[32:33], v[54:55]
	v_mov_b32_e32 v53, v32
	v_mov_b32_e32 v31, v57
	v_pk_add_f32 v[58:59], v[52:53], v[30:31] neg_lo:[0,1] neg_hi:[0,1]
	v_pk_add_f32 v[30:31], v[52:53], v[30:31]
	s_mov_b32 s3, 0x33800000
	v_mov_b32_e32 v34, v31
	v_pk_add_f32 v[52:53], v[34:35], v[32:33] neg_lo:[0,1] neg_hi:[0,1]
	v_mov_b32_e32 v30, v57
	v_mov_b32_e32 v1, v52
	v_pk_add_f32 v[60:61], v[56:57], v[0:1] neg_lo:[0,1] neg_hi:[0,1]
	v_mov_b32_e32 v56, v33
	v_mov_b32_e32 v57, v52
	;; [unrolled: 1-line block ×3, first 2 shown]
	v_pk_add_f32 v[30:31], v[30:31], v[56:57] neg_lo:[0,1] neg_hi:[0,1]
	v_mov_b32_e32 v52, v55
	v_mov_b32_e32 v53, v32
	v_pk_add_f32 v[30:31], v[52:53], v[30:31] neg_lo:[0,1] neg_hi:[0,1]
	v_mov_b32_e32 v60, v58
	v_pk_add_f32 v[32:33], v[60:61], v[30:31]
	v_cmp_lt_f32_e64 s[4:5], |v25|, s3
	v_mov_b32_e32 v52, v33
	v_pk_add_f32 v[52:53], v[32:33], v[52:53]
	s_or_b64 vcc, vcc, s[4:5]
	v_pk_add_f32 v[54:55], v[34:35], v[52:53]
	v_mov_b32_e32 v31, v52
	v_mov_b32_e32 v33, v54
	v_pk_add_f32 v[56:57], v[32:33], v[58:59] neg_lo:[0,1] neg_hi:[0,1]
	s_nop 0
	v_sub_f32_e32 v1, v32, v56
	v_pk_add_f32 v[30:31], v[30:31], v[56:57] neg_lo:[0,1] neg_hi:[0,1]
	v_sub_f32_e32 v1, v58, v1
	v_add_f32_e32 v1, v30, v1
	v_add_f32_e32 v1, v1, v31
	;; [unrolled: 1-line block ×3, first 2 shown]
	v_cndmask_b32_e32 v1, v1, v25, vcc
	v_add_f32_e32 v25, v0, v1
.LBB171_154:
	s_or_b64 exec, exec, s[0:1]
	v_max_f32_e32 v0, v25, v25
	v_min_f32_e32 v1, v0, v35
	v_cmp_u_f32_e32 vcc, v25, v25
	v_max_f32_e32 v0, v0, v35
	s_nop 0
	v_cndmask_b32_e32 v1, v1, v25, vcc
	v_cndmask_b32_e32 v0, v0, v25, vcc
	v_cndmask_b32_e64 v1, v1, v18, s[64:65]
	v_cndmask_b32_e64 v0, v0, v18, s[64:65]
	v_cmp_neq_f32_e32 vcc, v1, v0
	v_cmp_class_f32_e64 s[0:1], v1, s2
	s_or_b64 s[2:3], vcc, s[0:1]
	v_mov_b32_e32 v18, v25
	s_and_saveexec_b64 s[0:1], s[2:3]
	s_cbranch_execz .LBB171_156
; %bb.155:
	v_sub_f32_e32 v1, v1, v0
	s_mov_b32 s2, 0x3fb8aa3b
	v_mul_f32_e32 v18, 0x3fb8aa3b, v1
	v_fma_f32 v27, v1, s2, -v18
	v_rndne_f32_e32 v29, v18
	v_fmamk_f32 v27, v1, 0x32a5705f, v27
	v_sub_f32_e32 v18, v18, v29
	v_add_f32_e32 v18, v18, v27
	v_exp_f32_e32 v18, v18
	v_cvt_i32_f32_e32 v27, v29
	s_mov_b32 s2, 0xc2ce8ed0
	v_cmp_ngt_f32_e32 vcc, s2, v1
	s_mov_b32 s2, 0x42b17218
	v_ldexp_f32 v18, v18, v27
	v_cndmask_b32_e32 v18, 0, v18, vcc
	v_mov_b32_e32 v27, 0x7f800000
	v_cmp_nlt_f32_e32 vcc, s2, v1
	s_mov_b32 s2, 0x3f2aaaab
	s_mov_b32 s3, 0x7f800000
	v_cndmask_b32_e32 v27, v27, v18, vcc
	v_add_f32_e32 v1, 1.0, v27
	v_add_f32_e32 v18, -1.0, v1
	v_sub_f32_e32 v29, v18, v1
	v_add_f32_e32 v29, 1.0, v29
	v_sub_f32_e32 v18, v27, v18
	v_add_f32_e32 v18, v18, v29
	v_frexp_mant_f32_e32 v29, v1
	v_cvt_f64_f32_e32 v[30:31], v1
	v_frexp_exp_i32_f64_e32 v30, v[30:31]
	v_cmp_gt_f32_e32 vcc, s2, v29
	s_mov_b32 s2, 0x3f317218
	s_nop 0
	v_subbrev_co_u32_e32 v29, vcc, 0, v30, vcc
	v_sub_u32_e32 v30, 0, v29
	v_ldexp_f32 v1, v1, v30
	v_ldexp_f32 v18, v18, v30
	v_add_f32_e32 v30, -1.0, v1
	v_add_f32_e32 v31, 1.0, v30
	v_sub_f32_e32 v31, v1, v31
	v_add_f32_e32 v32, v18, v31
	v_add_f32_e32 v31, 1.0, v1
	v_add_f32_e32 v33, -1.0, v31
	v_sub_f32_e32 v1, v1, v33
	v_add_f32_e32 v1, v18, v1
	v_add_f32_e32 v18, v31, v1
	v_rcp_f32_e32 v51, v18
	v_sub_f32_e32 v31, v31, v18
	v_add_f32_e32 v1, v1, v31
	v_add_f32_e32 v31, v30, v32
	v_sub_f32_e32 v30, v30, v31
	v_mul_f32_e32 v55, v31, v51
	s_waitcnt lgkmcnt(0)
	v_add_f32_e32 v54, v32, v30
	v_mul_f32_e32 v32, v18, v55
	v_fma_f32 v34, v55, v18, -v32
	v_fmac_f32_e32 v34, v55, v1
	v_add_f32_e32 v30, v32, v34
	v_sub_f32_e32 v33, v31, v30
	v_pk_add_f32 v[52:53], v[30:31], v[32:33] neg_lo:[0,1] neg_hi:[0,1]
	v_mov_b32_e32 v35, v30
	v_pk_add_f32 v[30:31], v[52:53], v[34:35] neg_lo:[0,1] neg_hi:[0,1]
	v_cmp_eq_f32_e32 vcc, s3, v27
	v_add_f32_e32 v31, v54, v31
	v_add_f32_e32 v30, v30, v31
	;; [unrolled: 1-line block ×3, first 2 shown]
	v_mul_f32_e32 v54, v51, v31
	v_mul_f32_e32 v32, v18, v54
	v_fma_f32 v34, v54, v18, -v32
	v_fmac_f32_e32 v34, v54, v1
	v_sub_f32_e32 v1, v33, v31
	v_add_f32_e32 v1, v30, v1
	v_add_f32_e32 v30, v32, v34
	v_sub_f32_e32 v33, v31, v30
	v_pk_add_f32 v[52:53], v[30:31], v[32:33] neg_lo:[0,1] neg_hi:[0,1]
	v_mov_b32_e32 v35, v30
	v_pk_add_f32 v[30:31], v[52:53], v[34:35] neg_lo:[0,1] neg_hi:[0,1]
	v_add_f32_e32 v18, v55, v54
	v_add_f32_e32 v1, v1, v31
	;; [unrolled: 1-line block ×4, first 2 shown]
	v_sub_f32_e32 v30, v18, v55
	v_mul_f32_e32 v1, v51, v1
	v_sub_f32_e32 v30, v54, v30
	v_add_f32_e32 v1, v30, v1
	v_add_f32_e32 v30, v18, v1
	v_cvt_f32_i32_e32 v32, v29
	v_mul_f32_e32 v33, v30, v30
	v_mov_b32_e32 v31, 0x3ecc95a3
	v_fmac_f32_e32 v31, 0x3e9b6dac, v33
	v_fmaak_f32 v31, v33, v31, 0x3f2aaada
	v_sub_f32_e32 v18, v30, v18
	v_ldexp_f32 v35, v30, 1
	v_mul_f32_e32 v33, v30, v33
	v_mov_b32_e32 v30, 0x3f317218
	v_pk_mul_f32 v[30:31], v[32:33], v[30:31]
	v_sub_f32_e32 v1, v1, v18
	v_fma_f32 v18, v32, s2, -v30
	v_fmamk_f32 v34, v32, 0xb102e308, v18
	v_pk_add_f32 v[32:33], v[30:31], v[34:35]
	v_ldexp_f32 v1, v1, 1
	v_sub_f32_e32 v18, v33, v35
	v_sub_f32_e32 v18, v31, v18
	v_add_f32_e32 v53, v1, v18
	v_mov_b32_e32 v52, v30
	v_pk_add_f32 v[30:31], v[32:33], v[30:31] neg_lo:[0,1] neg_hi:[0,1]
	v_pk_add_f32 v[54:55], v[32:33], v[52:53]
	v_mov_b32_e32 v35, v32
	v_mov_b32_e32 v31, v55
	v_pk_add_f32 v[56:57], v[34:35], v[30:31] neg_lo:[0,1] neg_hi:[0,1]
	v_pk_add_f32 v[30:31], v[34:35], v[30:31]
	s_mov_b32 s2, 0x33800000
	v_mov_b32_e32 v18, v31
	v_pk_add_f32 v[34:35], v[18:19], v[32:33] neg_lo:[0,1] neg_hi:[0,1]
	v_mov_b32_e32 v30, v55
	v_mov_b32_e32 v1, v34
	v_pk_add_f32 v[58:59], v[54:55], v[0:1] neg_lo:[0,1] neg_hi:[0,1]
	v_mov_b32_e32 v54, v33
	v_mov_b32_e32 v55, v34
	;; [unrolled: 1-line block ×3, first 2 shown]
	v_pk_add_f32 v[30:31], v[30:31], v[54:55] neg_lo:[0,1] neg_hi:[0,1]
	v_mov_b32_e32 v34, v53
	v_mov_b32_e32 v35, v32
	v_pk_add_f32 v[30:31], v[34:35], v[30:31] neg_lo:[0,1] neg_hi:[0,1]
	v_mov_b32_e32 v58, v56
	v_pk_add_f32 v[32:33], v[58:59], v[30:31]
	v_cmp_lt_f32_e64 s[2:3], |v27|, s2
	v_mov_b32_e32 v34, v33
	v_pk_add_f32 v[34:35], v[32:33], v[34:35]
	s_or_b64 vcc, vcc, s[2:3]
	v_pk_add_f32 v[52:53], v[18:19], v[34:35]
	v_mov_b32_e32 v31, v34
	v_mov_b32_e32 v33, v52
	v_pk_add_f32 v[54:55], v[32:33], v[56:57] neg_lo:[0,1] neg_hi:[0,1]
	s_nop 0
	v_sub_f32_e32 v1, v32, v54
	v_pk_add_f32 v[30:31], v[30:31], v[54:55] neg_lo:[0,1] neg_hi:[0,1]
	v_sub_f32_e32 v1, v56, v1
	v_add_f32_e32 v1, v30, v1
	v_add_f32_e32 v1, v1, v31
	;; [unrolled: 1-line block ×3, first 2 shown]
	v_cndmask_b32_e32 v1, v1, v27, vcc
	v_add_f32_e32 v18, v0, v1
.LBB171_156:
	s_or_b64 exec, exec, s[0:1]
	v_max_f32_e32 v0, v18, v18
	v_min_f32_e32 v1, v0, v36
	v_cmp_u_f32_e32 vcc, v18, v18
	v_max_f32_e32 v0, v0, v36
	s_movk_i32 s2, 0x1f8
	v_cndmask_b32_e32 v1, v1, v18, vcc
	v_cndmask_b32_e32 v0, v0, v18, vcc
	v_cndmask_b32_e64 v1, v1, v19, s[66:67]
	v_cndmask_b32_e64 v0, v0, v19, s[66:67]
	v_cmp_neq_f32_e32 vcc, v1, v0
	v_cmp_class_f32_e64 s[0:1], v1, s2
	s_or_b64 s[4:5], vcc, s[0:1]
	v_mov_b32_e32 v19, v18
	s_and_saveexec_b64 s[0:1], s[4:5]
	s_cbranch_execz .LBB171_158
; %bb.157:
	v_sub_f32_e32 v1, v1, v0
	s_mov_b32 s3, 0x3fb8aa3b
	v_mul_f32_e32 v19, 0x3fb8aa3b, v1
	v_fma_f32 v27, v1, s3, -v19
	v_rndne_f32_e32 v29, v19
	v_fmamk_f32 v27, v1, 0x32a5705f, v27
	v_sub_f32_e32 v19, v19, v29
	v_add_f32_e32 v19, v19, v27
	v_exp_f32_e32 v19, v19
	v_cvt_i32_f32_e32 v27, v29
	s_mov_b32 s3, 0xc2ce8ed0
	v_cmp_ngt_f32_e32 vcc, s3, v1
	s_mov_b32 s3, 0x42b17218
	v_ldexp_f32 v19, v19, v27
	v_cndmask_b32_e32 v19, 0, v19, vcc
	v_mov_b32_e32 v27, 0x7f800000
	v_cmp_nlt_f32_e32 vcc, s3, v1
	s_mov_b32 s3, 0x3f2aaaab
	s_mov_b32 s4, 0x7f800000
	v_cndmask_b32_e32 v19, v27, v19, vcc
	v_add_f32_e32 v1, 1.0, v19
	v_add_f32_e32 v27, -1.0, v1
	v_sub_f32_e32 v29, v27, v1
	v_add_f32_e32 v29, 1.0, v29
	v_sub_f32_e32 v27, v19, v27
	v_add_f32_e32 v27, v27, v29
	v_frexp_mant_f32_e32 v29, v1
	v_cvt_f64_f32_e32 v[30:31], v1
	v_frexp_exp_i32_f64_e32 v30, v[30:31]
	v_cmp_gt_f32_e32 vcc, s3, v29
	s_mov_b32 s3, 0x3f317218
	s_nop 0
	v_subbrev_co_u32_e32 v29, vcc, 0, v30, vcc
	v_sub_u32_e32 v30, 0, v29
	v_ldexp_f32 v1, v1, v30
	v_ldexp_f32 v27, v27, v30
	v_add_f32_e32 v30, -1.0, v1
	v_add_f32_e32 v31, 1.0, v30
	v_sub_f32_e32 v31, v1, v31
	v_add_f32_e32 v32, v27, v31
	v_add_f32_e32 v31, 1.0, v1
	v_add_f32_e32 v33, -1.0, v31
	v_sub_f32_e32 v1, v1, v33
	v_add_f32_e32 v1, v27, v1
	v_add_f32_e32 v27, v31, v1
	v_rcp_f32_e32 v36, v27
	v_sub_f32_e32 v31, v31, v27
	v_add_f32_e32 v1, v1, v31
	v_add_f32_e32 v31, v30, v32
	v_sub_f32_e32 v30, v30, v31
	s_waitcnt lgkmcnt(0)
	v_mul_f32_e32 v54, v31, v36
	v_add_f32_e32 v51, v32, v30
	v_mul_f32_e32 v32, v27, v54
	v_fma_f32 v34, v54, v27, -v32
	v_fmac_f32_e32 v34, v54, v1
	v_add_f32_e32 v30, v32, v34
	v_sub_f32_e32 v33, v31, v30
	v_pk_add_f32 v[52:53], v[30:31], v[32:33] neg_lo:[0,1] neg_hi:[0,1]
	v_mov_b32_e32 v35, v30
	v_pk_add_f32 v[30:31], v[52:53], v[34:35] neg_lo:[0,1] neg_hi:[0,1]
	v_cmp_eq_f32_e32 vcc, s4, v19
	v_add_f32_e32 v31, v51, v31
	v_add_f32_e32 v30, v30, v31
	;; [unrolled: 1-line block ×3, first 2 shown]
	v_mul_f32_e32 v51, v36, v31
	v_mul_f32_e32 v32, v27, v51
	v_fma_f32 v34, v51, v27, -v32
	v_fmac_f32_e32 v34, v51, v1
	v_sub_f32_e32 v1, v33, v31
	v_add_f32_e32 v1, v30, v1
	v_add_f32_e32 v30, v32, v34
	v_sub_f32_e32 v33, v31, v30
	v_pk_add_f32 v[52:53], v[30:31], v[32:33] neg_lo:[0,1] neg_hi:[0,1]
	v_mov_b32_e32 v35, v30
	v_pk_add_f32 v[30:31], v[52:53], v[34:35] neg_lo:[0,1] neg_hi:[0,1]
	v_add_f32_e32 v27, v54, v51
	v_add_f32_e32 v1, v1, v31
	v_add_f32_e32 v1, v30, v1
	v_add_f32_e32 v1, v33, v1
	v_sub_f32_e32 v30, v27, v54
	v_mul_f32_e32 v1, v36, v1
	v_sub_f32_e32 v30, v51, v30
	v_add_f32_e32 v1, v30, v1
	v_add_f32_e32 v30, v27, v1
	v_cvt_f32_i32_e32 v32, v29
	v_mul_f32_e32 v33, v30, v30
	v_mov_b32_e32 v31, 0x3ecc95a3
	v_fmac_f32_e32 v31, 0x3e9b6dac, v33
	v_fmaak_f32 v31, v33, v31, 0x3f2aaada
	v_sub_f32_e32 v27, v30, v27
	v_ldexp_f32 v35, v30, 1
	v_mul_f32_e32 v33, v30, v33
	v_mov_b32_e32 v30, 0x3f317218
	v_pk_mul_f32 v[30:31], v[32:33], v[30:31]
	v_sub_f32_e32 v1, v1, v27
	v_fma_f32 v27, v32, s3, -v30
	v_fmamk_f32 v34, v32, 0xb102e308, v27
	v_pk_add_f32 v[32:33], v[30:31], v[34:35]
	v_ldexp_f32 v1, v1, 1
	v_sub_f32_e32 v27, v33, v35
	v_sub_f32_e32 v27, v31, v27
	v_add_f32_e32 v53, v1, v27
	v_mov_b32_e32 v52, v30
	v_pk_add_f32 v[30:31], v[32:33], v[30:31] neg_lo:[0,1] neg_hi:[0,1]
	v_pk_add_f32 v[54:55], v[32:33], v[52:53]
	v_mov_b32_e32 v35, v32
	v_mov_b32_e32 v31, v55
	v_pk_add_f32 v[56:57], v[34:35], v[30:31] neg_lo:[0,1] neg_hi:[0,1]
	v_pk_add_f32 v[30:31], v[34:35], v[30:31]
	v_mov_b32_e32 v52, v53
	v_mov_b32_e32 v34, v31
	v_pk_add_f32 v[58:59], v[34:35], v[32:33] neg_lo:[0,1] neg_hi:[0,1]
	v_mov_b32_e32 v30, v55
	v_mov_b32_e32 v1, v58
	v_pk_add_f32 v[60:61], v[54:55], v[0:1] neg_lo:[0,1] neg_hi:[0,1]
	v_mov_b32_e32 v54, v33
	v_mov_b32_e32 v55, v58
	;; [unrolled: 1-line block ×3, first 2 shown]
	v_pk_add_f32 v[30:31], v[30:31], v[54:55] neg_lo:[0,1] neg_hi:[0,1]
	v_mov_b32_e32 v53, v32
	v_pk_add_f32 v[30:31], v[52:53], v[30:31] neg_lo:[0,1] neg_hi:[0,1]
	v_mov_b32_e32 v60, v56
	v_pk_add_f32 v[32:33], v[60:61], v[30:31]
	s_mov_b32 s3, 0x33800000
	v_mov_b32_e32 v36, v33
	v_pk_add_f32 v[52:53], v[32:33], v[36:37]
	v_cmp_lt_f32_e64 s[4:5], |v19|, s3
	v_pk_add_f32 v[34:35], v[34:35], v[52:53]
	v_mov_b32_e32 v31, v52
	v_mov_b32_e32 v33, v34
	v_pk_add_f32 v[54:55], v[32:33], v[56:57] neg_lo:[0,1] neg_hi:[0,1]
	s_or_b64 vcc, vcc, s[4:5]
	v_sub_f32_e32 v1, v32, v54
	v_pk_add_f32 v[30:31], v[30:31], v[54:55] neg_lo:[0,1] neg_hi:[0,1]
	v_sub_f32_e32 v1, v56, v1
	v_add_f32_e32 v1, v30, v1
	v_add_f32_e32 v1, v1, v31
	;; [unrolled: 1-line block ×3, first 2 shown]
	v_cndmask_b32_e32 v1, v1, v19, vcc
	v_add_f32_e32 v19, v0, v1
.LBB171_158:
	s_or_b64 exec, exec, s[0:1]
	v_max_f32_e32 v0, v19, v19
	v_min_f32_e32 v1, v0, v37
	v_cmp_u_f32_e32 vcc, v19, v19
	v_max_f32_e32 v0, v0, v37
	s_nop 0
	v_cndmask_b32_e32 v1, v1, v19, vcc
	v_cndmask_b32_e32 v0, v0, v19, vcc
	v_cndmask_b32_e64 v1, v1, v20, s[68:69]
	v_cndmask_b32_e64 v0, v0, v20, s[68:69]
	v_cmp_neq_f32_e32 vcc, v1, v0
	v_cmp_class_f32_e64 s[0:1], v1, s2
	s_or_b64 s[2:3], vcc, s[0:1]
	v_mov_b32_e32 v20, v19
	s_and_saveexec_b64 s[0:1], s[2:3]
	s_cbranch_execz .LBB171_160
; %bb.159:
	v_sub_f32_e32 v1, v1, v0
	s_mov_b32 s2, 0x3fb8aa3b
	v_mul_f32_e32 v20, 0x3fb8aa3b, v1
	v_fma_f32 v27, v1, s2, -v20
	v_rndne_f32_e32 v29, v20
	v_fmamk_f32 v27, v1, 0x32a5705f, v27
	v_sub_f32_e32 v20, v20, v29
	v_add_f32_e32 v20, v20, v27
	v_exp_f32_e32 v20, v20
	v_cvt_i32_f32_e32 v27, v29
	s_mov_b32 s2, 0xc2ce8ed0
	v_cmp_ngt_f32_e32 vcc, s2, v1
	s_mov_b32 s2, 0x42b17218
	v_ldexp_f32 v20, v20, v27
	v_cndmask_b32_e32 v20, 0, v20, vcc
	v_mov_b32_e32 v27, 0x7f800000
	v_cmp_nlt_f32_e32 vcc, s2, v1
	s_mov_b32 s2, 0x3f2aaaab
	s_mov_b32 s3, 0x7f800000
	v_cndmask_b32_e32 v27, v27, v20, vcc
	v_add_f32_e32 v1, 1.0, v27
	v_add_f32_e32 v20, -1.0, v1
	v_sub_f32_e32 v29, v20, v1
	v_add_f32_e32 v29, 1.0, v29
	v_sub_f32_e32 v20, v27, v20
	v_add_f32_e32 v20, v20, v29
	v_frexp_mant_f32_e32 v29, v1
	v_cvt_f64_f32_e32 v[30:31], v1
	v_frexp_exp_i32_f64_e32 v30, v[30:31]
	v_cmp_gt_f32_e32 vcc, s2, v29
	s_mov_b32 s2, 0x3f317218
	s_nop 0
	v_subbrev_co_u32_e32 v29, vcc, 0, v30, vcc
	v_sub_u32_e32 v30, 0, v29
	v_ldexp_f32 v1, v1, v30
	v_ldexp_f32 v20, v20, v30
	v_add_f32_e32 v30, -1.0, v1
	v_add_f32_e32 v31, 1.0, v30
	v_sub_f32_e32 v31, v1, v31
	v_add_f32_e32 v32, v20, v31
	v_add_f32_e32 v31, 1.0, v1
	v_add_f32_e32 v33, -1.0, v31
	v_sub_f32_e32 v1, v1, v33
	v_add_f32_e32 v1, v20, v1
	v_add_f32_e32 v20, v31, v1
	v_rcp_f32_e32 v51, v20
	v_sub_f32_e32 v31, v31, v20
	v_add_f32_e32 v1, v1, v31
	v_add_f32_e32 v31, v30, v32
	v_sub_f32_e32 v30, v30, v31
	v_mul_f32_e32 v53, v31, v51
	v_add_f32_e32 v52, v32, v30
	v_mul_f32_e32 v32, v20, v53
	v_fma_f32 v34, v53, v20, -v32
	v_fmac_f32_e32 v34, v53, v1
	v_add_f32_e32 v30, v32, v34
	v_sub_f32_e32 v33, v31, v30
	v_pk_add_f32 v[36:37], v[30:31], v[32:33] neg_lo:[0,1] neg_hi:[0,1]
	v_mov_b32_e32 v35, v30
	v_pk_add_f32 v[30:31], v[36:37], v[34:35] neg_lo:[0,1] neg_hi:[0,1]
	v_cmp_eq_f32_e32 vcc, s3, v27
	v_add_f32_e32 v31, v52, v31
	v_add_f32_e32 v30, v30, v31
	;; [unrolled: 1-line block ×3, first 2 shown]
	v_mul_f32_e32 v52, v51, v31
	v_mul_f32_e32 v32, v20, v52
	v_fma_f32 v34, v52, v20, -v32
	v_fmac_f32_e32 v34, v52, v1
	v_sub_f32_e32 v1, v33, v31
	v_add_f32_e32 v1, v30, v1
	v_add_f32_e32 v30, v32, v34
	v_sub_f32_e32 v33, v31, v30
	v_pk_add_f32 v[36:37], v[30:31], v[32:33] neg_lo:[0,1] neg_hi:[0,1]
	v_mov_b32_e32 v35, v30
	v_pk_add_f32 v[30:31], v[36:37], v[34:35] neg_lo:[0,1] neg_hi:[0,1]
	v_add_f32_e32 v20, v53, v52
	v_add_f32_e32 v1, v1, v31
	;; [unrolled: 1-line block ×4, first 2 shown]
	v_sub_f32_e32 v30, v20, v53
	v_mul_f32_e32 v1, v51, v1
	v_sub_f32_e32 v30, v52, v30
	v_add_f32_e32 v1, v30, v1
	v_add_f32_e32 v30, v20, v1
	v_cvt_f32_i32_e32 v32, v29
	v_mul_f32_e32 v33, v30, v30
	v_mov_b32_e32 v31, 0x3ecc95a3
	v_fmac_f32_e32 v31, 0x3e9b6dac, v33
	v_fmaak_f32 v31, v33, v31, 0x3f2aaada
	v_sub_f32_e32 v20, v30, v20
	v_ldexp_f32 v35, v30, 1
	v_mul_f32_e32 v33, v30, v33
	v_mov_b32_e32 v30, 0x3f317218
	v_pk_mul_f32 v[30:31], v[32:33], v[30:31]
	v_sub_f32_e32 v1, v1, v20
	v_fma_f32 v20, v32, s2, -v30
	v_fmamk_f32 v34, v32, 0xb102e308, v20
	v_pk_add_f32 v[32:33], v[30:31], v[34:35]
	v_ldexp_f32 v1, v1, 1
	v_sub_f32_e32 v20, v33, v35
	v_sub_f32_e32 v20, v31, v20
	v_add_f32_e32 v37, v1, v20
	v_mov_b32_e32 v36, v30
	v_pk_add_f32 v[30:31], v[32:33], v[30:31] neg_lo:[0,1] neg_hi:[0,1]
	v_pk_add_f32 v[52:53], v[32:33], v[36:37]
	v_mov_b32_e32 v35, v32
	v_mov_b32_e32 v31, v53
	s_waitcnt lgkmcnt(0)
	v_pk_add_f32 v[54:55], v[34:35], v[30:31] neg_lo:[0,1] neg_hi:[0,1]
	v_pk_add_f32 v[30:31], v[34:35], v[30:31]
	s_mov_b32 s2, 0x33800000
	v_mov_b32_e32 v20, v31
	v_pk_add_f32 v[34:35], v[20:21], v[32:33] neg_lo:[0,1] neg_hi:[0,1]
	v_mov_b32_e32 v30, v53
	v_mov_b32_e32 v1, v34
	v_pk_add_f32 v[56:57], v[52:53], v[0:1] neg_lo:[0,1] neg_hi:[0,1]
	v_mov_b32_e32 v52, v33
	v_mov_b32_e32 v53, v34
	;; [unrolled: 1-line block ×3, first 2 shown]
	v_pk_add_f32 v[30:31], v[30:31], v[52:53] neg_lo:[0,1] neg_hi:[0,1]
	v_mov_b32_e32 v34, v37
	v_mov_b32_e32 v35, v32
	v_pk_add_f32 v[30:31], v[34:35], v[30:31] neg_lo:[0,1] neg_hi:[0,1]
	v_mov_b32_e32 v56, v54
	v_pk_add_f32 v[32:33], v[56:57], v[30:31]
	v_cmp_lt_f32_e64 s[2:3], |v27|, s2
	v_mov_b32_e32 v34, v33
	v_pk_add_f32 v[34:35], v[32:33], v[34:35]
	s_or_b64 vcc, vcc, s[2:3]
	v_pk_add_f32 v[36:37], v[20:21], v[34:35]
	v_mov_b32_e32 v31, v34
	v_mov_b32_e32 v33, v36
	v_pk_add_f32 v[52:53], v[32:33], v[54:55] neg_lo:[0,1] neg_hi:[0,1]
	s_nop 0
	v_sub_f32_e32 v1, v32, v52
	v_pk_add_f32 v[30:31], v[30:31], v[52:53] neg_lo:[0,1] neg_hi:[0,1]
	v_sub_f32_e32 v1, v54, v1
	v_add_f32_e32 v1, v30, v1
	v_add_f32_e32 v1, v1, v31
	;; [unrolled: 1-line block ×3, first 2 shown]
	v_cndmask_b32_e32 v1, v1, v27, vcc
	v_add_f32_e32 v20, v0, v1
.LBB171_160:
	s_or_b64 exec, exec, s[0:1]
	v_max_f32_e32 v0, v20, v20
	v_min_f32_e32 v1, v0, v38
	v_cmp_u_f32_e32 vcc, v20, v20
	v_max_f32_e32 v0, v0, v38
	s_movk_i32 s2, 0x1f8
	v_cndmask_b32_e32 v1, v1, v20, vcc
	v_cndmask_b32_e32 v0, v0, v20, vcc
	v_cndmask_b32_e64 v1, v1, v21, s[70:71]
	v_cndmask_b32_e64 v0, v0, v21, s[70:71]
	v_cmp_neq_f32_e32 vcc, v1, v0
	v_cmp_class_f32_e64 s[0:1], v1, s2
	s_or_b64 s[4:5], vcc, s[0:1]
	v_mov_b32_e32 v21, v20
	s_and_saveexec_b64 s[0:1], s[4:5]
	s_cbranch_execz .LBB171_162
; %bb.161:
	v_sub_f32_e32 v1, v1, v0
	s_mov_b32 s3, 0x3fb8aa3b
	v_mul_f32_e32 v21, 0x3fb8aa3b, v1
	v_fma_f32 v27, v1, s3, -v21
	v_rndne_f32_e32 v29, v21
	v_fmamk_f32 v27, v1, 0x32a5705f, v27
	v_sub_f32_e32 v21, v21, v29
	v_add_f32_e32 v21, v21, v27
	v_exp_f32_e32 v21, v21
	v_cvt_i32_f32_e32 v27, v29
	s_mov_b32 s3, 0xc2ce8ed0
	v_cmp_ngt_f32_e32 vcc, s3, v1
	s_mov_b32 s3, 0x42b17218
	v_ldexp_f32 v21, v21, v27
	v_cndmask_b32_e32 v21, 0, v21, vcc
	v_mov_b32_e32 v27, 0x7f800000
	v_cmp_nlt_f32_e32 vcc, s3, v1
	s_mov_b32 s3, 0x3f2aaaab
	s_mov_b32 s4, 0x7f800000
	v_cndmask_b32_e32 v21, v27, v21, vcc
	v_add_f32_e32 v1, 1.0, v21
	v_add_f32_e32 v27, -1.0, v1
	v_sub_f32_e32 v29, v27, v1
	v_add_f32_e32 v29, 1.0, v29
	v_sub_f32_e32 v27, v21, v27
	v_add_f32_e32 v27, v27, v29
	v_frexp_mant_f32_e32 v29, v1
	v_cvt_f64_f32_e32 v[30:31], v1
	v_frexp_exp_i32_f64_e32 v30, v[30:31]
	v_cmp_gt_f32_e32 vcc, s3, v29
	s_mov_b32 s3, 0x3f317218
	s_nop 0
	v_subbrev_co_u32_e32 v29, vcc, 0, v30, vcc
	v_sub_u32_e32 v30, 0, v29
	v_ldexp_f32 v1, v1, v30
	v_ldexp_f32 v27, v27, v30
	v_add_f32_e32 v30, -1.0, v1
	v_add_f32_e32 v31, 1.0, v30
	v_sub_f32_e32 v31, v1, v31
	v_add_f32_e32 v32, v27, v31
	v_add_f32_e32 v31, 1.0, v1
	v_add_f32_e32 v33, -1.0, v31
	v_sub_f32_e32 v1, v1, v33
	v_add_f32_e32 v1, v27, v1
	v_add_f32_e32 v27, v31, v1
	v_rcp_f32_e32 v38, v27
	v_sub_f32_e32 v31, v31, v27
	v_add_f32_e32 v1, v1, v31
	v_add_f32_e32 v31, v30, v32
	v_sub_f32_e32 v30, v30, v31
	v_mul_f32_e32 v52, v31, v38
	v_add_f32_e32 v51, v32, v30
	v_mul_f32_e32 v32, v27, v52
	v_fma_f32 v34, v52, v27, -v32
	v_fmac_f32_e32 v34, v52, v1
	v_add_f32_e32 v30, v32, v34
	v_sub_f32_e32 v33, v31, v30
	v_pk_add_f32 v[36:37], v[30:31], v[32:33] neg_lo:[0,1] neg_hi:[0,1]
	v_mov_b32_e32 v35, v30
	v_pk_add_f32 v[30:31], v[36:37], v[34:35] neg_lo:[0,1] neg_hi:[0,1]
	v_cmp_eq_f32_e32 vcc, s4, v21
	v_add_f32_e32 v31, v51, v31
	v_add_f32_e32 v30, v30, v31
	;; [unrolled: 1-line block ×3, first 2 shown]
	v_mul_f32_e32 v51, v38, v31
	v_mul_f32_e32 v32, v27, v51
	v_fma_f32 v34, v51, v27, -v32
	v_fmac_f32_e32 v34, v51, v1
	v_sub_f32_e32 v1, v33, v31
	v_add_f32_e32 v1, v30, v1
	v_add_f32_e32 v30, v32, v34
	v_sub_f32_e32 v33, v31, v30
	v_pk_add_f32 v[36:37], v[30:31], v[32:33] neg_lo:[0,1] neg_hi:[0,1]
	v_mov_b32_e32 v35, v30
	v_pk_add_f32 v[30:31], v[36:37], v[34:35] neg_lo:[0,1] neg_hi:[0,1]
	v_add_f32_e32 v27, v52, v51
	v_add_f32_e32 v1, v1, v31
	;; [unrolled: 1-line block ×4, first 2 shown]
	v_sub_f32_e32 v30, v27, v52
	v_mul_f32_e32 v1, v38, v1
	v_sub_f32_e32 v30, v51, v30
	v_add_f32_e32 v1, v30, v1
	v_add_f32_e32 v30, v27, v1
	v_cvt_f32_i32_e32 v32, v29
	v_mul_f32_e32 v33, v30, v30
	v_mov_b32_e32 v31, 0x3ecc95a3
	v_fmac_f32_e32 v31, 0x3e9b6dac, v33
	v_fmaak_f32 v31, v33, v31, 0x3f2aaada
	v_sub_f32_e32 v27, v30, v27
	v_ldexp_f32 v35, v30, 1
	v_mul_f32_e32 v33, v30, v33
	v_mov_b32_e32 v30, 0x3f317218
	v_pk_mul_f32 v[30:31], v[32:33], v[30:31]
	v_sub_f32_e32 v1, v1, v27
	v_fma_f32 v27, v32, s3, -v30
	v_fmamk_f32 v34, v32, 0xb102e308, v27
	v_pk_add_f32 v[32:33], v[30:31], v[34:35]
	v_ldexp_f32 v1, v1, 1
	v_sub_f32_e32 v27, v33, v35
	v_sub_f32_e32 v27, v31, v27
	v_add_f32_e32 v37, v1, v27
	v_mov_b32_e32 v36, v30
	v_pk_add_f32 v[30:31], v[32:33], v[30:31] neg_lo:[0,1] neg_hi:[0,1]
	v_pk_add_f32 v[52:53], v[32:33], v[36:37]
	v_mov_b32_e32 v35, v32
	v_mov_b32_e32 v31, v53
	s_waitcnt lgkmcnt(0)
	v_pk_add_f32 v[54:55], v[34:35], v[30:31] neg_lo:[0,1] neg_hi:[0,1]
	v_pk_add_f32 v[30:31], v[34:35], v[30:31]
	v_mov_b32_e32 v36, v37
	v_mov_b32_e32 v34, v31
	v_pk_add_f32 v[56:57], v[34:35], v[32:33] neg_lo:[0,1] neg_hi:[0,1]
	v_mov_b32_e32 v30, v53
	v_mov_b32_e32 v1, v56
	v_pk_add_f32 v[58:59], v[52:53], v[0:1] neg_lo:[0,1] neg_hi:[0,1]
	v_mov_b32_e32 v52, v33
	v_mov_b32_e32 v53, v56
	;; [unrolled: 1-line block ×3, first 2 shown]
	v_pk_add_f32 v[30:31], v[30:31], v[52:53] neg_lo:[0,1] neg_hi:[0,1]
	v_mov_b32_e32 v37, v32
	v_pk_add_f32 v[30:31], v[36:37], v[30:31] neg_lo:[0,1] neg_hi:[0,1]
	v_mov_b32_e32 v58, v54
	v_pk_add_f32 v[32:33], v[58:59], v[30:31]
	s_mov_b32 s3, 0x33800000
	v_mov_b32_e32 v36, v33
	v_pk_add_f32 v[36:37], v[32:33], v[36:37]
	v_cmp_lt_f32_e64 s[4:5], |v21|, s3
	v_pk_add_f32 v[34:35], v[34:35], v[36:37]
	v_mov_b32_e32 v31, v36
	v_mov_b32_e32 v33, v34
	v_pk_add_f32 v[52:53], v[32:33], v[54:55] neg_lo:[0,1] neg_hi:[0,1]
	s_or_b64 vcc, vcc, s[4:5]
	v_sub_f32_e32 v1, v32, v52
	v_pk_add_f32 v[30:31], v[30:31], v[52:53] neg_lo:[0,1] neg_hi:[0,1]
	v_sub_f32_e32 v1, v54, v1
	v_add_f32_e32 v1, v30, v1
	v_add_f32_e32 v1, v1, v31
	;; [unrolled: 1-line block ×3, first 2 shown]
	v_cndmask_b32_e32 v1, v1, v21, vcc
	v_add_f32_e32 v21, v0, v1
.LBB171_162:
	s_or_b64 exec, exec, s[0:1]
	v_max_f32_e32 v0, v21, v21
	v_min_f32_e32 v1, v0, v39
	v_cmp_u_f32_e32 vcc, v21, v21
	v_max_f32_e32 v0, v0, v39
	s_nop 0
	v_cndmask_b32_e32 v1, v1, v21, vcc
	v_cndmask_b32_e32 v0, v0, v21, vcc
	v_cndmask_b32_e64 v1, v1, v14, s[72:73]
	v_cndmask_b32_e64 v0, v0, v14, s[72:73]
	v_cmp_neq_f32_e32 vcc, v1, v0
	v_cmp_class_f32_e64 s[0:1], v1, s2
	s_or_b64 s[2:3], vcc, s[0:1]
	v_mov_b32_e32 v14, v21
	s_and_saveexec_b64 s[0:1], s[2:3]
	s_cbranch_execz .LBB171_164
; %bb.163:
	v_sub_f32_e32 v1, v1, v0
	s_mov_b32 s2, 0x3fb8aa3b
	v_mul_f32_e32 v14, 0x3fb8aa3b, v1
	v_fma_f32 v27, v1, s2, -v14
	v_rndne_f32_e32 v29, v14
	v_fmamk_f32 v27, v1, 0x32a5705f, v27
	v_sub_f32_e32 v14, v14, v29
	v_add_f32_e32 v14, v14, v27
	v_exp_f32_e32 v14, v14
	v_cvt_i32_f32_e32 v27, v29
	s_mov_b32 s2, 0xc2ce8ed0
	v_cmp_ngt_f32_e32 vcc, s2, v1
	s_mov_b32 s2, 0x42b17218
	v_ldexp_f32 v14, v14, v27
	v_cndmask_b32_e32 v14, 0, v14, vcc
	v_mov_b32_e32 v27, 0x7f800000
	v_cmp_nlt_f32_e32 vcc, s2, v1
	s_mov_b32 s2, 0x3f2aaaab
	s_mov_b32 s3, 0x7f800000
	v_cndmask_b32_e32 v27, v27, v14, vcc
	v_add_f32_e32 v1, 1.0, v27
	v_add_f32_e32 v14, -1.0, v1
	v_sub_f32_e32 v29, v14, v1
	v_add_f32_e32 v29, 1.0, v29
	v_sub_f32_e32 v14, v27, v14
	v_add_f32_e32 v14, v14, v29
	v_frexp_mant_f32_e32 v29, v1
	v_cvt_f64_f32_e32 v[30:31], v1
	v_frexp_exp_i32_f64_e32 v30, v[30:31]
	v_cmp_gt_f32_e32 vcc, s2, v29
	s_mov_b32 s2, 0x3f317218
	s_nop 0
	v_subbrev_co_u32_e32 v29, vcc, 0, v30, vcc
	v_sub_u32_e32 v30, 0, v29
	v_ldexp_f32 v1, v1, v30
	v_ldexp_f32 v14, v14, v30
	v_add_f32_e32 v30, -1.0, v1
	v_add_f32_e32 v31, 1.0, v30
	v_sub_f32_e32 v31, v1, v31
	v_add_f32_e32 v32, v14, v31
	v_add_f32_e32 v31, 1.0, v1
	v_add_f32_e32 v33, -1.0, v31
	v_sub_f32_e32 v1, v1, v33
	v_add_f32_e32 v1, v14, v1
	v_add_f32_e32 v14, v31, v1
	v_rcp_f32_e32 v38, v14
	v_sub_f32_e32 v31, v31, v14
	v_add_f32_e32 v1, v1, v31
	v_add_f32_e32 v31, v30, v32
	v_sub_f32_e32 v30, v30, v31
	v_mul_f32_e32 v51, v31, v38
	v_add_f32_e32 v39, v32, v30
	v_mul_f32_e32 v32, v14, v51
	v_fma_f32 v34, v51, v14, -v32
	v_fmac_f32_e32 v34, v51, v1
	v_add_f32_e32 v30, v32, v34
	v_sub_f32_e32 v33, v31, v30
	v_pk_add_f32 v[36:37], v[30:31], v[32:33] neg_lo:[0,1] neg_hi:[0,1]
	v_mov_b32_e32 v35, v30
	v_pk_add_f32 v[30:31], v[36:37], v[34:35] neg_lo:[0,1] neg_hi:[0,1]
	v_cmp_eq_f32_e32 vcc, s3, v27
	v_add_f32_e32 v31, v39, v31
	v_add_f32_e32 v30, v30, v31
	;; [unrolled: 1-line block ×3, first 2 shown]
	v_mul_f32_e32 v39, v38, v31
	v_mul_f32_e32 v32, v14, v39
	v_fma_f32 v34, v39, v14, -v32
	v_fmac_f32_e32 v34, v39, v1
	v_sub_f32_e32 v1, v33, v31
	v_add_f32_e32 v1, v30, v1
	v_add_f32_e32 v30, v32, v34
	v_sub_f32_e32 v33, v31, v30
	v_pk_add_f32 v[36:37], v[30:31], v[32:33] neg_lo:[0,1] neg_hi:[0,1]
	v_mov_b32_e32 v35, v30
	v_pk_add_f32 v[30:31], v[36:37], v[34:35] neg_lo:[0,1] neg_hi:[0,1]
	v_add_f32_e32 v14, v51, v39
	v_add_f32_e32 v1, v1, v31
	;; [unrolled: 1-line block ×4, first 2 shown]
	v_sub_f32_e32 v30, v14, v51
	v_mul_f32_e32 v1, v38, v1
	v_sub_f32_e32 v30, v39, v30
	v_add_f32_e32 v1, v30, v1
	v_add_f32_e32 v30, v14, v1
	v_cvt_f32_i32_e32 v32, v29
	v_mul_f32_e32 v33, v30, v30
	v_mov_b32_e32 v31, 0x3ecc95a3
	v_fmac_f32_e32 v31, 0x3e9b6dac, v33
	v_fmaak_f32 v31, v33, v31, 0x3f2aaada
	v_sub_f32_e32 v14, v30, v14
	v_ldexp_f32 v35, v30, 1
	v_mul_f32_e32 v33, v30, v33
	v_mov_b32_e32 v30, 0x3f317218
	v_pk_mul_f32 v[30:31], v[32:33], v[30:31]
	v_sub_f32_e32 v1, v1, v14
	v_fma_f32 v14, v32, s2, -v30
	v_fmamk_f32 v34, v32, 0xb102e308, v14
	v_pk_add_f32 v[32:33], v[30:31], v[34:35]
	v_ldexp_f32 v1, v1, 1
	v_sub_f32_e32 v14, v33, v35
	v_sub_f32_e32 v14, v31, v14
	v_add_f32_e32 v37, v1, v14
	v_mov_b32_e32 v36, v30
	v_pk_add_f32 v[30:31], v[32:33], v[30:31] neg_lo:[0,1] neg_hi:[0,1]
	v_pk_add_f32 v[38:39], v[32:33], v[36:37]
	v_mov_b32_e32 v35, v32
	v_mov_b32_e32 v31, v39
	v_pk_add_f32 v[52:53], v[34:35], v[30:31] neg_lo:[0,1] neg_hi:[0,1]
	v_pk_add_f32 v[30:31], v[34:35], v[30:31]
	s_mov_b32 s2, 0x33800000
	v_mov_b32_e32 v14, v31
	v_pk_add_f32 v[34:35], v[14:15], v[32:33] neg_lo:[0,1] neg_hi:[0,1]
	v_mov_b32_e32 v30, v39
	v_mov_b32_e32 v1, v34
	s_waitcnt lgkmcnt(0)
	v_pk_add_f32 v[54:55], v[38:39], v[0:1] neg_lo:[0,1] neg_hi:[0,1]
	v_mov_b32_e32 v38, v33
	v_mov_b32_e32 v39, v34
	;; [unrolled: 1-line block ×3, first 2 shown]
	v_pk_add_f32 v[30:31], v[30:31], v[38:39] neg_lo:[0,1] neg_hi:[0,1]
	v_mov_b32_e32 v34, v37
	v_mov_b32_e32 v35, v32
	v_pk_add_f32 v[30:31], v[34:35], v[30:31] neg_lo:[0,1] neg_hi:[0,1]
	v_mov_b32_e32 v54, v52
	v_pk_add_f32 v[32:33], v[54:55], v[30:31]
	v_cmp_lt_f32_e64 s[2:3], |v27|, s2
	v_mov_b32_e32 v34, v33
	v_pk_add_f32 v[34:35], v[32:33], v[34:35]
	s_or_b64 vcc, vcc, s[2:3]
	v_pk_add_f32 v[36:37], v[14:15], v[34:35]
	v_mov_b32_e32 v31, v34
	v_mov_b32_e32 v33, v36
	v_pk_add_f32 v[38:39], v[32:33], v[52:53] neg_lo:[0,1] neg_hi:[0,1]
	s_nop 0
	v_sub_f32_e32 v1, v32, v38
	v_pk_add_f32 v[30:31], v[30:31], v[38:39] neg_lo:[0,1] neg_hi:[0,1]
	v_sub_f32_e32 v1, v52, v1
	v_add_f32_e32 v1, v30, v1
	v_add_f32_e32 v1, v1, v31
	;; [unrolled: 1-line block ×3, first 2 shown]
	v_cndmask_b32_e32 v1, v1, v27, vcc
	v_add_f32_e32 v14, v0, v1
.LBB171_164:
	s_or_b64 exec, exec, s[0:1]
	v_max_f32_e32 v0, v14, v14
	v_min_f32_e32 v1, v0, v40
	v_cmp_u_f32_e32 vcc, v14, v14
	v_max_f32_e32 v0, v0, v40
	s_movk_i32 s2, 0x1f8
	v_cndmask_b32_e32 v1, v1, v14, vcc
	v_cndmask_b32_e32 v0, v0, v14, vcc
	v_cndmask_b32_e64 v1, v1, v15, s[74:75]
	v_cndmask_b32_e64 v0, v0, v15, s[74:75]
	v_cmp_neq_f32_e32 vcc, v1, v0
	v_cmp_class_f32_e64 s[0:1], v1, s2
	s_or_b64 s[4:5], vcc, s[0:1]
	v_mov_b32_e32 v15, v14
	s_and_saveexec_b64 s[0:1], s[4:5]
	s_cbranch_execz .LBB171_166
; %bb.165:
	v_sub_f32_e32 v1, v1, v0
	s_mov_b32 s3, 0x3fb8aa3b
	v_mul_f32_e32 v15, 0x3fb8aa3b, v1
	v_fma_f32 v27, v1, s3, -v15
	v_rndne_f32_e32 v29, v15
	v_fmamk_f32 v27, v1, 0x32a5705f, v27
	v_sub_f32_e32 v15, v15, v29
	v_add_f32_e32 v15, v15, v27
	v_exp_f32_e32 v15, v15
	v_cvt_i32_f32_e32 v27, v29
	s_mov_b32 s3, 0xc2ce8ed0
	v_cmp_ngt_f32_e32 vcc, s3, v1
	s_mov_b32 s3, 0x42b17218
	v_ldexp_f32 v15, v15, v27
	v_cndmask_b32_e32 v15, 0, v15, vcc
	v_mov_b32_e32 v27, 0x7f800000
	v_cmp_nlt_f32_e32 vcc, s3, v1
	s_mov_b32 s3, 0x3f2aaaab
	s_mov_b32 s4, 0x7f800000
	v_cndmask_b32_e32 v15, v27, v15, vcc
	v_add_f32_e32 v1, 1.0, v15
	v_add_f32_e32 v27, -1.0, v1
	v_sub_f32_e32 v29, v27, v1
	v_add_f32_e32 v29, 1.0, v29
	v_sub_f32_e32 v27, v15, v27
	v_add_f32_e32 v27, v27, v29
	v_frexp_mant_f32_e32 v29, v1
	v_cvt_f64_f32_e32 v[30:31], v1
	v_frexp_exp_i32_f64_e32 v30, v[30:31]
	v_cmp_gt_f32_e32 vcc, s3, v29
	s_mov_b32 s3, 0x3f317218
	s_nop 0
	v_subbrev_co_u32_e32 v29, vcc, 0, v30, vcc
	v_sub_u32_e32 v30, 0, v29
	v_ldexp_f32 v1, v1, v30
	v_ldexp_f32 v27, v27, v30
	v_add_f32_e32 v30, -1.0, v1
	v_add_f32_e32 v31, 1.0, v30
	v_sub_f32_e32 v31, v1, v31
	v_add_f32_e32 v32, v27, v31
	v_add_f32_e32 v31, 1.0, v1
	v_add_f32_e32 v33, -1.0, v31
	v_sub_f32_e32 v1, v1, v33
	v_add_f32_e32 v1, v27, v1
	v_add_f32_e32 v27, v31, v1
	v_rcp_f32_e32 v38, v27
	v_sub_f32_e32 v31, v31, v27
	v_add_f32_e32 v1, v1, v31
	v_add_f32_e32 v31, v30, v32
	v_sub_f32_e32 v30, v30, v31
	v_mul_f32_e32 v40, v31, v38
	v_add_f32_e32 v39, v32, v30
	v_mul_f32_e32 v32, v27, v40
	v_fma_f32 v34, v40, v27, -v32
	v_fmac_f32_e32 v34, v40, v1
	v_add_f32_e32 v30, v32, v34
	v_sub_f32_e32 v33, v31, v30
	v_pk_add_f32 v[36:37], v[30:31], v[32:33] neg_lo:[0,1] neg_hi:[0,1]
	v_mov_b32_e32 v35, v30
	v_pk_add_f32 v[30:31], v[36:37], v[34:35] neg_lo:[0,1] neg_hi:[0,1]
	v_cmp_eq_f32_e32 vcc, s4, v15
	v_add_f32_e32 v31, v39, v31
	v_add_f32_e32 v30, v30, v31
	;; [unrolled: 1-line block ×3, first 2 shown]
	v_mul_f32_e32 v39, v38, v31
	v_mul_f32_e32 v32, v27, v39
	v_fma_f32 v34, v39, v27, -v32
	v_fmac_f32_e32 v34, v39, v1
	v_sub_f32_e32 v1, v33, v31
	v_add_f32_e32 v1, v30, v1
	v_add_f32_e32 v30, v32, v34
	v_sub_f32_e32 v33, v31, v30
	v_pk_add_f32 v[36:37], v[30:31], v[32:33] neg_lo:[0,1] neg_hi:[0,1]
	v_mov_b32_e32 v35, v30
	v_pk_add_f32 v[30:31], v[36:37], v[34:35] neg_lo:[0,1] neg_hi:[0,1]
	v_add_f32_e32 v27, v40, v39
	v_add_f32_e32 v1, v1, v31
	;; [unrolled: 1-line block ×4, first 2 shown]
	v_sub_f32_e32 v30, v27, v40
	v_mul_f32_e32 v1, v38, v1
	v_sub_f32_e32 v30, v39, v30
	v_add_f32_e32 v1, v30, v1
	v_add_f32_e32 v30, v27, v1
	v_cvt_f32_i32_e32 v32, v29
	v_mul_f32_e32 v33, v30, v30
	v_mov_b32_e32 v31, 0x3ecc95a3
	v_fmac_f32_e32 v31, 0x3e9b6dac, v33
	v_fmaak_f32 v31, v33, v31, 0x3f2aaada
	v_sub_f32_e32 v27, v30, v27
	v_ldexp_f32 v35, v30, 1
	v_mul_f32_e32 v33, v30, v33
	v_mov_b32_e32 v30, 0x3f317218
	v_pk_mul_f32 v[30:31], v[32:33], v[30:31]
	v_sub_f32_e32 v1, v1, v27
	v_fma_f32 v27, v32, s3, -v30
	v_fmamk_f32 v34, v32, 0xb102e308, v27
	v_pk_add_f32 v[32:33], v[30:31], v[34:35]
	v_ldexp_f32 v1, v1, 1
	v_sub_f32_e32 v27, v33, v35
	v_sub_f32_e32 v27, v31, v27
	v_add_f32_e32 v37, v1, v27
	v_mov_b32_e32 v36, v30
	v_pk_add_f32 v[30:31], v[32:33], v[30:31] neg_lo:[0,1] neg_hi:[0,1]
	v_pk_add_f32 v[38:39], v[32:33], v[36:37]
	v_mov_b32_e32 v35, v32
	v_mov_b32_e32 v31, v39
	v_pk_add_f32 v[52:53], v[34:35], v[30:31] neg_lo:[0,1] neg_hi:[0,1]
	v_pk_add_f32 v[30:31], v[34:35], v[30:31]
	v_mov_b32_e32 v36, v37
	v_mov_b32_e32 v34, v31
	s_waitcnt lgkmcnt(0)
	v_pk_add_f32 v[54:55], v[34:35], v[32:33] neg_lo:[0,1] neg_hi:[0,1]
	v_mov_b32_e32 v30, v39
	v_mov_b32_e32 v1, v54
	v_pk_add_f32 v[56:57], v[38:39], v[0:1] neg_lo:[0,1] neg_hi:[0,1]
	v_mov_b32_e32 v38, v33
	v_mov_b32_e32 v39, v54
	;; [unrolled: 1-line block ×3, first 2 shown]
	v_pk_add_f32 v[30:31], v[30:31], v[38:39] neg_lo:[0,1] neg_hi:[0,1]
	v_mov_b32_e32 v37, v32
	v_pk_add_f32 v[30:31], v[36:37], v[30:31] neg_lo:[0,1] neg_hi:[0,1]
	v_mov_b32_e32 v56, v52
	v_pk_add_f32 v[32:33], v[56:57], v[30:31]
	s_mov_b32 s3, 0x33800000
	v_mov_b32_e32 v36, v33
	v_pk_add_f32 v[36:37], v[32:33], v[36:37]
	v_cmp_lt_f32_e64 s[4:5], |v15|, s3
	v_pk_add_f32 v[34:35], v[34:35], v[36:37]
	v_mov_b32_e32 v31, v36
	v_mov_b32_e32 v33, v34
	v_pk_add_f32 v[38:39], v[32:33], v[52:53] neg_lo:[0,1] neg_hi:[0,1]
	s_or_b64 vcc, vcc, s[4:5]
	v_sub_f32_e32 v1, v32, v38
	v_pk_add_f32 v[30:31], v[30:31], v[38:39] neg_lo:[0,1] neg_hi:[0,1]
	v_sub_f32_e32 v1, v52, v1
	v_add_f32_e32 v1, v30, v1
	v_add_f32_e32 v1, v1, v31
	;; [unrolled: 1-line block ×3, first 2 shown]
	v_cndmask_b32_e32 v1, v1, v15, vcc
	v_add_f32_e32 v15, v0, v1
.LBB171_166:
	s_or_b64 exec, exec, s[0:1]
	v_max_f32_e32 v0, v15, v15
	v_min_f32_e32 v1, v0, v41
	v_cmp_u_f32_e32 vcc, v15, v15
	v_max_f32_e32 v0, v0, v41
	s_nop 0
	v_cndmask_b32_e32 v1, v1, v15, vcc
	v_cndmask_b32_e32 v0, v0, v15, vcc
	v_cndmask_b32_e64 v1, v1, v16, s[76:77]
	v_cndmask_b32_e64 v0, v0, v16, s[76:77]
	v_cmp_neq_f32_e32 vcc, v1, v0
	v_cmp_class_f32_e64 s[0:1], v1, s2
	s_or_b64 s[2:3], vcc, s[0:1]
	v_mov_b32_e32 v16, v15
	s_and_saveexec_b64 s[0:1], s[2:3]
	s_cbranch_execz .LBB171_168
; %bb.167:
	v_sub_f32_e32 v1, v1, v0
	s_mov_b32 s2, 0x3fb8aa3b
	v_mul_f32_e32 v16, 0x3fb8aa3b, v1
	v_fma_f32 v27, v1, s2, -v16
	v_rndne_f32_e32 v29, v16
	v_fmamk_f32 v27, v1, 0x32a5705f, v27
	v_sub_f32_e32 v16, v16, v29
	v_add_f32_e32 v16, v16, v27
	v_exp_f32_e32 v16, v16
	v_cvt_i32_f32_e32 v27, v29
	s_mov_b32 s2, 0xc2ce8ed0
	v_cmp_ngt_f32_e32 vcc, s2, v1
	s_mov_b32 s2, 0x42b17218
	v_ldexp_f32 v16, v16, v27
	v_cndmask_b32_e32 v16, 0, v16, vcc
	v_mov_b32_e32 v27, 0x7f800000
	v_cmp_nlt_f32_e32 vcc, s2, v1
	s_mov_b32 s2, 0x3f2aaaab
	s_mov_b32 s3, 0x7f800000
	v_cndmask_b32_e32 v27, v27, v16, vcc
	v_add_f32_e32 v1, 1.0, v27
	v_add_f32_e32 v16, -1.0, v1
	v_sub_f32_e32 v29, v16, v1
	v_add_f32_e32 v29, 1.0, v29
	v_sub_f32_e32 v16, v27, v16
	v_add_f32_e32 v16, v16, v29
	v_frexp_mant_f32_e32 v29, v1
	v_cvt_f64_f32_e32 v[30:31], v1
	v_frexp_exp_i32_f64_e32 v30, v[30:31]
	v_cmp_gt_f32_e32 vcc, s2, v29
	s_mov_b32 s2, 0x3f317218
	s_nop 0
	v_subbrev_co_u32_e32 v29, vcc, 0, v30, vcc
	v_sub_u32_e32 v30, 0, v29
	v_ldexp_f32 v1, v1, v30
	v_ldexp_f32 v16, v16, v30
	v_add_f32_e32 v30, -1.0, v1
	v_add_f32_e32 v31, 1.0, v30
	v_sub_f32_e32 v31, v1, v31
	v_add_f32_e32 v32, v16, v31
	v_add_f32_e32 v31, 1.0, v1
	v_add_f32_e32 v33, -1.0, v31
	v_sub_f32_e32 v1, v1, v33
	v_add_f32_e32 v1, v16, v1
	v_add_f32_e32 v16, v31, v1
	v_rcp_f32_e32 v38, v16
	v_sub_f32_e32 v31, v31, v16
	v_add_f32_e32 v1, v1, v31
	v_add_f32_e32 v31, v30, v32
	v_sub_f32_e32 v30, v30, v31
	v_mul_f32_e32 v40, v31, v38
	v_add_f32_e32 v39, v32, v30
	v_mul_f32_e32 v32, v16, v40
	v_fma_f32 v34, v40, v16, -v32
	v_fmac_f32_e32 v34, v40, v1
	v_add_f32_e32 v30, v32, v34
	v_sub_f32_e32 v33, v31, v30
	v_pk_add_f32 v[36:37], v[30:31], v[32:33] neg_lo:[0,1] neg_hi:[0,1]
	v_mov_b32_e32 v35, v30
	v_pk_add_f32 v[30:31], v[36:37], v[34:35] neg_lo:[0,1] neg_hi:[0,1]
	v_cmp_eq_f32_e32 vcc, s3, v27
	v_add_f32_e32 v31, v39, v31
	v_add_f32_e32 v30, v30, v31
	;; [unrolled: 1-line block ×3, first 2 shown]
	v_mul_f32_e32 v39, v38, v31
	v_mul_f32_e32 v32, v16, v39
	v_fma_f32 v34, v39, v16, -v32
	v_fmac_f32_e32 v34, v39, v1
	v_sub_f32_e32 v1, v33, v31
	v_add_f32_e32 v1, v30, v1
	v_add_f32_e32 v30, v32, v34
	v_sub_f32_e32 v33, v31, v30
	v_pk_add_f32 v[36:37], v[30:31], v[32:33] neg_lo:[0,1] neg_hi:[0,1]
	v_mov_b32_e32 v35, v30
	v_pk_add_f32 v[30:31], v[36:37], v[34:35] neg_lo:[0,1] neg_hi:[0,1]
	v_add_f32_e32 v16, v40, v39
	v_add_f32_e32 v1, v1, v31
	;; [unrolled: 1-line block ×4, first 2 shown]
	v_sub_f32_e32 v30, v16, v40
	v_mul_f32_e32 v1, v38, v1
	v_sub_f32_e32 v30, v39, v30
	v_add_f32_e32 v1, v30, v1
	v_add_f32_e32 v30, v16, v1
	v_cvt_f32_i32_e32 v32, v29
	v_mul_f32_e32 v33, v30, v30
	v_mov_b32_e32 v31, 0x3ecc95a3
	v_fmac_f32_e32 v31, 0x3e9b6dac, v33
	v_fmaak_f32 v31, v33, v31, 0x3f2aaada
	v_sub_f32_e32 v16, v30, v16
	v_ldexp_f32 v35, v30, 1
	v_mul_f32_e32 v33, v30, v33
	v_mov_b32_e32 v30, 0x3f317218
	v_pk_mul_f32 v[30:31], v[32:33], v[30:31]
	v_sub_f32_e32 v1, v1, v16
	v_fma_f32 v16, v32, s2, -v30
	v_fmamk_f32 v34, v32, 0xb102e308, v16
	v_pk_add_f32 v[32:33], v[30:31], v[34:35]
	v_ldexp_f32 v1, v1, 1
	v_sub_f32_e32 v16, v33, v35
	v_sub_f32_e32 v16, v31, v16
	v_add_f32_e32 v37, v1, v16
	v_mov_b32_e32 v36, v30
	v_pk_add_f32 v[30:31], v[32:33], v[30:31] neg_lo:[0,1] neg_hi:[0,1]
	v_pk_add_f32 v[38:39], v[32:33], v[36:37]
	v_mov_b32_e32 v35, v32
	v_mov_b32_e32 v31, v39
	v_pk_add_f32 v[40:41], v[34:35], v[30:31] neg_lo:[0,1] neg_hi:[0,1]
	v_pk_add_f32 v[30:31], v[34:35], v[30:31]
	s_mov_b32 s2, 0x33800000
	v_mov_b32_e32 v16, v31
	v_pk_add_f32 v[34:35], v[16:17], v[32:33] neg_lo:[0,1] neg_hi:[0,1]
	v_mov_b32_e32 v30, v39
	v_mov_b32_e32 v1, v34
	v_pk_add_f32 v[52:53], v[38:39], v[0:1] neg_lo:[0,1] neg_hi:[0,1]
	v_mov_b32_e32 v38, v33
	v_mov_b32_e32 v39, v34
	;; [unrolled: 1-line block ×3, first 2 shown]
	v_pk_add_f32 v[30:31], v[30:31], v[38:39] neg_lo:[0,1] neg_hi:[0,1]
	v_mov_b32_e32 v34, v37
	v_mov_b32_e32 v35, v32
	v_pk_add_f32 v[30:31], v[34:35], v[30:31] neg_lo:[0,1] neg_hi:[0,1]
	v_mov_b32_e32 v52, v40
	v_pk_add_f32 v[32:33], v[52:53], v[30:31]
	v_cmp_lt_f32_e64 s[2:3], |v27|, s2
	v_mov_b32_e32 v34, v33
	v_pk_add_f32 v[34:35], v[32:33], v[34:35]
	s_or_b64 vcc, vcc, s[2:3]
	v_pk_add_f32 v[36:37], v[16:17], v[34:35]
	v_mov_b32_e32 v31, v34
	v_mov_b32_e32 v33, v36
	v_pk_add_f32 v[38:39], v[32:33], v[40:41] neg_lo:[0,1] neg_hi:[0,1]
	s_nop 0
	v_sub_f32_e32 v1, v32, v38
	v_pk_add_f32 v[30:31], v[30:31], v[38:39] neg_lo:[0,1] neg_hi:[0,1]
	v_sub_f32_e32 v1, v40, v1
	v_add_f32_e32 v1, v30, v1
	v_add_f32_e32 v1, v1, v31
	;; [unrolled: 1-line block ×3, first 2 shown]
	v_cndmask_b32_e32 v1, v1, v27, vcc
	v_add_f32_e32 v16, v0, v1
.LBB171_168:
	s_or_b64 exec, exec, s[0:1]
	v_max_f32_e32 v0, v16, v16
	v_min_f32_e32 v1, v0, v42
	v_cmp_u_f32_e32 vcc, v16, v16
	v_max_f32_e32 v0, v0, v42
	s_movk_i32 s2, 0x1f8
	v_cndmask_b32_e32 v1, v1, v16, vcc
	v_cndmask_b32_e32 v0, v0, v16, vcc
	v_cndmask_b32_e64 v1, v1, v17, s[78:79]
	v_cndmask_b32_e64 v0, v0, v17, s[78:79]
	v_cmp_neq_f32_e32 vcc, v1, v0
	v_cmp_class_f32_e64 s[0:1], v1, s2
	s_or_b64 s[4:5], vcc, s[0:1]
	v_mov_b32_e32 v17, v16
	s_and_saveexec_b64 s[0:1], s[4:5]
	s_cbranch_execz .LBB171_170
; %bb.169:
	v_sub_f32_e32 v1, v1, v0
	s_mov_b32 s3, 0x3fb8aa3b
	v_mul_f32_e32 v17, 0x3fb8aa3b, v1
	v_fma_f32 v27, v1, s3, -v17
	v_rndne_f32_e32 v29, v17
	v_fmamk_f32 v27, v1, 0x32a5705f, v27
	v_sub_f32_e32 v17, v17, v29
	v_add_f32_e32 v17, v17, v27
	v_exp_f32_e32 v17, v17
	v_cvt_i32_f32_e32 v27, v29
	s_mov_b32 s3, 0xc2ce8ed0
	v_cmp_ngt_f32_e32 vcc, s3, v1
	s_mov_b32 s3, 0x42b17218
	v_ldexp_f32 v17, v17, v27
	v_cndmask_b32_e32 v17, 0, v17, vcc
	v_mov_b32_e32 v27, 0x7f800000
	v_cmp_nlt_f32_e32 vcc, s3, v1
	s_mov_b32 s3, 0x3f2aaaab
	s_mov_b32 s4, 0x7f800000
	v_cndmask_b32_e32 v17, v27, v17, vcc
	v_add_f32_e32 v1, 1.0, v17
	v_add_f32_e32 v27, -1.0, v1
	v_sub_f32_e32 v29, v27, v1
	v_add_f32_e32 v29, 1.0, v29
	v_sub_f32_e32 v27, v17, v27
	v_add_f32_e32 v27, v27, v29
	v_frexp_mant_f32_e32 v29, v1
	v_cvt_f64_f32_e32 v[30:31], v1
	v_frexp_exp_i32_f64_e32 v30, v[30:31]
	v_cmp_gt_f32_e32 vcc, s3, v29
	s_mov_b32 s3, 0x3f317218
	s_nop 0
	v_subbrev_co_u32_e32 v29, vcc, 0, v30, vcc
	v_sub_u32_e32 v30, 0, v29
	v_ldexp_f32 v1, v1, v30
	v_ldexp_f32 v27, v27, v30
	v_add_f32_e32 v30, -1.0, v1
	v_add_f32_e32 v31, 1.0, v30
	v_sub_f32_e32 v31, v1, v31
	v_add_f32_e32 v32, v27, v31
	v_add_f32_e32 v31, 1.0, v1
	v_add_f32_e32 v33, -1.0, v31
	v_sub_f32_e32 v1, v1, v33
	v_add_f32_e32 v1, v27, v1
	v_add_f32_e32 v27, v31, v1
	v_rcp_f32_e32 v38, v27
	v_sub_f32_e32 v31, v31, v27
	v_add_f32_e32 v1, v1, v31
	v_add_f32_e32 v31, v30, v32
	v_sub_f32_e32 v30, v30, v31
	v_mul_f32_e32 v40, v31, v38
	v_add_f32_e32 v39, v32, v30
	v_mul_f32_e32 v32, v27, v40
	v_fma_f32 v34, v40, v27, -v32
	v_fmac_f32_e32 v34, v40, v1
	v_add_f32_e32 v30, v32, v34
	v_sub_f32_e32 v33, v31, v30
	v_pk_add_f32 v[36:37], v[30:31], v[32:33] neg_lo:[0,1] neg_hi:[0,1]
	v_mov_b32_e32 v35, v30
	v_pk_add_f32 v[30:31], v[36:37], v[34:35] neg_lo:[0,1] neg_hi:[0,1]
	v_cmp_eq_f32_e32 vcc, s4, v17
	v_add_f32_e32 v31, v39, v31
	v_add_f32_e32 v30, v30, v31
	;; [unrolled: 1-line block ×3, first 2 shown]
	v_mul_f32_e32 v39, v38, v31
	v_mul_f32_e32 v32, v27, v39
	v_fma_f32 v34, v39, v27, -v32
	v_fmac_f32_e32 v34, v39, v1
	v_sub_f32_e32 v1, v33, v31
	v_add_f32_e32 v1, v30, v1
	v_add_f32_e32 v30, v32, v34
	v_sub_f32_e32 v33, v31, v30
	v_pk_add_f32 v[36:37], v[30:31], v[32:33] neg_lo:[0,1] neg_hi:[0,1]
	v_mov_b32_e32 v35, v30
	v_pk_add_f32 v[30:31], v[36:37], v[34:35] neg_lo:[0,1] neg_hi:[0,1]
	v_add_f32_e32 v27, v40, v39
	v_add_f32_e32 v1, v1, v31
	;; [unrolled: 1-line block ×4, first 2 shown]
	v_sub_f32_e32 v30, v27, v40
	v_mul_f32_e32 v1, v38, v1
	v_sub_f32_e32 v30, v39, v30
	v_add_f32_e32 v1, v30, v1
	v_add_f32_e32 v30, v27, v1
	v_cvt_f32_i32_e32 v32, v29
	v_mul_f32_e32 v33, v30, v30
	v_mov_b32_e32 v31, 0x3ecc95a3
	v_fmac_f32_e32 v31, 0x3e9b6dac, v33
	v_fmaak_f32 v31, v33, v31, 0x3f2aaada
	v_sub_f32_e32 v27, v30, v27
	v_ldexp_f32 v35, v30, 1
	v_mul_f32_e32 v33, v30, v33
	v_mov_b32_e32 v30, 0x3f317218
	v_pk_mul_f32 v[30:31], v[32:33], v[30:31]
	v_sub_f32_e32 v1, v1, v27
	v_fma_f32 v27, v32, s3, -v30
	v_fmamk_f32 v34, v32, 0xb102e308, v27
	v_pk_add_f32 v[32:33], v[30:31], v[34:35]
	v_ldexp_f32 v1, v1, 1
	v_sub_f32_e32 v27, v33, v35
	v_sub_f32_e32 v27, v31, v27
	v_add_f32_e32 v37, v1, v27
	v_mov_b32_e32 v36, v30
	v_pk_add_f32 v[30:31], v[32:33], v[30:31] neg_lo:[0,1] neg_hi:[0,1]
	v_pk_add_f32 v[38:39], v[32:33], v[36:37]
	v_mov_b32_e32 v35, v32
	v_mov_b32_e32 v31, v39
	v_pk_add_f32 v[40:41], v[34:35], v[30:31] neg_lo:[0,1] neg_hi:[0,1]
	v_pk_add_f32 v[30:31], v[34:35], v[30:31]
	v_mov_b32_e32 v36, v37
	v_mov_b32_e32 v34, v31
	v_pk_add_f32 v[52:53], v[34:35], v[32:33] neg_lo:[0,1] neg_hi:[0,1]
	v_mov_b32_e32 v30, v39
	v_mov_b32_e32 v1, v52
	s_waitcnt lgkmcnt(0)
	v_pk_add_f32 v[54:55], v[38:39], v[0:1] neg_lo:[0,1] neg_hi:[0,1]
	v_mov_b32_e32 v38, v33
	v_mov_b32_e32 v39, v52
	;; [unrolled: 1-line block ×3, first 2 shown]
	v_pk_add_f32 v[30:31], v[30:31], v[38:39] neg_lo:[0,1] neg_hi:[0,1]
	v_mov_b32_e32 v37, v32
	v_pk_add_f32 v[30:31], v[36:37], v[30:31] neg_lo:[0,1] neg_hi:[0,1]
	v_mov_b32_e32 v54, v40
	v_pk_add_f32 v[32:33], v[54:55], v[30:31]
	s_mov_b32 s3, 0x33800000
	v_mov_b32_e32 v36, v33
	v_pk_add_f32 v[36:37], v[32:33], v[36:37]
	v_cmp_lt_f32_e64 s[4:5], |v17|, s3
	v_pk_add_f32 v[34:35], v[34:35], v[36:37]
	v_mov_b32_e32 v31, v36
	v_mov_b32_e32 v33, v34
	v_pk_add_f32 v[38:39], v[32:33], v[40:41] neg_lo:[0,1] neg_hi:[0,1]
	s_or_b64 vcc, vcc, s[4:5]
	v_sub_f32_e32 v1, v32, v38
	v_pk_add_f32 v[30:31], v[30:31], v[38:39] neg_lo:[0,1] neg_hi:[0,1]
	v_sub_f32_e32 v1, v40, v1
	v_add_f32_e32 v1, v30, v1
	v_add_f32_e32 v1, v1, v31
	;; [unrolled: 1-line block ×3, first 2 shown]
	v_cndmask_b32_e32 v1, v1, v17, vcc
	v_add_f32_e32 v17, v0, v1
.LBB171_170:
	s_or_b64 exec, exec, s[0:1]
	v_max_f32_e32 v0, v17, v17
	v_min_f32_e32 v1, v0, v43
	v_cmp_u_f32_e32 vcc, v17, v17
	v_max_f32_e32 v0, v0, v43
	s_nop 0
	v_cndmask_b32_e32 v1, v1, v17, vcc
	v_cndmask_b32_e32 v0, v0, v17, vcc
	v_cndmask_b32_e64 v1, v1, v10, s[80:81]
	v_cndmask_b32_e64 v0, v0, v10, s[80:81]
	v_cmp_neq_f32_e32 vcc, v1, v0
	v_cmp_class_f32_e64 s[0:1], v1, s2
	s_or_b64 s[2:3], vcc, s[0:1]
	v_mov_b32_e32 v10, v17
	s_and_saveexec_b64 s[0:1], s[2:3]
	s_cbranch_execz .LBB171_172
; %bb.171:
	v_sub_f32_e32 v1, v1, v0
	s_mov_b32 s2, 0x3fb8aa3b
	v_mul_f32_e32 v10, 0x3fb8aa3b, v1
	v_fma_f32 v27, v1, s2, -v10
	v_rndne_f32_e32 v29, v10
	v_fmamk_f32 v27, v1, 0x32a5705f, v27
	v_sub_f32_e32 v10, v10, v29
	v_add_f32_e32 v10, v10, v27
	v_exp_f32_e32 v10, v10
	v_cvt_i32_f32_e32 v27, v29
	s_mov_b32 s2, 0xc2ce8ed0
	v_cmp_ngt_f32_e32 vcc, s2, v1
	s_mov_b32 s2, 0x42b17218
	v_ldexp_f32 v10, v10, v27
	v_cndmask_b32_e32 v10, 0, v10, vcc
	v_mov_b32_e32 v27, 0x7f800000
	v_cmp_nlt_f32_e32 vcc, s2, v1
	s_mov_b32 s2, 0x3f2aaaab
	s_mov_b32 s3, 0x7f800000
	v_cndmask_b32_e32 v27, v27, v10, vcc
	v_add_f32_e32 v1, 1.0, v27
	v_add_f32_e32 v10, -1.0, v1
	v_sub_f32_e32 v29, v10, v1
	v_add_f32_e32 v29, 1.0, v29
	v_sub_f32_e32 v10, v27, v10
	v_add_f32_e32 v10, v10, v29
	v_frexp_mant_f32_e32 v29, v1
	v_cvt_f64_f32_e32 v[30:31], v1
	v_frexp_exp_i32_f64_e32 v30, v[30:31]
	v_cmp_gt_f32_e32 vcc, s2, v29
	s_mov_b32 s2, 0x3f317218
	s_nop 0
	v_subbrev_co_u32_e32 v29, vcc, 0, v30, vcc
	v_sub_u32_e32 v30, 0, v29
	v_ldexp_f32 v1, v1, v30
	v_ldexp_f32 v10, v10, v30
	v_add_f32_e32 v30, -1.0, v1
	v_add_f32_e32 v31, 1.0, v30
	v_sub_f32_e32 v31, v1, v31
	v_add_f32_e32 v32, v10, v31
	v_add_f32_e32 v31, 1.0, v1
	v_add_f32_e32 v33, -1.0, v31
	v_sub_f32_e32 v1, v1, v33
	v_add_f32_e32 v1, v10, v1
	v_add_f32_e32 v10, v31, v1
	v_rcp_f32_e32 v38, v10
	v_sub_f32_e32 v31, v31, v10
	v_add_f32_e32 v1, v1, v31
	v_add_f32_e32 v31, v30, v32
	v_sub_f32_e32 v30, v30, v31
	v_mul_f32_e32 v40, v31, v38
	v_add_f32_e32 v39, v32, v30
	v_mul_f32_e32 v32, v10, v40
	v_fma_f32 v34, v40, v10, -v32
	v_fmac_f32_e32 v34, v40, v1
	v_add_f32_e32 v30, v32, v34
	v_sub_f32_e32 v33, v31, v30
	v_pk_add_f32 v[36:37], v[30:31], v[32:33] neg_lo:[0,1] neg_hi:[0,1]
	v_mov_b32_e32 v35, v30
	v_pk_add_f32 v[30:31], v[36:37], v[34:35] neg_lo:[0,1] neg_hi:[0,1]
	v_cmp_eq_f32_e32 vcc, s3, v27
	v_add_f32_e32 v31, v39, v31
	v_add_f32_e32 v30, v30, v31
	;; [unrolled: 1-line block ×3, first 2 shown]
	v_mul_f32_e32 v39, v38, v31
	v_mul_f32_e32 v32, v10, v39
	v_fma_f32 v34, v39, v10, -v32
	v_fmac_f32_e32 v34, v39, v1
	v_sub_f32_e32 v1, v33, v31
	v_add_f32_e32 v1, v30, v1
	v_add_f32_e32 v30, v32, v34
	v_sub_f32_e32 v33, v31, v30
	v_pk_add_f32 v[36:37], v[30:31], v[32:33] neg_lo:[0,1] neg_hi:[0,1]
	v_mov_b32_e32 v35, v30
	v_pk_add_f32 v[30:31], v[36:37], v[34:35] neg_lo:[0,1] neg_hi:[0,1]
	v_add_f32_e32 v10, v40, v39
	v_add_f32_e32 v1, v1, v31
	;; [unrolled: 1-line block ×4, first 2 shown]
	v_sub_f32_e32 v30, v10, v40
	v_mul_f32_e32 v1, v38, v1
	v_sub_f32_e32 v30, v39, v30
	v_add_f32_e32 v1, v30, v1
	v_add_f32_e32 v30, v10, v1
	v_cvt_f32_i32_e32 v32, v29
	v_mul_f32_e32 v33, v30, v30
	v_mov_b32_e32 v31, 0x3ecc95a3
	v_fmac_f32_e32 v31, 0x3e9b6dac, v33
	v_fmaak_f32 v31, v33, v31, 0x3f2aaada
	v_sub_f32_e32 v10, v30, v10
	v_ldexp_f32 v35, v30, 1
	v_mul_f32_e32 v33, v30, v33
	v_mov_b32_e32 v30, 0x3f317218
	v_pk_mul_f32 v[30:31], v[32:33], v[30:31]
	v_sub_f32_e32 v1, v1, v10
	v_fma_f32 v10, v32, s2, -v30
	v_fmamk_f32 v34, v32, 0xb102e308, v10
	v_pk_add_f32 v[32:33], v[30:31], v[34:35]
	v_ldexp_f32 v1, v1, 1
	v_sub_f32_e32 v10, v33, v35
	v_sub_f32_e32 v10, v31, v10
	v_add_f32_e32 v37, v1, v10
	v_mov_b32_e32 v36, v30
	v_pk_add_f32 v[30:31], v[32:33], v[30:31] neg_lo:[0,1] neg_hi:[0,1]
	v_pk_add_f32 v[38:39], v[32:33], v[36:37]
	v_mov_b32_e32 v35, v32
	v_mov_b32_e32 v31, v39
	v_pk_add_f32 v[40:41], v[34:35], v[30:31] neg_lo:[0,1] neg_hi:[0,1]
	v_pk_add_f32 v[30:31], v[34:35], v[30:31]
	s_mov_b32 s2, 0x33800000
	v_mov_b32_e32 v10, v31
	v_pk_add_f32 v[34:35], v[10:11], v[32:33] neg_lo:[0,1] neg_hi:[0,1]
	v_mov_b32_e32 v30, v39
	v_mov_b32_e32 v1, v34
	v_pk_add_f32 v[42:43], v[38:39], v[0:1] neg_lo:[0,1] neg_hi:[0,1]
	v_mov_b32_e32 v38, v33
	v_mov_b32_e32 v39, v34
	v_mov_b32_e32 v41, v31
	v_pk_add_f32 v[30:31], v[30:31], v[38:39] neg_lo:[0,1] neg_hi:[0,1]
	v_mov_b32_e32 v34, v37
	v_mov_b32_e32 v35, v32
	v_pk_add_f32 v[30:31], v[34:35], v[30:31] neg_lo:[0,1] neg_hi:[0,1]
	v_mov_b32_e32 v42, v40
	v_pk_add_f32 v[32:33], v[42:43], v[30:31]
	v_cmp_lt_f32_e64 s[2:3], |v27|, s2
	v_mov_b32_e32 v34, v33
	v_pk_add_f32 v[34:35], v[32:33], v[34:35]
	s_or_b64 vcc, vcc, s[2:3]
	v_pk_add_f32 v[36:37], v[10:11], v[34:35]
	v_mov_b32_e32 v31, v34
	v_mov_b32_e32 v33, v36
	v_pk_add_f32 v[38:39], v[32:33], v[40:41] neg_lo:[0,1] neg_hi:[0,1]
	s_nop 0
	v_sub_f32_e32 v1, v32, v38
	v_pk_add_f32 v[30:31], v[30:31], v[38:39] neg_lo:[0,1] neg_hi:[0,1]
	v_sub_f32_e32 v1, v40, v1
	v_add_f32_e32 v1, v30, v1
	v_add_f32_e32 v1, v1, v31
	;; [unrolled: 1-line block ×3, first 2 shown]
	v_cndmask_b32_e32 v1, v1, v27, vcc
	v_add_f32_e32 v10, v0, v1
.LBB171_172:
	s_or_b64 exec, exec, s[0:1]
	v_max_f32_e32 v0, v10, v10
	v_min_f32_e32 v1, v0, v44
	v_cmp_u_f32_e32 vcc, v10, v10
	v_max_f32_e32 v0, v0, v44
	s_movk_i32 s2, 0x1f8
	v_cndmask_b32_e32 v1, v1, v10, vcc
	v_cndmask_b32_e32 v0, v0, v10, vcc
	v_cndmask_b32_e64 v1, v1, v11, s[82:83]
	v_cndmask_b32_e64 v0, v0, v11, s[82:83]
	v_cmp_neq_f32_e32 vcc, v1, v0
	v_cmp_class_f32_e64 s[0:1], v1, s2
	s_or_b64 s[4:5], vcc, s[0:1]
	v_mov_b32_e32 v11, v10
	s_and_saveexec_b64 s[0:1], s[4:5]
	s_cbranch_execz .LBB171_174
; %bb.173:
	v_sub_f32_e32 v1, v1, v0
	s_mov_b32 s3, 0x3fb8aa3b
	v_mul_f32_e32 v11, 0x3fb8aa3b, v1
	v_fma_f32 v27, v1, s3, -v11
	v_rndne_f32_e32 v29, v11
	v_fmamk_f32 v27, v1, 0x32a5705f, v27
	v_sub_f32_e32 v11, v11, v29
	v_add_f32_e32 v11, v11, v27
	v_exp_f32_e32 v11, v11
	v_cvt_i32_f32_e32 v27, v29
	s_mov_b32 s3, 0xc2ce8ed0
	v_cmp_ngt_f32_e32 vcc, s3, v1
	s_mov_b32 s3, 0x42b17218
	v_ldexp_f32 v11, v11, v27
	v_cndmask_b32_e32 v11, 0, v11, vcc
	v_mov_b32_e32 v27, 0x7f800000
	v_cmp_nlt_f32_e32 vcc, s3, v1
	s_mov_b32 s3, 0x3f2aaaab
	s_mov_b32 s4, 0x7f800000
	v_cndmask_b32_e32 v11, v27, v11, vcc
	v_add_f32_e32 v1, 1.0, v11
	v_add_f32_e32 v27, -1.0, v1
	v_sub_f32_e32 v29, v27, v1
	v_add_f32_e32 v29, 1.0, v29
	v_sub_f32_e32 v27, v11, v27
	v_add_f32_e32 v27, v27, v29
	v_frexp_mant_f32_e32 v29, v1
	v_cvt_f64_f32_e32 v[30:31], v1
	v_frexp_exp_i32_f64_e32 v30, v[30:31]
	v_cmp_gt_f32_e32 vcc, s3, v29
	s_mov_b32 s3, 0x3f317218
	s_nop 0
	v_subbrev_co_u32_e32 v29, vcc, 0, v30, vcc
	v_sub_u32_e32 v30, 0, v29
	v_ldexp_f32 v1, v1, v30
	v_ldexp_f32 v27, v27, v30
	v_add_f32_e32 v30, -1.0, v1
	v_add_f32_e32 v31, 1.0, v30
	v_sub_f32_e32 v31, v1, v31
	v_add_f32_e32 v32, v27, v31
	v_add_f32_e32 v31, 1.0, v1
	v_add_f32_e32 v33, -1.0, v31
	v_sub_f32_e32 v1, v1, v33
	v_add_f32_e32 v1, v27, v1
	v_add_f32_e32 v27, v31, v1
	v_rcp_f32_e32 v38, v27
	v_sub_f32_e32 v31, v31, v27
	v_add_f32_e32 v1, v1, v31
	v_add_f32_e32 v31, v30, v32
	v_sub_f32_e32 v30, v30, v31
	v_mul_f32_e32 v40, v31, v38
	v_add_f32_e32 v39, v32, v30
	v_mul_f32_e32 v32, v27, v40
	v_fma_f32 v34, v40, v27, -v32
	v_fmac_f32_e32 v34, v40, v1
	v_add_f32_e32 v30, v32, v34
	v_sub_f32_e32 v33, v31, v30
	v_pk_add_f32 v[36:37], v[30:31], v[32:33] neg_lo:[0,1] neg_hi:[0,1]
	v_mov_b32_e32 v35, v30
	v_pk_add_f32 v[30:31], v[36:37], v[34:35] neg_lo:[0,1] neg_hi:[0,1]
	v_cmp_eq_f32_e32 vcc, s4, v11
	v_add_f32_e32 v31, v39, v31
	v_add_f32_e32 v30, v30, v31
	v_add_f32_e32 v31, v33, v30
	v_mul_f32_e32 v39, v38, v31
	v_mul_f32_e32 v32, v27, v39
	v_fma_f32 v34, v39, v27, -v32
	v_fmac_f32_e32 v34, v39, v1
	v_sub_f32_e32 v1, v33, v31
	v_add_f32_e32 v1, v30, v1
	v_add_f32_e32 v30, v32, v34
	v_sub_f32_e32 v33, v31, v30
	v_pk_add_f32 v[36:37], v[30:31], v[32:33] neg_lo:[0,1] neg_hi:[0,1]
	v_mov_b32_e32 v35, v30
	v_pk_add_f32 v[30:31], v[36:37], v[34:35] neg_lo:[0,1] neg_hi:[0,1]
	v_add_f32_e32 v27, v40, v39
	v_add_f32_e32 v1, v1, v31
	;; [unrolled: 1-line block ×4, first 2 shown]
	v_sub_f32_e32 v30, v27, v40
	v_mul_f32_e32 v1, v38, v1
	v_sub_f32_e32 v30, v39, v30
	v_add_f32_e32 v1, v30, v1
	v_add_f32_e32 v30, v27, v1
	v_cvt_f32_i32_e32 v32, v29
	v_mul_f32_e32 v33, v30, v30
	v_mov_b32_e32 v31, 0x3ecc95a3
	v_fmac_f32_e32 v31, 0x3e9b6dac, v33
	v_fmaak_f32 v31, v33, v31, 0x3f2aaada
	v_sub_f32_e32 v27, v30, v27
	v_ldexp_f32 v35, v30, 1
	v_mul_f32_e32 v33, v30, v33
	v_mov_b32_e32 v30, 0x3f317218
	v_pk_mul_f32 v[30:31], v[32:33], v[30:31]
	v_sub_f32_e32 v1, v1, v27
	v_fma_f32 v27, v32, s3, -v30
	v_fmamk_f32 v34, v32, 0xb102e308, v27
	v_pk_add_f32 v[32:33], v[30:31], v[34:35]
	v_ldexp_f32 v1, v1, 1
	v_sub_f32_e32 v27, v33, v35
	v_sub_f32_e32 v27, v31, v27
	v_add_f32_e32 v37, v1, v27
	v_mov_b32_e32 v36, v30
	v_pk_add_f32 v[30:31], v[32:33], v[30:31] neg_lo:[0,1] neg_hi:[0,1]
	v_pk_add_f32 v[38:39], v[32:33], v[36:37]
	v_mov_b32_e32 v35, v32
	v_mov_b32_e32 v31, v39
	v_pk_add_f32 v[40:41], v[34:35], v[30:31] neg_lo:[0,1] neg_hi:[0,1]
	v_pk_add_f32 v[30:31], v[34:35], v[30:31]
	v_mov_b32_e32 v36, v37
	v_mov_b32_e32 v34, v31
	v_pk_add_f32 v[42:43], v[34:35], v[32:33] neg_lo:[0,1] neg_hi:[0,1]
	v_mov_b32_e32 v30, v39
	v_mov_b32_e32 v1, v42
	v_pk_add_f32 v[52:53], v[38:39], v[0:1] neg_lo:[0,1] neg_hi:[0,1]
	v_mov_b32_e32 v38, v33
	v_mov_b32_e32 v39, v42
	v_mov_b32_e32 v41, v31
	v_pk_add_f32 v[30:31], v[30:31], v[38:39] neg_lo:[0,1] neg_hi:[0,1]
	v_mov_b32_e32 v37, v32
	v_pk_add_f32 v[30:31], v[36:37], v[30:31] neg_lo:[0,1] neg_hi:[0,1]
	v_mov_b32_e32 v52, v40
	v_pk_add_f32 v[32:33], v[52:53], v[30:31]
	s_mov_b32 s3, 0x33800000
	v_mov_b32_e32 v36, v33
	v_pk_add_f32 v[36:37], v[32:33], v[36:37]
	v_cmp_lt_f32_e64 s[4:5], |v11|, s3
	v_pk_add_f32 v[34:35], v[34:35], v[36:37]
	v_mov_b32_e32 v31, v36
	v_mov_b32_e32 v33, v34
	v_pk_add_f32 v[38:39], v[32:33], v[40:41] neg_lo:[0,1] neg_hi:[0,1]
	s_or_b64 vcc, vcc, s[4:5]
	v_sub_f32_e32 v1, v32, v38
	v_pk_add_f32 v[30:31], v[30:31], v[38:39] neg_lo:[0,1] neg_hi:[0,1]
	v_sub_f32_e32 v1, v40, v1
	v_add_f32_e32 v1, v30, v1
	v_add_f32_e32 v1, v1, v31
	;; [unrolled: 1-line block ×3, first 2 shown]
	v_cndmask_b32_e32 v1, v1, v11, vcc
	v_add_f32_e32 v11, v0, v1
.LBB171_174:
	s_or_b64 exec, exec, s[0:1]
	v_max_f32_e32 v0, v11, v11
	v_min_f32_e32 v1, v0, v45
	v_cmp_u_f32_e32 vcc, v11, v11
	v_max_f32_e32 v0, v0, v45
	s_nop 0
	v_cndmask_b32_e32 v1, v1, v11, vcc
	v_cndmask_b32_e32 v0, v0, v11, vcc
	v_cndmask_b32_e64 v1, v1, v12, s[84:85]
	v_cndmask_b32_e64 v0, v0, v12, s[84:85]
	v_cmp_neq_f32_e32 vcc, v1, v0
	v_cmp_class_f32_e64 s[0:1], v1, s2
	s_or_b64 s[2:3], vcc, s[0:1]
	v_mov_b32_e32 v12, v11
	s_and_saveexec_b64 s[0:1], s[2:3]
	s_cbranch_execz .LBB171_176
; %bb.175:
	v_sub_f32_e32 v1, v1, v0
	s_mov_b32 s2, 0x3fb8aa3b
	v_mul_f32_e32 v12, 0x3fb8aa3b, v1
	v_fma_f32 v27, v1, s2, -v12
	v_rndne_f32_e32 v29, v12
	v_fmamk_f32 v27, v1, 0x32a5705f, v27
	v_sub_f32_e32 v12, v12, v29
	v_add_f32_e32 v12, v12, v27
	v_exp_f32_e32 v12, v12
	v_cvt_i32_f32_e32 v27, v29
	s_mov_b32 s2, 0xc2ce8ed0
	v_cmp_ngt_f32_e32 vcc, s2, v1
	s_mov_b32 s2, 0x42b17218
	v_ldexp_f32 v12, v12, v27
	v_cndmask_b32_e32 v12, 0, v12, vcc
	v_mov_b32_e32 v27, 0x7f800000
	v_cmp_nlt_f32_e32 vcc, s2, v1
	s_mov_b32 s2, 0x3f2aaaab
	s_mov_b32 s3, 0x7f800000
	v_cndmask_b32_e32 v27, v27, v12, vcc
	v_add_f32_e32 v1, 1.0, v27
	v_add_f32_e32 v12, -1.0, v1
	v_sub_f32_e32 v29, v12, v1
	v_add_f32_e32 v29, 1.0, v29
	v_sub_f32_e32 v12, v27, v12
	v_add_f32_e32 v12, v12, v29
	v_frexp_mant_f32_e32 v29, v1
	v_cvt_f64_f32_e32 v[30:31], v1
	v_frexp_exp_i32_f64_e32 v30, v[30:31]
	v_cmp_gt_f32_e32 vcc, s2, v29
	s_mov_b32 s2, 0x3f317218
	s_nop 0
	v_subbrev_co_u32_e32 v29, vcc, 0, v30, vcc
	v_sub_u32_e32 v30, 0, v29
	v_ldexp_f32 v1, v1, v30
	v_ldexp_f32 v12, v12, v30
	v_add_f32_e32 v30, -1.0, v1
	v_add_f32_e32 v31, 1.0, v30
	v_sub_f32_e32 v31, v1, v31
	v_add_f32_e32 v32, v12, v31
	v_add_f32_e32 v31, 1.0, v1
	v_add_f32_e32 v33, -1.0, v31
	v_sub_f32_e32 v1, v1, v33
	v_add_f32_e32 v1, v12, v1
	v_add_f32_e32 v12, v31, v1
	v_rcp_f32_e32 v38, v12
	v_sub_f32_e32 v31, v31, v12
	v_add_f32_e32 v1, v1, v31
	v_add_f32_e32 v31, v30, v32
	v_sub_f32_e32 v30, v30, v31
	v_mul_f32_e32 v40, v31, v38
	v_add_f32_e32 v39, v32, v30
	v_mul_f32_e32 v32, v12, v40
	v_fma_f32 v34, v40, v12, -v32
	v_fmac_f32_e32 v34, v40, v1
	v_add_f32_e32 v30, v32, v34
	v_sub_f32_e32 v33, v31, v30
	v_pk_add_f32 v[36:37], v[30:31], v[32:33] neg_lo:[0,1] neg_hi:[0,1]
	v_mov_b32_e32 v35, v30
	v_pk_add_f32 v[30:31], v[36:37], v[34:35] neg_lo:[0,1] neg_hi:[0,1]
	v_cmp_eq_f32_e32 vcc, s3, v27
	v_add_f32_e32 v31, v39, v31
	v_add_f32_e32 v30, v30, v31
	;; [unrolled: 1-line block ×3, first 2 shown]
	v_mul_f32_e32 v39, v38, v31
	v_mul_f32_e32 v32, v12, v39
	v_fma_f32 v34, v39, v12, -v32
	v_fmac_f32_e32 v34, v39, v1
	v_sub_f32_e32 v1, v33, v31
	v_add_f32_e32 v1, v30, v1
	v_add_f32_e32 v30, v32, v34
	v_sub_f32_e32 v33, v31, v30
	v_pk_add_f32 v[36:37], v[30:31], v[32:33] neg_lo:[0,1] neg_hi:[0,1]
	v_mov_b32_e32 v35, v30
	v_pk_add_f32 v[30:31], v[36:37], v[34:35] neg_lo:[0,1] neg_hi:[0,1]
	v_add_f32_e32 v12, v40, v39
	v_add_f32_e32 v1, v1, v31
	;; [unrolled: 1-line block ×4, first 2 shown]
	v_sub_f32_e32 v30, v12, v40
	v_mul_f32_e32 v1, v38, v1
	v_sub_f32_e32 v30, v39, v30
	v_add_f32_e32 v1, v30, v1
	v_add_f32_e32 v30, v12, v1
	v_cvt_f32_i32_e32 v32, v29
	v_mul_f32_e32 v33, v30, v30
	v_mov_b32_e32 v31, 0x3ecc95a3
	v_fmac_f32_e32 v31, 0x3e9b6dac, v33
	v_fmaak_f32 v31, v33, v31, 0x3f2aaada
	v_sub_f32_e32 v12, v30, v12
	v_ldexp_f32 v35, v30, 1
	v_mul_f32_e32 v33, v30, v33
	v_mov_b32_e32 v30, 0x3f317218
	v_pk_mul_f32 v[30:31], v[32:33], v[30:31]
	v_sub_f32_e32 v1, v1, v12
	v_fma_f32 v12, v32, s2, -v30
	v_fmamk_f32 v34, v32, 0xb102e308, v12
	v_pk_add_f32 v[32:33], v[30:31], v[34:35]
	v_ldexp_f32 v1, v1, 1
	v_sub_f32_e32 v12, v33, v35
	v_sub_f32_e32 v12, v31, v12
	v_add_f32_e32 v37, v1, v12
	v_mov_b32_e32 v36, v30
	v_pk_add_f32 v[30:31], v[32:33], v[30:31] neg_lo:[0,1] neg_hi:[0,1]
	v_pk_add_f32 v[38:39], v[32:33], v[36:37]
	v_mov_b32_e32 v35, v32
	v_mov_b32_e32 v31, v39
	v_pk_add_f32 v[40:41], v[34:35], v[30:31] neg_lo:[0,1] neg_hi:[0,1]
	v_pk_add_f32 v[30:31], v[34:35], v[30:31]
	s_mov_b32 s2, 0x33800000
	v_mov_b32_e32 v12, v31
	v_pk_add_f32 v[34:35], v[12:13], v[32:33] neg_lo:[0,1] neg_hi:[0,1]
	v_mov_b32_e32 v30, v39
	v_mov_b32_e32 v1, v34
	v_pk_add_f32 v[42:43], v[38:39], v[0:1] neg_lo:[0,1] neg_hi:[0,1]
	v_mov_b32_e32 v38, v33
	v_mov_b32_e32 v39, v34
	;; [unrolled: 1-line block ×3, first 2 shown]
	v_pk_add_f32 v[30:31], v[30:31], v[38:39] neg_lo:[0,1] neg_hi:[0,1]
	v_mov_b32_e32 v34, v37
	v_mov_b32_e32 v35, v32
	v_pk_add_f32 v[30:31], v[34:35], v[30:31] neg_lo:[0,1] neg_hi:[0,1]
	v_mov_b32_e32 v42, v40
	v_pk_add_f32 v[32:33], v[42:43], v[30:31]
	v_cmp_lt_f32_e64 s[2:3], |v27|, s2
	v_mov_b32_e32 v34, v33
	v_pk_add_f32 v[34:35], v[32:33], v[34:35]
	s_or_b64 vcc, vcc, s[2:3]
	v_pk_add_f32 v[36:37], v[12:13], v[34:35]
	v_mov_b32_e32 v31, v34
	v_mov_b32_e32 v33, v36
	v_pk_add_f32 v[38:39], v[32:33], v[40:41] neg_lo:[0,1] neg_hi:[0,1]
	s_nop 0
	v_sub_f32_e32 v1, v32, v38
	v_pk_add_f32 v[30:31], v[30:31], v[38:39] neg_lo:[0,1] neg_hi:[0,1]
	v_sub_f32_e32 v1, v40, v1
	v_add_f32_e32 v1, v30, v1
	v_add_f32_e32 v1, v1, v31
	;; [unrolled: 1-line block ×3, first 2 shown]
	v_cndmask_b32_e32 v1, v1, v27, vcc
	v_add_f32_e32 v12, v0, v1
.LBB171_176:
	s_or_b64 exec, exec, s[0:1]
	v_max_f32_e32 v0, v12, v12
	v_min_f32_e32 v1, v0, v46
	v_cmp_u_f32_e32 vcc, v12, v12
	v_max_f32_e32 v0, v0, v46
	s_movk_i32 s2, 0x1f8
	v_cndmask_b32_e32 v1, v1, v12, vcc
	v_cndmask_b32_e32 v0, v0, v12, vcc
	v_cndmask_b32_e64 v1, v1, v13, s[86:87]
	v_cndmask_b32_e64 v0, v0, v13, s[86:87]
	v_cmp_neq_f32_e32 vcc, v1, v0
	v_cmp_class_f32_e64 s[0:1], v1, s2
	s_or_b64 s[4:5], vcc, s[0:1]
	v_mov_b32_e32 v13, v12
	s_and_saveexec_b64 s[0:1], s[4:5]
	s_cbranch_execz .LBB171_178
; %bb.177:
	v_sub_f32_e32 v1, v1, v0
	s_mov_b32 s3, 0x3fb8aa3b
	v_mul_f32_e32 v13, 0x3fb8aa3b, v1
	v_fma_f32 v27, v1, s3, -v13
	v_rndne_f32_e32 v29, v13
	v_fmamk_f32 v27, v1, 0x32a5705f, v27
	v_sub_f32_e32 v13, v13, v29
	v_add_f32_e32 v13, v13, v27
	v_exp_f32_e32 v13, v13
	v_cvt_i32_f32_e32 v27, v29
	s_mov_b32 s3, 0xc2ce8ed0
	v_cmp_ngt_f32_e32 vcc, s3, v1
	s_mov_b32 s3, 0x42b17218
	v_ldexp_f32 v13, v13, v27
	v_cndmask_b32_e32 v13, 0, v13, vcc
	v_mov_b32_e32 v27, 0x7f800000
	v_cmp_nlt_f32_e32 vcc, s3, v1
	s_mov_b32 s3, 0x3f2aaaab
	s_mov_b32 s4, 0x7f800000
	v_cndmask_b32_e32 v13, v27, v13, vcc
	v_add_f32_e32 v1, 1.0, v13
	v_add_f32_e32 v27, -1.0, v1
	v_sub_f32_e32 v29, v27, v1
	v_add_f32_e32 v29, 1.0, v29
	v_sub_f32_e32 v27, v13, v27
	v_add_f32_e32 v27, v27, v29
	v_frexp_mant_f32_e32 v29, v1
	v_cvt_f64_f32_e32 v[30:31], v1
	v_frexp_exp_i32_f64_e32 v30, v[30:31]
	v_cmp_gt_f32_e32 vcc, s3, v29
	s_mov_b32 s3, 0x3f317218
	s_nop 0
	v_subbrev_co_u32_e32 v29, vcc, 0, v30, vcc
	v_sub_u32_e32 v30, 0, v29
	v_ldexp_f32 v1, v1, v30
	v_ldexp_f32 v27, v27, v30
	v_add_f32_e32 v30, -1.0, v1
	v_add_f32_e32 v31, 1.0, v30
	v_sub_f32_e32 v31, v1, v31
	v_add_f32_e32 v32, v27, v31
	v_add_f32_e32 v31, 1.0, v1
	v_add_f32_e32 v33, -1.0, v31
	v_sub_f32_e32 v1, v1, v33
	v_add_f32_e32 v1, v27, v1
	v_add_f32_e32 v27, v31, v1
	v_rcp_f32_e32 v38, v27
	v_sub_f32_e32 v31, v31, v27
	v_add_f32_e32 v1, v1, v31
	v_add_f32_e32 v31, v30, v32
	v_sub_f32_e32 v30, v30, v31
	v_mul_f32_e32 v40, v31, v38
	v_add_f32_e32 v39, v32, v30
	v_mul_f32_e32 v32, v27, v40
	v_fma_f32 v34, v40, v27, -v32
	v_fmac_f32_e32 v34, v40, v1
	v_add_f32_e32 v30, v32, v34
	v_sub_f32_e32 v33, v31, v30
	v_pk_add_f32 v[36:37], v[30:31], v[32:33] neg_lo:[0,1] neg_hi:[0,1]
	v_mov_b32_e32 v35, v30
	v_pk_add_f32 v[30:31], v[36:37], v[34:35] neg_lo:[0,1] neg_hi:[0,1]
	v_cmp_eq_f32_e32 vcc, s4, v13
	v_add_f32_e32 v31, v39, v31
	v_add_f32_e32 v30, v30, v31
	;; [unrolled: 1-line block ×3, first 2 shown]
	v_mul_f32_e32 v39, v38, v31
	v_mul_f32_e32 v32, v27, v39
	v_fma_f32 v34, v39, v27, -v32
	v_fmac_f32_e32 v34, v39, v1
	v_sub_f32_e32 v1, v33, v31
	v_add_f32_e32 v1, v30, v1
	v_add_f32_e32 v30, v32, v34
	v_sub_f32_e32 v33, v31, v30
	v_pk_add_f32 v[36:37], v[30:31], v[32:33] neg_lo:[0,1] neg_hi:[0,1]
	v_mov_b32_e32 v35, v30
	v_pk_add_f32 v[30:31], v[36:37], v[34:35] neg_lo:[0,1] neg_hi:[0,1]
	v_add_f32_e32 v27, v40, v39
	v_add_f32_e32 v1, v1, v31
	;; [unrolled: 1-line block ×4, first 2 shown]
	v_sub_f32_e32 v30, v27, v40
	v_mul_f32_e32 v1, v38, v1
	v_sub_f32_e32 v30, v39, v30
	v_add_f32_e32 v1, v30, v1
	v_add_f32_e32 v30, v27, v1
	v_cvt_f32_i32_e32 v32, v29
	v_mul_f32_e32 v33, v30, v30
	v_mov_b32_e32 v31, 0x3ecc95a3
	v_fmac_f32_e32 v31, 0x3e9b6dac, v33
	v_fmaak_f32 v31, v33, v31, 0x3f2aaada
	v_sub_f32_e32 v27, v30, v27
	v_ldexp_f32 v35, v30, 1
	v_mul_f32_e32 v33, v30, v33
	v_mov_b32_e32 v30, 0x3f317218
	v_pk_mul_f32 v[30:31], v[32:33], v[30:31]
	v_sub_f32_e32 v1, v1, v27
	v_fma_f32 v27, v32, s3, -v30
	v_fmamk_f32 v34, v32, 0xb102e308, v27
	v_pk_add_f32 v[32:33], v[30:31], v[34:35]
	v_ldexp_f32 v1, v1, 1
	v_sub_f32_e32 v27, v33, v35
	v_sub_f32_e32 v27, v31, v27
	v_add_f32_e32 v37, v1, v27
	v_mov_b32_e32 v36, v30
	v_pk_add_f32 v[30:31], v[32:33], v[30:31] neg_lo:[0,1] neg_hi:[0,1]
	v_pk_add_f32 v[38:39], v[32:33], v[36:37]
	v_mov_b32_e32 v35, v32
	v_mov_b32_e32 v31, v39
	v_pk_add_f32 v[40:41], v[34:35], v[30:31] neg_lo:[0,1] neg_hi:[0,1]
	v_pk_add_f32 v[30:31], v[34:35], v[30:31]
	v_mov_b32_e32 v36, v37
	v_mov_b32_e32 v34, v31
	v_pk_add_f32 v[42:43], v[34:35], v[32:33] neg_lo:[0,1] neg_hi:[0,1]
	v_mov_b32_e32 v30, v39
	v_mov_b32_e32 v1, v42
	v_pk_add_f32 v[44:45], v[38:39], v[0:1] neg_lo:[0,1] neg_hi:[0,1]
	v_mov_b32_e32 v38, v33
	v_mov_b32_e32 v39, v42
	;; [unrolled: 1-line block ×3, first 2 shown]
	v_pk_add_f32 v[30:31], v[30:31], v[38:39] neg_lo:[0,1] neg_hi:[0,1]
	v_mov_b32_e32 v37, v32
	v_pk_add_f32 v[30:31], v[36:37], v[30:31] neg_lo:[0,1] neg_hi:[0,1]
	v_mov_b32_e32 v44, v40
	v_pk_add_f32 v[32:33], v[44:45], v[30:31]
	s_mov_b32 s3, 0x33800000
	v_mov_b32_e32 v36, v33
	v_pk_add_f32 v[36:37], v[32:33], v[36:37]
	v_cmp_lt_f32_e64 s[4:5], |v13|, s3
	v_pk_add_f32 v[34:35], v[34:35], v[36:37]
	v_mov_b32_e32 v31, v36
	v_mov_b32_e32 v33, v34
	v_pk_add_f32 v[38:39], v[32:33], v[40:41] neg_lo:[0,1] neg_hi:[0,1]
	s_or_b64 vcc, vcc, s[4:5]
	v_sub_f32_e32 v1, v32, v38
	v_pk_add_f32 v[30:31], v[30:31], v[38:39] neg_lo:[0,1] neg_hi:[0,1]
	v_sub_f32_e32 v1, v40, v1
	v_add_f32_e32 v1, v30, v1
	v_add_f32_e32 v1, v1, v31
	;; [unrolled: 1-line block ×3, first 2 shown]
	v_cndmask_b32_e32 v1, v1, v13, vcc
	v_add_f32_e32 v13, v0, v1
.LBB171_178:
	s_or_b64 exec, exec, s[0:1]
	v_max_f32_e32 v0, v13, v13
	v_min_f32_e32 v1, v0, v47
	v_cmp_u_f32_e32 vcc, v13, v13
	v_max_f32_e32 v0, v0, v47
	s_nop 0
	v_cndmask_b32_e32 v1, v1, v13, vcc
	v_cndmask_b32_e32 v0, v0, v13, vcc
	v_cndmask_b32_e64 v1, v1, v6, s[88:89]
	v_cndmask_b32_e64 v0, v0, v6, s[88:89]
	v_cmp_neq_f32_e32 vcc, v1, v0
	v_cmp_class_f32_e64 s[0:1], v1, s2
	s_or_b64 s[2:3], vcc, s[0:1]
	v_mov_b32_e32 v6, v13
	s_and_saveexec_b64 s[0:1], s[2:3]
	s_cbranch_execz .LBB171_180
; %bb.179:
	v_sub_f32_e32 v1, v1, v0
	s_mov_b32 s2, 0x3fb8aa3b
	v_mul_f32_e32 v6, 0x3fb8aa3b, v1
	v_fma_f32 v27, v1, s2, -v6
	v_rndne_f32_e32 v29, v6
	v_fmamk_f32 v27, v1, 0x32a5705f, v27
	v_sub_f32_e32 v6, v6, v29
	v_add_f32_e32 v6, v6, v27
	v_exp_f32_e32 v6, v6
	v_cvt_i32_f32_e32 v27, v29
	s_mov_b32 s2, 0xc2ce8ed0
	v_cmp_ngt_f32_e32 vcc, s2, v1
	s_mov_b32 s2, 0x42b17218
	v_ldexp_f32 v6, v6, v27
	v_cndmask_b32_e32 v6, 0, v6, vcc
	v_mov_b32_e32 v27, 0x7f800000
	v_cmp_nlt_f32_e32 vcc, s2, v1
	s_mov_b32 s2, 0x3f2aaaab
	s_mov_b32 s3, 0x7f800000
	v_cndmask_b32_e32 v27, v27, v6, vcc
	v_add_f32_e32 v1, 1.0, v27
	v_add_f32_e32 v6, -1.0, v1
	v_sub_f32_e32 v29, v6, v1
	v_add_f32_e32 v29, 1.0, v29
	v_sub_f32_e32 v6, v27, v6
	v_add_f32_e32 v6, v6, v29
	v_frexp_mant_f32_e32 v29, v1
	v_cvt_f64_f32_e32 v[30:31], v1
	v_frexp_exp_i32_f64_e32 v30, v[30:31]
	v_cmp_gt_f32_e32 vcc, s2, v29
	s_mov_b32 s2, 0x3f317218
	s_nop 0
	v_subbrev_co_u32_e32 v29, vcc, 0, v30, vcc
	v_sub_u32_e32 v30, 0, v29
	v_ldexp_f32 v1, v1, v30
	v_ldexp_f32 v6, v6, v30
	v_add_f32_e32 v30, -1.0, v1
	v_add_f32_e32 v31, 1.0, v30
	v_sub_f32_e32 v31, v1, v31
	v_add_f32_e32 v32, v6, v31
	v_add_f32_e32 v31, 1.0, v1
	v_add_f32_e32 v33, -1.0, v31
	v_sub_f32_e32 v1, v1, v33
	v_add_f32_e32 v1, v6, v1
	v_add_f32_e32 v6, v31, v1
	v_rcp_f32_e32 v38, v6
	v_sub_f32_e32 v31, v31, v6
	v_add_f32_e32 v1, v1, v31
	v_add_f32_e32 v31, v30, v32
	v_sub_f32_e32 v30, v30, v31
	v_mul_f32_e32 v40, v31, v38
	v_add_f32_e32 v39, v32, v30
	v_mul_f32_e32 v32, v6, v40
	v_fma_f32 v34, v40, v6, -v32
	v_fmac_f32_e32 v34, v40, v1
	v_add_f32_e32 v30, v32, v34
	v_sub_f32_e32 v33, v31, v30
	v_pk_add_f32 v[36:37], v[30:31], v[32:33] neg_lo:[0,1] neg_hi:[0,1]
	v_mov_b32_e32 v35, v30
	v_pk_add_f32 v[30:31], v[36:37], v[34:35] neg_lo:[0,1] neg_hi:[0,1]
	v_cmp_eq_f32_e32 vcc, s3, v27
	v_add_f32_e32 v31, v39, v31
	v_add_f32_e32 v30, v30, v31
	;; [unrolled: 1-line block ×3, first 2 shown]
	v_mul_f32_e32 v39, v38, v31
	v_mul_f32_e32 v32, v6, v39
	v_fma_f32 v34, v39, v6, -v32
	v_fmac_f32_e32 v34, v39, v1
	v_sub_f32_e32 v1, v33, v31
	v_add_f32_e32 v1, v30, v1
	v_add_f32_e32 v30, v32, v34
	v_sub_f32_e32 v33, v31, v30
	v_pk_add_f32 v[36:37], v[30:31], v[32:33] neg_lo:[0,1] neg_hi:[0,1]
	v_mov_b32_e32 v35, v30
	v_pk_add_f32 v[30:31], v[36:37], v[34:35] neg_lo:[0,1] neg_hi:[0,1]
	v_add_f32_e32 v6, v40, v39
	v_add_f32_e32 v1, v1, v31
	;; [unrolled: 1-line block ×4, first 2 shown]
	v_sub_f32_e32 v30, v6, v40
	v_mul_f32_e32 v1, v38, v1
	v_sub_f32_e32 v30, v39, v30
	v_add_f32_e32 v1, v30, v1
	v_add_f32_e32 v30, v6, v1
	v_cvt_f32_i32_e32 v32, v29
	v_mul_f32_e32 v33, v30, v30
	v_mov_b32_e32 v31, 0x3ecc95a3
	v_fmac_f32_e32 v31, 0x3e9b6dac, v33
	v_fmaak_f32 v31, v33, v31, 0x3f2aaada
	v_sub_f32_e32 v6, v30, v6
	v_ldexp_f32 v35, v30, 1
	v_mul_f32_e32 v33, v30, v33
	v_mov_b32_e32 v30, 0x3f317218
	v_pk_mul_f32 v[30:31], v[32:33], v[30:31]
	v_sub_f32_e32 v1, v1, v6
	v_fma_f32 v6, v32, s2, -v30
	v_fmamk_f32 v34, v32, 0xb102e308, v6
	v_pk_add_f32 v[32:33], v[30:31], v[34:35]
	v_ldexp_f32 v1, v1, 1
	v_sub_f32_e32 v6, v33, v35
	v_sub_f32_e32 v6, v31, v6
	v_add_f32_e32 v37, v1, v6
	v_mov_b32_e32 v36, v30
	v_pk_add_f32 v[30:31], v[32:33], v[30:31] neg_lo:[0,1] neg_hi:[0,1]
	v_pk_add_f32 v[38:39], v[32:33], v[36:37]
	v_mov_b32_e32 v35, v32
	v_mov_b32_e32 v31, v39
	v_pk_add_f32 v[40:41], v[34:35], v[30:31] neg_lo:[0,1] neg_hi:[0,1]
	v_pk_add_f32 v[30:31], v[34:35], v[30:31]
	s_mov_b32 s2, 0x33800000
	v_mov_b32_e32 v6, v31
	v_pk_add_f32 v[34:35], v[6:7], v[32:33] neg_lo:[0,1] neg_hi:[0,1]
	v_mov_b32_e32 v30, v39
	v_mov_b32_e32 v1, v34
	v_pk_add_f32 v[42:43], v[38:39], v[0:1] neg_lo:[0,1] neg_hi:[0,1]
	v_mov_b32_e32 v38, v33
	v_mov_b32_e32 v39, v34
	;; [unrolled: 1-line block ×3, first 2 shown]
	v_pk_add_f32 v[30:31], v[30:31], v[38:39] neg_lo:[0,1] neg_hi:[0,1]
	v_mov_b32_e32 v34, v37
	v_mov_b32_e32 v35, v32
	v_pk_add_f32 v[30:31], v[34:35], v[30:31] neg_lo:[0,1] neg_hi:[0,1]
	v_mov_b32_e32 v42, v40
	v_pk_add_f32 v[32:33], v[42:43], v[30:31]
	v_cmp_lt_f32_e64 s[2:3], |v27|, s2
	v_mov_b32_e32 v34, v33
	v_pk_add_f32 v[34:35], v[32:33], v[34:35]
	s_or_b64 vcc, vcc, s[2:3]
	v_pk_add_f32 v[36:37], v[6:7], v[34:35]
	v_mov_b32_e32 v31, v34
	v_mov_b32_e32 v33, v36
	v_pk_add_f32 v[38:39], v[32:33], v[40:41] neg_lo:[0,1] neg_hi:[0,1]
	s_nop 0
	v_sub_f32_e32 v1, v32, v38
	v_pk_add_f32 v[30:31], v[30:31], v[38:39] neg_lo:[0,1] neg_hi:[0,1]
	v_sub_f32_e32 v1, v40, v1
	v_add_f32_e32 v1, v30, v1
	v_add_f32_e32 v1, v1, v31
	;; [unrolled: 1-line block ×3, first 2 shown]
	v_cndmask_b32_e32 v1, v1, v27, vcc
	v_add_f32_e32 v6, v0, v1
.LBB171_180:
	s_or_b64 exec, exec, s[0:1]
	v_max_f32_e32 v0, v6, v6
	v_min_f32_e32 v1, v0, v48
	v_cmp_u_f32_e32 vcc, v6, v6
	v_max_f32_e32 v0, v0, v48
	s_movk_i32 s2, 0x1f8
	v_cndmask_b32_e32 v1, v1, v6, vcc
	v_cndmask_b32_e32 v0, v0, v6, vcc
	v_cndmask_b32_e64 v1, v1, v7, s[90:91]
	v_cndmask_b32_e64 v0, v0, v7, s[90:91]
	v_cmp_neq_f32_e32 vcc, v1, v0
	v_cmp_class_f32_e64 s[0:1], v1, s2
	s_or_b64 s[4:5], vcc, s[0:1]
	v_mov_b32_e32 v7, v6
	s_and_saveexec_b64 s[0:1], s[4:5]
	s_cbranch_execz .LBB171_182
; %bb.181:
	v_sub_f32_e32 v1, v1, v0
	s_mov_b32 s3, 0x3fb8aa3b
	v_mul_f32_e32 v7, 0x3fb8aa3b, v1
	v_fma_f32 v27, v1, s3, -v7
	v_rndne_f32_e32 v29, v7
	v_fmamk_f32 v27, v1, 0x32a5705f, v27
	v_sub_f32_e32 v7, v7, v29
	v_add_f32_e32 v7, v7, v27
	v_exp_f32_e32 v7, v7
	v_cvt_i32_f32_e32 v27, v29
	s_mov_b32 s3, 0xc2ce8ed0
	v_cmp_ngt_f32_e32 vcc, s3, v1
	s_mov_b32 s3, 0x42b17218
	v_ldexp_f32 v7, v7, v27
	v_cndmask_b32_e32 v7, 0, v7, vcc
	v_mov_b32_e32 v27, 0x7f800000
	v_cmp_nlt_f32_e32 vcc, s3, v1
	s_mov_b32 s3, 0x3f2aaaab
	s_mov_b32 s4, 0x7f800000
	v_cndmask_b32_e32 v7, v27, v7, vcc
	v_add_f32_e32 v1, 1.0, v7
	v_add_f32_e32 v27, -1.0, v1
	v_sub_f32_e32 v29, v27, v1
	v_add_f32_e32 v29, 1.0, v29
	v_sub_f32_e32 v27, v7, v27
	v_add_f32_e32 v27, v27, v29
	v_frexp_mant_f32_e32 v29, v1
	v_cvt_f64_f32_e32 v[30:31], v1
	v_frexp_exp_i32_f64_e32 v30, v[30:31]
	v_cmp_gt_f32_e32 vcc, s3, v29
	s_mov_b32 s3, 0x3f317218
	s_nop 0
	v_subbrev_co_u32_e32 v29, vcc, 0, v30, vcc
	v_sub_u32_e32 v30, 0, v29
	v_ldexp_f32 v1, v1, v30
	v_ldexp_f32 v27, v27, v30
	v_add_f32_e32 v30, -1.0, v1
	v_add_f32_e32 v31, 1.0, v30
	v_sub_f32_e32 v31, v1, v31
	v_add_f32_e32 v32, v27, v31
	v_add_f32_e32 v31, 1.0, v1
	v_add_f32_e32 v33, -1.0, v31
	v_sub_f32_e32 v1, v1, v33
	v_add_f32_e32 v1, v27, v1
	v_add_f32_e32 v27, v31, v1
	v_rcp_f32_e32 v38, v27
	v_sub_f32_e32 v31, v31, v27
	v_add_f32_e32 v1, v1, v31
	v_add_f32_e32 v31, v30, v32
	v_sub_f32_e32 v30, v30, v31
	v_mul_f32_e32 v40, v31, v38
	v_add_f32_e32 v39, v32, v30
	v_mul_f32_e32 v32, v27, v40
	v_fma_f32 v34, v40, v27, -v32
	v_fmac_f32_e32 v34, v40, v1
	v_add_f32_e32 v30, v32, v34
	v_sub_f32_e32 v33, v31, v30
	v_pk_add_f32 v[36:37], v[30:31], v[32:33] neg_lo:[0,1] neg_hi:[0,1]
	v_mov_b32_e32 v35, v30
	v_pk_add_f32 v[30:31], v[36:37], v[34:35] neg_lo:[0,1] neg_hi:[0,1]
	v_cmp_eq_f32_e32 vcc, s4, v7
	v_add_f32_e32 v31, v39, v31
	v_add_f32_e32 v30, v30, v31
	;; [unrolled: 1-line block ×3, first 2 shown]
	v_mul_f32_e32 v39, v38, v31
	v_mul_f32_e32 v32, v27, v39
	v_fma_f32 v34, v39, v27, -v32
	v_fmac_f32_e32 v34, v39, v1
	v_sub_f32_e32 v1, v33, v31
	v_add_f32_e32 v1, v30, v1
	v_add_f32_e32 v30, v32, v34
	v_sub_f32_e32 v33, v31, v30
	v_pk_add_f32 v[36:37], v[30:31], v[32:33] neg_lo:[0,1] neg_hi:[0,1]
	v_mov_b32_e32 v35, v30
	v_pk_add_f32 v[30:31], v[36:37], v[34:35] neg_lo:[0,1] neg_hi:[0,1]
	v_add_f32_e32 v27, v40, v39
	v_add_f32_e32 v1, v1, v31
	;; [unrolled: 1-line block ×4, first 2 shown]
	v_sub_f32_e32 v30, v27, v40
	v_mul_f32_e32 v1, v38, v1
	v_sub_f32_e32 v30, v39, v30
	v_add_f32_e32 v1, v30, v1
	v_add_f32_e32 v30, v27, v1
	v_cvt_f32_i32_e32 v32, v29
	v_mul_f32_e32 v33, v30, v30
	v_mov_b32_e32 v31, 0x3ecc95a3
	v_fmac_f32_e32 v31, 0x3e9b6dac, v33
	v_fmaak_f32 v31, v33, v31, 0x3f2aaada
	v_sub_f32_e32 v27, v30, v27
	v_ldexp_f32 v35, v30, 1
	v_mul_f32_e32 v33, v30, v33
	v_mov_b32_e32 v30, 0x3f317218
	v_pk_mul_f32 v[30:31], v[32:33], v[30:31]
	v_sub_f32_e32 v1, v1, v27
	v_fma_f32 v27, v32, s3, -v30
	v_fmamk_f32 v34, v32, 0xb102e308, v27
	v_pk_add_f32 v[32:33], v[30:31], v[34:35]
	v_ldexp_f32 v1, v1, 1
	v_sub_f32_e32 v27, v33, v35
	v_sub_f32_e32 v27, v31, v27
	v_add_f32_e32 v37, v1, v27
	v_mov_b32_e32 v36, v30
	v_pk_add_f32 v[30:31], v[32:33], v[30:31] neg_lo:[0,1] neg_hi:[0,1]
	v_pk_add_f32 v[38:39], v[32:33], v[36:37]
	v_mov_b32_e32 v35, v32
	v_mov_b32_e32 v31, v39
	v_pk_add_f32 v[40:41], v[34:35], v[30:31] neg_lo:[0,1] neg_hi:[0,1]
	v_pk_add_f32 v[30:31], v[34:35], v[30:31]
	v_mov_b32_e32 v36, v37
	v_mov_b32_e32 v34, v31
	v_pk_add_f32 v[42:43], v[34:35], v[32:33] neg_lo:[0,1] neg_hi:[0,1]
	v_mov_b32_e32 v30, v39
	v_mov_b32_e32 v1, v42
	v_pk_add_f32 v[44:45], v[38:39], v[0:1] neg_lo:[0,1] neg_hi:[0,1]
	v_mov_b32_e32 v38, v33
	v_mov_b32_e32 v39, v42
	;; [unrolled: 1-line block ×3, first 2 shown]
	v_pk_add_f32 v[30:31], v[30:31], v[38:39] neg_lo:[0,1] neg_hi:[0,1]
	v_mov_b32_e32 v37, v32
	v_pk_add_f32 v[30:31], v[36:37], v[30:31] neg_lo:[0,1] neg_hi:[0,1]
	v_mov_b32_e32 v44, v40
	v_pk_add_f32 v[32:33], v[44:45], v[30:31]
	s_mov_b32 s3, 0x33800000
	v_mov_b32_e32 v36, v33
	v_pk_add_f32 v[36:37], v[32:33], v[36:37]
	v_cmp_lt_f32_e64 s[4:5], |v7|, s3
	v_pk_add_f32 v[34:35], v[34:35], v[36:37]
	v_mov_b32_e32 v31, v36
	v_mov_b32_e32 v33, v34
	v_pk_add_f32 v[38:39], v[32:33], v[40:41] neg_lo:[0,1] neg_hi:[0,1]
	s_or_b64 vcc, vcc, s[4:5]
	v_sub_f32_e32 v1, v32, v38
	v_pk_add_f32 v[30:31], v[30:31], v[38:39] neg_lo:[0,1] neg_hi:[0,1]
	v_sub_f32_e32 v1, v40, v1
	v_add_f32_e32 v1, v30, v1
	v_add_f32_e32 v1, v1, v31
	;; [unrolled: 1-line block ×3, first 2 shown]
	v_cndmask_b32_e32 v1, v1, v7, vcc
	v_add_f32_e32 v7, v0, v1
.LBB171_182:
	s_or_b64 exec, exec, s[0:1]
	v_max_f32_e32 v0, v7, v7
	v_min_f32_e32 v1, v0, v49
	v_cmp_u_f32_e32 vcc, v7, v7
	v_max_f32_e32 v0, v0, v49
	s_nop 0
	v_cndmask_b32_e32 v1, v1, v7, vcc
	v_cndmask_b32_e32 v0, v0, v7, vcc
	v_cndmask_b32_e64 v1, v1, v8, s[92:93]
	v_cndmask_b32_e64 v0, v0, v8, s[92:93]
	v_cmp_neq_f32_e32 vcc, v1, v0
	v_cmp_class_f32_e64 s[0:1], v1, s2
	s_or_b64 s[2:3], vcc, s[0:1]
	v_mov_b32_e32 v8, v7
	s_and_saveexec_b64 s[0:1], s[2:3]
	s_cbranch_execz .LBB171_184
; %bb.183:
	v_sub_f32_e32 v1, v1, v0
	s_mov_b32 s2, 0x3fb8aa3b
	v_mul_f32_e32 v8, 0x3fb8aa3b, v1
	v_fma_f32 v27, v1, s2, -v8
	v_rndne_f32_e32 v29, v8
	v_fmamk_f32 v27, v1, 0x32a5705f, v27
	v_sub_f32_e32 v8, v8, v29
	v_add_f32_e32 v8, v8, v27
	v_exp_f32_e32 v8, v8
	v_cvt_i32_f32_e32 v27, v29
	s_mov_b32 s2, 0xc2ce8ed0
	v_cmp_ngt_f32_e32 vcc, s2, v1
	s_mov_b32 s2, 0x42b17218
	v_ldexp_f32 v8, v8, v27
	v_cndmask_b32_e32 v8, 0, v8, vcc
	v_mov_b32_e32 v27, 0x7f800000
	v_cmp_nlt_f32_e32 vcc, s2, v1
	s_mov_b32 s2, 0x3f2aaaab
	s_mov_b32 s3, 0x7f800000
	v_cndmask_b32_e32 v27, v27, v8, vcc
	v_add_f32_e32 v1, 1.0, v27
	v_add_f32_e32 v8, -1.0, v1
	v_sub_f32_e32 v29, v8, v1
	v_add_f32_e32 v29, 1.0, v29
	v_sub_f32_e32 v8, v27, v8
	v_add_f32_e32 v8, v8, v29
	v_frexp_mant_f32_e32 v29, v1
	v_cvt_f64_f32_e32 v[30:31], v1
	v_frexp_exp_i32_f64_e32 v30, v[30:31]
	v_cmp_gt_f32_e32 vcc, s2, v29
	s_mov_b32 s2, 0x3f317218
	s_nop 0
	v_subbrev_co_u32_e32 v29, vcc, 0, v30, vcc
	v_sub_u32_e32 v30, 0, v29
	v_ldexp_f32 v1, v1, v30
	v_ldexp_f32 v8, v8, v30
	v_add_f32_e32 v30, -1.0, v1
	v_add_f32_e32 v31, 1.0, v30
	v_sub_f32_e32 v31, v1, v31
	v_add_f32_e32 v32, v8, v31
	v_add_f32_e32 v31, 1.0, v1
	v_add_f32_e32 v33, -1.0, v31
	v_sub_f32_e32 v1, v1, v33
	v_add_f32_e32 v1, v8, v1
	v_add_f32_e32 v8, v31, v1
	v_rcp_f32_e32 v38, v8
	v_sub_f32_e32 v31, v31, v8
	v_add_f32_e32 v1, v1, v31
	v_add_f32_e32 v31, v30, v32
	v_sub_f32_e32 v30, v30, v31
	v_mul_f32_e32 v40, v31, v38
	v_add_f32_e32 v39, v32, v30
	v_mul_f32_e32 v32, v8, v40
	v_fma_f32 v34, v40, v8, -v32
	v_fmac_f32_e32 v34, v40, v1
	v_add_f32_e32 v30, v32, v34
	v_sub_f32_e32 v33, v31, v30
	v_pk_add_f32 v[36:37], v[30:31], v[32:33] neg_lo:[0,1] neg_hi:[0,1]
	v_mov_b32_e32 v35, v30
	v_pk_add_f32 v[30:31], v[36:37], v[34:35] neg_lo:[0,1] neg_hi:[0,1]
	v_cmp_eq_f32_e32 vcc, s3, v27
	v_add_f32_e32 v31, v39, v31
	v_add_f32_e32 v30, v30, v31
	;; [unrolled: 1-line block ×3, first 2 shown]
	v_mul_f32_e32 v39, v38, v31
	v_mul_f32_e32 v32, v8, v39
	v_fma_f32 v34, v39, v8, -v32
	v_fmac_f32_e32 v34, v39, v1
	v_sub_f32_e32 v1, v33, v31
	v_add_f32_e32 v1, v30, v1
	v_add_f32_e32 v30, v32, v34
	v_sub_f32_e32 v33, v31, v30
	v_pk_add_f32 v[36:37], v[30:31], v[32:33] neg_lo:[0,1] neg_hi:[0,1]
	v_mov_b32_e32 v35, v30
	v_pk_add_f32 v[30:31], v[36:37], v[34:35] neg_lo:[0,1] neg_hi:[0,1]
	v_add_f32_e32 v8, v40, v39
	v_add_f32_e32 v1, v1, v31
	;; [unrolled: 1-line block ×4, first 2 shown]
	v_sub_f32_e32 v30, v8, v40
	v_mul_f32_e32 v1, v38, v1
	v_sub_f32_e32 v30, v39, v30
	v_add_f32_e32 v1, v30, v1
	v_add_f32_e32 v30, v8, v1
	v_cvt_f32_i32_e32 v32, v29
	v_mul_f32_e32 v33, v30, v30
	v_mov_b32_e32 v31, 0x3ecc95a3
	v_fmac_f32_e32 v31, 0x3e9b6dac, v33
	v_fmaak_f32 v31, v33, v31, 0x3f2aaada
	v_sub_f32_e32 v8, v30, v8
	v_ldexp_f32 v35, v30, 1
	v_mul_f32_e32 v33, v30, v33
	v_mov_b32_e32 v30, 0x3f317218
	v_pk_mul_f32 v[30:31], v[32:33], v[30:31]
	v_sub_f32_e32 v1, v1, v8
	v_fma_f32 v8, v32, s2, -v30
	v_fmamk_f32 v34, v32, 0xb102e308, v8
	v_pk_add_f32 v[32:33], v[30:31], v[34:35]
	v_ldexp_f32 v1, v1, 1
	v_sub_f32_e32 v8, v33, v35
	v_sub_f32_e32 v8, v31, v8
	v_add_f32_e32 v37, v1, v8
	v_mov_b32_e32 v36, v30
	v_pk_add_f32 v[30:31], v[32:33], v[30:31] neg_lo:[0,1] neg_hi:[0,1]
	v_pk_add_f32 v[38:39], v[32:33], v[36:37]
	v_mov_b32_e32 v35, v32
	v_mov_b32_e32 v31, v39
	v_pk_add_f32 v[40:41], v[34:35], v[30:31] neg_lo:[0,1] neg_hi:[0,1]
	v_pk_add_f32 v[30:31], v[34:35], v[30:31]
	s_mov_b32 s2, 0x33800000
	v_mov_b32_e32 v8, v31
	v_pk_add_f32 v[34:35], v[8:9], v[32:33] neg_lo:[0,1] neg_hi:[0,1]
	v_mov_b32_e32 v30, v39
	v_mov_b32_e32 v1, v34
	v_pk_add_f32 v[42:43], v[38:39], v[0:1] neg_lo:[0,1] neg_hi:[0,1]
	v_mov_b32_e32 v38, v33
	v_mov_b32_e32 v39, v34
	;; [unrolled: 1-line block ×3, first 2 shown]
	v_pk_add_f32 v[30:31], v[30:31], v[38:39] neg_lo:[0,1] neg_hi:[0,1]
	v_mov_b32_e32 v34, v37
	v_mov_b32_e32 v35, v32
	v_pk_add_f32 v[30:31], v[34:35], v[30:31] neg_lo:[0,1] neg_hi:[0,1]
	v_mov_b32_e32 v42, v40
	v_pk_add_f32 v[32:33], v[42:43], v[30:31]
	v_cmp_lt_f32_e64 s[2:3], |v27|, s2
	v_mov_b32_e32 v34, v33
	v_pk_add_f32 v[34:35], v[32:33], v[34:35]
	s_or_b64 vcc, vcc, s[2:3]
	v_pk_add_f32 v[36:37], v[8:9], v[34:35]
	v_mov_b32_e32 v31, v34
	v_mov_b32_e32 v33, v36
	v_pk_add_f32 v[38:39], v[32:33], v[40:41] neg_lo:[0,1] neg_hi:[0,1]
	s_nop 0
	v_sub_f32_e32 v1, v32, v38
	v_pk_add_f32 v[30:31], v[30:31], v[38:39] neg_lo:[0,1] neg_hi:[0,1]
	v_sub_f32_e32 v1, v40, v1
	v_add_f32_e32 v1, v30, v1
	v_add_f32_e32 v1, v1, v31
	;; [unrolled: 1-line block ×3, first 2 shown]
	v_cndmask_b32_e32 v1, v1, v27, vcc
	v_add_f32_e32 v8, v0, v1
.LBB171_184:
	s_or_b64 exec, exec, s[0:1]
	v_max_f32_e32 v0, v8, v8
	v_min_f32_e32 v1, v0, v50
	v_cmp_u_f32_e32 vcc, v8, v8
	v_max_f32_e32 v0, v0, v50
	s_movk_i32 s0, 0x1f8
	v_cndmask_b32_e32 v1, v1, v8, vcc
	v_cndmask_b32_e32 v0, v0, v8, vcc
	v_cndmask_b32_e64 v1, v1, v9, s[94:95]
	v_cndmask_b32_e64 v0, v0, v9, s[94:95]
	v_cmp_neq_f32_e32 vcc, v1, v0
	v_cmp_class_f32_e64 s[0:1], v1, s0
	s_or_b64 s[2:3], vcc, s[0:1]
	v_mov_b32_e32 v9, v8
	s_and_saveexec_b64 s[0:1], s[2:3]
	s_cbranch_execz .LBB171_186
; %bb.185:
	v_sub_f32_e32 v1, v1, v0
	s_mov_b32 s2, 0x3fb8aa3b
	v_mul_f32_e32 v9, 0x3fb8aa3b, v1
	v_fma_f32 v27, v1, s2, -v9
	v_rndne_f32_e32 v29, v9
	v_fmamk_f32 v27, v1, 0x32a5705f, v27
	v_sub_f32_e32 v9, v9, v29
	v_add_f32_e32 v9, v9, v27
	v_exp_f32_e32 v9, v9
	v_cvt_i32_f32_e32 v27, v29
	s_mov_b32 s2, 0xc2ce8ed0
	v_cmp_ngt_f32_e32 vcc, s2, v1
	s_mov_b32 s2, 0x42b17218
	v_ldexp_f32 v9, v9, v27
	v_cndmask_b32_e32 v9, 0, v9, vcc
	v_mov_b32_e32 v27, 0x7f800000
	v_cmp_nlt_f32_e32 vcc, s2, v1
	s_mov_b32 s2, 0x3f2aaaab
	s_mov_b32 s3, 0x7f800000
	v_cndmask_b32_e32 v9, v27, v9, vcc
	v_add_f32_e32 v1, 1.0, v9
	v_add_f32_e32 v27, -1.0, v1
	v_sub_f32_e32 v29, v27, v1
	v_add_f32_e32 v29, 1.0, v29
	v_sub_f32_e32 v27, v9, v27
	v_add_f32_e32 v27, v27, v29
	v_frexp_mant_f32_e32 v29, v1
	v_cvt_f64_f32_e32 v[30:31], v1
	v_frexp_exp_i32_f64_e32 v30, v[30:31]
	v_cmp_gt_f32_e32 vcc, s2, v29
	s_mov_b32 s2, 0x3f317218
	s_nop 0
	v_subbrev_co_u32_e32 v29, vcc, 0, v30, vcc
	v_sub_u32_e32 v30, 0, v29
	v_ldexp_f32 v1, v1, v30
	v_ldexp_f32 v27, v27, v30
	v_add_f32_e32 v30, -1.0, v1
	v_add_f32_e32 v31, 1.0, v30
	v_sub_f32_e32 v31, v1, v31
	v_add_f32_e32 v32, v27, v31
	v_add_f32_e32 v31, 1.0, v1
	v_add_f32_e32 v33, -1.0, v31
	v_sub_f32_e32 v1, v1, v33
	v_add_f32_e32 v1, v27, v1
	v_add_f32_e32 v27, v31, v1
	v_rcp_f32_e32 v38, v27
	v_sub_f32_e32 v31, v31, v27
	v_add_f32_e32 v1, v1, v31
	v_add_f32_e32 v31, v30, v32
	v_sub_f32_e32 v30, v30, v31
	v_mul_f32_e32 v40, v31, v38
	v_add_f32_e32 v39, v32, v30
	v_mul_f32_e32 v32, v27, v40
	v_fma_f32 v34, v40, v27, -v32
	v_fmac_f32_e32 v34, v40, v1
	v_add_f32_e32 v30, v32, v34
	v_sub_f32_e32 v33, v31, v30
	v_pk_add_f32 v[36:37], v[30:31], v[32:33] neg_lo:[0,1] neg_hi:[0,1]
	v_mov_b32_e32 v35, v30
	v_pk_add_f32 v[30:31], v[36:37], v[34:35] neg_lo:[0,1] neg_hi:[0,1]
	v_cmp_eq_f32_e32 vcc, s3, v9
	v_add_f32_e32 v31, v39, v31
	v_add_f32_e32 v30, v30, v31
	;; [unrolled: 1-line block ×3, first 2 shown]
	v_mul_f32_e32 v39, v38, v31
	v_mul_f32_e32 v32, v27, v39
	v_fma_f32 v34, v39, v27, -v32
	v_fmac_f32_e32 v34, v39, v1
	v_sub_f32_e32 v1, v33, v31
	v_add_f32_e32 v1, v30, v1
	v_add_f32_e32 v30, v32, v34
	v_sub_f32_e32 v33, v31, v30
	v_pk_add_f32 v[36:37], v[30:31], v[32:33] neg_lo:[0,1] neg_hi:[0,1]
	v_mov_b32_e32 v35, v30
	v_pk_add_f32 v[30:31], v[36:37], v[34:35] neg_lo:[0,1] neg_hi:[0,1]
	v_add_f32_e32 v27, v40, v39
	v_add_f32_e32 v1, v1, v31
	;; [unrolled: 1-line block ×4, first 2 shown]
	v_sub_f32_e32 v30, v27, v40
	v_mul_f32_e32 v1, v38, v1
	v_sub_f32_e32 v30, v39, v30
	v_add_f32_e32 v1, v30, v1
	v_add_f32_e32 v30, v27, v1
	v_cvt_f32_i32_e32 v32, v29
	v_mul_f32_e32 v33, v30, v30
	v_mov_b32_e32 v31, 0x3ecc95a3
	v_fmac_f32_e32 v31, 0x3e9b6dac, v33
	v_fmaak_f32 v31, v33, v31, 0x3f2aaada
	v_sub_f32_e32 v27, v30, v27
	v_ldexp_f32 v35, v30, 1
	v_mul_f32_e32 v33, v30, v33
	v_mov_b32_e32 v30, 0x3f317218
	v_pk_mul_f32 v[30:31], v[32:33], v[30:31]
	v_sub_f32_e32 v1, v1, v27
	v_fma_f32 v27, v32, s2, -v30
	v_fmamk_f32 v34, v32, 0xb102e308, v27
	v_pk_add_f32 v[32:33], v[30:31], v[34:35]
	v_ldexp_f32 v1, v1, 1
	v_sub_f32_e32 v27, v33, v35
	v_sub_f32_e32 v27, v31, v27
	v_add_f32_e32 v37, v1, v27
	v_mov_b32_e32 v36, v30
	v_pk_add_f32 v[30:31], v[32:33], v[30:31] neg_lo:[0,1] neg_hi:[0,1]
	v_pk_add_f32 v[38:39], v[32:33], v[36:37]
	v_mov_b32_e32 v35, v32
	v_mov_b32_e32 v31, v39
	v_pk_add_f32 v[40:41], v[34:35], v[30:31] neg_lo:[0,1] neg_hi:[0,1]
	v_pk_add_f32 v[30:31], v[34:35], v[30:31]
	v_mov_b32_e32 v36, v37
	v_mov_b32_e32 v34, v31
	v_pk_add_f32 v[42:43], v[34:35], v[32:33] neg_lo:[0,1] neg_hi:[0,1]
	v_mov_b32_e32 v30, v39
	v_mov_b32_e32 v1, v42
	v_pk_add_f32 v[44:45], v[38:39], v[0:1] neg_lo:[0,1] neg_hi:[0,1]
	v_mov_b32_e32 v38, v33
	v_mov_b32_e32 v39, v42
	;; [unrolled: 1-line block ×3, first 2 shown]
	v_pk_add_f32 v[30:31], v[30:31], v[38:39] neg_lo:[0,1] neg_hi:[0,1]
	v_mov_b32_e32 v37, v32
	v_pk_add_f32 v[30:31], v[36:37], v[30:31] neg_lo:[0,1] neg_hi:[0,1]
	v_mov_b32_e32 v44, v40
	v_pk_add_f32 v[32:33], v[44:45], v[30:31]
	s_mov_b32 s2, 0x33800000
	v_mov_b32_e32 v36, v33
	v_pk_add_f32 v[36:37], v[32:33], v[36:37]
	v_cmp_lt_f32_e64 s[2:3], |v9|, s2
	v_pk_add_f32 v[34:35], v[34:35], v[36:37]
	v_mov_b32_e32 v31, v36
	v_mov_b32_e32 v33, v34
	v_pk_add_f32 v[38:39], v[32:33], v[40:41] neg_lo:[0,1] neg_hi:[0,1]
	s_or_b64 vcc, vcc, s[2:3]
	v_sub_f32_e32 v1, v32, v38
	v_pk_add_f32 v[30:31], v[30:31], v[38:39] neg_lo:[0,1] neg_hi:[0,1]
	v_sub_f32_e32 v1, v40, v1
	v_add_f32_e32 v1, v30, v1
	v_add_f32_e32 v1, v1, v31
	;; [unrolled: 1-line block ×3, first 2 shown]
	v_cndmask_b32_e32 v1, v1, v9, vcc
	v_add_f32_e32 v9, v0, v1
.LBB171_186:
	s_or_b64 exec, exec, s[0:1]
	v_add_u32_e32 v0, v26, v28
	s_waitcnt lgkmcnt(0)
	s_barrier
	ds_write_b128 v0, v[2:5]
	ds_write_b128 v0, v[22:25] offset:16
	ds_write_b128 v0, v[18:21] offset:32
	;; [unrolled: 1-line block ×5, first 2 shown]
	s_waitcnt lgkmcnt(0)
	s_barrier
	ds_read2st64_b32 v[22:23], v26 offset0:4 offset1:8
	ds_read2st64_b32 v[20:21], v26 offset0:12 offset1:16
	;; [unrolled: 1-line block ×11, first 2 shown]
	ds_read_b32 v24, v26 offset:23552
	v_mov_b32_e32 v27, 0
	v_lshl_add_u64 v[0:1], s[48:49], 0, v[26:27]
	s_mov_b64 s[0:1], exec
	v_readlane_b32 s2, v77, 0
	v_readlane_b32 s3, v77, 1
	s_and_b64 s[2:3], s[0:1], s[2:3]
	s_mov_b64 exec, s[2:3]
	s_cbranch_execz .LBB171_188
; %bb.187:
	ds_read_b32 v25, v26
	s_waitcnt lgkmcnt(0)
	global_store_dword v[0:1], v25, off
.LBB171_188:
	s_or_b64 exec, exec, s[0:1]
	s_mov_b64 s[0:1], exec
	v_readlane_b32 s2, v77, 2
	v_readlane_b32 s3, v77, 3
	s_and_b64 s[2:3], s[0:1], s[2:3]
	s_mov_b64 exec, s[2:3]
	s_cbranch_execz .LBB171_190
; %bb.189:
	s_waitcnt lgkmcnt(11)
	global_store_dword v[0:1], v22, off offset:1024
.LBB171_190:
	s_or_b64 exec, exec, s[0:1]
	s_mov_b64 s[0:1], exec
	v_readlane_b32 s2, v77, 4
	v_readlane_b32 s3, v77, 5
	s_and_b64 s[2:3], s[0:1], s[2:3]
	s_mov_b64 exec, s[2:3]
	s_cbranch_execz .LBB171_192
; %bb.191:
	s_waitcnt lgkmcnt(11)
	global_store_dword v[0:1], v23, off offset:2048
.LBB171_192:
	;; [unrolled: 11-line block ×3, first 2 shown]
	s_or_b64 exec, exec, s[0:1]
	s_mov_b64 s[0:1], exec
	v_readlane_b32 s2, v77, 8
	v_readlane_b32 s3, v77, 9
	s_and_b64 s[2:3], s[0:1], s[2:3]
	s_mov_b64 exec, s[2:3]
	s_cbranch_execnz .LBB171_215
; %bb.195:
	s_or_b64 exec, exec, s[0:1]
	s_and_saveexec_b64 s[0:1], s[8:9]
	s_cbranch_execnz .LBB171_216
.LBB171_196:
	s_or_b64 exec, exec, s[0:1]
	s_and_saveexec_b64 s[0:1], s[10:11]
	s_cbranch_execnz .LBB171_217
.LBB171_197:
	s_or_b64 exec, exec, s[0:1]
	s_and_saveexec_b64 s[0:1], s[12:13]
	s_cbranch_execnz .LBB171_218
.LBB171_198:
	s_or_b64 exec, exec, s[0:1]
	s_and_saveexec_b64 s[0:1], s[14:15]
	s_cbranch_execnz .LBB171_219
.LBB171_199:
	s_or_b64 exec, exec, s[0:1]
	s_and_saveexec_b64 s[0:1], s[16:17]
	s_cbranch_execnz .LBB171_220
.LBB171_200:
	s_or_b64 exec, exec, s[0:1]
	s_and_saveexec_b64 s[0:1], s[18:19]
	s_cbranch_execnz .LBB171_221
.LBB171_201:
	s_or_b64 exec, exec, s[0:1]
	s_and_saveexec_b64 s[0:1], s[20:21]
	s_cbranch_execnz .LBB171_222
.LBB171_202:
	s_or_b64 exec, exec, s[0:1]
	s_and_saveexec_b64 s[0:1], s[22:23]
	s_cbranch_execnz .LBB171_223
.LBB171_203:
	s_or_b64 exec, exec, s[0:1]
	s_and_saveexec_b64 s[0:1], s[24:25]
	s_cbranch_execnz .LBB171_224
.LBB171_204:
	s_or_b64 exec, exec, s[0:1]
	s_and_saveexec_b64 s[0:1], s[26:27]
	s_cbranch_execnz .LBB171_225
.LBB171_205:
	s_or_b64 exec, exec, s[0:1]
	s_and_saveexec_b64 s[0:1], s[28:29]
	s_cbranch_execnz .LBB171_226
.LBB171_206:
	s_or_b64 exec, exec, s[0:1]
	s_and_saveexec_b64 s[0:1], s[30:31]
	s_cbranch_execnz .LBB171_227
.LBB171_207:
	s_or_b64 exec, exec, s[0:1]
	s_and_saveexec_b64 s[0:1], s[34:35]
	s_cbranch_execnz .LBB171_228
.LBB171_208:
	s_or_b64 exec, exec, s[0:1]
	s_and_saveexec_b64 s[0:1], s[36:37]
	s_cbranch_execnz .LBB171_229
.LBB171_209:
	s_or_b64 exec, exec, s[0:1]
	s_and_saveexec_b64 s[0:1], s[38:39]
	s_cbranch_execnz .LBB171_230
.LBB171_210:
	s_or_b64 exec, exec, s[0:1]
	s_and_saveexec_b64 s[0:1], s[40:41]
	s_cbranch_execnz .LBB171_231
.LBB171_211:
	s_or_b64 exec, exec, s[0:1]
	s_and_saveexec_b64 s[0:1], s[42:43]
	s_cbranch_execnz .LBB171_232
.LBB171_212:
	s_or_b64 exec, exec, s[0:1]
	s_and_saveexec_b64 s[0:1], s[44:45]
	s_cbranch_execnz .LBB171_233
.LBB171_213:
	s_or_b64 exec, exec, s[0:1]
	s_and_saveexec_b64 s[0:1], s[46:47]
	s_cbranch_execnz .LBB171_234
.LBB171_214:
	s_endpgm
.LBB171_215:
	s_waitcnt lgkmcnt(11)
	v_add_co_u32_e32 v22, vcc, 0x1000, v0
	s_nop 1
	v_addc_co_u32_e32 v23, vcc, 0, v1, vcc
	s_waitcnt lgkmcnt(10)
	global_store_dword v[22:23], v21, off
	s_or_b64 exec, exec, s[0:1]
	s_and_saveexec_b64 s[0:1], s[8:9]
	s_cbranch_execz .LBB171_196
.LBB171_216:
	s_waitcnt lgkmcnt(10)
	v_add_co_u32_e32 v20, vcc, 0x1000, v0
	s_nop 1
	v_addc_co_u32_e32 v21, vcc, 0, v1, vcc
	s_waitcnt lgkmcnt(9)
	global_store_dword v[20:21], v18, off offset:1024
	s_or_b64 exec, exec, s[0:1]
	s_and_saveexec_b64 s[0:1], s[10:11]
	s_cbranch_execz .LBB171_197
.LBB171_217:
	s_waitcnt lgkmcnt(10)
	v_add_co_u32_e32 v20, vcc, 0x1000, v0
	s_nop 1
	v_addc_co_u32_e32 v21, vcc, 0, v1, vcc
	s_waitcnt lgkmcnt(9)
	global_store_dword v[20:21], v19, off offset:2048
	s_or_b64 exec, exec, s[0:1]
	s_and_saveexec_b64 s[0:1], s[12:13]
	s_cbranch_execz .LBB171_198
.LBB171_218:
	s_waitcnt lgkmcnt(9)
	v_add_co_u32_e32 v18, vcc, 0x1000, v0
	s_nop 1
	v_addc_co_u32_e32 v19, vcc, 0, v1, vcc
	s_waitcnt lgkmcnt(8)
	global_store_dword v[18:19], v16, off offset:3072
	s_or_b64 exec, exec, s[0:1]
	s_and_saveexec_b64 s[0:1], s[14:15]
	s_cbranch_execz .LBB171_199
.LBB171_219:
	s_waitcnt lgkmcnt(9)
	v_add_co_u32_e32 v18, vcc, 0x2000, v0
	s_nop 1
	v_addc_co_u32_e32 v19, vcc, 0, v1, vcc
	s_waitcnt lgkmcnt(8)
	global_store_dword v[18:19], v17, off
	s_or_b64 exec, exec, s[0:1]
	s_and_saveexec_b64 s[0:1], s[16:17]
	s_cbranch_execz .LBB171_200
.LBB171_220:
	s_waitcnt lgkmcnt(8)
	v_add_co_u32_e32 v16, vcc, 0x2000, v0
	s_nop 1
	v_addc_co_u32_e32 v17, vcc, 0, v1, vcc
	s_waitcnt lgkmcnt(7)
	global_store_dword v[16:17], v14, off offset:1024
	s_or_b64 exec, exec, s[0:1]
	s_and_saveexec_b64 s[0:1], s[18:19]
	s_cbranch_execz .LBB171_201
.LBB171_221:
	s_waitcnt lgkmcnt(8)
	v_add_co_u32_e32 v16, vcc, 0x2000, v0
	s_nop 1
	v_addc_co_u32_e32 v17, vcc, 0, v1, vcc
	s_waitcnt lgkmcnt(7)
	global_store_dword v[16:17], v15, off offset:2048
	s_or_b64 exec, exec, s[0:1]
	s_and_saveexec_b64 s[0:1], s[20:21]
	s_cbranch_execz .LBB171_202
.LBB171_222:
	s_waitcnt lgkmcnt(7)
	v_add_co_u32_e32 v14, vcc, 0x2000, v0
	s_nop 1
	v_addc_co_u32_e32 v15, vcc, 0, v1, vcc
	s_waitcnt lgkmcnt(6)
	global_store_dword v[14:15], v12, off offset:3072
	s_or_b64 exec, exec, s[0:1]
	s_and_saveexec_b64 s[0:1], s[22:23]
	s_cbranch_execz .LBB171_203
.LBB171_223:
	s_waitcnt lgkmcnt(7)
	v_add_co_u32_e32 v14, vcc, 0x3000, v0
	s_nop 1
	v_addc_co_u32_e32 v15, vcc, 0, v1, vcc
	s_waitcnt lgkmcnt(6)
	global_store_dword v[14:15], v13, off
	s_or_b64 exec, exec, s[0:1]
	s_and_saveexec_b64 s[0:1], s[24:25]
	s_cbranch_execz .LBB171_204
.LBB171_224:
	s_waitcnt lgkmcnt(6)
	v_add_co_u32_e32 v12, vcc, 0x3000, v0
	s_nop 1
	v_addc_co_u32_e32 v13, vcc, 0, v1, vcc
	s_waitcnt lgkmcnt(5)
	global_store_dword v[12:13], v10, off offset:1024
	s_or_b64 exec, exec, s[0:1]
	s_and_saveexec_b64 s[0:1], s[26:27]
	s_cbranch_execz .LBB171_205
.LBB171_225:
	s_waitcnt lgkmcnt(6)
	v_add_co_u32_e32 v12, vcc, 0x3000, v0
	s_nop 1
	v_addc_co_u32_e32 v13, vcc, 0, v1, vcc
	s_waitcnt lgkmcnt(5)
	global_store_dword v[12:13], v11, off offset:2048
	s_or_b64 exec, exec, s[0:1]
	s_and_saveexec_b64 s[0:1], s[28:29]
	s_cbranch_execz .LBB171_206
.LBB171_226:
	s_waitcnt lgkmcnt(5)
	v_add_co_u32_e32 v10, vcc, 0x3000, v0
	s_nop 1
	v_addc_co_u32_e32 v11, vcc, 0, v1, vcc
	s_waitcnt lgkmcnt(4)
	global_store_dword v[10:11], v8, off offset:3072
	s_or_b64 exec, exec, s[0:1]
	s_and_saveexec_b64 s[0:1], s[30:31]
	s_cbranch_execz .LBB171_207
.LBB171_227:
	s_waitcnt lgkmcnt(5)
	v_add_co_u32_e32 v10, vcc, 0x4000, v0
	s_nop 1
	v_addc_co_u32_e32 v11, vcc, 0, v1, vcc
	s_waitcnt lgkmcnt(4)
	global_store_dword v[10:11], v9, off
	s_or_b64 exec, exec, s[0:1]
	s_and_saveexec_b64 s[0:1], s[34:35]
	s_cbranch_execz .LBB171_208
.LBB171_228:
	s_waitcnt lgkmcnt(4)
	v_add_co_u32_e32 v8, vcc, 0x4000, v0
	s_nop 1
	v_addc_co_u32_e32 v9, vcc, 0, v1, vcc
	s_waitcnt lgkmcnt(3)
	global_store_dword v[8:9], v6, off offset:1024
	s_or_b64 exec, exec, s[0:1]
	s_and_saveexec_b64 s[0:1], s[36:37]
	s_cbranch_execz .LBB171_209
.LBB171_229:
	s_waitcnt lgkmcnt(4)
	v_add_co_u32_e32 v8, vcc, 0x4000, v0
	s_nop 1
	v_addc_co_u32_e32 v9, vcc, 0, v1, vcc
	s_waitcnt lgkmcnt(3)
	global_store_dword v[8:9], v7, off offset:2048
	s_or_b64 exec, exec, s[0:1]
	s_and_saveexec_b64 s[0:1], s[38:39]
	s_cbranch_execz .LBB171_210
.LBB171_230:
	s_waitcnt lgkmcnt(3)
	v_add_co_u32_e32 v6, vcc, 0x4000, v0
	s_nop 1
	v_addc_co_u32_e32 v7, vcc, 0, v1, vcc
	s_waitcnt lgkmcnt(2)
	global_store_dword v[6:7], v4, off offset:3072
	s_or_b64 exec, exec, s[0:1]
	s_and_saveexec_b64 s[0:1], s[40:41]
	s_cbranch_execz .LBB171_211
.LBB171_231:
	s_waitcnt lgkmcnt(3)
	v_add_co_u32_e32 v6, vcc, 0x5000, v0
	s_nop 1
	v_addc_co_u32_e32 v7, vcc, 0, v1, vcc
	s_waitcnt lgkmcnt(2)
	global_store_dword v[6:7], v5, off
	s_or_b64 exec, exec, s[0:1]
	s_and_saveexec_b64 s[0:1], s[42:43]
	s_cbranch_execz .LBB171_212
.LBB171_232:
	s_waitcnt lgkmcnt(2)
	v_add_co_u32_e32 v4, vcc, 0x5000, v0
	s_nop 1
	v_addc_co_u32_e32 v5, vcc, 0, v1, vcc
	s_waitcnt lgkmcnt(1)
	global_store_dword v[4:5], v2, off offset:1024
	s_or_b64 exec, exec, s[0:1]
	s_and_saveexec_b64 s[0:1], s[44:45]
	s_cbranch_execz .LBB171_213
.LBB171_233:
	s_waitcnt lgkmcnt(2)
	v_add_co_u32_e32 v4, vcc, 0x5000, v0
	s_nop 1
	v_addc_co_u32_e32 v5, vcc, 0, v1, vcc
	s_waitcnt lgkmcnt(1)
	global_store_dword v[4:5], v3, off offset:2048
	s_or_b64 exec, exec, s[0:1]
	s_and_saveexec_b64 s[0:1], s[46:47]
	s_cbranch_execz .LBB171_214
.LBB171_234:
	v_add_co_u32_e32 v0, vcc, 0x5000, v0
	s_nop 1
	v_addc_co_u32_e32 v1, vcc, 0, v1, vcc
	s_waitcnt lgkmcnt(0)
	global_store_dword v[0:1], v24, off offset:3072
	s_endpgm
	.section	.rodata,"a",@progbits
	.p2align	6, 0x0
	.amdhsa_kernel _ZN7rocprim17ROCPRIM_400000_NS6detail17trampoline_kernelINS0_14default_configENS1_20scan_config_selectorIfEEZZNS1_9scan_implILNS1_25lookback_scan_determinismE0ELb0ELb0ES3_PKfPffZZZN2at6native31launch_logcumsumexp_cuda_kernelERKNSB_10TensorBaseESF_lENKUlvE_clEvENKUlvE0_clEvEUlffE_fEEDaPvRmT3_T4_T5_mT6_P12ihipStream_tbENKUlT_T0_E_clISt17integral_constantIbLb0EESV_IbLb1EEEEDaSR_SS_EUlSR_E0_NS1_11comp_targetILNS1_3genE5ELNS1_11target_archE942ELNS1_3gpuE9ELNS1_3repE0EEENS1_30default_config_static_selectorELNS0_4arch9wavefront6targetE1EEEvT1_
		.amdhsa_group_segment_fixed_size 24576
		.amdhsa_private_segment_fixed_size 0
		.amdhsa_kernarg_size 32
		.amdhsa_user_sgpr_count 2
		.amdhsa_user_sgpr_dispatch_ptr 0
		.amdhsa_user_sgpr_queue_ptr 0
		.amdhsa_user_sgpr_kernarg_segment_ptr 1
		.amdhsa_user_sgpr_dispatch_id 0
		.amdhsa_user_sgpr_kernarg_preload_length 0
		.amdhsa_user_sgpr_kernarg_preload_offset 0
		.amdhsa_user_sgpr_private_segment_size 0
		.amdhsa_uses_dynamic_stack 0
		.amdhsa_enable_private_segment 0
		.amdhsa_system_sgpr_workgroup_id_x 1
		.amdhsa_system_sgpr_workgroup_id_y 0
		.amdhsa_system_sgpr_workgroup_id_z 0
		.amdhsa_system_sgpr_workgroup_info 0
		.amdhsa_system_vgpr_workitem_id 0
		.amdhsa_next_free_vgpr 78
		.amdhsa_next_free_sgpr 100
		.amdhsa_accum_offset 80
		.amdhsa_reserve_vcc 1
		.amdhsa_float_round_mode_32 0
		.amdhsa_float_round_mode_16_64 0
		.amdhsa_float_denorm_mode_32 3
		.amdhsa_float_denorm_mode_16_64 3
		.amdhsa_dx10_clamp 1
		.amdhsa_ieee_mode 1
		.amdhsa_fp16_overflow 0
		.amdhsa_tg_split 0
		.amdhsa_exception_fp_ieee_invalid_op 0
		.amdhsa_exception_fp_denorm_src 0
		.amdhsa_exception_fp_ieee_div_zero 0
		.amdhsa_exception_fp_ieee_overflow 0
		.amdhsa_exception_fp_ieee_underflow 0
		.amdhsa_exception_fp_ieee_inexact 0
		.amdhsa_exception_int_div_zero 0
	.end_amdhsa_kernel
	.section	.text._ZN7rocprim17ROCPRIM_400000_NS6detail17trampoline_kernelINS0_14default_configENS1_20scan_config_selectorIfEEZZNS1_9scan_implILNS1_25lookback_scan_determinismE0ELb0ELb0ES3_PKfPffZZZN2at6native31launch_logcumsumexp_cuda_kernelERKNSB_10TensorBaseESF_lENKUlvE_clEvENKUlvE0_clEvEUlffE_fEEDaPvRmT3_T4_T5_mT6_P12ihipStream_tbENKUlT_T0_E_clISt17integral_constantIbLb0EESV_IbLb1EEEEDaSR_SS_EUlSR_E0_NS1_11comp_targetILNS1_3genE5ELNS1_11target_archE942ELNS1_3gpuE9ELNS1_3repE0EEENS1_30default_config_static_selectorELNS0_4arch9wavefront6targetE1EEEvT1_,"axG",@progbits,_ZN7rocprim17ROCPRIM_400000_NS6detail17trampoline_kernelINS0_14default_configENS1_20scan_config_selectorIfEEZZNS1_9scan_implILNS1_25lookback_scan_determinismE0ELb0ELb0ES3_PKfPffZZZN2at6native31launch_logcumsumexp_cuda_kernelERKNSB_10TensorBaseESF_lENKUlvE_clEvENKUlvE0_clEvEUlffE_fEEDaPvRmT3_T4_T5_mT6_P12ihipStream_tbENKUlT_T0_E_clISt17integral_constantIbLb0EESV_IbLb1EEEEDaSR_SS_EUlSR_E0_NS1_11comp_targetILNS1_3genE5ELNS1_11target_archE942ELNS1_3gpuE9ELNS1_3repE0EEENS1_30default_config_static_selectorELNS0_4arch9wavefront6targetE1EEEvT1_,comdat
.Lfunc_end171:
	.size	_ZN7rocprim17ROCPRIM_400000_NS6detail17trampoline_kernelINS0_14default_configENS1_20scan_config_selectorIfEEZZNS1_9scan_implILNS1_25lookback_scan_determinismE0ELb0ELb0ES3_PKfPffZZZN2at6native31launch_logcumsumexp_cuda_kernelERKNSB_10TensorBaseESF_lENKUlvE_clEvENKUlvE0_clEvEUlffE_fEEDaPvRmT3_T4_T5_mT6_P12ihipStream_tbENKUlT_T0_E_clISt17integral_constantIbLb0EESV_IbLb1EEEEDaSR_SS_EUlSR_E0_NS1_11comp_targetILNS1_3genE5ELNS1_11target_archE942ELNS1_3gpuE9ELNS1_3repE0EEENS1_30default_config_static_selectorELNS0_4arch9wavefront6targetE1EEEvT1_, .Lfunc_end171-_ZN7rocprim17ROCPRIM_400000_NS6detail17trampoline_kernelINS0_14default_configENS1_20scan_config_selectorIfEEZZNS1_9scan_implILNS1_25lookback_scan_determinismE0ELb0ELb0ES3_PKfPffZZZN2at6native31launch_logcumsumexp_cuda_kernelERKNSB_10TensorBaseESF_lENKUlvE_clEvENKUlvE0_clEvEUlffE_fEEDaPvRmT3_T4_T5_mT6_P12ihipStream_tbENKUlT_T0_E_clISt17integral_constantIbLb0EESV_IbLb1EEEEDaSR_SS_EUlSR_E0_NS1_11comp_targetILNS1_3genE5ELNS1_11target_archE942ELNS1_3gpuE9ELNS1_3repE0EEENS1_30default_config_static_selectorELNS0_4arch9wavefront6targetE1EEEvT1_
                                        ; -- End function
	.section	.AMDGPU.csdata,"",@progbits
; Kernel info:
; codeLenInByte = 53584
; NumSgprs: 106
; NumVgprs: 78
; NumAgprs: 0
; TotalNumVgprs: 78
; ScratchSize: 0
; MemoryBound: 0
; FloatMode: 240
; IeeeMode: 1
; LDSByteSize: 24576 bytes/workgroup (compile time only)
; SGPRBlocks: 13
; VGPRBlocks: 9
; NumSGPRsForWavesPerEU: 106
; NumVGPRsForWavesPerEU: 78
; AccumOffset: 80
; Occupancy: 2
; WaveLimiterHint : 0
; COMPUTE_PGM_RSRC2:SCRATCH_EN: 0
; COMPUTE_PGM_RSRC2:USER_SGPR: 2
; COMPUTE_PGM_RSRC2:TRAP_HANDLER: 0
; COMPUTE_PGM_RSRC2:TGID_X_EN: 1
; COMPUTE_PGM_RSRC2:TGID_Y_EN: 0
; COMPUTE_PGM_RSRC2:TGID_Z_EN: 0
; COMPUTE_PGM_RSRC2:TIDIG_COMP_CNT: 0
; COMPUTE_PGM_RSRC3_GFX90A:ACCUM_OFFSET: 19
; COMPUTE_PGM_RSRC3_GFX90A:TG_SPLIT: 0
	.section	.text._ZN7rocprim17ROCPRIM_400000_NS6detail17trampoline_kernelINS0_14default_configENS1_20scan_config_selectorIfEEZZNS1_9scan_implILNS1_25lookback_scan_determinismE0ELb0ELb0ES3_PKfPffZZZN2at6native31launch_logcumsumexp_cuda_kernelERKNSB_10TensorBaseESF_lENKUlvE_clEvENKUlvE0_clEvEUlffE_fEEDaPvRmT3_T4_T5_mT6_P12ihipStream_tbENKUlT_T0_E_clISt17integral_constantIbLb0EESV_IbLb1EEEEDaSR_SS_EUlSR_E0_NS1_11comp_targetILNS1_3genE4ELNS1_11target_archE910ELNS1_3gpuE8ELNS1_3repE0EEENS1_30default_config_static_selectorELNS0_4arch9wavefront6targetE1EEEvT1_,"axG",@progbits,_ZN7rocprim17ROCPRIM_400000_NS6detail17trampoline_kernelINS0_14default_configENS1_20scan_config_selectorIfEEZZNS1_9scan_implILNS1_25lookback_scan_determinismE0ELb0ELb0ES3_PKfPffZZZN2at6native31launch_logcumsumexp_cuda_kernelERKNSB_10TensorBaseESF_lENKUlvE_clEvENKUlvE0_clEvEUlffE_fEEDaPvRmT3_T4_T5_mT6_P12ihipStream_tbENKUlT_T0_E_clISt17integral_constantIbLb0EESV_IbLb1EEEEDaSR_SS_EUlSR_E0_NS1_11comp_targetILNS1_3genE4ELNS1_11target_archE910ELNS1_3gpuE8ELNS1_3repE0EEENS1_30default_config_static_selectorELNS0_4arch9wavefront6targetE1EEEvT1_,comdat
	.globl	_ZN7rocprim17ROCPRIM_400000_NS6detail17trampoline_kernelINS0_14default_configENS1_20scan_config_selectorIfEEZZNS1_9scan_implILNS1_25lookback_scan_determinismE0ELb0ELb0ES3_PKfPffZZZN2at6native31launch_logcumsumexp_cuda_kernelERKNSB_10TensorBaseESF_lENKUlvE_clEvENKUlvE0_clEvEUlffE_fEEDaPvRmT3_T4_T5_mT6_P12ihipStream_tbENKUlT_T0_E_clISt17integral_constantIbLb0EESV_IbLb1EEEEDaSR_SS_EUlSR_E0_NS1_11comp_targetILNS1_3genE4ELNS1_11target_archE910ELNS1_3gpuE8ELNS1_3repE0EEENS1_30default_config_static_selectorELNS0_4arch9wavefront6targetE1EEEvT1_ ; -- Begin function _ZN7rocprim17ROCPRIM_400000_NS6detail17trampoline_kernelINS0_14default_configENS1_20scan_config_selectorIfEEZZNS1_9scan_implILNS1_25lookback_scan_determinismE0ELb0ELb0ES3_PKfPffZZZN2at6native31launch_logcumsumexp_cuda_kernelERKNSB_10TensorBaseESF_lENKUlvE_clEvENKUlvE0_clEvEUlffE_fEEDaPvRmT3_T4_T5_mT6_P12ihipStream_tbENKUlT_T0_E_clISt17integral_constantIbLb0EESV_IbLb1EEEEDaSR_SS_EUlSR_E0_NS1_11comp_targetILNS1_3genE4ELNS1_11target_archE910ELNS1_3gpuE8ELNS1_3repE0EEENS1_30default_config_static_selectorELNS0_4arch9wavefront6targetE1EEEvT1_
	.p2align	8
	.type	_ZN7rocprim17ROCPRIM_400000_NS6detail17trampoline_kernelINS0_14default_configENS1_20scan_config_selectorIfEEZZNS1_9scan_implILNS1_25lookback_scan_determinismE0ELb0ELb0ES3_PKfPffZZZN2at6native31launch_logcumsumexp_cuda_kernelERKNSB_10TensorBaseESF_lENKUlvE_clEvENKUlvE0_clEvEUlffE_fEEDaPvRmT3_T4_T5_mT6_P12ihipStream_tbENKUlT_T0_E_clISt17integral_constantIbLb0EESV_IbLb1EEEEDaSR_SS_EUlSR_E0_NS1_11comp_targetILNS1_3genE4ELNS1_11target_archE910ELNS1_3gpuE8ELNS1_3repE0EEENS1_30default_config_static_selectorELNS0_4arch9wavefront6targetE1EEEvT1_,@function
_ZN7rocprim17ROCPRIM_400000_NS6detail17trampoline_kernelINS0_14default_configENS1_20scan_config_selectorIfEEZZNS1_9scan_implILNS1_25lookback_scan_determinismE0ELb0ELb0ES3_PKfPffZZZN2at6native31launch_logcumsumexp_cuda_kernelERKNSB_10TensorBaseESF_lENKUlvE_clEvENKUlvE0_clEvEUlffE_fEEDaPvRmT3_T4_T5_mT6_P12ihipStream_tbENKUlT_T0_E_clISt17integral_constantIbLb0EESV_IbLb1EEEEDaSR_SS_EUlSR_E0_NS1_11comp_targetILNS1_3genE4ELNS1_11target_archE910ELNS1_3gpuE8ELNS1_3repE0EEENS1_30default_config_static_selectorELNS0_4arch9wavefront6targetE1EEEvT1_: ; @_ZN7rocprim17ROCPRIM_400000_NS6detail17trampoline_kernelINS0_14default_configENS1_20scan_config_selectorIfEEZZNS1_9scan_implILNS1_25lookback_scan_determinismE0ELb0ELb0ES3_PKfPffZZZN2at6native31launch_logcumsumexp_cuda_kernelERKNSB_10TensorBaseESF_lENKUlvE_clEvENKUlvE0_clEvEUlffE_fEEDaPvRmT3_T4_T5_mT6_P12ihipStream_tbENKUlT_T0_E_clISt17integral_constantIbLb0EESV_IbLb1EEEEDaSR_SS_EUlSR_E0_NS1_11comp_targetILNS1_3genE4ELNS1_11target_archE910ELNS1_3gpuE8ELNS1_3repE0EEENS1_30default_config_static_selectorELNS0_4arch9wavefront6targetE1EEEvT1_
; %bb.0:
	.section	.rodata,"a",@progbits
	.p2align	6, 0x0
	.amdhsa_kernel _ZN7rocprim17ROCPRIM_400000_NS6detail17trampoline_kernelINS0_14default_configENS1_20scan_config_selectorIfEEZZNS1_9scan_implILNS1_25lookback_scan_determinismE0ELb0ELb0ES3_PKfPffZZZN2at6native31launch_logcumsumexp_cuda_kernelERKNSB_10TensorBaseESF_lENKUlvE_clEvENKUlvE0_clEvEUlffE_fEEDaPvRmT3_T4_T5_mT6_P12ihipStream_tbENKUlT_T0_E_clISt17integral_constantIbLb0EESV_IbLb1EEEEDaSR_SS_EUlSR_E0_NS1_11comp_targetILNS1_3genE4ELNS1_11target_archE910ELNS1_3gpuE8ELNS1_3repE0EEENS1_30default_config_static_selectorELNS0_4arch9wavefront6targetE1EEEvT1_
		.amdhsa_group_segment_fixed_size 0
		.amdhsa_private_segment_fixed_size 0
		.amdhsa_kernarg_size 32
		.amdhsa_user_sgpr_count 2
		.amdhsa_user_sgpr_dispatch_ptr 0
		.amdhsa_user_sgpr_queue_ptr 0
		.amdhsa_user_sgpr_kernarg_segment_ptr 1
		.amdhsa_user_sgpr_dispatch_id 0
		.amdhsa_user_sgpr_kernarg_preload_length 0
		.amdhsa_user_sgpr_kernarg_preload_offset 0
		.amdhsa_user_sgpr_private_segment_size 0
		.amdhsa_uses_dynamic_stack 0
		.amdhsa_enable_private_segment 0
		.amdhsa_system_sgpr_workgroup_id_x 1
		.amdhsa_system_sgpr_workgroup_id_y 0
		.amdhsa_system_sgpr_workgroup_id_z 0
		.amdhsa_system_sgpr_workgroup_info 0
		.amdhsa_system_vgpr_workitem_id 0
		.amdhsa_next_free_vgpr 1
		.amdhsa_next_free_sgpr 0
		.amdhsa_accum_offset 4
		.amdhsa_reserve_vcc 0
		.amdhsa_float_round_mode_32 0
		.amdhsa_float_round_mode_16_64 0
		.amdhsa_float_denorm_mode_32 3
		.amdhsa_float_denorm_mode_16_64 3
		.amdhsa_dx10_clamp 1
		.amdhsa_ieee_mode 1
		.amdhsa_fp16_overflow 0
		.amdhsa_tg_split 0
		.amdhsa_exception_fp_ieee_invalid_op 0
		.amdhsa_exception_fp_denorm_src 0
		.amdhsa_exception_fp_ieee_div_zero 0
		.amdhsa_exception_fp_ieee_overflow 0
		.amdhsa_exception_fp_ieee_underflow 0
		.amdhsa_exception_fp_ieee_inexact 0
		.amdhsa_exception_int_div_zero 0
	.end_amdhsa_kernel
	.section	.text._ZN7rocprim17ROCPRIM_400000_NS6detail17trampoline_kernelINS0_14default_configENS1_20scan_config_selectorIfEEZZNS1_9scan_implILNS1_25lookback_scan_determinismE0ELb0ELb0ES3_PKfPffZZZN2at6native31launch_logcumsumexp_cuda_kernelERKNSB_10TensorBaseESF_lENKUlvE_clEvENKUlvE0_clEvEUlffE_fEEDaPvRmT3_T4_T5_mT6_P12ihipStream_tbENKUlT_T0_E_clISt17integral_constantIbLb0EESV_IbLb1EEEEDaSR_SS_EUlSR_E0_NS1_11comp_targetILNS1_3genE4ELNS1_11target_archE910ELNS1_3gpuE8ELNS1_3repE0EEENS1_30default_config_static_selectorELNS0_4arch9wavefront6targetE1EEEvT1_,"axG",@progbits,_ZN7rocprim17ROCPRIM_400000_NS6detail17trampoline_kernelINS0_14default_configENS1_20scan_config_selectorIfEEZZNS1_9scan_implILNS1_25lookback_scan_determinismE0ELb0ELb0ES3_PKfPffZZZN2at6native31launch_logcumsumexp_cuda_kernelERKNSB_10TensorBaseESF_lENKUlvE_clEvENKUlvE0_clEvEUlffE_fEEDaPvRmT3_T4_T5_mT6_P12ihipStream_tbENKUlT_T0_E_clISt17integral_constantIbLb0EESV_IbLb1EEEEDaSR_SS_EUlSR_E0_NS1_11comp_targetILNS1_3genE4ELNS1_11target_archE910ELNS1_3gpuE8ELNS1_3repE0EEENS1_30default_config_static_selectorELNS0_4arch9wavefront6targetE1EEEvT1_,comdat
.Lfunc_end172:
	.size	_ZN7rocprim17ROCPRIM_400000_NS6detail17trampoline_kernelINS0_14default_configENS1_20scan_config_selectorIfEEZZNS1_9scan_implILNS1_25lookback_scan_determinismE0ELb0ELb0ES3_PKfPffZZZN2at6native31launch_logcumsumexp_cuda_kernelERKNSB_10TensorBaseESF_lENKUlvE_clEvENKUlvE0_clEvEUlffE_fEEDaPvRmT3_T4_T5_mT6_P12ihipStream_tbENKUlT_T0_E_clISt17integral_constantIbLb0EESV_IbLb1EEEEDaSR_SS_EUlSR_E0_NS1_11comp_targetILNS1_3genE4ELNS1_11target_archE910ELNS1_3gpuE8ELNS1_3repE0EEENS1_30default_config_static_selectorELNS0_4arch9wavefront6targetE1EEEvT1_, .Lfunc_end172-_ZN7rocprim17ROCPRIM_400000_NS6detail17trampoline_kernelINS0_14default_configENS1_20scan_config_selectorIfEEZZNS1_9scan_implILNS1_25lookback_scan_determinismE0ELb0ELb0ES3_PKfPffZZZN2at6native31launch_logcumsumexp_cuda_kernelERKNSB_10TensorBaseESF_lENKUlvE_clEvENKUlvE0_clEvEUlffE_fEEDaPvRmT3_T4_T5_mT6_P12ihipStream_tbENKUlT_T0_E_clISt17integral_constantIbLb0EESV_IbLb1EEEEDaSR_SS_EUlSR_E0_NS1_11comp_targetILNS1_3genE4ELNS1_11target_archE910ELNS1_3gpuE8ELNS1_3repE0EEENS1_30default_config_static_selectorELNS0_4arch9wavefront6targetE1EEEvT1_
                                        ; -- End function
	.section	.AMDGPU.csdata,"",@progbits
; Kernel info:
; codeLenInByte = 0
; NumSgprs: 6
; NumVgprs: 0
; NumAgprs: 0
; TotalNumVgprs: 0
; ScratchSize: 0
; MemoryBound: 0
; FloatMode: 240
; IeeeMode: 1
; LDSByteSize: 0 bytes/workgroup (compile time only)
; SGPRBlocks: 0
; VGPRBlocks: 0
; NumSGPRsForWavesPerEU: 6
; NumVGPRsForWavesPerEU: 1
; AccumOffset: 4
; Occupancy: 8
; WaveLimiterHint : 0
; COMPUTE_PGM_RSRC2:SCRATCH_EN: 0
; COMPUTE_PGM_RSRC2:USER_SGPR: 2
; COMPUTE_PGM_RSRC2:TRAP_HANDLER: 0
; COMPUTE_PGM_RSRC2:TGID_X_EN: 1
; COMPUTE_PGM_RSRC2:TGID_Y_EN: 0
; COMPUTE_PGM_RSRC2:TGID_Z_EN: 0
; COMPUTE_PGM_RSRC2:TIDIG_COMP_CNT: 0
; COMPUTE_PGM_RSRC3_GFX90A:ACCUM_OFFSET: 0
; COMPUTE_PGM_RSRC3_GFX90A:TG_SPLIT: 0
	.section	.text._ZN7rocprim17ROCPRIM_400000_NS6detail17trampoline_kernelINS0_14default_configENS1_20scan_config_selectorIfEEZZNS1_9scan_implILNS1_25lookback_scan_determinismE0ELb0ELb0ES3_PKfPffZZZN2at6native31launch_logcumsumexp_cuda_kernelERKNSB_10TensorBaseESF_lENKUlvE_clEvENKUlvE0_clEvEUlffE_fEEDaPvRmT3_T4_T5_mT6_P12ihipStream_tbENKUlT_T0_E_clISt17integral_constantIbLb0EESV_IbLb1EEEEDaSR_SS_EUlSR_E0_NS1_11comp_targetILNS1_3genE3ELNS1_11target_archE908ELNS1_3gpuE7ELNS1_3repE0EEENS1_30default_config_static_selectorELNS0_4arch9wavefront6targetE1EEEvT1_,"axG",@progbits,_ZN7rocprim17ROCPRIM_400000_NS6detail17trampoline_kernelINS0_14default_configENS1_20scan_config_selectorIfEEZZNS1_9scan_implILNS1_25lookback_scan_determinismE0ELb0ELb0ES3_PKfPffZZZN2at6native31launch_logcumsumexp_cuda_kernelERKNSB_10TensorBaseESF_lENKUlvE_clEvENKUlvE0_clEvEUlffE_fEEDaPvRmT3_T4_T5_mT6_P12ihipStream_tbENKUlT_T0_E_clISt17integral_constantIbLb0EESV_IbLb1EEEEDaSR_SS_EUlSR_E0_NS1_11comp_targetILNS1_3genE3ELNS1_11target_archE908ELNS1_3gpuE7ELNS1_3repE0EEENS1_30default_config_static_selectorELNS0_4arch9wavefront6targetE1EEEvT1_,comdat
	.globl	_ZN7rocprim17ROCPRIM_400000_NS6detail17trampoline_kernelINS0_14default_configENS1_20scan_config_selectorIfEEZZNS1_9scan_implILNS1_25lookback_scan_determinismE0ELb0ELb0ES3_PKfPffZZZN2at6native31launch_logcumsumexp_cuda_kernelERKNSB_10TensorBaseESF_lENKUlvE_clEvENKUlvE0_clEvEUlffE_fEEDaPvRmT3_T4_T5_mT6_P12ihipStream_tbENKUlT_T0_E_clISt17integral_constantIbLb0EESV_IbLb1EEEEDaSR_SS_EUlSR_E0_NS1_11comp_targetILNS1_3genE3ELNS1_11target_archE908ELNS1_3gpuE7ELNS1_3repE0EEENS1_30default_config_static_selectorELNS0_4arch9wavefront6targetE1EEEvT1_ ; -- Begin function _ZN7rocprim17ROCPRIM_400000_NS6detail17trampoline_kernelINS0_14default_configENS1_20scan_config_selectorIfEEZZNS1_9scan_implILNS1_25lookback_scan_determinismE0ELb0ELb0ES3_PKfPffZZZN2at6native31launch_logcumsumexp_cuda_kernelERKNSB_10TensorBaseESF_lENKUlvE_clEvENKUlvE0_clEvEUlffE_fEEDaPvRmT3_T4_T5_mT6_P12ihipStream_tbENKUlT_T0_E_clISt17integral_constantIbLb0EESV_IbLb1EEEEDaSR_SS_EUlSR_E0_NS1_11comp_targetILNS1_3genE3ELNS1_11target_archE908ELNS1_3gpuE7ELNS1_3repE0EEENS1_30default_config_static_selectorELNS0_4arch9wavefront6targetE1EEEvT1_
	.p2align	8
	.type	_ZN7rocprim17ROCPRIM_400000_NS6detail17trampoline_kernelINS0_14default_configENS1_20scan_config_selectorIfEEZZNS1_9scan_implILNS1_25lookback_scan_determinismE0ELb0ELb0ES3_PKfPffZZZN2at6native31launch_logcumsumexp_cuda_kernelERKNSB_10TensorBaseESF_lENKUlvE_clEvENKUlvE0_clEvEUlffE_fEEDaPvRmT3_T4_T5_mT6_P12ihipStream_tbENKUlT_T0_E_clISt17integral_constantIbLb0EESV_IbLb1EEEEDaSR_SS_EUlSR_E0_NS1_11comp_targetILNS1_3genE3ELNS1_11target_archE908ELNS1_3gpuE7ELNS1_3repE0EEENS1_30default_config_static_selectorELNS0_4arch9wavefront6targetE1EEEvT1_,@function
_ZN7rocprim17ROCPRIM_400000_NS6detail17trampoline_kernelINS0_14default_configENS1_20scan_config_selectorIfEEZZNS1_9scan_implILNS1_25lookback_scan_determinismE0ELb0ELb0ES3_PKfPffZZZN2at6native31launch_logcumsumexp_cuda_kernelERKNSB_10TensorBaseESF_lENKUlvE_clEvENKUlvE0_clEvEUlffE_fEEDaPvRmT3_T4_T5_mT6_P12ihipStream_tbENKUlT_T0_E_clISt17integral_constantIbLb0EESV_IbLb1EEEEDaSR_SS_EUlSR_E0_NS1_11comp_targetILNS1_3genE3ELNS1_11target_archE908ELNS1_3gpuE7ELNS1_3repE0EEENS1_30default_config_static_selectorELNS0_4arch9wavefront6targetE1EEEvT1_: ; @_ZN7rocprim17ROCPRIM_400000_NS6detail17trampoline_kernelINS0_14default_configENS1_20scan_config_selectorIfEEZZNS1_9scan_implILNS1_25lookback_scan_determinismE0ELb0ELb0ES3_PKfPffZZZN2at6native31launch_logcumsumexp_cuda_kernelERKNSB_10TensorBaseESF_lENKUlvE_clEvENKUlvE0_clEvEUlffE_fEEDaPvRmT3_T4_T5_mT6_P12ihipStream_tbENKUlT_T0_E_clISt17integral_constantIbLb0EESV_IbLb1EEEEDaSR_SS_EUlSR_E0_NS1_11comp_targetILNS1_3genE3ELNS1_11target_archE908ELNS1_3gpuE7ELNS1_3repE0EEENS1_30default_config_static_selectorELNS0_4arch9wavefront6targetE1EEEvT1_
; %bb.0:
	.section	.rodata,"a",@progbits
	.p2align	6, 0x0
	.amdhsa_kernel _ZN7rocprim17ROCPRIM_400000_NS6detail17trampoline_kernelINS0_14default_configENS1_20scan_config_selectorIfEEZZNS1_9scan_implILNS1_25lookback_scan_determinismE0ELb0ELb0ES3_PKfPffZZZN2at6native31launch_logcumsumexp_cuda_kernelERKNSB_10TensorBaseESF_lENKUlvE_clEvENKUlvE0_clEvEUlffE_fEEDaPvRmT3_T4_T5_mT6_P12ihipStream_tbENKUlT_T0_E_clISt17integral_constantIbLb0EESV_IbLb1EEEEDaSR_SS_EUlSR_E0_NS1_11comp_targetILNS1_3genE3ELNS1_11target_archE908ELNS1_3gpuE7ELNS1_3repE0EEENS1_30default_config_static_selectorELNS0_4arch9wavefront6targetE1EEEvT1_
		.amdhsa_group_segment_fixed_size 0
		.amdhsa_private_segment_fixed_size 0
		.amdhsa_kernarg_size 32
		.amdhsa_user_sgpr_count 2
		.amdhsa_user_sgpr_dispatch_ptr 0
		.amdhsa_user_sgpr_queue_ptr 0
		.amdhsa_user_sgpr_kernarg_segment_ptr 1
		.amdhsa_user_sgpr_dispatch_id 0
		.amdhsa_user_sgpr_kernarg_preload_length 0
		.amdhsa_user_sgpr_kernarg_preload_offset 0
		.amdhsa_user_sgpr_private_segment_size 0
		.amdhsa_uses_dynamic_stack 0
		.amdhsa_enable_private_segment 0
		.amdhsa_system_sgpr_workgroup_id_x 1
		.amdhsa_system_sgpr_workgroup_id_y 0
		.amdhsa_system_sgpr_workgroup_id_z 0
		.amdhsa_system_sgpr_workgroup_info 0
		.amdhsa_system_vgpr_workitem_id 0
		.amdhsa_next_free_vgpr 1
		.amdhsa_next_free_sgpr 0
		.amdhsa_accum_offset 4
		.amdhsa_reserve_vcc 0
		.amdhsa_float_round_mode_32 0
		.amdhsa_float_round_mode_16_64 0
		.amdhsa_float_denorm_mode_32 3
		.amdhsa_float_denorm_mode_16_64 3
		.amdhsa_dx10_clamp 1
		.amdhsa_ieee_mode 1
		.amdhsa_fp16_overflow 0
		.amdhsa_tg_split 0
		.amdhsa_exception_fp_ieee_invalid_op 0
		.amdhsa_exception_fp_denorm_src 0
		.amdhsa_exception_fp_ieee_div_zero 0
		.amdhsa_exception_fp_ieee_overflow 0
		.amdhsa_exception_fp_ieee_underflow 0
		.amdhsa_exception_fp_ieee_inexact 0
		.amdhsa_exception_int_div_zero 0
	.end_amdhsa_kernel
	.section	.text._ZN7rocprim17ROCPRIM_400000_NS6detail17trampoline_kernelINS0_14default_configENS1_20scan_config_selectorIfEEZZNS1_9scan_implILNS1_25lookback_scan_determinismE0ELb0ELb0ES3_PKfPffZZZN2at6native31launch_logcumsumexp_cuda_kernelERKNSB_10TensorBaseESF_lENKUlvE_clEvENKUlvE0_clEvEUlffE_fEEDaPvRmT3_T4_T5_mT6_P12ihipStream_tbENKUlT_T0_E_clISt17integral_constantIbLb0EESV_IbLb1EEEEDaSR_SS_EUlSR_E0_NS1_11comp_targetILNS1_3genE3ELNS1_11target_archE908ELNS1_3gpuE7ELNS1_3repE0EEENS1_30default_config_static_selectorELNS0_4arch9wavefront6targetE1EEEvT1_,"axG",@progbits,_ZN7rocprim17ROCPRIM_400000_NS6detail17trampoline_kernelINS0_14default_configENS1_20scan_config_selectorIfEEZZNS1_9scan_implILNS1_25lookback_scan_determinismE0ELb0ELb0ES3_PKfPffZZZN2at6native31launch_logcumsumexp_cuda_kernelERKNSB_10TensorBaseESF_lENKUlvE_clEvENKUlvE0_clEvEUlffE_fEEDaPvRmT3_T4_T5_mT6_P12ihipStream_tbENKUlT_T0_E_clISt17integral_constantIbLb0EESV_IbLb1EEEEDaSR_SS_EUlSR_E0_NS1_11comp_targetILNS1_3genE3ELNS1_11target_archE908ELNS1_3gpuE7ELNS1_3repE0EEENS1_30default_config_static_selectorELNS0_4arch9wavefront6targetE1EEEvT1_,comdat
.Lfunc_end173:
	.size	_ZN7rocprim17ROCPRIM_400000_NS6detail17trampoline_kernelINS0_14default_configENS1_20scan_config_selectorIfEEZZNS1_9scan_implILNS1_25lookback_scan_determinismE0ELb0ELb0ES3_PKfPffZZZN2at6native31launch_logcumsumexp_cuda_kernelERKNSB_10TensorBaseESF_lENKUlvE_clEvENKUlvE0_clEvEUlffE_fEEDaPvRmT3_T4_T5_mT6_P12ihipStream_tbENKUlT_T0_E_clISt17integral_constantIbLb0EESV_IbLb1EEEEDaSR_SS_EUlSR_E0_NS1_11comp_targetILNS1_3genE3ELNS1_11target_archE908ELNS1_3gpuE7ELNS1_3repE0EEENS1_30default_config_static_selectorELNS0_4arch9wavefront6targetE1EEEvT1_, .Lfunc_end173-_ZN7rocprim17ROCPRIM_400000_NS6detail17trampoline_kernelINS0_14default_configENS1_20scan_config_selectorIfEEZZNS1_9scan_implILNS1_25lookback_scan_determinismE0ELb0ELb0ES3_PKfPffZZZN2at6native31launch_logcumsumexp_cuda_kernelERKNSB_10TensorBaseESF_lENKUlvE_clEvENKUlvE0_clEvEUlffE_fEEDaPvRmT3_T4_T5_mT6_P12ihipStream_tbENKUlT_T0_E_clISt17integral_constantIbLb0EESV_IbLb1EEEEDaSR_SS_EUlSR_E0_NS1_11comp_targetILNS1_3genE3ELNS1_11target_archE908ELNS1_3gpuE7ELNS1_3repE0EEENS1_30default_config_static_selectorELNS0_4arch9wavefront6targetE1EEEvT1_
                                        ; -- End function
	.section	.AMDGPU.csdata,"",@progbits
; Kernel info:
; codeLenInByte = 0
; NumSgprs: 6
; NumVgprs: 0
; NumAgprs: 0
; TotalNumVgprs: 0
; ScratchSize: 0
; MemoryBound: 0
; FloatMode: 240
; IeeeMode: 1
; LDSByteSize: 0 bytes/workgroup (compile time only)
; SGPRBlocks: 0
; VGPRBlocks: 0
; NumSGPRsForWavesPerEU: 6
; NumVGPRsForWavesPerEU: 1
; AccumOffset: 4
; Occupancy: 8
; WaveLimiterHint : 0
; COMPUTE_PGM_RSRC2:SCRATCH_EN: 0
; COMPUTE_PGM_RSRC2:USER_SGPR: 2
; COMPUTE_PGM_RSRC2:TRAP_HANDLER: 0
; COMPUTE_PGM_RSRC2:TGID_X_EN: 1
; COMPUTE_PGM_RSRC2:TGID_Y_EN: 0
; COMPUTE_PGM_RSRC2:TGID_Z_EN: 0
; COMPUTE_PGM_RSRC2:TIDIG_COMP_CNT: 0
; COMPUTE_PGM_RSRC3_GFX90A:ACCUM_OFFSET: 0
; COMPUTE_PGM_RSRC3_GFX90A:TG_SPLIT: 0
	.section	.text._ZN7rocprim17ROCPRIM_400000_NS6detail17trampoline_kernelINS0_14default_configENS1_20scan_config_selectorIfEEZZNS1_9scan_implILNS1_25lookback_scan_determinismE0ELb0ELb0ES3_PKfPffZZZN2at6native31launch_logcumsumexp_cuda_kernelERKNSB_10TensorBaseESF_lENKUlvE_clEvENKUlvE0_clEvEUlffE_fEEDaPvRmT3_T4_T5_mT6_P12ihipStream_tbENKUlT_T0_E_clISt17integral_constantIbLb0EESV_IbLb1EEEEDaSR_SS_EUlSR_E0_NS1_11comp_targetILNS1_3genE2ELNS1_11target_archE906ELNS1_3gpuE6ELNS1_3repE0EEENS1_30default_config_static_selectorELNS0_4arch9wavefront6targetE1EEEvT1_,"axG",@progbits,_ZN7rocprim17ROCPRIM_400000_NS6detail17trampoline_kernelINS0_14default_configENS1_20scan_config_selectorIfEEZZNS1_9scan_implILNS1_25lookback_scan_determinismE0ELb0ELb0ES3_PKfPffZZZN2at6native31launch_logcumsumexp_cuda_kernelERKNSB_10TensorBaseESF_lENKUlvE_clEvENKUlvE0_clEvEUlffE_fEEDaPvRmT3_T4_T5_mT6_P12ihipStream_tbENKUlT_T0_E_clISt17integral_constantIbLb0EESV_IbLb1EEEEDaSR_SS_EUlSR_E0_NS1_11comp_targetILNS1_3genE2ELNS1_11target_archE906ELNS1_3gpuE6ELNS1_3repE0EEENS1_30default_config_static_selectorELNS0_4arch9wavefront6targetE1EEEvT1_,comdat
	.globl	_ZN7rocprim17ROCPRIM_400000_NS6detail17trampoline_kernelINS0_14default_configENS1_20scan_config_selectorIfEEZZNS1_9scan_implILNS1_25lookback_scan_determinismE0ELb0ELb0ES3_PKfPffZZZN2at6native31launch_logcumsumexp_cuda_kernelERKNSB_10TensorBaseESF_lENKUlvE_clEvENKUlvE0_clEvEUlffE_fEEDaPvRmT3_T4_T5_mT6_P12ihipStream_tbENKUlT_T0_E_clISt17integral_constantIbLb0EESV_IbLb1EEEEDaSR_SS_EUlSR_E0_NS1_11comp_targetILNS1_3genE2ELNS1_11target_archE906ELNS1_3gpuE6ELNS1_3repE0EEENS1_30default_config_static_selectorELNS0_4arch9wavefront6targetE1EEEvT1_ ; -- Begin function _ZN7rocprim17ROCPRIM_400000_NS6detail17trampoline_kernelINS0_14default_configENS1_20scan_config_selectorIfEEZZNS1_9scan_implILNS1_25lookback_scan_determinismE0ELb0ELb0ES3_PKfPffZZZN2at6native31launch_logcumsumexp_cuda_kernelERKNSB_10TensorBaseESF_lENKUlvE_clEvENKUlvE0_clEvEUlffE_fEEDaPvRmT3_T4_T5_mT6_P12ihipStream_tbENKUlT_T0_E_clISt17integral_constantIbLb0EESV_IbLb1EEEEDaSR_SS_EUlSR_E0_NS1_11comp_targetILNS1_3genE2ELNS1_11target_archE906ELNS1_3gpuE6ELNS1_3repE0EEENS1_30default_config_static_selectorELNS0_4arch9wavefront6targetE1EEEvT1_
	.p2align	8
	.type	_ZN7rocprim17ROCPRIM_400000_NS6detail17trampoline_kernelINS0_14default_configENS1_20scan_config_selectorIfEEZZNS1_9scan_implILNS1_25lookback_scan_determinismE0ELb0ELb0ES3_PKfPffZZZN2at6native31launch_logcumsumexp_cuda_kernelERKNSB_10TensorBaseESF_lENKUlvE_clEvENKUlvE0_clEvEUlffE_fEEDaPvRmT3_T4_T5_mT6_P12ihipStream_tbENKUlT_T0_E_clISt17integral_constantIbLb0EESV_IbLb1EEEEDaSR_SS_EUlSR_E0_NS1_11comp_targetILNS1_3genE2ELNS1_11target_archE906ELNS1_3gpuE6ELNS1_3repE0EEENS1_30default_config_static_selectorELNS0_4arch9wavefront6targetE1EEEvT1_,@function
_ZN7rocprim17ROCPRIM_400000_NS6detail17trampoline_kernelINS0_14default_configENS1_20scan_config_selectorIfEEZZNS1_9scan_implILNS1_25lookback_scan_determinismE0ELb0ELb0ES3_PKfPffZZZN2at6native31launch_logcumsumexp_cuda_kernelERKNSB_10TensorBaseESF_lENKUlvE_clEvENKUlvE0_clEvEUlffE_fEEDaPvRmT3_T4_T5_mT6_P12ihipStream_tbENKUlT_T0_E_clISt17integral_constantIbLb0EESV_IbLb1EEEEDaSR_SS_EUlSR_E0_NS1_11comp_targetILNS1_3genE2ELNS1_11target_archE906ELNS1_3gpuE6ELNS1_3repE0EEENS1_30default_config_static_selectorELNS0_4arch9wavefront6targetE1EEEvT1_: ; @_ZN7rocprim17ROCPRIM_400000_NS6detail17trampoline_kernelINS0_14default_configENS1_20scan_config_selectorIfEEZZNS1_9scan_implILNS1_25lookback_scan_determinismE0ELb0ELb0ES3_PKfPffZZZN2at6native31launch_logcumsumexp_cuda_kernelERKNSB_10TensorBaseESF_lENKUlvE_clEvENKUlvE0_clEvEUlffE_fEEDaPvRmT3_T4_T5_mT6_P12ihipStream_tbENKUlT_T0_E_clISt17integral_constantIbLb0EESV_IbLb1EEEEDaSR_SS_EUlSR_E0_NS1_11comp_targetILNS1_3genE2ELNS1_11target_archE906ELNS1_3gpuE6ELNS1_3repE0EEENS1_30default_config_static_selectorELNS0_4arch9wavefront6targetE1EEEvT1_
; %bb.0:
	.section	.rodata,"a",@progbits
	.p2align	6, 0x0
	.amdhsa_kernel _ZN7rocprim17ROCPRIM_400000_NS6detail17trampoline_kernelINS0_14default_configENS1_20scan_config_selectorIfEEZZNS1_9scan_implILNS1_25lookback_scan_determinismE0ELb0ELb0ES3_PKfPffZZZN2at6native31launch_logcumsumexp_cuda_kernelERKNSB_10TensorBaseESF_lENKUlvE_clEvENKUlvE0_clEvEUlffE_fEEDaPvRmT3_T4_T5_mT6_P12ihipStream_tbENKUlT_T0_E_clISt17integral_constantIbLb0EESV_IbLb1EEEEDaSR_SS_EUlSR_E0_NS1_11comp_targetILNS1_3genE2ELNS1_11target_archE906ELNS1_3gpuE6ELNS1_3repE0EEENS1_30default_config_static_selectorELNS0_4arch9wavefront6targetE1EEEvT1_
		.amdhsa_group_segment_fixed_size 0
		.amdhsa_private_segment_fixed_size 0
		.amdhsa_kernarg_size 32
		.amdhsa_user_sgpr_count 2
		.amdhsa_user_sgpr_dispatch_ptr 0
		.amdhsa_user_sgpr_queue_ptr 0
		.amdhsa_user_sgpr_kernarg_segment_ptr 1
		.amdhsa_user_sgpr_dispatch_id 0
		.amdhsa_user_sgpr_kernarg_preload_length 0
		.amdhsa_user_sgpr_kernarg_preload_offset 0
		.amdhsa_user_sgpr_private_segment_size 0
		.amdhsa_uses_dynamic_stack 0
		.amdhsa_enable_private_segment 0
		.amdhsa_system_sgpr_workgroup_id_x 1
		.amdhsa_system_sgpr_workgroup_id_y 0
		.amdhsa_system_sgpr_workgroup_id_z 0
		.amdhsa_system_sgpr_workgroup_info 0
		.amdhsa_system_vgpr_workitem_id 0
		.amdhsa_next_free_vgpr 1
		.amdhsa_next_free_sgpr 0
		.amdhsa_accum_offset 4
		.amdhsa_reserve_vcc 0
		.amdhsa_float_round_mode_32 0
		.amdhsa_float_round_mode_16_64 0
		.amdhsa_float_denorm_mode_32 3
		.amdhsa_float_denorm_mode_16_64 3
		.amdhsa_dx10_clamp 1
		.amdhsa_ieee_mode 1
		.amdhsa_fp16_overflow 0
		.amdhsa_tg_split 0
		.amdhsa_exception_fp_ieee_invalid_op 0
		.amdhsa_exception_fp_denorm_src 0
		.amdhsa_exception_fp_ieee_div_zero 0
		.amdhsa_exception_fp_ieee_overflow 0
		.amdhsa_exception_fp_ieee_underflow 0
		.amdhsa_exception_fp_ieee_inexact 0
		.amdhsa_exception_int_div_zero 0
	.end_amdhsa_kernel
	.section	.text._ZN7rocprim17ROCPRIM_400000_NS6detail17trampoline_kernelINS0_14default_configENS1_20scan_config_selectorIfEEZZNS1_9scan_implILNS1_25lookback_scan_determinismE0ELb0ELb0ES3_PKfPffZZZN2at6native31launch_logcumsumexp_cuda_kernelERKNSB_10TensorBaseESF_lENKUlvE_clEvENKUlvE0_clEvEUlffE_fEEDaPvRmT3_T4_T5_mT6_P12ihipStream_tbENKUlT_T0_E_clISt17integral_constantIbLb0EESV_IbLb1EEEEDaSR_SS_EUlSR_E0_NS1_11comp_targetILNS1_3genE2ELNS1_11target_archE906ELNS1_3gpuE6ELNS1_3repE0EEENS1_30default_config_static_selectorELNS0_4arch9wavefront6targetE1EEEvT1_,"axG",@progbits,_ZN7rocprim17ROCPRIM_400000_NS6detail17trampoline_kernelINS0_14default_configENS1_20scan_config_selectorIfEEZZNS1_9scan_implILNS1_25lookback_scan_determinismE0ELb0ELb0ES3_PKfPffZZZN2at6native31launch_logcumsumexp_cuda_kernelERKNSB_10TensorBaseESF_lENKUlvE_clEvENKUlvE0_clEvEUlffE_fEEDaPvRmT3_T4_T5_mT6_P12ihipStream_tbENKUlT_T0_E_clISt17integral_constantIbLb0EESV_IbLb1EEEEDaSR_SS_EUlSR_E0_NS1_11comp_targetILNS1_3genE2ELNS1_11target_archE906ELNS1_3gpuE6ELNS1_3repE0EEENS1_30default_config_static_selectorELNS0_4arch9wavefront6targetE1EEEvT1_,comdat
.Lfunc_end174:
	.size	_ZN7rocprim17ROCPRIM_400000_NS6detail17trampoline_kernelINS0_14default_configENS1_20scan_config_selectorIfEEZZNS1_9scan_implILNS1_25lookback_scan_determinismE0ELb0ELb0ES3_PKfPffZZZN2at6native31launch_logcumsumexp_cuda_kernelERKNSB_10TensorBaseESF_lENKUlvE_clEvENKUlvE0_clEvEUlffE_fEEDaPvRmT3_T4_T5_mT6_P12ihipStream_tbENKUlT_T0_E_clISt17integral_constantIbLb0EESV_IbLb1EEEEDaSR_SS_EUlSR_E0_NS1_11comp_targetILNS1_3genE2ELNS1_11target_archE906ELNS1_3gpuE6ELNS1_3repE0EEENS1_30default_config_static_selectorELNS0_4arch9wavefront6targetE1EEEvT1_, .Lfunc_end174-_ZN7rocprim17ROCPRIM_400000_NS6detail17trampoline_kernelINS0_14default_configENS1_20scan_config_selectorIfEEZZNS1_9scan_implILNS1_25lookback_scan_determinismE0ELb0ELb0ES3_PKfPffZZZN2at6native31launch_logcumsumexp_cuda_kernelERKNSB_10TensorBaseESF_lENKUlvE_clEvENKUlvE0_clEvEUlffE_fEEDaPvRmT3_T4_T5_mT6_P12ihipStream_tbENKUlT_T0_E_clISt17integral_constantIbLb0EESV_IbLb1EEEEDaSR_SS_EUlSR_E0_NS1_11comp_targetILNS1_3genE2ELNS1_11target_archE906ELNS1_3gpuE6ELNS1_3repE0EEENS1_30default_config_static_selectorELNS0_4arch9wavefront6targetE1EEEvT1_
                                        ; -- End function
	.section	.AMDGPU.csdata,"",@progbits
; Kernel info:
; codeLenInByte = 0
; NumSgprs: 6
; NumVgprs: 0
; NumAgprs: 0
; TotalNumVgprs: 0
; ScratchSize: 0
; MemoryBound: 0
; FloatMode: 240
; IeeeMode: 1
; LDSByteSize: 0 bytes/workgroup (compile time only)
; SGPRBlocks: 0
; VGPRBlocks: 0
; NumSGPRsForWavesPerEU: 6
; NumVGPRsForWavesPerEU: 1
; AccumOffset: 4
; Occupancy: 8
; WaveLimiterHint : 0
; COMPUTE_PGM_RSRC2:SCRATCH_EN: 0
; COMPUTE_PGM_RSRC2:USER_SGPR: 2
; COMPUTE_PGM_RSRC2:TRAP_HANDLER: 0
; COMPUTE_PGM_RSRC2:TGID_X_EN: 1
; COMPUTE_PGM_RSRC2:TGID_Y_EN: 0
; COMPUTE_PGM_RSRC2:TGID_Z_EN: 0
; COMPUTE_PGM_RSRC2:TIDIG_COMP_CNT: 0
; COMPUTE_PGM_RSRC3_GFX90A:ACCUM_OFFSET: 0
; COMPUTE_PGM_RSRC3_GFX90A:TG_SPLIT: 0
	.section	.text._ZN7rocprim17ROCPRIM_400000_NS6detail17trampoline_kernelINS0_14default_configENS1_20scan_config_selectorIfEEZZNS1_9scan_implILNS1_25lookback_scan_determinismE0ELb0ELb0ES3_PKfPffZZZN2at6native31launch_logcumsumexp_cuda_kernelERKNSB_10TensorBaseESF_lENKUlvE_clEvENKUlvE0_clEvEUlffE_fEEDaPvRmT3_T4_T5_mT6_P12ihipStream_tbENKUlT_T0_E_clISt17integral_constantIbLb0EESV_IbLb1EEEEDaSR_SS_EUlSR_E0_NS1_11comp_targetILNS1_3genE10ELNS1_11target_archE1201ELNS1_3gpuE5ELNS1_3repE0EEENS1_30default_config_static_selectorELNS0_4arch9wavefront6targetE1EEEvT1_,"axG",@progbits,_ZN7rocprim17ROCPRIM_400000_NS6detail17trampoline_kernelINS0_14default_configENS1_20scan_config_selectorIfEEZZNS1_9scan_implILNS1_25lookback_scan_determinismE0ELb0ELb0ES3_PKfPffZZZN2at6native31launch_logcumsumexp_cuda_kernelERKNSB_10TensorBaseESF_lENKUlvE_clEvENKUlvE0_clEvEUlffE_fEEDaPvRmT3_T4_T5_mT6_P12ihipStream_tbENKUlT_T0_E_clISt17integral_constantIbLb0EESV_IbLb1EEEEDaSR_SS_EUlSR_E0_NS1_11comp_targetILNS1_3genE10ELNS1_11target_archE1201ELNS1_3gpuE5ELNS1_3repE0EEENS1_30default_config_static_selectorELNS0_4arch9wavefront6targetE1EEEvT1_,comdat
	.globl	_ZN7rocprim17ROCPRIM_400000_NS6detail17trampoline_kernelINS0_14default_configENS1_20scan_config_selectorIfEEZZNS1_9scan_implILNS1_25lookback_scan_determinismE0ELb0ELb0ES3_PKfPffZZZN2at6native31launch_logcumsumexp_cuda_kernelERKNSB_10TensorBaseESF_lENKUlvE_clEvENKUlvE0_clEvEUlffE_fEEDaPvRmT3_T4_T5_mT6_P12ihipStream_tbENKUlT_T0_E_clISt17integral_constantIbLb0EESV_IbLb1EEEEDaSR_SS_EUlSR_E0_NS1_11comp_targetILNS1_3genE10ELNS1_11target_archE1201ELNS1_3gpuE5ELNS1_3repE0EEENS1_30default_config_static_selectorELNS0_4arch9wavefront6targetE1EEEvT1_ ; -- Begin function _ZN7rocprim17ROCPRIM_400000_NS6detail17trampoline_kernelINS0_14default_configENS1_20scan_config_selectorIfEEZZNS1_9scan_implILNS1_25lookback_scan_determinismE0ELb0ELb0ES3_PKfPffZZZN2at6native31launch_logcumsumexp_cuda_kernelERKNSB_10TensorBaseESF_lENKUlvE_clEvENKUlvE0_clEvEUlffE_fEEDaPvRmT3_T4_T5_mT6_P12ihipStream_tbENKUlT_T0_E_clISt17integral_constantIbLb0EESV_IbLb1EEEEDaSR_SS_EUlSR_E0_NS1_11comp_targetILNS1_3genE10ELNS1_11target_archE1201ELNS1_3gpuE5ELNS1_3repE0EEENS1_30default_config_static_selectorELNS0_4arch9wavefront6targetE1EEEvT1_
	.p2align	8
	.type	_ZN7rocprim17ROCPRIM_400000_NS6detail17trampoline_kernelINS0_14default_configENS1_20scan_config_selectorIfEEZZNS1_9scan_implILNS1_25lookback_scan_determinismE0ELb0ELb0ES3_PKfPffZZZN2at6native31launch_logcumsumexp_cuda_kernelERKNSB_10TensorBaseESF_lENKUlvE_clEvENKUlvE0_clEvEUlffE_fEEDaPvRmT3_T4_T5_mT6_P12ihipStream_tbENKUlT_T0_E_clISt17integral_constantIbLb0EESV_IbLb1EEEEDaSR_SS_EUlSR_E0_NS1_11comp_targetILNS1_3genE10ELNS1_11target_archE1201ELNS1_3gpuE5ELNS1_3repE0EEENS1_30default_config_static_selectorELNS0_4arch9wavefront6targetE1EEEvT1_,@function
_ZN7rocprim17ROCPRIM_400000_NS6detail17trampoline_kernelINS0_14default_configENS1_20scan_config_selectorIfEEZZNS1_9scan_implILNS1_25lookback_scan_determinismE0ELb0ELb0ES3_PKfPffZZZN2at6native31launch_logcumsumexp_cuda_kernelERKNSB_10TensorBaseESF_lENKUlvE_clEvENKUlvE0_clEvEUlffE_fEEDaPvRmT3_T4_T5_mT6_P12ihipStream_tbENKUlT_T0_E_clISt17integral_constantIbLb0EESV_IbLb1EEEEDaSR_SS_EUlSR_E0_NS1_11comp_targetILNS1_3genE10ELNS1_11target_archE1201ELNS1_3gpuE5ELNS1_3repE0EEENS1_30default_config_static_selectorELNS0_4arch9wavefront6targetE1EEEvT1_: ; @_ZN7rocprim17ROCPRIM_400000_NS6detail17trampoline_kernelINS0_14default_configENS1_20scan_config_selectorIfEEZZNS1_9scan_implILNS1_25lookback_scan_determinismE0ELb0ELb0ES3_PKfPffZZZN2at6native31launch_logcumsumexp_cuda_kernelERKNSB_10TensorBaseESF_lENKUlvE_clEvENKUlvE0_clEvEUlffE_fEEDaPvRmT3_T4_T5_mT6_P12ihipStream_tbENKUlT_T0_E_clISt17integral_constantIbLb0EESV_IbLb1EEEEDaSR_SS_EUlSR_E0_NS1_11comp_targetILNS1_3genE10ELNS1_11target_archE1201ELNS1_3gpuE5ELNS1_3repE0EEENS1_30default_config_static_selectorELNS0_4arch9wavefront6targetE1EEEvT1_
; %bb.0:
	.section	.rodata,"a",@progbits
	.p2align	6, 0x0
	.amdhsa_kernel _ZN7rocprim17ROCPRIM_400000_NS6detail17trampoline_kernelINS0_14default_configENS1_20scan_config_selectorIfEEZZNS1_9scan_implILNS1_25lookback_scan_determinismE0ELb0ELb0ES3_PKfPffZZZN2at6native31launch_logcumsumexp_cuda_kernelERKNSB_10TensorBaseESF_lENKUlvE_clEvENKUlvE0_clEvEUlffE_fEEDaPvRmT3_T4_T5_mT6_P12ihipStream_tbENKUlT_T0_E_clISt17integral_constantIbLb0EESV_IbLb1EEEEDaSR_SS_EUlSR_E0_NS1_11comp_targetILNS1_3genE10ELNS1_11target_archE1201ELNS1_3gpuE5ELNS1_3repE0EEENS1_30default_config_static_selectorELNS0_4arch9wavefront6targetE1EEEvT1_
		.amdhsa_group_segment_fixed_size 0
		.amdhsa_private_segment_fixed_size 0
		.amdhsa_kernarg_size 32
		.amdhsa_user_sgpr_count 2
		.amdhsa_user_sgpr_dispatch_ptr 0
		.amdhsa_user_sgpr_queue_ptr 0
		.amdhsa_user_sgpr_kernarg_segment_ptr 1
		.amdhsa_user_sgpr_dispatch_id 0
		.amdhsa_user_sgpr_kernarg_preload_length 0
		.amdhsa_user_sgpr_kernarg_preload_offset 0
		.amdhsa_user_sgpr_private_segment_size 0
		.amdhsa_uses_dynamic_stack 0
		.amdhsa_enable_private_segment 0
		.amdhsa_system_sgpr_workgroup_id_x 1
		.amdhsa_system_sgpr_workgroup_id_y 0
		.amdhsa_system_sgpr_workgroup_id_z 0
		.amdhsa_system_sgpr_workgroup_info 0
		.amdhsa_system_vgpr_workitem_id 0
		.amdhsa_next_free_vgpr 1
		.amdhsa_next_free_sgpr 0
		.amdhsa_accum_offset 4
		.amdhsa_reserve_vcc 0
		.amdhsa_float_round_mode_32 0
		.amdhsa_float_round_mode_16_64 0
		.amdhsa_float_denorm_mode_32 3
		.amdhsa_float_denorm_mode_16_64 3
		.amdhsa_dx10_clamp 1
		.amdhsa_ieee_mode 1
		.amdhsa_fp16_overflow 0
		.amdhsa_tg_split 0
		.amdhsa_exception_fp_ieee_invalid_op 0
		.amdhsa_exception_fp_denorm_src 0
		.amdhsa_exception_fp_ieee_div_zero 0
		.amdhsa_exception_fp_ieee_overflow 0
		.amdhsa_exception_fp_ieee_underflow 0
		.amdhsa_exception_fp_ieee_inexact 0
		.amdhsa_exception_int_div_zero 0
	.end_amdhsa_kernel
	.section	.text._ZN7rocprim17ROCPRIM_400000_NS6detail17trampoline_kernelINS0_14default_configENS1_20scan_config_selectorIfEEZZNS1_9scan_implILNS1_25lookback_scan_determinismE0ELb0ELb0ES3_PKfPffZZZN2at6native31launch_logcumsumexp_cuda_kernelERKNSB_10TensorBaseESF_lENKUlvE_clEvENKUlvE0_clEvEUlffE_fEEDaPvRmT3_T4_T5_mT6_P12ihipStream_tbENKUlT_T0_E_clISt17integral_constantIbLb0EESV_IbLb1EEEEDaSR_SS_EUlSR_E0_NS1_11comp_targetILNS1_3genE10ELNS1_11target_archE1201ELNS1_3gpuE5ELNS1_3repE0EEENS1_30default_config_static_selectorELNS0_4arch9wavefront6targetE1EEEvT1_,"axG",@progbits,_ZN7rocprim17ROCPRIM_400000_NS6detail17trampoline_kernelINS0_14default_configENS1_20scan_config_selectorIfEEZZNS1_9scan_implILNS1_25lookback_scan_determinismE0ELb0ELb0ES3_PKfPffZZZN2at6native31launch_logcumsumexp_cuda_kernelERKNSB_10TensorBaseESF_lENKUlvE_clEvENKUlvE0_clEvEUlffE_fEEDaPvRmT3_T4_T5_mT6_P12ihipStream_tbENKUlT_T0_E_clISt17integral_constantIbLb0EESV_IbLb1EEEEDaSR_SS_EUlSR_E0_NS1_11comp_targetILNS1_3genE10ELNS1_11target_archE1201ELNS1_3gpuE5ELNS1_3repE0EEENS1_30default_config_static_selectorELNS0_4arch9wavefront6targetE1EEEvT1_,comdat
.Lfunc_end175:
	.size	_ZN7rocprim17ROCPRIM_400000_NS6detail17trampoline_kernelINS0_14default_configENS1_20scan_config_selectorIfEEZZNS1_9scan_implILNS1_25lookback_scan_determinismE0ELb0ELb0ES3_PKfPffZZZN2at6native31launch_logcumsumexp_cuda_kernelERKNSB_10TensorBaseESF_lENKUlvE_clEvENKUlvE0_clEvEUlffE_fEEDaPvRmT3_T4_T5_mT6_P12ihipStream_tbENKUlT_T0_E_clISt17integral_constantIbLb0EESV_IbLb1EEEEDaSR_SS_EUlSR_E0_NS1_11comp_targetILNS1_3genE10ELNS1_11target_archE1201ELNS1_3gpuE5ELNS1_3repE0EEENS1_30default_config_static_selectorELNS0_4arch9wavefront6targetE1EEEvT1_, .Lfunc_end175-_ZN7rocprim17ROCPRIM_400000_NS6detail17trampoline_kernelINS0_14default_configENS1_20scan_config_selectorIfEEZZNS1_9scan_implILNS1_25lookback_scan_determinismE0ELb0ELb0ES3_PKfPffZZZN2at6native31launch_logcumsumexp_cuda_kernelERKNSB_10TensorBaseESF_lENKUlvE_clEvENKUlvE0_clEvEUlffE_fEEDaPvRmT3_T4_T5_mT6_P12ihipStream_tbENKUlT_T0_E_clISt17integral_constantIbLb0EESV_IbLb1EEEEDaSR_SS_EUlSR_E0_NS1_11comp_targetILNS1_3genE10ELNS1_11target_archE1201ELNS1_3gpuE5ELNS1_3repE0EEENS1_30default_config_static_selectorELNS0_4arch9wavefront6targetE1EEEvT1_
                                        ; -- End function
	.section	.AMDGPU.csdata,"",@progbits
; Kernel info:
; codeLenInByte = 0
; NumSgprs: 6
; NumVgprs: 0
; NumAgprs: 0
; TotalNumVgprs: 0
; ScratchSize: 0
; MemoryBound: 0
; FloatMode: 240
; IeeeMode: 1
; LDSByteSize: 0 bytes/workgroup (compile time only)
; SGPRBlocks: 0
; VGPRBlocks: 0
; NumSGPRsForWavesPerEU: 6
; NumVGPRsForWavesPerEU: 1
; AccumOffset: 4
; Occupancy: 8
; WaveLimiterHint : 0
; COMPUTE_PGM_RSRC2:SCRATCH_EN: 0
; COMPUTE_PGM_RSRC2:USER_SGPR: 2
; COMPUTE_PGM_RSRC2:TRAP_HANDLER: 0
; COMPUTE_PGM_RSRC2:TGID_X_EN: 1
; COMPUTE_PGM_RSRC2:TGID_Y_EN: 0
; COMPUTE_PGM_RSRC2:TGID_Z_EN: 0
; COMPUTE_PGM_RSRC2:TIDIG_COMP_CNT: 0
; COMPUTE_PGM_RSRC3_GFX90A:ACCUM_OFFSET: 0
; COMPUTE_PGM_RSRC3_GFX90A:TG_SPLIT: 0
	.section	.text._ZN7rocprim17ROCPRIM_400000_NS6detail17trampoline_kernelINS0_14default_configENS1_20scan_config_selectorIfEEZZNS1_9scan_implILNS1_25lookback_scan_determinismE0ELb0ELb0ES3_PKfPffZZZN2at6native31launch_logcumsumexp_cuda_kernelERKNSB_10TensorBaseESF_lENKUlvE_clEvENKUlvE0_clEvEUlffE_fEEDaPvRmT3_T4_T5_mT6_P12ihipStream_tbENKUlT_T0_E_clISt17integral_constantIbLb0EESV_IbLb1EEEEDaSR_SS_EUlSR_E0_NS1_11comp_targetILNS1_3genE10ELNS1_11target_archE1200ELNS1_3gpuE4ELNS1_3repE0EEENS1_30default_config_static_selectorELNS0_4arch9wavefront6targetE1EEEvT1_,"axG",@progbits,_ZN7rocprim17ROCPRIM_400000_NS6detail17trampoline_kernelINS0_14default_configENS1_20scan_config_selectorIfEEZZNS1_9scan_implILNS1_25lookback_scan_determinismE0ELb0ELb0ES3_PKfPffZZZN2at6native31launch_logcumsumexp_cuda_kernelERKNSB_10TensorBaseESF_lENKUlvE_clEvENKUlvE0_clEvEUlffE_fEEDaPvRmT3_T4_T5_mT6_P12ihipStream_tbENKUlT_T0_E_clISt17integral_constantIbLb0EESV_IbLb1EEEEDaSR_SS_EUlSR_E0_NS1_11comp_targetILNS1_3genE10ELNS1_11target_archE1200ELNS1_3gpuE4ELNS1_3repE0EEENS1_30default_config_static_selectorELNS0_4arch9wavefront6targetE1EEEvT1_,comdat
	.globl	_ZN7rocprim17ROCPRIM_400000_NS6detail17trampoline_kernelINS0_14default_configENS1_20scan_config_selectorIfEEZZNS1_9scan_implILNS1_25lookback_scan_determinismE0ELb0ELb0ES3_PKfPffZZZN2at6native31launch_logcumsumexp_cuda_kernelERKNSB_10TensorBaseESF_lENKUlvE_clEvENKUlvE0_clEvEUlffE_fEEDaPvRmT3_T4_T5_mT6_P12ihipStream_tbENKUlT_T0_E_clISt17integral_constantIbLb0EESV_IbLb1EEEEDaSR_SS_EUlSR_E0_NS1_11comp_targetILNS1_3genE10ELNS1_11target_archE1200ELNS1_3gpuE4ELNS1_3repE0EEENS1_30default_config_static_selectorELNS0_4arch9wavefront6targetE1EEEvT1_ ; -- Begin function _ZN7rocprim17ROCPRIM_400000_NS6detail17trampoline_kernelINS0_14default_configENS1_20scan_config_selectorIfEEZZNS1_9scan_implILNS1_25lookback_scan_determinismE0ELb0ELb0ES3_PKfPffZZZN2at6native31launch_logcumsumexp_cuda_kernelERKNSB_10TensorBaseESF_lENKUlvE_clEvENKUlvE0_clEvEUlffE_fEEDaPvRmT3_T4_T5_mT6_P12ihipStream_tbENKUlT_T0_E_clISt17integral_constantIbLb0EESV_IbLb1EEEEDaSR_SS_EUlSR_E0_NS1_11comp_targetILNS1_3genE10ELNS1_11target_archE1200ELNS1_3gpuE4ELNS1_3repE0EEENS1_30default_config_static_selectorELNS0_4arch9wavefront6targetE1EEEvT1_
	.p2align	8
	.type	_ZN7rocprim17ROCPRIM_400000_NS6detail17trampoline_kernelINS0_14default_configENS1_20scan_config_selectorIfEEZZNS1_9scan_implILNS1_25lookback_scan_determinismE0ELb0ELb0ES3_PKfPffZZZN2at6native31launch_logcumsumexp_cuda_kernelERKNSB_10TensorBaseESF_lENKUlvE_clEvENKUlvE0_clEvEUlffE_fEEDaPvRmT3_T4_T5_mT6_P12ihipStream_tbENKUlT_T0_E_clISt17integral_constantIbLb0EESV_IbLb1EEEEDaSR_SS_EUlSR_E0_NS1_11comp_targetILNS1_3genE10ELNS1_11target_archE1200ELNS1_3gpuE4ELNS1_3repE0EEENS1_30default_config_static_selectorELNS0_4arch9wavefront6targetE1EEEvT1_,@function
_ZN7rocprim17ROCPRIM_400000_NS6detail17trampoline_kernelINS0_14default_configENS1_20scan_config_selectorIfEEZZNS1_9scan_implILNS1_25lookback_scan_determinismE0ELb0ELb0ES3_PKfPffZZZN2at6native31launch_logcumsumexp_cuda_kernelERKNSB_10TensorBaseESF_lENKUlvE_clEvENKUlvE0_clEvEUlffE_fEEDaPvRmT3_T4_T5_mT6_P12ihipStream_tbENKUlT_T0_E_clISt17integral_constantIbLb0EESV_IbLb1EEEEDaSR_SS_EUlSR_E0_NS1_11comp_targetILNS1_3genE10ELNS1_11target_archE1200ELNS1_3gpuE4ELNS1_3repE0EEENS1_30default_config_static_selectorELNS0_4arch9wavefront6targetE1EEEvT1_: ; @_ZN7rocprim17ROCPRIM_400000_NS6detail17trampoline_kernelINS0_14default_configENS1_20scan_config_selectorIfEEZZNS1_9scan_implILNS1_25lookback_scan_determinismE0ELb0ELb0ES3_PKfPffZZZN2at6native31launch_logcumsumexp_cuda_kernelERKNSB_10TensorBaseESF_lENKUlvE_clEvENKUlvE0_clEvEUlffE_fEEDaPvRmT3_T4_T5_mT6_P12ihipStream_tbENKUlT_T0_E_clISt17integral_constantIbLb0EESV_IbLb1EEEEDaSR_SS_EUlSR_E0_NS1_11comp_targetILNS1_3genE10ELNS1_11target_archE1200ELNS1_3gpuE4ELNS1_3repE0EEENS1_30default_config_static_selectorELNS0_4arch9wavefront6targetE1EEEvT1_
; %bb.0:
	.section	.rodata,"a",@progbits
	.p2align	6, 0x0
	.amdhsa_kernel _ZN7rocprim17ROCPRIM_400000_NS6detail17trampoline_kernelINS0_14default_configENS1_20scan_config_selectorIfEEZZNS1_9scan_implILNS1_25lookback_scan_determinismE0ELb0ELb0ES3_PKfPffZZZN2at6native31launch_logcumsumexp_cuda_kernelERKNSB_10TensorBaseESF_lENKUlvE_clEvENKUlvE0_clEvEUlffE_fEEDaPvRmT3_T4_T5_mT6_P12ihipStream_tbENKUlT_T0_E_clISt17integral_constantIbLb0EESV_IbLb1EEEEDaSR_SS_EUlSR_E0_NS1_11comp_targetILNS1_3genE10ELNS1_11target_archE1200ELNS1_3gpuE4ELNS1_3repE0EEENS1_30default_config_static_selectorELNS0_4arch9wavefront6targetE1EEEvT1_
		.amdhsa_group_segment_fixed_size 0
		.amdhsa_private_segment_fixed_size 0
		.amdhsa_kernarg_size 32
		.amdhsa_user_sgpr_count 2
		.amdhsa_user_sgpr_dispatch_ptr 0
		.amdhsa_user_sgpr_queue_ptr 0
		.amdhsa_user_sgpr_kernarg_segment_ptr 1
		.amdhsa_user_sgpr_dispatch_id 0
		.amdhsa_user_sgpr_kernarg_preload_length 0
		.amdhsa_user_sgpr_kernarg_preload_offset 0
		.amdhsa_user_sgpr_private_segment_size 0
		.amdhsa_uses_dynamic_stack 0
		.amdhsa_enable_private_segment 0
		.amdhsa_system_sgpr_workgroup_id_x 1
		.amdhsa_system_sgpr_workgroup_id_y 0
		.amdhsa_system_sgpr_workgroup_id_z 0
		.amdhsa_system_sgpr_workgroup_info 0
		.amdhsa_system_vgpr_workitem_id 0
		.amdhsa_next_free_vgpr 1
		.amdhsa_next_free_sgpr 0
		.amdhsa_accum_offset 4
		.amdhsa_reserve_vcc 0
		.amdhsa_float_round_mode_32 0
		.amdhsa_float_round_mode_16_64 0
		.amdhsa_float_denorm_mode_32 3
		.amdhsa_float_denorm_mode_16_64 3
		.amdhsa_dx10_clamp 1
		.amdhsa_ieee_mode 1
		.amdhsa_fp16_overflow 0
		.amdhsa_tg_split 0
		.amdhsa_exception_fp_ieee_invalid_op 0
		.amdhsa_exception_fp_denorm_src 0
		.amdhsa_exception_fp_ieee_div_zero 0
		.amdhsa_exception_fp_ieee_overflow 0
		.amdhsa_exception_fp_ieee_underflow 0
		.amdhsa_exception_fp_ieee_inexact 0
		.amdhsa_exception_int_div_zero 0
	.end_amdhsa_kernel
	.section	.text._ZN7rocprim17ROCPRIM_400000_NS6detail17trampoline_kernelINS0_14default_configENS1_20scan_config_selectorIfEEZZNS1_9scan_implILNS1_25lookback_scan_determinismE0ELb0ELb0ES3_PKfPffZZZN2at6native31launch_logcumsumexp_cuda_kernelERKNSB_10TensorBaseESF_lENKUlvE_clEvENKUlvE0_clEvEUlffE_fEEDaPvRmT3_T4_T5_mT6_P12ihipStream_tbENKUlT_T0_E_clISt17integral_constantIbLb0EESV_IbLb1EEEEDaSR_SS_EUlSR_E0_NS1_11comp_targetILNS1_3genE10ELNS1_11target_archE1200ELNS1_3gpuE4ELNS1_3repE0EEENS1_30default_config_static_selectorELNS0_4arch9wavefront6targetE1EEEvT1_,"axG",@progbits,_ZN7rocprim17ROCPRIM_400000_NS6detail17trampoline_kernelINS0_14default_configENS1_20scan_config_selectorIfEEZZNS1_9scan_implILNS1_25lookback_scan_determinismE0ELb0ELb0ES3_PKfPffZZZN2at6native31launch_logcumsumexp_cuda_kernelERKNSB_10TensorBaseESF_lENKUlvE_clEvENKUlvE0_clEvEUlffE_fEEDaPvRmT3_T4_T5_mT6_P12ihipStream_tbENKUlT_T0_E_clISt17integral_constantIbLb0EESV_IbLb1EEEEDaSR_SS_EUlSR_E0_NS1_11comp_targetILNS1_3genE10ELNS1_11target_archE1200ELNS1_3gpuE4ELNS1_3repE0EEENS1_30default_config_static_selectorELNS0_4arch9wavefront6targetE1EEEvT1_,comdat
.Lfunc_end176:
	.size	_ZN7rocprim17ROCPRIM_400000_NS6detail17trampoline_kernelINS0_14default_configENS1_20scan_config_selectorIfEEZZNS1_9scan_implILNS1_25lookback_scan_determinismE0ELb0ELb0ES3_PKfPffZZZN2at6native31launch_logcumsumexp_cuda_kernelERKNSB_10TensorBaseESF_lENKUlvE_clEvENKUlvE0_clEvEUlffE_fEEDaPvRmT3_T4_T5_mT6_P12ihipStream_tbENKUlT_T0_E_clISt17integral_constantIbLb0EESV_IbLb1EEEEDaSR_SS_EUlSR_E0_NS1_11comp_targetILNS1_3genE10ELNS1_11target_archE1200ELNS1_3gpuE4ELNS1_3repE0EEENS1_30default_config_static_selectorELNS0_4arch9wavefront6targetE1EEEvT1_, .Lfunc_end176-_ZN7rocprim17ROCPRIM_400000_NS6detail17trampoline_kernelINS0_14default_configENS1_20scan_config_selectorIfEEZZNS1_9scan_implILNS1_25lookback_scan_determinismE0ELb0ELb0ES3_PKfPffZZZN2at6native31launch_logcumsumexp_cuda_kernelERKNSB_10TensorBaseESF_lENKUlvE_clEvENKUlvE0_clEvEUlffE_fEEDaPvRmT3_T4_T5_mT6_P12ihipStream_tbENKUlT_T0_E_clISt17integral_constantIbLb0EESV_IbLb1EEEEDaSR_SS_EUlSR_E0_NS1_11comp_targetILNS1_3genE10ELNS1_11target_archE1200ELNS1_3gpuE4ELNS1_3repE0EEENS1_30default_config_static_selectorELNS0_4arch9wavefront6targetE1EEEvT1_
                                        ; -- End function
	.section	.AMDGPU.csdata,"",@progbits
; Kernel info:
; codeLenInByte = 0
; NumSgprs: 6
; NumVgprs: 0
; NumAgprs: 0
; TotalNumVgprs: 0
; ScratchSize: 0
; MemoryBound: 0
; FloatMode: 240
; IeeeMode: 1
; LDSByteSize: 0 bytes/workgroup (compile time only)
; SGPRBlocks: 0
; VGPRBlocks: 0
; NumSGPRsForWavesPerEU: 6
; NumVGPRsForWavesPerEU: 1
; AccumOffset: 4
; Occupancy: 8
; WaveLimiterHint : 0
; COMPUTE_PGM_RSRC2:SCRATCH_EN: 0
; COMPUTE_PGM_RSRC2:USER_SGPR: 2
; COMPUTE_PGM_RSRC2:TRAP_HANDLER: 0
; COMPUTE_PGM_RSRC2:TGID_X_EN: 1
; COMPUTE_PGM_RSRC2:TGID_Y_EN: 0
; COMPUTE_PGM_RSRC2:TGID_Z_EN: 0
; COMPUTE_PGM_RSRC2:TIDIG_COMP_CNT: 0
; COMPUTE_PGM_RSRC3_GFX90A:ACCUM_OFFSET: 0
; COMPUTE_PGM_RSRC3_GFX90A:TG_SPLIT: 0
	.section	.text._ZN7rocprim17ROCPRIM_400000_NS6detail17trampoline_kernelINS0_14default_configENS1_20scan_config_selectorIfEEZZNS1_9scan_implILNS1_25lookback_scan_determinismE0ELb0ELb0ES3_PKfPffZZZN2at6native31launch_logcumsumexp_cuda_kernelERKNSB_10TensorBaseESF_lENKUlvE_clEvENKUlvE0_clEvEUlffE_fEEDaPvRmT3_T4_T5_mT6_P12ihipStream_tbENKUlT_T0_E_clISt17integral_constantIbLb0EESV_IbLb1EEEEDaSR_SS_EUlSR_E0_NS1_11comp_targetILNS1_3genE9ELNS1_11target_archE1100ELNS1_3gpuE3ELNS1_3repE0EEENS1_30default_config_static_selectorELNS0_4arch9wavefront6targetE1EEEvT1_,"axG",@progbits,_ZN7rocprim17ROCPRIM_400000_NS6detail17trampoline_kernelINS0_14default_configENS1_20scan_config_selectorIfEEZZNS1_9scan_implILNS1_25lookback_scan_determinismE0ELb0ELb0ES3_PKfPffZZZN2at6native31launch_logcumsumexp_cuda_kernelERKNSB_10TensorBaseESF_lENKUlvE_clEvENKUlvE0_clEvEUlffE_fEEDaPvRmT3_T4_T5_mT6_P12ihipStream_tbENKUlT_T0_E_clISt17integral_constantIbLb0EESV_IbLb1EEEEDaSR_SS_EUlSR_E0_NS1_11comp_targetILNS1_3genE9ELNS1_11target_archE1100ELNS1_3gpuE3ELNS1_3repE0EEENS1_30default_config_static_selectorELNS0_4arch9wavefront6targetE1EEEvT1_,comdat
	.globl	_ZN7rocprim17ROCPRIM_400000_NS6detail17trampoline_kernelINS0_14default_configENS1_20scan_config_selectorIfEEZZNS1_9scan_implILNS1_25lookback_scan_determinismE0ELb0ELb0ES3_PKfPffZZZN2at6native31launch_logcumsumexp_cuda_kernelERKNSB_10TensorBaseESF_lENKUlvE_clEvENKUlvE0_clEvEUlffE_fEEDaPvRmT3_T4_T5_mT6_P12ihipStream_tbENKUlT_T0_E_clISt17integral_constantIbLb0EESV_IbLb1EEEEDaSR_SS_EUlSR_E0_NS1_11comp_targetILNS1_3genE9ELNS1_11target_archE1100ELNS1_3gpuE3ELNS1_3repE0EEENS1_30default_config_static_selectorELNS0_4arch9wavefront6targetE1EEEvT1_ ; -- Begin function _ZN7rocprim17ROCPRIM_400000_NS6detail17trampoline_kernelINS0_14default_configENS1_20scan_config_selectorIfEEZZNS1_9scan_implILNS1_25lookback_scan_determinismE0ELb0ELb0ES3_PKfPffZZZN2at6native31launch_logcumsumexp_cuda_kernelERKNSB_10TensorBaseESF_lENKUlvE_clEvENKUlvE0_clEvEUlffE_fEEDaPvRmT3_T4_T5_mT6_P12ihipStream_tbENKUlT_T0_E_clISt17integral_constantIbLb0EESV_IbLb1EEEEDaSR_SS_EUlSR_E0_NS1_11comp_targetILNS1_3genE9ELNS1_11target_archE1100ELNS1_3gpuE3ELNS1_3repE0EEENS1_30default_config_static_selectorELNS0_4arch9wavefront6targetE1EEEvT1_
	.p2align	8
	.type	_ZN7rocprim17ROCPRIM_400000_NS6detail17trampoline_kernelINS0_14default_configENS1_20scan_config_selectorIfEEZZNS1_9scan_implILNS1_25lookback_scan_determinismE0ELb0ELb0ES3_PKfPffZZZN2at6native31launch_logcumsumexp_cuda_kernelERKNSB_10TensorBaseESF_lENKUlvE_clEvENKUlvE0_clEvEUlffE_fEEDaPvRmT3_T4_T5_mT6_P12ihipStream_tbENKUlT_T0_E_clISt17integral_constantIbLb0EESV_IbLb1EEEEDaSR_SS_EUlSR_E0_NS1_11comp_targetILNS1_3genE9ELNS1_11target_archE1100ELNS1_3gpuE3ELNS1_3repE0EEENS1_30default_config_static_selectorELNS0_4arch9wavefront6targetE1EEEvT1_,@function
_ZN7rocprim17ROCPRIM_400000_NS6detail17trampoline_kernelINS0_14default_configENS1_20scan_config_selectorIfEEZZNS1_9scan_implILNS1_25lookback_scan_determinismE0ELb0ELb0ES3_PKfPffZZZN2at6native31launch_logcumsumexp_cuda_kernelERKNSB_10TensorBaseESF_lENKUlvE_clEvENKUlvE0_clEvEUlffE_fEEDaPvRmT3_T4_T5_mT6_P12ihipStream_tbENKUlT_T0_E_clISt17integral_constantIbLb0EESV_IbLb1EEEEDaSR_SS_EUlSR_E0_NS1_11comp_targetILNS1_3genE9ELNS1_11target_archE1100ELNS1_3gpuE3ELNS1_3repE0EEENS1_30default_config_static_selectorELNS0_4arch9wavefront6targetE1EEEvT1_: ; @_ZN7rocprim17ROCPRIM_400000_NS6detail17trampoline_kernelINS0_14default_configENS1_20scan_config_selectorIfEEZZNS1_9scan_implILNS1_25lookback_scan_determinismE0ELb0ELb0ES3_PKfPffZZZN2at6native31launch_logcumsumexp_cuda_kernelERKNSB_10TensorBaseESF_lENKUlvE_clEvENKUlvE0_clEvEUlffE_fEEDaPvRmT3_T4_T5_mT6_P12ihipStream_tbENKUlT_T0_E_clISt17integral_constantIbLb0EESV_IbLb1EEEEDaSR_SS_EUlSR_E0_NS1_11comp_targetILNS1_3genE9ELNS1_11target_archE1100ELNS1_3gpuE3ELNS1_3repE0EEENS1_30default_config_static_selectorELNS0_4arch9wavefront6targetE1EEEvT1_
; %bb.0:
	.section	.rodata,"a",@progbits
	.p2align	6, 0x0
	.amdhsa_kernel _ZN7rocprim17ROCPRIM_400000_NS6detail17trampoline_kernelINS0_14default_configENS1_20scan_config_selectorIfEEZZNS1_9scan_implILNS1_25lookback_scan_determinismE0ELb0ELb0ES3_PKfPffZZZN2at6native31launch_logcumsumexp_cuda_kernelERKNSB_10TensorBaseESF_lENKUlvE_clEvENKUlvE0_clEvEUlffE_fEEDaPvRmT3_T4_T5_mT6_P12ihipStream_tbENKUlT_T0_E_clISt17integral_constantIbLb0EESV_IbLb1EEEEDaSR_SS_EUlSR_E0_NS1_11comp_targetILNS1_3genE9ELNS1_11target_archE1100ELNS1_3gpuE3ELNS1_3repE0EEENS1_30default_config_static_selectorELNS0_4arch9wavefront6targetE1EEEvT1_
		.amdhsa_group_segment_fixed_size 0
		.amdhsa_private_segment_fixed_size 0
		.amdhsa_kernarg_size 32
		.amdhsa_user_sgpr_count 2
		.amdhsa_user_sgpr_dispatch_ptr 0
		.amdhsa_user_sgpr_queue_ptr 0
		.amdhsa_user_sgpr_kernarg_segment_ptr 1
		.amdhsa_user_sgpr_dispatch_id 0
		.amdhsa_user_sgpr_kernarg_preload_length 0
		.amdhsa_user_sgpr_kernarg_preload_offset 0
		.amdhsa_user_sgpr_private_segment_size 0
		.amdhsa_uses_dynamic_stack 0
		.amdhsa_enable_private_segment 0
		.amdhsa_system_sgpr_workgroup_id_x 1
		.amdhsa_system_sgpr_workgroup_id_y 0
		.amdhsa_system_sgpr_workgroup_id_z 0
		.amdhsa_system_sgpr_workgroup_info 0
		.amdhsa_system_vgpr_workitem_id 0
		.amdhsa_next_free_vgpr 1
		.amdhsa_next_free_sgpr 0
		.amdhsa_accum_offset 4
		.amdhsa_reserve_vcc 0
		.amdhsa_float_round_mode_32 0
		.amdhsa_float_round_mode_16_64 0
		.amdhsa_float_denorm_mode_32 3
		.amdhsa_float_denorm_mode_16_64 3
		.amdhsa_dx10_clamp 1
		.amdhsa_ieee_mode 1
		.amdhsa_fp16_overflow 0
		.amdhsa_tg_split 0
		.amdhsa_exception_fp_ieee_invalid_op 0
		.amdhsa_exception_fp_denorm_src 0
		.amdhsa_exception_fp_ieee_div_zero 0
		.amdhsa_exception_fp_ieee_overflow 0
		.amdhsa_exception_fp_ieee_underflow 0
		.amdhsa_exception_fp_ieee_inexact 0
		.amdhsa_exception_int_div_zero 0
	.end_amdhsa_kernel
	.section	.text._ZN7rocprim17ROCPRIM_400000_NS6detail17trampoline_kernelINS0_14default_configENS1_20scan_config_selectorIfEEZZNS1_9scan_implILNS1_25lookback_scan_determinismE0ELb0ELb0ES3_PKfPffZZZN2at6native31launch_logcumsumexp_cuda_kernelERKNSB_10TensorBaseESF_lENKUlvE_clEvENKUlvE0_clEvEUlffE_fEEDaPvRmT3_T4_T5_mT6_P12ihipStream_tbENKUlT_T0_E_clISt17integral_constantIbLb0EESV_IbLb1EEEEDaSR_SS_EUlSR_E0_NS1_11comp_targetILNS1_3genE9ELNS1_11target_archE1100ELNS1_3gpuE3ELNS1_3repE0EEENS1_30default_config_static_selectorELNS0_4arch9wavefront6targetE1EEEvT1_,"axG",@progbits,_ZN7rocprim17ROCPRIM_400000_NS6detail17trampoline_kernelINS0_14default_configENS1_20scan_config_selectorIfEEZZNS1_9scan_implILNS1_25lookback_scan_determinismE0ELb0ELb0ES3_PKfPffZZZN2at6native31launch_logcumsumexp_cuda_kernelERKNSB_10TensorBaseESF_lENKUlvE_clEvENKUlvE0_clEvEUlffE_fEEDaPvRmT3_T4_T5_mT6_P12ihipStream_tbENKUlT_T0_E_clISt17integral_constantIbLb0EESV_IbLb1EEEEDaSR_SS_EUlSR_E0_NS1_11comp_targetILNS1_3genE9ELNS1_11target_archE1100ELNS1_3gpuE3ELNS1_3repE0EEENS1_30default_config_static_selectorELNS0_4arch9wavefront6targetE1EEEvT1_,comdat
.Lfunc_end177:
	.size	_ZN7rocprim17ROCPRIM_400000_NS6detail17trampoline_kernelINS0_14default_configENS1_20scan_config_selectorIfEEZZNS1_9scan_implILNS1_25lookback_scan_determinismE0ELb0ELb0ES3_PKfPffZZZN2at6native31launch_logcumsumexp_cuda_kernelERKNSB_10TensorBaseESF_lENKUlvE_clEvENKUlvE0_clEvEUlffE_fEEDaPvRmT3_T4_T5_mT6_P12ihipStream_tbENKUlT_T0_E_clISt17integral_constantIbLb0EESV_IbLb1EEEEDaSR_SS_EUlSR_E0_NS1_11comp_targetILNS1_3genE9ELNS1_11target_archE1100ELNS1_3gpuE3ELNS1_3repE0EEENS1_30default_config_static_selectorELNS0_4arch9wavefront6targetE1EEEvT1_, .Lfunc_end177-_ZN7rocprim17ROCPRIM_400000_NS6detail17trampoline_kernelINS0_14default_configENS1_20scan_config_selectorIfEEZZNS1_9scan_implILNS1_25lookback_scan_determinismE0ELb0ELb0ES3_PKfPffZZZN2at6native31launch_logcumsumexp_cuda_kernelERKNSB_10TensorBaseESF_lENKUlvE_clEvENKUlvE0_clEvEUlffE_fEEDaPvRmT3_T4_T5_mT6_P12ihipStream_tbENKUlT_T0_E_clISt17integral_constantIbLb0EESV_IbLb1EEEEDaSR_SS_EUlSR_E0_NS1_11comp_targetILNS1_3genE9ELNS1_11target_archE1100ELNS1_3gpuE3ELNS1_3repE0EEENS1_30default_config_static_selectorELNS0_4arch9wavefront6targetE1EEEvT1_
                                        ; -- End function
	.section	.AMDGPU.csdata,"",@progbits
; Kernel info:
; codeLenInByte = 0
; NumSgprs: 6
; NumVgprs: 0
; NumAgprs: 0
; TotalNumVgprs: 0
; ScratchSize: 0
; MemoryBound: 0
; FloatMode: 240
; IeeeMode: 1
; LDSByteSize: 0 bytes/workgroup (compile time only)
; SGPRBlocks: 0
; VGPRBlocks: 0
; NumSGPRsForWavesPerEU: 6
; NumVGPRsForWavesPerEU: 1
; AccumOffset: 4
; Occupancy: 8
; WaveLimiterHint : 0
; COMPUTE_PGM_RSRC2:SCRATCH_EN: 0
; COMPUTE_PGM_RSRC2:USER_SGPR: 2
; COMPUTE_PGM_RSRC2:TRAP_HANDLER: 0
; COMPUTE_PGM_RSRC2:TGID_X_EN: 1
; COMPUTE_PGM_RSRC2:TGID_Y_EN: 0
; COMPUTE_PGM_RSRC2:TGID_Z_EN: 0
; COMPUTE_PGM_RSRC2:TIDIG_COMP_CNT: 0
; COMPUTE_PGM_RSRC3_GFX90A:ACCUM_OFFSET: 0
; COMPUTE_PGM_RSRC3_GFX90A:TG_SPLIT: 0
	.section	.text._ZN7rocprim17ROCPRIM_400000_NS6detail17trampoline_kernelINS0_14default_configENS1_20scan_config_selectorIfEEZZNS1_9scan_implILNS1_25lookback_scan_determinismE0ELb0ELb0ES3_PKfPffZZZN2at6native31launch_logcumsumexp_cuda_kernelERKNSB_10TensorBaseESF_lENKUlvE_clEvENKUlvE0_clEvEUlffE_fEEDaPvRmT3_T4_T5_mT6_P12ihipStream_tbENKUlT_T0_E_clISt17integral_constantIbLb0EESV_IbLb1EEEEDaSR_SS_EUlSR_E0_NS1_11comp_targetILNS1_3genE8ELNS1_11target_archE1030ELNS1_3gpuE2ELNS1_3repE0EEENS1_30default_config_static_selectorELNS0_4arch9wavefront6targetE1EEEvT1_,"axG",@progbits,_ZN7rocprim17ROCPRIM_400000_NS6detail17trampoline_kernelINS0_14default_configENS1_20scan_config_selectorIfEEZZNS1_9scan_implILNS1_25lookback_scan_determinismE0ELb0ELb0ES3_PKfPffZZZN2at6native31launch_logcumsumexp_cuda_kernelERKNSB_10TensorBaseESF_lENKUlvE_clEvENKUlvE0_clEvEUlffE_fEEDaPvRmT3_T4_T5_mT6_P12ihipStream_tbENKUlT_T0_E_clISt17integral_constantIbLb0EESV_IbLb1EEEEDaSR_SS_EUlSR_E0_NS1_11comp_targetILNS1_3genE8ELNS1_11target_archE1030ELNS1_3gpuE2ELNS1_3repE0EEENS1_30default_config_static_selectorELNS0_4arch9wavefront6targetE1EEEvT1_,comdat
	.globl	_ZN7rocprim17ROCPRIM_400000_NS6detail17trampoline_kernelINS0_14default_configENS1_20scan_config_selectorIfEEZZNS1_9scan_implILNS1_25lookback_scan_determinismE0ELb0ELb0ES3_PKfPffZZZN2at6native31launch_logcumsumexp_cuda_kernelERKNSB_10TensorBaseESF_lENKUlvE_clEvENKUlvE0_clEvEUlffE_fEEDaPvRmT3_T4_T5_mT6_P12ihipStream_tbENKUlT_T0_E_clISt17integral_constantIbLb0EESV_IbLb1EEEEDaSR_SS_EUlSR_E0_NS1_11comp_targetILNS1_3genE8ELNS1_11target_archE1030ELNS1_3gpuE2ELNS1_3repE0EEENS1_30default_config_static_selectorELNS0_4arch9wavefront6targetE1EEEvT1_ ; -- Begin function _ZN7rocprim17ROCPRIM_400000_NS6detail17trampoline_kernelINS0_14default_configENS1_20scan_config_selectorIfEEZZNS1_9scan_implILNS1_25lookback_scan_determinismE0ELb0ELb0ES3_PKfPffZZZN2at6native31launch_logcumsumexp_cuda_kernelERKNSB_10TensorBaseESF_lENKUlvE_clEvENKUlvE0_clEvEUlffE_fEEDaPvRmT3_T4_T5_mT6_P12ihipStream_tbENKUlT_T0_E_clISt17integral_constantIbLb0EESV_IbLb1EEEEDaSR_SS_EUlSR_E0_NS1_11comp_targetILNS1_3genE8ELNS1_11target_archE1030ELNS1_3gpuE2ELNS1_3repE0EEENS1_30default_config_static_selectorELNS0_4arch9wavefront6targetE1EEEvT1_
	.p2align	8
	.type	_ZN7rocprim17ROCPRIM_400000_NS6detail17trampoline_kernelINS0_14default_configENS1_20scan_config_selectorIfEEZZNS1_9scan_implILNS1_25lookback_scan_determinismE0ELb0ELb0ES3_PKfPffZZZN2at6native31launch_logcumsumexp_cuda_kernelERKNSB_10TensorBaseESF_lENKUlvE_clEvENKUlvE0_clEvEUlffE_fEEDaPvRmT3_T4_T5_mT6_P12ihipStream_tbENKUlT_T0_E_clISt17integral_constantIbLb0EESV_IbLb1EEEEDaSR_SS_EUlSR_E0_NS1_11comp_targetILNS1_3genE8ELNS1_11target_archE1030ELNS1_3gpuE2ELNS1_3repE0EEENS1_30default_config_static_selectorELNS0_4arch9wavefront6targetE1EEEvT1_,@function
_ZN7rocprim17ROCPRIM_400000_NS6detail17trampoline_kernelINS0_14default_configENS1_20scan_config_selectorIfEEZZNS1_9scan_implILNS1_25lookback_scan_determinismE0ELb0ELb0ES3_PKfPffZZZN2at6native31launch_logcumsumexp_cuda_kernelERKNSB_10TensorBaseESF_lENKUlvE_clEvENKUlvE0_clEvEUlffE_fEEDaPvRmT3_T4_T5_mT6_P12ihipStream_tbENKUlT_T0_E_clISt17integral_constantIbLb0EESV_IbLb1EEEEDaSR_SS_EUlSR_E0_NS1_11comp_targetILNS1_3genE8ELNS1_11target_archE1030ELNS1_3gpuE2ELNS1_3repE0EEENS1_30default_config_static_selectorELNS0_4arch9wavefront6targetE1EEEvT1_: ; @_ZN7rocprim17ROCPRIM_400000_NS6detail17trampoline_kernelINS0_14default_configENS1_20scan_config_selectorIfEEZZNS1_9scan_implILNS1_25lookback_scan_determinismE0ELb0ELb0ES3_PKfPffZZZN2at6native31launch_logcumsumexp_cuda_kernelERKNSB_10TensorBaseESF_lENKUlvE_clEvENKUlvE0_clEvEUlffE_fEEDaPvRmT3_T4_T5_mT6_P12ihipStream_tbENKUlT_T0_E_clISt17integral_constantIbLb0EESV_IbLb1EEEEDaSR_SS_EUlSR_E0_NS1_11comp_targetILNS1_3genE8ELNS1_11target_archE1030ELNS1_3gpuE2ELNS1_3repE0EEENS1_30default_config_static_selectorELNS0_4arch9wavefront6targetE1EEEvT1_
; %bb.0:
	.section	.rodata,"a",@progbits
	.p2align	6, 0x0
	.amdhsa_kernel _ZN7rocprim17ROCPRIM_400000_NS6detail17trampoline_kernelINS0_14default_configENS1_20scan_config_selectorIfEEZZNS1_9scan_implILNS1_25lookback_scan_determinismE0ELb0ELb0ES3_PKfPffZZZN2at6native31launch_logcumsumexp_cuda_kernelERKNSB_10TensorBaseESF_lENKUlvE_clEvENKUlvE0_clEvEUlffE_fEEDaPvRmT3_T4_T5_mT6_P12ihipStream_tbENKUlT_T0_E_clISt17integral_constantIbLb0EESV_IbLb1EEEEDaSR_SS_EUlSR_E0_NS1_11comp_targetILNS1_3genE8ELNS1_11target_archE1030ELNS1_3gpuE2ELNS1_3repE0EEENS1_30default_config_static_selectorELNS0_4arch9wavefront6targetE1EEEvT1_
		.amdhsa_group_segment_fixed_size 0
		.amdhsa_private_segment_fixed_size 0
		.amdhsa_kernarg_size 32
		.amdhsa_user_sgpr_count 2
		.amdhsa_user_sgpr_dispatch_ptr 0
		.amdhsa_user_sgpr_queue_ptr 0
		.amdhsa_user_sgpr_kernarg_segment_ptr 1
		.amdhsa_user_sgpr_dispatch_id 0
		.amdhsa_user_sgpr_kernarg_preload_length 0
		.amdhsa_user_sgpr_kernarg_preload_offset 0
		.amdhsa_user_sgpr_private_segment_size 0
		.amdhsa_uses_dynamic_stack 0
		.amdhsa_enable_private_segment 0
		.amdhsa_system_sgpr_workgroup_id_x 1
		.amdhsa_system_sgpr_workgroup_id_y 0
		.amdhsa_system_sgpr_workgroup_id_z 0
		.amdhsa_system_sgpr_workgroup_info 0
		.amdhsa_system_vgpr_workitem_id 0
		.amdhsa_next_free_vgpr 1
		.amdhsa_next_free_sgpr 0
		.amdhsa_accum_offset 4
		.amdhsa_reserve_vcc 0
		.amdhsa_float_round_mode_32 0
		.amdhsa_float_round_mode_16_64 0
		.amdhsa_float_denorm_mode_32 3
		.amdhsa_float_denorm_mode_16_64 3
		.amdhsa_dx10_clamp 1
		.amdhsa_ieee_mode 1
		.amdhsa_fp16_overflow 0
		.amdhsa_tg_split 0
		.amdhsa_exception_fp_ieee_invalid_op 0
		.amdhsa_exception_fp_denorm_src 0
		.amdhsa_exception_fp_ieee_div_zero 0
		.amdhsa_exception_fp_ieee_overflow 0
		.amdhsa_exception_fp_ieee_underflow 0
		.amdhsa_exception_fp_ieee_inexact 0
		.amdhsa_exception_int_div_zero 0
	.end_amdhsa_kernel
	.section	.text._ZN7rocprim17ROCPRIM_400000_NS6detail17trampoline_kernelINS0_14default_configENS1_20scan_config_selectorIfEEZZNS1_9scan_implILNS1_25lookback_scan_determinismE0ELb0ELb0ES3_PKfPffZZZN2at6native31launch_logcumsumexp_cuda_kernelERKNSB_10TensorBaseESF_lENKUlvE_clEvENKUlvE0_clEvEUlffE_fEEDaPvRmT3_T4_T5_mT6_P12ihipStream_tbENKUlT_T0_E_clISt17integral_constantIbLb0EESV_IbLb1EEEEDaSR_SS_EUlSR_E0_NS1_11comp_targetILNS1_3genE8ELNS1_11target_archE1030ELNS1_3gpuE2ELNS1_3repE0EEENS1_30default_config_static_selectorELNS0_4arch9wavefront6targetE1EEEvT1_,"axG",@progbits,_ZN7rocprim17ROCPRIM_400000_NS6detail17trampoline_kernelINS0_14default_configENS1_20scan_config_selectorIfEEZZNS1_9scan_implILNS1_25lookback_scan_determinismE0ELb0ELb0ES3_PKfPffZZZN2at6native31launch_logcumsumexp_cuda_kernelERKNSB_10TensorBaseESF_lENKUlvE_clEvENKUlvE0_clEvEUlffE_fEEDaPvRmT3_T4_T5_mT6_P12ihipStream_tbENKUlT_T0_E_clISt17integral_constantIbLb0EESV_IbLb1EEEEDaSR_SS_EUlSR_E0_NS1_11comp_targetILNS1_3genE8ELNS1_11target_archE1030ELNS1_3gpuE2ELNS1_3repE0EEENS1_30default_config_static_selectorELNS0_4arch9wavefront6targetE1EEEvT1_,comdat
.Lfunc_end178:
	.size	_ZN7rocprim17ROCPRIM_400000_NS6detail17trampoline_kernelINS0_14default_configENS1_20scan_config_selectorIfEEZZNS1_9scan_implILNS1_25lookback_scan_determinismE0ELb0ELb0ES3_PKfPffZZZN2at6native31launch_logcumsumexp_cuda_kernelERKNSB_10TensorBaseESF_lENKUlvE_clEvENKUlvE0_clEvEUlffE_fEEDaPvRmT3_T4_T5_mT6_P12ihipStream_tbENKUlT_T0_E_clISt17integral_constantIbLb0EESV_IbLb1EEEEDaSR_SS_EUlSR_E0_NS1_11comp_targetILNS1_3genE8ELNS1_11target_archE1030ELNS1_3gpuE2ELNS1_3repE0EEENS1_30default_config_static_selectorELNS0_4arch9wavefront6targetE1EEEvT1_, .Lfunc_end178-_ZN7rocprim17ROCPRIM_400000_NS6detail17trampoline_kernelINS0_14default_configENS1_20scan_config_selectorIfEEZZNS1_9scan_implILNS1_25lookback_scan_determinismE0ELb0ELb0ES3_PKfPffZZZN2at6native31launch_logcumsumexp_cuda_kernelERKNSB_10TensorBaseESF_lENKUlvE_clEvENKUlvE0_clEvEUlffE_fEEDaPvRmT3_T4_T5_mT6_P12ihipStream_tbENKUlT_T0_E_clISt17integral_constantIbLb0EESV_IbLb1EEEEDaSR_SS_EUlSR_E0_NS1_11comp_targetILNS1_3genE8ELNS1_11target_archE1030ELNS1_3gpuE2ELNS1_3repE0EEENS1_30default_config_static_selectorELNS0_4arch9wavefront6targetE1EEEvT1_
                                        ; -- End function
	.section	.AMDGPU.csdata,"",@progbits
; Kernel info:
; codeLenInByte = 0
; NumSgprs: 6
; NumVgprs: 0
; NumAgprs: 0
; TotalNumVgprs: 0
; ScratchSize: 0
; MemoryBound: 0
; FloatMode: 240
; IeeeMode: 1
; LDSByteSize: 0 bytes/workgroup (compile time only)
; SGPRBlocks: 0
; VGPRBlocks: 0
; NumSGPRsForWavesPerEU: 6
; NumVGPRsForWavesPerEU: 1
; AccumOffset: 4
; Occupancy: 8
; WaveLimiterHint : 0
; COMPUTE_PGM_RSRC2:SCRATCH_EN: 0
; COMPUTE_PGM_RSRC2:USER_SGPR: 2
; COMPUTE_PGM_RSRC2:TRAP_HANDLER: 0
; COMPUTE_PGM_RSRC2:TGID_X_EN: 1
; COMPUTE_PGM_RSRC2:TGID_Y_EN: 0
; COMPUTE_PGM_RSRC2:TGID_Z_EN: 0
; COMPUTE_PGM_RSRC2:TIDIG_COMP_CNT: 0
; COMPUTE_PGM_RSRC3_GFX90A:ACCUM_OFFSET: 0
; COMPUTE_PGM_RSRC3_GFX90A:TG_SPLIT: 0
	.section	.text._ZN2at6native32tensor_kernel_scan_innermost_dimIfZZZNS0_31launch_logcumsumexp_cuda_kernelERKNS_10TensorBaseES4_lENKUlvE_clEvENKUlvE0_clEvEUlffE_EEvPT_PKS8_jjjS8_T0_,"axG",@progbits,_ZN2at6native32tensor_kernel_scan_innermost_dimIfZZZNS0_31launch_logcumsumexp_cuda_kernelERKNS_10TensorBaseES4_lENKUlvE_clEvENKUlvE0_clEvEUlffE_EEvPT_PKS8_jjjS8_T0_,comdat
	.globl	_ZN2at6native32tensor_kernel_scan_innermost_dimIfZZZNS0_31launch_logcumsumexp_cuda_kernelERKNS_10TensorBaseES4_lENKUlvE_clEvENKUlvE0_clEvEUlffE_EEvPT_PKS8_jjjS8_T0_ ; -- Begin function _ZN2at6native32tensor_kernel_scan_innermost_dimIfZZZNS0_31launch_logcumsumexp_cuda_kernelERKNS_10TensorBaseES4_lENKUlvE_clEvENKUlvE0_clEvEUlffE_EEvPT_PKS8_jjjS8_T0_
	.p2align	8
	.type	_ZN2at6native32tensor_kernel_scan_innermost_dimIfZZZNS0_31launch_logcumsumexp_cuda_kernelERKNS_10TensorBaseES4_lENKUlvE_clEvENKUlvE0_clEvEUlffE_EEvPT_PKS8_jjjS8_T0_,@function
_ZN2at6native32tensor_kernel_scan_innermost_dimIfZZZNS0_31launch_logcumsumexp_cuda_kernelERKNS_10TensorBaseES4_lENKUlvE_clEvENKUlvE0_clEvEUlffE_EEvPT_PKS8_jjjS8_T0_: ; @_ZN2at6native32tensor_kernel_scan_innermost_dimIfZZZNS0_31launch_logcumsumexp_cuda_kernelERKNS_10TensorBaseES4_lENKUlvE_clEvENKUlvE0_clEvEUlffE_EEvPT_PKS8_jjjS8_T0_
; %bb.0:
	s_load_dwordx8 s[16:23], s[0:1], 0x0
	v_bfe_u32 v2, v0, 10, 10
	s_waitcnt lgkmcnt(0)
	s_lshl_b32 s3, 2, s22
	v_mul_lo_u32 v1, s3, v2
	s_mul_hi_u32 s4, s20, s21
	s_mov_b32 s14, s20
	v_lshl_add_u32 v18, v1, 2, 0
	s_cmp_lg_u32 s4, 0
	s_mov_b64 s[4:5], -1
	s_cbranch_scc1 .LBB179_30
; %bb.1:
	s_load_dword s6, s[0:1], 0x34
	s_add_u32 s4, s0, 40
	s_addc_u32 s5, s1, 0
	s_waitcnt lgkmcnt(0)
	s_lshr_b32 s6, s6, 16
	s_mul_i32 s15, s2, s6
	s_cmp_ge_u32 s15, s20
	s_cbranch_scc1 .LBB179_29
; %bb.2:
	s_load_dword s29, s[4:5], 0x0
	s_lshl_b32 s28, 1, s22
	s_cmp_lg_u32 s21, 0
	v_and_b32_e32 v1, 0x3ff, v0
	s_cselect_b64 s[4:5], -1, 0
	v_lshl_add_u32 v3, v1, 2, v18
	v_add_u32_e32 v15, -4, v18
	v_cndmask_b32_e64 v4, 0, 1, s[4:5]
	v_lshl_add_u32 v14, s28, 2, v3
	v_cmp_eq_u32_e64 s[8:9], 0, v1
	v_lshl_add_u32 v16, s3, 2, v15
	s_waitcnt lgkmcnt(0)
	s_mul_i32 s29, s29, s6
	s_add_i32 s30, s22, 1
	v_cmp_ne_u32_e64 s[4:5], 1, v4
	v_mov_b32_e32 v5, 0
	s_movk_i32 s31, 0x1f8
	s_mov_b32 s33, 0x3fb8aa3b
	s_mov_b32 s34, 0xc2ce8ed0
	;; [unrolled: 1-line block ×5, first 2 shown]
	v_mov_b32_e32 v17, 0x3ecc95a3
	s_mov_b32 s38, 0x3f317218
	s_mov_b32 s39, 0x33800000
	v_mov_b32_e32 v19, 0x7f800000
	v_mov_b32_e32 v6, 0x3f317218
                                        ; implicit-def: $vgpr4
	s_branch .LBB179_4
.LBB179_3:                              ;   in Loop: Header=BB179_4 Depth=1
	s_add_i32 s15, s15, s29
	s_cmp_ge_u32 s15, s20
	s_cbranch_scc1 .LBB179_29
.LBB179_4:                              ; =>This Loop Header: Depth=1
                                        ;     Child Loop BB179_7 Depth 2
                                        ;       Child Loop BB179_19 Depth 3
	s_and_b64 vcc, exec, s[4:5]
	s_cbranch_vccnz .LBB179_3
; %bb.5:                                ;   in Loop: Header=BB179_4 Depth=1
	v_add_u32_e32 v7, s15, v2
	v_mul_lo_u32 v4, v7, s21
	v_lshlrev_b64 v[10:11], 2, v[4:5]
	v_lshl_add_u64 v[8:9], s[18:19], 0, v[10:11]
	v_lshl_add_u64 v[10:11], s[16:17], 0, v[10:11]
	v_cmp_gt_u32_e32 vcc, s20, v7
	v_cmp_le_u32_e64 s[6:7], s20, v7
	s_mov_b32 s40, 0
	v_mov_b32_e32 v7, s23
	s_branch .LBB179_7
.LBB179_6:                              ;   in Loop: Header=BB179_7 Depth=2
	s_or_b64 exec, exec, s[12:13]
	ds_read_b32 v7, v16
	s_add_i32 s40, s40, s3
	s_cmp_ge_u32 s40, s21
	s_waitcnt lgkmcnt(0)
	s_barrier
	s_cbranch_scc1 .LBB179_3
.LBB179_7:                              ;   Parent Loop BB179_4 Depth=1
                                        ; =>  This Loop Header: Depth=2
                                        ;       Child Loop BB179_19 Depth 3
	v_add_u32_e32 v4, s40, v1
	v_add_u32_e32 v12, s28, v4
	s_and_saveexec_b64 s[24:25], vcc
	s_cbranch_execz .LBB179_16
; %bb.8:                                ;   in Loop: Header=BB179_7 Depth=2
	v_cmp_gt_u32_e64 s[10:11], s21, v4
	v_mov_b32_e32 v13, s23
	s_and_saveexec_b64 s[12:13], s[10:11]
	s_cbranch_execz .LBB179_10
; %bb.9:                                ;   in Loop: Header=BB179_7 Depth=2
	v_lshl_add_u64 v[20:21], v[4:5], 2, v[8:9]
	global_load_dword v13, v[20:21], off
.LBB179_10:                             ;   in Loop: Header=BB179_7 Depth=2
	s_or_b64 exec, exec, s[12:13]
	s_waitcnt vmcnt(0)
	ds_write_b32 v3, v13
	v_cmp_gt_u32_e64 s[10:11], s21, v12
	v_mov_b32_e32 v13, s23
	s_and_saveexec_b64 s[12:13], s[10:11]
	s_cbranch_execz .LBB179_12
; %bb.11:                               ;   in Loop: Header=BB179_7 Depth=2
	v_mov_b32_e32 v13, v5
	v_lshl_add_u64 v[20:21], v[12:13], 2, v[8:9]
	global_load_dword v13, v[20:21], off
.LBB179_12:                             ;   in Loop: Header=BB179_7 Depth=2
	s_or_b64 exec, exec, s[12:13]
	s_waitcnt vmcnt(0)
	ds_write_b32 v14, v13
	s_and_b64 exec, exec, s[8:9]
	s_cbranch_execz .LBB179_16
; %bb.13:                               ;   in Loop: Header=BB179_7 Depth=2
	ds_read_b32 v20, v18
	v_max_f32_e32 v13, v7, v7
	v_cmp_u_f32_e64 s[12:13], v7, v7
	s_waitcnt lgkmcnt(0)
	v_max_f32_e32 v21, v20, v20
	v_min_f32_e32 v22, v21, v13
	v_max_f32_e32 v13, v21, v13
	v_cmp_u_f32_e64 s[10:11], v20, v20
	s_nop 1
	v_cndmask_b32_e64 v21, v22, v20, s[10:11]
	v_cndmask_b32_e64 v13, v13, v20, s[10:11]
	;; [unrolled: 1-line block ×4, first 2 shown]
	v_cmp_neq_f32_e64 s[10:11], v21, v13
	v_cmp_class_f32_e64 s[12:13], v21, s31
	s_or_b64 s[10:11], s[10:11], s[12:13]
	s_and_saveexec_b64 s[12:13], s[10:11]
	s_cbranch_execz .LBB179_15
; %bb.14:                               ;   in Loop: Header=BB179_7 Depth=2
	v_sub_f32_e32 v7, v21, v13
	v_mul_f32_e32 v20, 0x3fb8aa3b, v7
	v_fma_f32 v21, v7, s33, -v20
	v_rndne_f32_e32 v22, v20
	v_fmac_f32_e32 v21, 0x32a5705f, v7
	v_sub_f32_e32 v20, v20, v22
	v_add_f32_e32 v20, v20, v21
	v_cvt_i32_f32_e32 v21, v22
	v_exp_f32_e32 v20, v20
	v_cmp_ngt_f32_e64 s[10:11], s34, v7
	v_ldexp_f32 v20, v20, v21
	s_nop 0
	v_cndmask_b32_e64 v20, 0, v20, s[10:11]
	v_cmp_nlt_f32_e64 s[10:11], s35, v7
	s_nop 1
	v_cndmask_b32_e64 v36, v19, v20, s[10:11]
	v_add_f32_e32 v7, 1.0, v36
	v_add_f32_e32 v20, -1.0, v7
	v_sub_f32_e32 v21, v20, v7
	v_add_f32_e32 v21, 1.0, v21
	v_sub_f32_e32 v20, v36, v20
	v_add_f32_e32 v22, v20, v21
	v_frexp_mant_f32_e32 v23, v7
	v_cvt_f64_f32_e32 v[20:21], v7
	v_frexp_exp_i32_f64_e32 v20, v[20:21]
	v_cmp_gt_f32_e64 s[10:11], s37, v23
	v_cmp_lt_f32_e64 s[26:27], |v36|, s39
	s_nop 0
	v_subbrev_co_u32_e64 v28, s[10:11], 0, v20, s[10:11]
	v_sub_u32_e32 v20, 0, v28
	v_ldexp_f32 v7, v7, v20
	v_ldexp_f32 v20, v22, v20
	v_add_f32_e32 v22, -1.0, v7
	v_add_f32_e32 v21, 1.0, v22
	v_sub_f32_e32 v21, v7, v21
	v_add_f32_e32 v23, v20, v21
	v_add_f32_e32 v21, 1.0, v7
	v_add_f32_e32 v24, -1.0, v21
	v_sub_f32_e32 v7, v7, v24
	v_add_f32_e32 v7, v20, v7
	v_add_f32_e32 v29, v21, v7
	v_rcp_f32_e32 v30, v29
	v_sub_f32_e32 v20, v21, v29
	v_add_f32_e32 v21, v22, v23
	v_add_f32_e32 v7, v7, v20
	v_mul_f32_e32 v32, v21, v30
	v_sub_f32_e32 v20, v22, v21
	v_mul_f32_e32 v22, v29, v32
	v_fma_f32 v24, v32, v29, -v22
	v_fmac_f32_e32 v24, v32, v7
	v_add_f32_e32 v31, v23, v20
	v_add_f32_e32 v20, v22, v24
	v_sub_f32_e32 v23, v21, v20
	v_pk_add_f32 v[26:27], v[20:21], v[22:23] neg_lo:[0,1] neg_hi:[0,1]
	v_mov_b32_e32 v25, v20
	v_pk_add_f32 v[20:21], v[26:27], v[24:25] neg_lo:[0,1] neg_hi:[0,1]
	v_cmp_eq_f32_e64 s[10:11], s36, v36
	v_add_f32_e32 v21, v31, v21
	v_add_f32_e32 v20, v20, v21
	;; [unrolled: 1-line block ×3, first 2 shown]
	v_mul_f32_e32 v31, v30, v21
	v_mul_f32_e32 v22, v29, v31
	v_fma_f32 v24, v31, v29, -v22
	v_fmac_f32_e32 v24, v31, v7
	v_sub_f32_e32 v7, v23, v21
	v_add_f32_e32 v7, v20, v7
	v_add_f32_e32 v20, v22, v24
	v_sub_f32_e32 v23, v21, v20
	v_pk_add_f32 v[26:27], v[20:21], v[22:23] neg_lo:[0,1] neg_hi:[0,1]
	v_mov_b32_e32 v25, v20
	v_pk_add_f32 v[20:21], v[26:27], v[24:25] neg_lo:[0,1] neg_hi:[0,1]
	s_or_b64 s[10:11], s[10:11], s[26:27]
	v_add_f32_e32 v7, v7, v21
	v_add_f32_e32 v7, v20, v7
	;; [unrolled: 1-line block ×4, first 2 shown]
	v_sub_f32_e32 v20, v21, v32
	v_mul_f32_e32 v7, v30, v7
	v_sub_f32_e32 v20, v31, v20
	v_add_f32_e32 v22, v20, v7
	v_add_f32_e32 v24, v21, v22
	v_cvt_f32_i32_e32 v20, v28
	v_mul_f32_e32 v25, v24, v24
	v_sub_f32_e32 v21, v24, v21
	v_fmamk_f32 v7, v25, 0x3e9b6dac, v17
	v_sub_f32_e32 v21, v22, v21
	v_fmaak_f32 v7, v25, v7, 0x3f2aaada
	v_ldexp_f32 v26, v21, 1
	v_mul_f32_e32 v21, v24, v25
	v_ldexp_f32 v23, v24, 1
	v_pk_mul_f32 v[24:25], v[20:21], v[6:7]
	s_nop 0
	v_fma_f32 v22, v20, s38, -v24
	v_fmac_f32_e32 v22, 0xb102e308, v20
	v_pk_add_f32 v[20:21], v[24:25], v[22:23]
	s_nop 0
	v_sub_f32_e32 v7, v21, v23
	v_sub_f32_e32 v7, v25, v7
	v_add_f32_e32 v27, v26, v7
	v_mov_b32_e32 v26, v24
	v_pk_add_f32 v[24:25], v[20:21], v[24:25] neg_lo:[0,1] neg_hi:[0,1]
	v_pk_add_f32 v[28:29], v[20:21], v[26:27]
	v_mov_b32_e32 v23, v20
	v_mov_b32_e32 v25, v29
	v_pk_add_f32 v[30:31], v[22:23], v[24:25] neg_lo:[0,1] neg_hi:[0,1]
	v_pk_add_f32 v[22:23], v[22:23], v[24:25]
	v_mov_b32_e32 v26, v27
	v_mov_b32_e32 v24, v23
	v_pk_add_f32 v[32:33], v[24:25], v[20:21] neg_lo:[0,1] neg_hi:[0,1]
	v_mov_b32_e32 v22, v29
	v_mov_b32_e32 v7, v32
	v_pk_add_f32 v[34:35], v[28:29], v[6:7] neg_lo:[0,1] neg_hi:[0,1]
	v_mov_b32_e32 v28, v21
	v_mov_b32_e32 v29, v32
	;; [unrolled: 1-line block ×3, first 2 shown]
	v_pk_add_f32 v[22:23], v[22:23], v[28:29] neg_lo:[0,1] neg_hi:[0,1]
	v_mov_b32_e32 v27, v20
	v_pk_add_f32 v[20:21], v[26:27], v[22:23] neg_lo:[0,1] neg_hi:[0,1]
	v_mov_b32_e32 v34, v30
	v_pk_add_f32 v[22:23], v[34:35], v[20:21]
	s_nop 0
	v_mov_b32_e32 v26, v23
	v_pk_add_f32 v[26:27], v[22:23], v[26:27]
	s_nop 0
	v_pk_add_f32 v[24:25], v[24:25], v[26:27]
	v_mov_b32_e32 v21, v26
	v_mov_b32_e32 v23, v24
	v_pk_add_f32 v[28:29], v[22:23], v[30:31] neg_lo:[0,1] neg_hi:[0,1]
	s_nop 0
	v_sub_f32_e32 v7, v22, v28
	v_pk_add_f32 v[20:21], v[20:21], v[28:29] neg_lo:[0,1] neg_hi:[0,1]
	v_sub_f32_e32 v7, v30, v7
	v_add_f32_e32 v7, v20, v7
	v_add_f32_e32 v7, v7, v21
	;; [unrolled: 1-line block ×3, first 2 shown]
	v_cndmask_b32_e64 v7, v7, v36, s[10:11]
	v_add_f32_e32 v20, v13, v7
.LBB179_15:                             ;   in Loop: Header=BB179_7 Depth=2
	s_or_b64 exec, exec, s[12:13]
	ds_write_b32 v18, v20
.LBB179_16:                             ;   in Loop: Header=BB179_7 Depth=2
	s_or_b64 exec, exec, s[24:25]
	s_mov_b64 s[24:25], 0
	v_mov_b32_e32 v7, 0
	s_waitcnt lgkmcnt(0)
	s_barrier
	s_branch .LBB179_19
.LBB179_17:                             ;   in Loop: Header=BB179_19 Depth=3
	s_or_b64 exec, exec, s[12:13]
	ds_write_b32 v20, v7
.LBB179_18:                             ;   in Loop: Header=BB179_19 Depth=3
	s_or_b64 exec, exec, s[26:27]
	v_cmp_eq_u32_e64 s[10:11], s30, v13
	s_or_b64 s[24:25], s[10:11], s[24:25]
	v_mov_b32_e32 v7, v13
	s_waitcnt lgkmcnt(0)
	s_barrier
	s_andn2_b64 exec, exec, s[24:25]
	s_cbranch_execz .LBB179_24
.LBB179_19:                             ;   Parent Loop BB179_4 Depth=1
                                        ;     Parent Loop BB179_7 Depth=2
                                        ; =>    This Inner Loop Header: Depth=3
	v_add_u32_e32 v13, 1, v7
	s_and_saveexec_b64 s[10:11], s[6:7]
	s_xor_b64 s[10:11], exec, s[10:11]
; %bb.20:                               ;   in Loop: Header=BB179_19 Depth=3
	v_add_u32_e32 v13, 1, v7
                                        ; implicit-def: $vgpr7
; %bb.21:                               ;   in Loop: Header=BB179_19 Depth=3
	s_andn2_saveexec_b64 s[26:27], s[10:11]
	s_cbranch_execz .LBB179_18
; %bb.22:                               ;   in Loop: Header=BB179_19 Depth=3
	v_lshlrev_b32_e64 v20, v7, 1
	v_lshrrev_b32_e32 v21, v7, v1
	v_bfm_b32 v7, v7, 0
	v_lshl_or_b32 v20, v21, v13, v20
	v_and_b32_e32 v7, v7, v1
	v_lshlrev_b32_e32 v21, 2, v20
	v_lshlrev_b32_e32 v7, 2, v7
	v_add3_u32 v20, v18, v21, v7
	v_add_u32_e32 v7, v15, v21
	ds_read_b32 v21, v7
	ds_read_b32 v7, v20
	s_waitcnt lgkmcnt(1)
	v_max_f32_e32 v23, v21, v21
	s_waitcnt lgkmcnt(0)
	v_max_f32_e32 v24, v7, v7
	v_min_f32_e32 v22, v24, v23
	v_cmp_u_f32_e64 s[10:11], v7, v7
	v_max_f32_e32 v23, v24, v23
	v_cmp_u_f32_e64 s[12:13], v21, v21
	v_cndmask_b32_e64 v22, v22, v7, s[10:11]
	v_cndmask_b32_e64 v23, v23, v7, s[10:11]
	;; [unrolled: 1-line block ×4, first 2 shown]
	v_cmp_neq_f32_e64 s[10:11], v22, v21
	v_cmp_class_f32_e64 s[12:13], v22, s31
	s_or_b64 s[10:11], s[10:11], s[12:13]
	s_and_saveexec_b64 s[12:13], s[10:11]
	s_cbranch_execz .LBB179_17
; %bb.23:                               ;   in Loop: Header=BB179_19 Depth=3
	v_sub_f32_e32 v7, v22, v21
	v_mul_f32_e32 v22, 0x3fb8aa3b, v7
	v_fma_f32 v23, v7, s33, -v22
	v_rndne_f32_e32 v24, v22
	v_fmac_f32_e32 v23, 0x32a5705f, v7
	v_sub_f32_e32 v22, v22, v24
	v_add_f32_e32 v22, v22, v23
	v_cvt_i32_f32_e32 v23, v24
	v_exp_f32_e32 v22, v22
	v_cmp_ngt_f32_e64 s[10:11], s34, v7
	v_ldexp_f32 v22, v22, v23
	s_nop 0
	v_cndmask_b32_e64 v22, 0, v22, s[10:11]
	v_cmp_nlt_f32_e64 s[10:11], s35, v7
	s_nop 1
	v_cndmask_b32_e64 v38, v19, v22, s[10:11]
	v_add_f32_e32 v7, 1.0, v38
	v_add_f32_e32 v22, -1.0, v7
	v_sub_f32_e32 v23, v22, v7
	v_add_f32_e32 v23, 1.0, v23
	v_sub_f32_e32 v22, v38, v22
	v_add_f32_e32 v24, v22, v23
	v_frexp_mant_f32_e32 v25, v7
	v_cvt_f64_f32_e32 v[22:23], v7
	v_frexp_exp_i32_f64_e32 v22, v[22:23]
	v_cmp_gt_f32_e64 s[10:11], s37, v25
	v_cmp_lt_f32_e64 s[42:43], |v38|, s39
	s_nop 0
	v_subbrev_co_u32_e64 v30, s[10:11], 0, v22, s[10:11]
	v_sub_u32_e32 v22, 0, v30
	v_ldexp_f32 v7, v7, v22
	v_ldexp_f32 v22, v24, v22
	v_add_f32_e32 v24, -1.0, v7
	v_add_f32_e32 v23, 1.0, v24
	v_sub_f32_e32 v23, v7, v23
	v_add_f32_e32 v25, v22, v23
	v_add_f32_e32 v23, 1.0, v7
	v_add_f32_e32 v26, -1.0, v23
	v_sub_f32_e32 v7, v7, v26
	v_add_f32_e32 v7, v22, v7
	v_add_f32_e32 v31, v23, v7
	v_rcp_f32_e32 v32, v31
	v_sub_f32_e32 v22, v23, v31
	v_add_f32_e32 v23, v24, v25
	v_add_f32_e32 v7, v7, v22
	v_mul_f32_e32 v34, v23, v32
	v_sub_f32_e32 v22, v24, v23
	v_mul_f32_e32 v24, v31, v34
	v_fma_f32 v26, v34, v31, -v24
	v_fmac_f32_e32 v26, v34, v7
	v_add_f32_e32 v33, v25, v22
	v_add_f32_e32 v22, v24, v26
	v_sub_f32_e32 v25, v23, v22
	v_pk_add_f32 v[28:29], v[22:23], v[24:25] neg_lo:[0,1] neg_hi:[0,1]
	v_mov_b32_e32 v27, v22
	v_pk_add_f32 v[22:23], v[28:29], v[26:27] neg_lo:[0,1] neg_hi:[0,1]
	v_cmp_eq_f32_e64 s[10:11], s36, v38
	v_add_f32_e32 v23, v33, v23
	v_add_f32_e32 v22, v22, v23
	;; [unrolled: 1-line block ×3, first 2 shown]
	v_mul_f32_e32 v33, v32, v23
	v_mul_f32_e32 v24, v31, v33
	v_fma_f32 v26, v33, v31, -v24
	v_fmac_f32_e32 v26, v33, v7
	v_sub_f32_e32 v7, v25, v23
	v_add_f32_e32 v7, v22, v7
	v_add_f32_e32 v22, v24, v26
	v_sub_f32_e32 v25, v23, v22
	v_pk_add_f32 v[28:29], v[22:23], v[24:25] neg_lo:[0,1] neg_hi:[0,1]
	v_mov_b32_e32 v27, v22
	v_pk_add_f32 v[22:23], v[28:29], v[26:27] neg_lo:[0,1] neg_hi:[0,1]
	s_or_b64 s[10:11], s[10:11], s[42:43]
	v_add_f32_e32 v7, v7, v23
	v_add_f32_e32 v7, v22, v7
	;; [unrolled: 1-line block ×4, first 2 shown]
	v_sub_f32_e32 v22, v23, v34
	v_mul_f32_e32 v7, v32, v7
	v_sub_f32_e32 v22, v33, v22
	v_add_f32_e32 v24, v22, v7
	v_add_f32_e32 v26, v23, v24
	v_cvt_f32_i32_e32 v22, v30
	v_mul_f32_e32 v27, v26, v26
	v_sub_f32_e32 v23, v26, v23
	v_fmamk_f32 v7, v27, 0x3e9b6dac, v17
	v_sub_f32_e32 v23, v24, v23
	v_fmaak_f32 v7, v27, v7, 0x3f2aaada
	v_ldexp_f32 v28, v23, 1
	v_mul_f32_e32 v23, v26, v27
	v_ldexp_f32 v25, v26, 1
	v_pk_mul_f32 v[26:27], v[22:23], v[6:7]
	s_nop 0
	v_fma_f32 v24, v22, s38, -v26
	v_fmac_f32_e32 v24, 0xb102e308, v22
	v_pk_add_f32 v[22:23], v[26:27], v[24:25]
	s_nop 0
	v_sub_f32_e32 v7, v23, v25
	v_sub_f32_e32 v7, v27, v7
	v_add_f32_e32 v29, v28, v7
	v_mov_b32_e32 v28, v26
	v_pk_add_f32 v[26:27], v[22:23], v[26:27] neg_lo:[0,1] neg_hi:[0,1]
	v_pk_add_f32 v[30:31], v[22:23], v[28:29]
	v_mov_b32_e32 v25, v22
	v_mov_b32_e32 v27, v31
	v_pk_add_f32 v[32:33], v[24:25], v[26:27] neg_lo:[0,1] neg_hi:[0,1]
	v_pk_add_f32 v[24:25], v[24:25], v[26:27]
	v_mov_b32_e32 v28, v29
	v_mov_b32_e32 v26, v25
	v_pk_add_f32 v[34:35], v[26:27], v[22:23] neg_lo:[0,1] neg_hi:[0,1]
	v_mov_b32_e32 v24, v31
	v_mov_b32_e32 v7, v34
	v_pk_add_f32 v[36:37], v[30:31], v[6:7] neg_lo:[0,1] neg_hi:[0,1]
	v_mov_b32_e32 v30, v23
	v_mov_b32_e32 v31, v34
	;; [unrolled: 1-line block ×3, first 2 shown]
	v_pk_add_f32 v[24:25], v[24:25], v[30:31] neg_lo:[0,1] neg_hi:[0,1]
	v_mov_b32_e32 v29, v22
	v_pk_add_f32 v[22:23], v[28:29], v[24:25] neg_lo:[0,1] neg_hi:[0,1]
	v_mov_b32_e32 v36, v32
	v_pk_add_f32 v[24:25], v[36:37], v[22:23]
	s_nop 0
	v_mov_b32_e32 v28, v25
	v_pk_add_f32 v[28:29], v[24:25], v[28:29]
	s_nop 0
	v_pk_add_f32 v[26:27], v[26:27], v[28:29]
	v_mov_b32_e32 v23, v28
	v_mov_b32_e32 v25, v26
	v_pk_add_f32 v[30:31], v[24:25], v[32:33] neg_lo:[0,1] neg_hi:[0,1]
	s_nop 0
	v_sub_f32_e32 v7, v24, v30
	v_pk_add_f32 v[22:23], v[22:23], v[30:31] neg_lo:[0,1] neg_hi:[0,1]
	v_sub_f32_e32 v7, v32, v7
	v_add_f32_e32 v7, v22, v7
	v_add_f32_e32 v7, v7, v23
	;; [unrolled: 1-line block ×3, first 2 shown]
	v_cndmask_b32_e64 v7, v7, v38, s[10:11]
	v_add_f32_e32 v7, v21, v7
	s_branch .LBB179_17
.LBB179_24:                             ;   in Loop: Header=BB179_7 Depth=2
	s_or_b64 exec, exec, s[24:25]
	s_and_saveexec_b64 s[12:13], vcc
	s_cbranch_execz .LBB179_6
; %bb.25:                               ;   in Loop: Header=BB179_7 Depth=2
	v_cmp_gt_u32_e64 s[10:11], s21, v4
	s_and_saveexec_b64 s[24:25], s[10:11]
	s_cbranch_execz .LBB179_27
; %bb.26:                               ;   in Loop: Header=BB179_7 Depth=2
	ds_read_b32 v7, v3
	v_lshl_add_u64 v[20:21], v[4:5], 2, v[10:11]
	s_waitcnt lgkmcnt(0)
	global_store_dword v[20:21], v7, off
.LBB179_27:                             ;   in Loop: Header=BB179_7 Depth=2
	s_or_b64 exec, exec, s[24:25]
	v_cmp_gt_u32_e64 s[10:11], s21, v12
	s_and_b64 exec, exec, s[10:11]
	s_cbranch_execz .LBB179_6
; %bb.28:                               ;   in Loop: Header=BB179_7 Depth=2
	ds_read_b32 v4, v14
	v_mov_b32_e32 v13, v5
	v_lshl_add_u64 v[12:13], v[12:13], 2, v[10:11]
	s_waitcnt lgkmcnt(0)
	global_store_dword v[12:13], v4, off
	s_branch .LBB179_6
.LBB179_29:
	s_mov_b64 s[4:5], 0
.LBB179_30:
	s_andn2_b64 vcc, exec, s[4:5]
	s_cbranch_vccnz .LBB179_61
; %bb.31:
	s_load_dword s3, s[0:1], 0x34
	s_add_u32 s4, s0, 40
	s_mov_b32 s15, 0
	s_addc_u32 s5, s1, 0
	v_mov_b64_e32 v[4:5], s[14:15]
	s_waitcnt lgkmcnt(0)
	s_lshr_b32 s0, s3, 16
	s_mul_hi_u32 s11, s0, s2
	s_mul_i32 s10, s0, s2
	v_cmp_ge_u64_e32 vcc, s[10:11], v[4:5]
	s_cbranch_vccnz .LBB179_61
; %bb.32:
	s_lshl_b32 s12, 1, s22
	s_and_b32 s6, 0xffff, s0
	s_ashr_i32 s13, s12, 31
	s_load_dword s4, s[4:5], 0x0
	s_cmp_lg_u32 s21, 0
	s_cselect_b64 s[2:3], -1, 0
	s_mov_b32 s24, s21
	v_and_b32_e32 v0, 0x3ff, v0
	s_lshl_b64 s[20:21], s[12:13], 1
	v_cndmask_b32_e64 v4, 0, 1, s[2:3]
	v_mov_b32_e32 v3, 0
	v_lshl_add_u32 v19, v0, 2, v18
	s_lshl_b32 s5, s20, 2
	v_cmp_ne_u32_e64 s[2:3], 1, v4
                                        ; implicit-def: $vgpr4
	s_mov_b32 s25, s15
	v_mov_b32_e32 v1, v3
	v_lshl_add_u32 v20, s12, 2, v19
	v_cmp_eq_u32_e64 s[0:1], 0, v0
	v_add3_u32 v21, v18, s5, -4
	s_waitcnt lgkmcnt(0)
	s_mul_i32 s33, s4, s6
	s_add_i32 s22, s22, 1
	s_movk_i32 s34, 0x1f8
	s_mov_b32 s35, 0x3fb8aa3b
	s_mov_b32 s36, 0xc2ce8ed0
	;; [unrolled: 1-line block ×5, first 2 shown]
	v_mov_b32_e32 v22, 0x3ecc95a3
	s_mov_b32 s40, 0x3f317218
	s_mov_b32 s41, 0x33800000
	v_mov_b32_e32 v23, 0x7f800000
	v_mov_b32_e32 v4, 0x3f317218
	s_branch .LBB179_34
.LBB179_33:                             ;   in Loop: Header=BB179_34 Depth=1
	s_add_u32 s10, s10, s33
	s_addc_u32 s11, s11, 0
	v_mov_b64_e32 v[6:7], s[14:15]
	v_cmp_ge_u64_e32 vcc, s[10:11], v[6:7]
	s_cbranch_vccnz .LBB179_61
.LBB179_34:                             ; =>This Loop Header: Depth=1
                                        ;     Child Loop BB179_37 Depth 2
                                        ;       Child Loop BB179_49 Depth 3
	s_and_b64 vcc, exec, s[2:3]
	s_cbranch_vccnz .LBB179_33
; %bb.35:                               ;   in Loop: Header=BB179_34 Depth=1
	v_lshl_add_u64 v[10:11], s[10:11], 0, v[2:3]
	v_mad_u64_u32 v[6:7], s[4:5], v10, s24, 0
	v_mov_b32_e32 v8, v7
	v_mad_u64_u32 v[8:9], s[4:5], v11, s24, v[8:9]
	v_mov_b32_e32 v7, v8
	v_lshlrev_b64 v[8:9], 2, v[6:7]
	v_lshl_add_u64 v[6:7], s[18:19], 0, v[8:9]
	v_lshl_add_u64 v[8:9], s[16:17], 0, v[8:9]
	v_cmp_gt_u64_e64 s[4:5], s[14:15], v[10:11]
	v_cmp_le_u64_e64 s[6:7], s[14:15], v[10:11]
	s_mov_b64 s[26:27], 0
	v_mov_b32_e32 v5, s23
	s_branch .LBB179_37
.LBB179_36:                             ;   in Loop: Header=BB179_37 Depth=2
	s_or_b64 exec, exec, s[8:9]
	ds_read_b32 v5, v21
	s_add_u32 s26, s26, s20
	s_addc_u32 s27, s27, s21
	v_mov_b64_e32 v[10:11], s[24:25]
	v_cmp_ge_u64_e32 vcc, s[26:27], v[10:11]
	s_waitcnt lgkmcnt(0)
	s_barrier
	s_cbranch_vccnz .LBB179_33
.LBB179_37:                             ;   Parent Loop BB179_34 Depth=1
                                        ; =>  This Loop Header: Depth=2
                                        ;       Child Loop BB179_49 Depth 3
	v_lshl_add_u64 v[12:13], s[26:27], 0, v[0:1]
	v_lshl_add_u64 v[10:11], v[12:13], 0, s[12:13]
	s_and_saveexec_b64 s[28:29], s[4:5]
	s_cbranch_execz .LBB179_46
; %bb.38:                               ;   in Loop: Header=BB179_37 Depth=2
	v_cmp_gt_u64_e32 vcc, s[24:25], v[12:13]
	v_mov_b32_e32 v14, s23
	s_and_saveexec_b64 s[8:9], vcc
	s_cbranch_execz .LBB179_40
; %bb.39:                               ;   in Loop: Header=BB179_37 Depth=2
	v_lshl_add_u64 v[14:15], v[12:13], 2, v[6:7]
	global_load_dword v14, v[14:15], off
.LBB179_40:                             ;   in Loop: Header=BB179_37 Depth=2
	s_or_b64 exec, exec, s[8:9]
	s_waitcnt vmcnt(0)
	ds_write_b32 v19, v14
	v_cmp_gt_u64_e32 vcc, s[24:25], v[10:11]
	v_mov_b32_e32 v14, s23
	s_and_saveexec_b64 s[8:9], vcc
	s_cbranch_execz .LBB179_42
; %bb.41:                               ;   in Loop: Header=BB179_37 Depth=2
	v_lshl_add_u64 v[14:15], v[10:11], 2, v[6:7]
	global_load_dword v14, v[14:15], off
.LBB179_42:                             ;   in Loop: Header=BB179_37 Depth=2
	s_or_b64 exec, exec, s[8:9]
	s_waitcnt vmcnt(0)
	ds_write_b32 v20, v14
	s_and_b64 exec, exec, s[0:1]
	s_cbranch_execz .LBB179_46
; %bb.43:                               ;   in Loop: Header=BB179_37 Depth=2
	ds_read_b32 v15, v18
	v_max_f32_e32 v14, v5, v5
	v_cmp_u_f32_e64 s[8:9], v5, v5
	s_waitcnt lgkmcnt(0)
	v_max_f32_e32 v16, v15, v15
	v_min_f32_e32 v17, v16, v14
	v_max_f32_e32 v14, v16, v14
	v_cmp_u_f32_e32 vcc, v15, v15
	s_nop 1
	v_cndmask_b32_e32 v16, v17, v15, vcc
	v_cndmask_b32_e32 v14, v14, v15, vcc
	v_cndmask_b32_e64 v16, v16, v5, s[8:9]
	v_cndmask_b32_e64 v14, v14, v5, s[8:9]
	v_cmp_neq_f32_e32 vcc, v16, v14
	v_cmp_class_f32_e64 s[8:9], v16, s34
	s_or_b64 s[30:31], vcc, s[8:9]
	s_and_saveexec_b64 s[8:9], s[30:31]
	s_cbranch_execz .LBB179_45
; %bb.44:                               ;   in Loop: Header=BB179_37 Depth=2
	v_sub_f32_e32 v5, v16, v14
	v_mul_f32_e32 v15, 0x3fb8aa3b, v5
	v_fma_f32 v16, v5, s35, -v15
	v_rndne_f32_e32 v17, v15
	v_fmac_f32_e32 v16, 0x32a5705f, v5
	v_sub_f32_e32 v15, v15, v17
	v_add_f32_e32 v15, v15, v16
	v_cvt_i32_f32_e32 v16, v17
	v_exp_f32_e32 v15, v15
	v_cmp_ngt_f32_e32 vcc, s36, v5
	v_ldexp_f32 v15, v15, v16
	s_nop 0
	v_cndmask_b32_e32 v15, 0, v15, vcc
	v_cmp_nlt_f32_e32 vcc, s37, v5
	s_nop 1
	v_cndmask_b32_e32 v15, v23, v15, vcc
	v_add_f32_e32 v5, 1.0, v15
	v_add_f32_e32 v16, -1.0, v5
	v_sub_f32_e32 v17, v16, v5
	v_add_f32_e32 v17, 1.0, v17
	v_sub_f32_e32 v16, v15, v16
	v_add_f32_e32 v24, v16, v17
	v_frexp_mant_f32_e32 v25, v5
	v_cvt_f64_f32_e32 v[16:17], v5
	v_frexp_exp_i32_f64_e32 v16, v[16:17]
	v_cmp_gt_f32_e32 vcc, s39, v25
	v_cmp_lt_f32_e64 s[30:31], |v15|, s41
	s_nop 0
	v_subbrev_co_u32_e32 v30, vcc, 0, v16, vcc
	v_sub_u32_e32 v16, 0, v30
	v_ldexp_f32 v5, v5, v16
	v_ldexp_f32 v16, v24, v16
	v_add_f32_e32 v24, -1.0, v5
	v_add_f32_e32 v17, 1.0, v24
	v_sub_f32_e32 v17, v5, v17
	v_add_f32_e32 v25, v16, v17
	v_add_f32_e32 v17, 1.0, v5
	v_add_f32_e32 v26, -1.0, v17
	v_sub_f32_e32 v5, v5, v26
	v_add_f32_e32 v5, v16, v5
	v_add_f32_e32 v31, v17, v5
	v_rcp_f32_e32 v32, v31
	v_sub_f32_e32 v16, v17, v31
	v_add_f32_e32 v17, v24, v25
	v_add_f32_e32 v5, v5, v16
	v_mul_f32_e32 v34, v17, v32
	v_sub_f32_e32 v16, v24, v17
	v_mul_f32_e32 v24, v31, v34
	v_fma_f32 v26, v34, v31, -v24
	v_fmac_f32_e32 v26, v34, v5
	v_add_f32_e32 v33, v25, v16
	v_add_f32_e32 v16, v24, v26
	v_sub_f32_e32 v25, v17, v16
	v_pk_add_f32 v[28:29], v[16:17], v[24:25] neg_lo:[0,1] neg_hi:[0,1]
	v_mov_b32_e32 v27, v16
	v_pk_add_f32 v[16:17], v[28:29], v[26:27] neg_lo:[0,1] neg_hi:[0,1]
	v_cmp_eq_f32_e32 vcc, s38, v15
	v_add_f32_e32 v17, v33, v17
	v_add_f32_e32 v16, v16, v17
	;; [unrolled: 1-line block ×3, first 2 shown]
	v_mul_f32_e32 v33, v32, v17
	v_mul_f32_e32 v24, v31, v33
	v_fma_f32 v26, v33, v31, -v24
	v_fmac_f32_e32 v26, v33, v5
	v_sub_f32_e32 v5, v25, v17
	v_add_f32_e32 v5, v16, v5
	v_add_f32_e32 v16, v24, v26
	v_sub_f32_e32 v25, v17, v16
	v_pk_add_f32 v[28:29], v[16:17], v[24:25] neg_lo:[0,1] neg_hi:[0,1]
	v_mov_b32_e32 v27, v16
	v_pk_add_f32 v[16:17], v[28:29], v[26:27] neg_lo:[0,1] neg_hi:[0,1]
	s_or_b64 vcc, vcc, s[30:31]
	v_add_f32_e32 v5, v5, v17
	v_add_f32_e32 v5, v16, v5
	;; [unrolled: 1-line block ×4, first 2 shown]
	v_sub_f32_e32 v16, v17, v34
	v_mul_f32_e32 v5, v32, v5
	v_sub_f32_e32 v16, v33, v16
	v_add_f32_e32 v24, v16, v5
	v_add_f32_e32 v26, v17, v24
	v_cvt_f32_i32_e32 v16, v30
	v_mul_f32_e32 v27, v26, v26
	v_sub_f32_e32 v17, v26, v17
	v_fmamk_f32 v5, v27, 0x3e9b6dac, v22
	v_sub_f32_e32 v17, v24, v17
	v_fmaak_f32 v5, v27, v5, 0x3f2aaada
	v_ldexp_f32 v28, v17, 1
	v_mul_f32_e32 v17, v26, v27
	v_ldexp_f32 v25, v26, 1
	v_pk_mul_f32 v[26:27], v[16:17], v[4:5]
	s_nop 0
	v_fma_f32 v24, v16, s40, -v26
	v_fmac_f32_e32 v24, 0xb102e308, v16
	v_pk_add_f32 v[16:17], v[26:27], v[24:25]
	s_nop 0
	v_sub_f32_e32 v5, v17, v25
	v_sub_f32_e32 v5, v27, v5
	v_add_f32_e32 v29, v28, v5
	v_mov_b32_e32 v28, v26
	v_pk_add_f32 v[26:27], v[16:17], v[26:27] neg_lo:[0,1] neg_hi:[0,1]
	v_pk_add_f32 v[30:31], v[16:17], v[28:29]
	v_mov_b32_e32 v25, v16
	v_mov_b32_e32 v27, v31
	v_pk_add_f32 v[32:33], v[24:25], v[26:27] neg_lo:[0,1] neg_hi:[0,1]
	v_pk_add_f32 v[24:25], v[24:25], v[26:27]
	v_mov_b32_e32 v28, v29
	v_mov_b32_e32 v26, v25
	v_pk_add_f32 v[34:35], v[26:27], v[16:17] neg_lo:[0,1] neg_hi:[0,1]
	v_mov_b32_e32 v24, v31
	v_mov_b32_e32 v5, v34
	v_pk_add_f32 v[36:37], v[30:31], v[4:5] neg_lo:[0,1] neg_hi:[0,1]
	v_mov_b32_e32 v30, v17
	v_mov_b32_e32 v31, v34
	;; [unrolled: 1-line block ×3, first 2 shown]
	v_pk_add_f32 v[24:25], v[24:25], v[30:31] neg_lo:[0,1] neg_hi:[0,1]
	v_mov_b32_e32 v29, v16
	v_pk_add_f32 v[16:17], v[28:29], v[24:25] neg_lo:[0,1] neg_hi:[0,1]
	v_mov_b32_e32 v36, v32
	v_pk_add_f32 v[24:25], v[36:37], v[16:17]
	s_nop 0
	v_mov_b32_e32 v28, v25
	v_pk_add_f32 v[28:29], v[24:25], v[28:29]
	s_nop 0
	v_pk_add_f32 v[26:27], v[26:27], v[28:29]
	v_mov_b32_e32 v17, v28
	v_mov_b32_e32 v25, v26
	v_pk_add_f32 v[30:31], v[24:25], v[32:33] neg_lo:[0,1] neg_hi:[0,1]
	s_nop 0
	v_sub_f32_e32 v5, v24, v30
	v_pk_add_f32 v[16:17], v[16:17], v[30:31] neg_lo:[0,1] neg_hi:[0,1]
	v_sub_f32_e32 v5, v32, v5
	v_add_f32_e32 v5, v16, v5
	v_add_f32_e32 v5, v5, v17
	;; [unrolled: 1-line block ×3, first 2 shown]
	v_cndmask_b32_e32 v5, v5, v15, vcc
	v_add_f32_e32 v15, v14, v5
.LBB179_45:                             ;   in Loop: Header=BB179_37 Depth=2
	s_or_b64 exec, exec, s[8:9]
	ds_write_b32 v18, v15
.LBB179_46:                             ;   in Loop: Header=BB179_37 Depth=2
	s_or_b64 exec, exec, s[28:29]
	s_mov_b64 s[28:29], 0
	v_mov_b32_e32 v5, 0
	s_waitcnt lgkmcnt(0)
	s_barrier
	s_branch .LBB179_49
.LBB179_47:                             ;   in Loop: Header=BB179_49 Depth=3
	s_or_b64 exec, exec, s[8:9]
	ds_write_b32 v14, v5
.LBB179_48:                             ;   in Loop: Header=BB179_49 Depth=3
	s_or_b64 exec, exec, s[30:31]
	v_cmp_eq_u32_e32 vcc, s22, v24
	s_or_b64 s[28:29], vcc, s[28:29]
	v_mov_b32_e32 v5, v24
	s_waitcnt lgkmcnt(0)
	s_barrier
	s_andn2_b64 exec, exec, s[28:29]
	s_cbranch_execz .LBB179_56
.LBB179_49:                             ;   Parent Loop BB179_34 Depth=1
                                        ;     Parent Loop BB179_37 Depth=2
                                        ; =>    This Inner Loop Header: Depth=3
	v_add_u32_e32 v24, 1, v5
	s_and_saveexec_b64 s[8:9], s[6:7]
	s_xor_b64 s[8:9], exec, s[8:9]
; %bb.50:                               ;   in Loop: Header=BB179_49 Depth=3
	v_add_u32_e32 v24, 1, v5
                                        ; implicit-def: $vgpr5
; %bb.51:                               ;   in Loop: Header=BB179_49 Depth=3
	s_andn2_saveexec_b64 s[30:31], s[8:9]
	s_cbranch_execz .LBB179_48
; %bb.52:                               ;   in Loop: Header=BB179_49 Depth=3
	v_lshlrev_b32_e64 v14, v5, 1
	v_ashrrev_i32_e32 v15, 31, v14
	v_cmp_ge_u64_e32 vcc, v[0:1], v[14:15]
	v_mov_b64_e32 v[16:17], v[0:1]
	s_and_saveexec_b64 s[8:9], vcc
	s_cbranch_execz .LBB179_54
; %bb.53:                               ;   in Loop: Header=BB179_49 Depth=3
	v_cvt_f32_u32_e32 v15, v14
	v_sub_u32_e32 v16, 0, v14
	v_rcp_iflag_f32_e32 v15, v15
	s_nop 0
	v_mul_f32_e32 v15, 0x4f7ffffe, v15
	v_cvt_u32_f32_e32 v15, v15
	v_mul_lo_u32 v16, v16, v15
	v_mul_hi_u32 v16, v15, v16
	v_add_u32_e32 v15, v15, v16
	v_mul_hi_u32 v15, v0, v15
	v_mul_lo_u32 v15, v15, v14
	v_sub_u32_e32 v15, v0, v15
	v_sub_u32_e32 v16, v15, v14
	v_cmp_ge_u32_e32 vcc, v15, v14
	s_nop 1
	v_cndmask_b32_e32 v15, v15, v16, vcc
	v_sub_u32_e32 v16, v15, v14
	v_cmp_ge_u32_e32 vcc, v15, v14
	s_nop 1
	v_cndmask_b32_e32 v16, v15, v16, vcc
.LBB179_54:                             ;   in Loop: Header=BB179_49 Depth=3
	s_or_b64 exec, exec, s[8:9]
	v_lshrrev_b32_e32 v5, v5, v0
	v_lshl_or_b32 v5, v5, v24, v14
	v_lshl_add_u32 v5, v5, 2, v18
	v_lshl_add_u32 v14, v16, 2, v5
	v_add_u32_e32 v5, -4, v5
	ds_read_b32 v15, v5
	ds_read_b32 v5, v14
	s_waitcnt lgkmcnt(1)
	v_max_f32_e32 v17, v15, v15
	s_waitcnt lgkmcnt(0)
	v_max_f32_e32 v25, v5, v5
	v_min_f32_e32 v16, v25, v17
	v_cmp_u_f32_e32 vcc, v5, v5
	v_max_f32_e32 v17, v25, v17
	v_cmp_u_f32_e64 s[8:9], v15, v15
	v_cndmask_b32_e32 v16, v16, v5, vcc
	v_cndmask_b32_e32 v17, v17, v5, vcc
	v_cndmask_b32_e64 v16, v16, v15, s[8:9]
	v_cndmask_b32_e64 v15, v17, v15, s[8:9]
	v_cmp_neq_f32_e32 vcc, v16, v15
	v_cmp_class_f32_e64 s[8:9], v16, s34
	s_or_b64 s[42:43], vcc, s[8:9]
	s_and_saveexec_b64 s[8:9], s[42:43]
	s_cbranch_execz .LBB179_47
; %bb.55:                               ;   in Loop: Header=BB179_49 Depth=3
	v_sub_f32_e32 v5, v16, v15
	v_mul_f32_e32 v16, 0x3fb8aa3b, v5
	v_fma_f32 v17, v5, s35, -v16
	v_rndne_f32_e32 v25, v16
	v_fmac_f32_e32 v17, 0x32a5705f, v5
	v_sub_f32_e32 v16, v16, v25
	v_add_f32_e32 v16, v16, v17
	v_cvt_i32_f32_e32 v17, v25
	v_exp_f32_e32 v16, v16
	v_cmp_ngt_f32_e32 vcc, s36, v5
	v_ldexp_f32 v16, v16, v17
	s_nop 0
	v_cndmask_b32_e32 v16, 0, v16, vcc
	v_cmp_nlt_f32_e32 vcc, s37, v5
	s_nop 1
	v_cndmask_b32_e32 v25, v23, v16, vcc
	v_add_f32_e32 v5, 1.0, v25
	v_add_f32_e32 v16, -1.0, v5
	v_sub_f32_e32 v17, v16, v5
	v_add_f32_e32 v17, 1.0, v17
	v_sub_f32_e32 v16, v25, v16
	v_add_f32_e32 v26, v16, v17
	v_frexp_mant_f32_e32 v27, v5
	v_cvt_f64_f32_e32 v[16:17], v5
	v_frexp_exp_i32_f64_e32 v16, v[16:17]
	v_cmp_gt_f32_e32 vcc, s39, v27
	v_cmp_lt_f32_e64 s[42:43], |v25|, s41
	s_nop 0
	v_subbrev_co_u32_e32 v32, vcc, 0, v16, vcc
	v_sub_u32_e32 v16, 0, v32
	v_ldexp_f32 v5, v5, v16
	v_ldexp_f32 v16, v26, v16
	v_add_f32_e32 v26, -1.0, v5
	v_add_f32_e32 v17, 1.0, v26
	v_sub_f32_e32 v17, v5, v17
	v_add_f32_e32 v27, v16, v17
	v_add_f32_e32 v17, 1.0, v5
	v_add_f32_e32 v28, -1.0, v17
	v_sub_f32_e32 v5, v5, v28
	v_add_f32_e32 v5, v16, v5
	v_add_f32_e32 v33, v17, v5
	v_rcp_f32_e32 v34, v33
	v_sub_f32_e32 v16, v17, v33
	v_add_f32_e32 v17, v26, v27
	v_add_f32_e32 v5, v5, v16
	v_mul_f32_e32 v36, v17, v34
	v_sub_f32_e32 v16, v26, v17
	v_mul_f32_e32 v26, v33, v36
	v_fma_f32 v28, v36, v33, -v26
	v_fmac_f32_e32 v28, v36, v5
	v_add_f32_e32 v35, v27, v16
	v_add_f32_e32 v16, v26, v28
	v_sub_f32_e32 v27, v17, v16
	v_pk_add_f32 v[30:31], v[16:17], v[26:27] neg_lo:[0,1] neg_hi:[0,1]
	v_mov_b32_e32 v29, v16
	v_pk_add_f32 v[16:17], v[30:31], v[28:29] neg_lo:[0,1] neg_hi:[0,1]
	v_cmp_eq_f32_e32 vcc, s38, v25
	v_add_f32_e32 v17, v35, v17
	v_add_f32_e32 v16, v16, v17
	;; [unrolled: 1-line block ×3, first 2 shown]
	v_mul_f32_e32 v35, v34, v17
	v_mul_f32_e32 v26, v33, v35
	v_fma_f32 v28, v35, v33, -v26
	v_fmac_f32_e32 v28, v35, v5
	v_sub_f32_e32 v5, v27, v17
	v_add_f32_e32 v5, v16, v5
	v_add_f32_e32 v16, v26, v28
	v_sub_f32_e32 v27, v17, v16
	v_pk_add_f32 v[30:31], v[16:17], v[26:27] neg_lo:[0,1] neg_hi:[0,1]
	v_mov_b32_e32 v29, v16
	v_pk_add_f32 v[16:17], v[30:31], v[28:29] neg_lo:[0,1] neg_hi:[0,1]
	s_or_b64 vcc, vcc, s[42:43]
	v_add_f32_e32 v5, v5, v17
	v_add_f32_e32 v5, v16, v5
	;; [unrolled: 1-line block ×4, first 2 shown]
	v_sub_f32_e32 v16, v17, v36
	v_mul_f32_e32 v5, v34, v5
	v_sub_f32_e32 v16, v35, v16
	v_add_f32_e32 v26, v16, v5
	v_add_f32_e32 v28, v17, v26
	v_cvt_f32_i32_e32 v16, v32
	v_mul_f32_e32 v29, v28, v28
	v_sub_f32_e32 v17, v28, v17
	v_fmamk_f32 v5, v29, 0x3e9b6dac, v22
	v_sub_f32_e32 v17, v26, v17
	v_fmaak_f32 v5, v29, v5, 0x3f2aaada
	v_ldexp_f32 v30, v17, 1
	v_mul_f32_e32 v17, v28, v29
	v_ldexp_f32 v27, v28, 1
	v_pk_mul_f32 v[28:29], v[16:17], v[4:5]
	s_nop 0
	v_fma_f32 v26, v16, s40, -v28
	v_fmac_f32_e32 v26, 0xb102e308, v16
	v_pk_add_f32 v[16:17], v[28:29], v[26:27]
	s_nop 0
	v_sub_f32_e32 v5, v17, v27
	v_sub_f32_e32 v5, v29, v5
	v_add_f32_e32 v31, v30, v5
	v_mov_b32_e32 v30, v28
	v_pk_add_f32 v[28:29], v[16:17], v[28:29] neg_lo:[0,1] neg_hi:[0,1]
	v_pk_add_f32 v[32:33], v[16:17], v[30:31]
	v_mov_b32_e32 v27, v16
	v_mov_b32_e32 v29, v33
	v_pk_add_f32 v[34:35], v[26:27], v[28:29] neg_lo:[0,1] neg_hi:[0,1]
	v_pk_add_f32 v[26:27], v[26:27], v[28:29]
	v_mov_b32_e32 v30, v31
	v_mov_b32_e32 v28, v27
	v_pk_add_f32 v[36:37], v[28:29], v[16:17] neg_lo:[0,1] neg_hi:[0,1]
	v_mov_b32_e32 v26, v33
	v_mov_b32_e32 v5, v36
	v_pk_add_f32 v[38:39], v[32:33], v[4:5] neg_lo:[0,1] neg_hi:[0,1]
	v_mov_b32_e32 v32, v17
	v_mov_b32_e32 v33, v36
	;; [unrolled: 1-line block ×3, first 2 shown]
	v_pk_add_f32 v[26:27], v[26:27], v[32:33] neg_lo:[0,1] neg_hi:[0,1]
	v_mov_b32_e32 v31, v16
	v_pk_add_f32 v[16:17], v[30:31], v[26:27] neg_lo:[0,1] neg_hi:[0,1]
	v_mov_b32_e32 v38, v34
	v_pk_add_f32 v[26:27], v[38:39], v[16:17]
	s_nop 0
	v_mov_b32_e32 v30, v27
	v_pk_add_f32 v[30:31], v[26:27], v[30:31]
	s_nop 0
	v_pk_add_f32 v[28:29], v[28:29], v[30:31]
	v_mov_b32_e32 v17, v30
	v_mov_b32_e32 v27, v28
	v_pk_add_f32 v[32:33], v[26:27], v[34:35] neg_lo:[0,1] neg_hi:[0,1]
	s_nop 0
	v_sub_f32_e32 v5, v26, v32
	v_pk_add_f32 v[16:17], v[16:17], v[32:33] neg_lo:[0,1] neg_hi:[0,1]
	v_sub_f32_e32 v5, v34, v5
	v_add_f32_e32 v5, v16, v5
	v_add_f32_e32 v5, v5, v17
	;; [unrolled: 1-line block ×3, first 2 shown]
	v_cndmask_b32_e32 v5, v5, v25, vcc
	v_add_f32_e32 v5, v15, v5
	s_branch .LBB179_47
.LBB179_56:                             ;   in Loop: Header=BB179_37 Depth=2
	s_or_b64 exec, exec, s[28:29]
	s_and_saveexec_b64 s[8:9], s[4:5]
	s_cbranch_execz .LBB179_36
; %bb.57:                               ;   in Loop: Header=BB179_37 Depth=2
	v_cmp_gt_u64_e32 vcc, s[24:25], v[12:13]
	s_and_saveexec_b64 s[28:29], vcc
	s_cbranch_execz .LBB179_59
; %bb.58:                               ;   in Loop: Header=BB179_37 Depth=2
	ds_read_b32 v5, v19
	v_lshl_add_u64 v[12:13], v[12:13], 2, v[8:9]
	s_waitcnt lgkmcnt(0)
	global_store_dword v[12:13], v5, off
.LBB179_59:                             ;   in Loop: Header=BB179_37 Depth=2
	s_or_b64 exec, exec, s[28:29]
	v_cmp_gt_u64_e32 vcc, s[24:25], v[10:11]
	s_and_b64 exec, exec, vcc
	s_cbranch_execz .LBB179_36
; %bb.60:                               ;   in Loop: Header=BB179_37 Depth=2
	ds_read_b32 v5, v20
	v_lshl_add_u64 v[10:11], v[10:11], 2, v[8:9]
	s_waitcnt lgkmcnt(0)
	global_store_dword v[10:11], v5, off
	s_branch .LBB179_36
.LBB179_61:
	s_endpgm
	.section	.rodata,"a",@progbits
	.p2align	6, 0x0
	.amdhsa_kernel _ZN2at6native32tensor_kernel_scan_innermost_dimIfZZZNS0_31launch_logcumsumexp_cuda_kernelERKNS_10TensorBaseES4_lENKUlvE_clEvENKUlvE0_clEvEUlffE_EEvPT_PKS8_jjjS8_T0_
		.amdhsa_group_segment_fixed_size 0
		.amdhsa_private_segment_fixed_size 0
		.amdhsa_kernarg_size 296
		.amdhsa_user_sgpr_count 2
		.amdhsa_user_sgpr_dispatch_ptr 0
		.amdhsa_user_sgpr_queue_ptr 0
		.amdhsa_user_sgpr_kernarg_segment_ptr 1
		.amdhsa_user_sgpr_dispatch_id 0
		.amdhsa_user_sgpr_kernarg_preload_length 0
		.amdhsa_user_sgpr_kernarg_preload_offset 0
		.amdhsa_user_sgpr_private_segment_size 0
		.amdhsa_uses_dynamic_stack 0
		.amdhsa_enable_private_segment 0
		.amdhsa_system_sgpr_workgroup_id_x 1
		.amdhsa_system_sgpr_workgroup_id_y 0
		.amdhsa_system_sgpr_workgroup_id_z 0
		.amdhsa_system_sgpr_workgroup_info 0
		.amdhsa_system_vgpr_workitem_id 1
		.amdhsa_next_free_vgpr 40
		.amdhsa_next_free_sgpr 44
		.amdhsa_accum_offset 40
		.amdhsa_reserve_vcc 1
		.amdhsa_float_round_mode_32 0
		.amdhsa_float_round_mode_16_64 0
		.amdhsa_float_denorm_mode_32 3
		.amdhsa_float_denorm_mode_16_64 3
		.amdhsa_dx10_clamp 1
		.amdhsa_ieee_mode 1
		.amdhsa_fp16_overflow 0
		.amdhsa_tg_split 0
		.amdhsa_exception_fp_ieee_invalid_op 0
		.amdhsa_exception_fp_denorm_src 0
		.amdhsa_exception_fp_ieee_div_zero 0
		.amdhsa_exception_fp_ieee_overflow 0
		.amdhsa_exception_fp_ieee_underflow 0
		.amdhsa_exception_fp_ieee_inexact 0
		.amdhsa_exception_int_div_zero 0
	.end_amdhsa_kernel
	.section	.text._ZN2at6native32tensor_kernel_scan_innermost_dimIfZZZNS0_31launch_logcumsumexp_cuda_kernelERKNS_10TensorBaseES4_lENKUlvE_clEvENKUlvE0_clEvEUlffE_EEvPT_PKS8_jjjS8_T0_,"axG",@progbits,_ZN2at6native32tensor_kernel_scan_innermost_dimIfZZZNS0_31launch_logcumsumexp_cuda_kernelERKNS_10TensorBaseES4_lENKUlvE_clEvENKUlvE0_clEvEUlffE_EEvPT_PKS8_jjjS8_T0_,comdat
.Lfunc_end179:
	.size	_ZN2at6native32tensor_kernel_scan_innermost_dimIfZZZNS0_31launch_logcumsumexp_cuda_kernelERKNS_10TensorBaseES4_lENKUlvE_clEvENKUlvE0_clEvEUlffE_EEvPT_PKS8_jjjS8_T0_, .Lfunc_end179-_ZN2at6native32tensor_kernel_scan_innermost_dimIfZZZNS0_31launch_logcumsumexp_cuda_kernelERKNS_10TensorBaseES4_lENKUlvE_clEvENKUlvE0_clEvEUlffE_EEvPT_PKS8_jjjS8_T0_
                                        ; -- End function
	.section	.AMDGPU.csdata,"",@progbits
; Kernel info:
; codeLenInByte = 4944
; NumSgprs: 50
; NumVgprs: 40
; NumAgprs: 0
; TotalNumVgprs: 40
; ScratchSize: 0
; MemoryBound: 0
; FloatMode: 240
; IeeeMode: 1
; LDSByteSize: 0 bytes/workgroup (compile time only)
; SGPRBlocks: 6
; VGPRBlocks: 4
; NumSGPRsForWavesPerEU: 50
; NumVGPRsForWavesPerEU: 40
; AccumOffset: 40
; Occupancy: 8
; WaveLimiterHint : 0
; COMPUTE_PGM_RSRC2:SCRATCH_EN: 0
; COMPUTE_PGM_RSRC2:USER_SGPR: 2
; COMPUTE_PGM_RSRC2:TRAP_HANDLER: 0
; COMPUTE_PGM_RSRC2:TGID_X_EN: 1
; COMPUTE_PGM_RSRC2:TGID_Y_EN: 0
; COMPUTE_PGM_RSRC2:TGID_Z_EN: 0
; COMPUTE_PGM_RSRC2:TIDIG_COMP_CNT: 1
; COMPUTE_PGM_RSRC3_GFX90A:ACCUM_OFFSET: 9
; COMPUTE_PGM_RSRC3_GFX90A:TG_SPLIT: 0
	.section	.text._ZN2at6native28tensor_kernel_scan_outer_dimIfjZZZNS0_31launch_logcumsumexp_cuda_kernelERKNS_10TensorBaseES4_lENKUlvE_clEvENKUlvE0_clEvEUlffE_EEvPT_PKS8_jjjS8_T1_,"axG",@progbits,_ZN2at6native28tensor_kernel_scan_outer_dimIfjZZZNS0_31launch_logcumsumexp_cuda_kernelERKNS_10TensorBaseES4_lENKUlvE_clEvENKUlvE0_clEvEUlffE_EEvPT_PKS8_jjjS8_T1_,comdat
	.globl	_ZN2at6native28tensor_kernel_scan_outer_dimIfjZZZNS0_31launch_logcumsumexp_cuda_kernelERKNS_10TensorBaseES4_lENKUlvE_clEvENKUlvE0_clEvEUlffE_EEvPT_PKS8_jjjS8_T1_ ; -- Begin function _ZN2at6native28tensor_kernel_scan_outer_dimIfjZZZNS0_31launch_logcumsumexp_cuda_kernelERKNS_10TensorBaseES4_lENKUlvE_clEvENKUlvE0_clEvEUlffE_EEvPT_PKS8_jjjS8_T1_
	.p2align	8
	.type	_ZN2at6native28tensor_kernel_scan_outer_dimIfjZZZNS0_31launch_logcumsumexp_cuda_kernelERKNS_10TensorBaseES4_lENKUlvE_clEvENKUlvE0_clEvEUlffE_EEvPT_PKS8_jjjS8_T1_,@function
_ZN2at6native28tensor_kernel_scan_outer_dimIfjZZZNS0_31launch_logcumsumexp_cuda_kernelERKNS_10TensorBaseES4_lENKUlvE_clEvENKUlvE0_clEvEUlffE_EEvPT_PKS8_jjjS8_T1_: ; @_ZN2at6native28tensor_kernel_scan_outer_dimIfjZZZNS0_31launch_logcumsumexp_cuda_kernelERKNS_10TensorBaseES4_lENKUlvE_clEvENKUlvE0_clEvEUlffE_EEvPT_PKS8_jjjS8_T1_
; %bb.0:
	s_load_dwordx4 s[8:11], s[0:1], 0x10
	s_waitcnt lgkmcnt(0)
	s_cmp_ge_u32 s2, s8
	s_cbranch_scc1 .LBB180_11
; %bb.1:
	s_load_dword s4, s[0:1], 0x34
	s_load_dwordx4 s[12:15], s[0:1], 0x0
	s_load_dword s28, s[0:1], 0x28
	s_add_u32 s6, s0, 40
	s_addc_u32 s7, s1, 0
	s_waitcnt lgkmcnt(0)
	s_and_b32 s29, s4, 0xffff
	s_mul_i32 s3, s3, s29
	s_cmp_lg_u32 s10, 0
	v_add_u32_e32 v6, s3, v0
	s_mul_i32 s3, s2, s10
	s_cselect_b64 s[4:5], -1, 0
	s_mov_b32 s17, 0
	s_mov_b32 s16, s9
	s_mul_i32 s20, s3, s9
	s_mul_i32 s3, s28, s10
	v_cndmask_b32_e64 v0, 0, 1, s[4:5]
	v_cmp_gt_u32_e64 s[0:1], s9, v6
	s_mul_i32 s3, s3, s9
	s_lshl_b64 s[18:19], s[16:17], 2
	v_cmp_ne_u32_e64 s[4:5], 1, v0
	v_mov_b32_e32 v1, 0
	s_movk_i32 s30, 0x1f8
	s_mov_b32 s31, 0x3fb8aa3b
	s_mov_b32 s33, 0xc2ce8ed0
	s_mov_b32 s34, 0x42b17218
	s_mov_b32 s35, 0x7f800000
	s_mov_b32 s36, 0x3f2aaaab
	v_mov_b32_e32 v7, 0x3ecc95a3
	s_mov_b32 s37, 0x3f317218
	s_mov_b32 s38, 0x33800000
	v_mov_b32_e32 v8, 0x7f800000
	v_mov_b32_e32 v2, 0x3f317218
	s_mov_b32 s16, s20
                                        ; implicit-def: $vgpr0
	s_branch .LBB180_3
.LBB180_2:                              ;   in Loop: Header=BB180_3 Depth=1
	s_or_b64 exec, exec, s[20:21]
	s_add_i32 s2, s28, s2
	s_add_i32 s16, s16, s3
	s_cmp_ge_u32 s2, s8
	s_cbranch_scc1 .LBB180_11
.LBB180_3:                              ; =>This Loop Header: Depth=1
                                        ;     Child Loop BB180_6 Depth 2
                                        ;       Child Loop BB180_9 Depth 3
	s_and_saveexec_b64 s[20:21], s[0:1]
	s_cbranch_execz .LBB180_2
; %bb.4:                                ;   in Loop: Header=BB180_3 Depth=1
	s_load_dword s39, s[6:7], 0x4
	s_lshl_b64 s[22:23], s[16:17], 2
	s_mov_b64 s[24:25], 0
	v_mov_b32_e32 v0, v6
	s_waitcnt lgkmcnt(0)
	s_mul_i32 s39, s39, s29
	s_branch .LBB180_6
.LBB180_5:                              ;   in Loop: Header=BB180_6 Depth=2
	v_add_u32_e32 v0, s39, v0
	v_cmp_le_u32_e32 vcc, s9, v0
	s_or_b64 s[24:25], vcc, s[24:25]
	s_andn2_b64 exec, exec, s[24:25]
	s_cbranch_execz .LBB180_2
.LBB180_6:                              ;   Parent Loop BB180_3 Depth=1
                                        ; =>  This Loop Header: Depth=2
                                        ;       Child Loop BB180_9 Depth 3
	s_and_b64 vcc, exec, s[4:5]
	s_cbranch_vccnz .LBB180_5
; %bb.7:                                ;   in Loop: Header=BB180_6 Depth=2
	v_lshl_add_u64 v[4:5], v[0:1], 2, s[22:23]
	v_mov_b32_e32 v3, s11
	s_mov_b32 s40, s10
	s_branch .LBB180_9
.LBB180_8:                              ;   in Loop: Header=BB180_9 Depth=3
	s_or_b64 exec, exec, s[26:27]
	s_add_i32 s40, s40, -1
	v_lshl_add_u64 v[10:11], s[12:13], 0, v[4:5]
	s_cmp_eq_u32 s40, 0
	v_lshl_add_u64 v[4:5], v[4:5], 0, s[18:19]
	global_store_dword v[10:11], v3, off
	s_cbranch_scc1 .LBB180_5
.LBB180_9:                              ;   Parent Loop BB180_3 Depth=1
                                        ;     Parent Loop BB180_6 Depth=2
                                        ; =>    This Inner Loop Header: Depth=3
	v_lshl_add_u64 v[10:11], s[14:15], 0, v[4:5]
	global_load_dword v9, v[10:11], off
	v_max_f32_e32 v10, v3, v3
	v_cmp_u_f32_e32 vcc, v3, v3
	s_waitcnt vmcnt(0)
	v_max_f32_e32 v11, v9, v9
	v_min_f32_e32 v12, v10, v11
	v_max_f32_e32 v10, v10, v11
	v_cndmask_b32_e32 v11, v12, v3, vcc
	v_cndmask_b32_e32 v12, v10, v3, vcc
	v_cmp_u_f32_e32 vcc, v9, v9
	s_nop 1
	v_cndmask_b32_e32 v10, v11, v9, vcc
	v_cndmask_b32_e32 v9, v12, v9, vcc
	v_cmp_neq_f32_e32 vcc, v10, v9
	v_cmp_class_f32_e64 s[26:27], v10, s30
	s_or_b64 s[42:43], vcc, s[26:27]
	s_and_saveexec_b64 s[26:27], s[42:43]
	s_cbranch_execz .LBB180_8
; %bb.10:                               ;   in Loop: Header=BB180_9 Depth=3
	v_sub_f32_e32 v3, v10, v9
	v_mul_f32_e32 v10, 0x3fb8aa3b, v3
	v_fma_f32 v11, v3, s31, -v10
	v_rndne_f32_e32 v12, v10
	v_fmac_f32_e32 v11, 0x32a5705f, v3
	v_sub_f32_e32 v10, v10, v12
	v_add_f32_e32 v10, v10, v11
	v_cvt_i32_f32_e32 v11, v12
	v_exp_f32_e32 v10, v10
	v_cmp_ngt_f32_e32 vcc, s33, v3
	v_ldexp_f32 v10, v10, v11
	s_nop 0
	v_cndmask_b32_e32 v10, 0, v10, vcc
	v_cmp_nlt_f32_e32 vcc, s34, v3
	s_nop 1
	v_cndmask_b32_e32 v26, v8, v10, vcc
	v_add_f32_e32 v3, 1.0, v26
	v_add_f32_e32 v10, -1.0, v3
	v_sub_f32_e32 v11, v10, v3
	v_add_f32_e32 v11, 1.0, v11
	v_sub_f32_e32 v10, v26, v10
	v_add_f32_e32 v12, v10, v11
	v_frexp_mant_f32_e32 v13, v3
	v_cvt_f64_f32_e32 v[10:11], v3
	v_frexp_exp_i32_f64_e32 v10, v[10:11]
	v_cmp_gt_f32_e32 vcc, s36, v13
	v_cmp_lt_f32_e64 s[42:43], |v26|, s38
	s_nop 0
	v_subbrev_co_u32_e32 v18, vcc, 0, v10, vcc
	v_sub_u32_e32 v10, 0, v18
	v_ldexp_f32 v3, v3, v10
	v_ldexp_f32 v10, v12, v10
	v_add_f32_e32 v12, -1.0, v3
	v_add_f32_e32 v11, 1.0, v12
	v_sub_f32_e32 v11, v3, v11
	v_add_f32_e32 v13, v10, v11
	v_add_f32_e32 v11, 1.0, v3
	v_add_f32_e32 v14, -1.0, v11
	v_sub_f32_e32 v3, v3, v14
	v_add_f32_e32 v3, v10, v3
	v_add_f32_e32 v19, v11, v3
	v_rcp_f32_e32 v20, v19
	v_sub_f32_e32 v10, v11, v19
	v_add_f32_e32 v11, v12, v13
	v_add_f32_e32 v3, v3, v10
	v_mul_f32_e32 v22, v11, v20
	v_sub_f32_e32 v10, v12, v11
	v_mul_f32_e32 v12, v19, v22
	v_fma_f32 v14, v22, v19, -v12
	v_fmac_f32_e32 v14, v22, v3
	v_add_f32_e32 v21, v13, v10
	v_add_f32_e32 v10, v12, v14
	v_sub_f32_e32 v13, v11, v10
	v_pk_add_f32 v[16:17], v[10:11], v[12:13] neg_lo:[0,1] neg_hi:[0,1]
	v_mov_b32_e32 v15, v10
	v_pk_add_f32 v[10:11], v[16:17], v[14:15] neg_lo:[0,1] neg_hi:[0,1]
	v_cmp_eq_f32_e32 vcc, s35, v26
	v_add_f32_e32 v11, v21, v11
	v_add_f32_e32 v10, v10, v11
	;; [unrolled: 1-line block ×3, first 2 shown]
	v_mul_f32_e32 v21, v20, v11
	v_mul_f32_e32 v12, v19, v21
	v_fma_f32 v14, v21, v19, -v12
	v_fmac_f32_e32 v14, v21, v3
	v_sub_f32_e32 v3, v13, v11
	v_add_f32_e32 v3, v10, v3
	v_add_f32_e32 v10, v12, v14
	v_sub_f32_e32 v13, v11, v10
	v_pk_add_f32 v[16:17], v[10:11], v[12:13] neg_lo:[0,1] neg_hi:[0,1]
	v_mov_b32_e32 v15, v10
	v_pk_add_f32 v[10:11], v[16:17], v[14:15] neg_lo:[0,1] neg_hi:[0,1]
	s_or_b64 vcc, vcc, s[42:43]
	v_add_f32_e32 v3, v3, v11
	v_add_f32_e32 v3, v10, v3
	;; [unrolled: 1-line block ×4, first 2 shown]
	v_sub_f32_e32 v10, v11, v22
	v_mul_f32_e32 v3, v20, v3
	v_sub_f32_e32 v10, v21, v10
	v_add_f32_e32 v12, v10, v3
	v_add_f32_e32 v14, v11, v12
	v_cvt_f32_i32_e32 v10, v18
	v_mul_f32_e32 v15, v14, v14
	v_sub_f32_e32 v11, v14, v11
	v_fmamk_f32 v3, v15, 0x3e9b6dac, v7
	v_sub_f32_e32 v11, v12, v11
	v_fmaak_f32 v3, v15, v3, 0x3f2aaada
	v_ldexp_f32 v16, v11, 1
	v_mul_f32_e32 v11, v14, v15
	v_ldexp_f32 v13, v14, 1
	v_pk_mul_f32 v[14:15], v[10:11], v[2:3]
	s_nop 0
	v_fma_f32 v12, v10, s37, -v14
	v_fmac_f32_e32 v12, 0xb102e308, v10
	v_pk_add_f32 v[10:11], v[14:15], v[12:13]
	s_nop 0
	v_sub_f32_e32 v3, v11, v13
	v_sub_f32_e32 v3, v15, v3
	v_add_f32_e32 v17, v16, v3
	v_mov_b32_e32 v16, v14
	v_pk_add_f32 v[14:15], v[10:11], v[14:15] neg_lo:[0,1] neg_hi:[0,1]
	v_pk_add_f32 v[18:19], v[10:11], v[16:17]
	v_mov_b32_e32 v13, v10
	v_mov_b32_e32 v15, v19
	v_pk_add_f32 v[20:21], v[12:13], v[14:15] neg_lo:[0,1] neg_hi:[0,1]
	v_pk_add_f32 v[12:13], v[12:13], v[14:15]
	v_mov_b32_e32 v16, v17
	v_mov_b32_e32 v14, v13
	v_pk_add_f32 v[22:23], v[14:15], v[10:11] neg_lo:[0,1] neg_hi:[0,1]
	v_mov_b32_e32 v12, v19
	v_mov_b32_e32 v3, v22
	v_pk_add_f32 v[24:25], v[18:19], v[2:3] neg_lo:[0,1] neg_hi:[0,1]
	v_mov_b32_e32 v18, v11
	v_mov_b32_e32 v19, v22
	;; [unrolled: 1-line block ×3, first 2 shown]
	v_pk_add_f32 v[12:13], v[12:13], v[18:19] neg_lo:[0,1] neg_hi:[0,1]
	v_mov_b32_e32 v17, v10
	v_pk_add_f32 v[10:11], v[16:17], v[12:13] neg_lo:[0,1] neg_hi:[0,1]
	v_mov_b32_e32 v24, v20
	v_pk_add_f32 v[12:13], v[24:25], v[10:11]
	s_nop 0
	v_mov_b32_e32 v16, v13
	v_pk_add_f32 v[16:17], v[12:13], v[16:17]
	s_nop 0
	v_pk_add_f32 v[14:15], v[14:15], v[16:17]
	v_mov_b32_e32 v11, v16
	v_mov_b32_e32 v13, v14
	v_pk_add_f32 v[18:19], v[12:13], v[20:21] neg_lo:[0,1] neg_hi:[0,1]
	s_nop 0
	v_sub_f32_e32 v3, v12, v18
	v_pk_add_f32 v[10:11], v[10:11], v[18:19] neg_lo:[0,1] neg_hi:[0,1]
	v_sub_f32_e32 v3, v20, v3
	v_add_f32_e32 v3, v10, v3
	v_add_f32_e32 v3, v3, v11
	;; [unrolled: 1-line block ×3, first 2 shown]
	v_cndmask_b32_e32 v3, v3, v26, vcc
	v_add_f32_e32 v3, v9, v3
	s_branch .LBB180_8
.LBB180_11:
	s_endpgm
	.section	.rodata,"a",@progbits
	.p2align	6, 0x0
	.amdhsa_kernel _ZN2at6native28tensor_kernel_scan_outer_dimIfjZZZNS0_31launch_logcumsumexp_cuda_kernelERKNS_10TensorBaseES4_lENKUlvE_clEvENKUlvE0_clEvEUlffE_EEvPT_PKS8_jjjS8_T1_
		.amdhsa_group_segment_fixed_size 0
		.amdhsa_private_segment_fixed_size 0
		.amdhsa_kernarg_size 296
		.amdhsa_user_sgpr_count 2
		.amdhsa_user_sgpr_dispatch_ptr 0
		.amdhsa_user_sgpr_queue_ptr 0
		.amdhsa_user_sgpr_kernarg_segment_ptr 1
		.amdhsa_user_sgpr_dispatch_id 0
		.amdhsa_user_sgpr_kernarg_preload_length 0
		.amdhsa_user_sgpr_kernarg_preload_offset 0
		.amdhsa_user_sgpr_private_segment_size 0
		.amdhsa_uses_dynamic_stack 0
		.amdhsa_enable_private_segment 0
		.amdhsa_system_sgpr_workgroup_id_x 1
		.amdhsa_system_sgpr_workgroup_id_y 1
		.amdhsa_system_sgpr_workgroup_id_z 0
		.amdhsa_system_sgpr_workgroup_info 0
		.amdhsa_system_vgpr_workitem_id 0
		.amdhsa_next_free_vgpr 27
		.amdhsa_next_free_sgpr 44
		.amdhsa_accum_offset 28
		.amdhsa_reserve_vcc 1
		.amdhsa_float_round_mode_32 0
		.amdhsa_float_round_mode_16_64 0
		.amdhsa_float_denorm_mode_32 3
		.amdhsa_float_denorm_mode_16_64 3
		.amdhsa_dx10_clamp 1
		.amdhsa_ieee_mode 1
		.amdhsa_fp16_overflow 0
		.amdhsa_tg_split 0
		.amdhsa_exception_fp_ieee_invalid_op 0
		.amdhsa_exception_fp_denorm_src 0
		.amdhsa_exception_fp_ieee_div_zero 0
		.amdhsa_exception_fp_ieee_overflow 0
		.amdhsa_exception_fp_ieee_underflow 0
		.amdhsa_exception_fp_ieee_inexact 0
		.amdhsa_exception_int_div_zero 0
	.end_amdhsa_kernel
	.section	.text._ZN2at6native28tensor_kernel_scan_outer_dimIfjZZZNS0_31launch_logcumsumexp_cuda_kernelERKNS_10TensorBaseES4_lENKUlvE_clEvENKUlvE0_clEvEUlffE_EEvPT_PKS8_jjjS8_T1_,"axG",@progbits,_ZN2at6native28tensor_kernel_scan_outer_dimIfjZZZNS0_31launch_logcumsumexp_cuda_kernelERKNS_10TensorBaseES4_lENKUlvE_clEvENKUlvE0_clEvEUlffE_EEvPT_PKS8_jjjS8_T1_,comdat
.Lfunc_end180:
	.size	_ZN2at6native28tensor_kernel_scan_outer_dimIfjZZZNS0_31launch_logcumsumexp_cuda_kernelERKNS_10TensorBaseES4_lENKUlvE_clEvENKUlvE0_clEvEUlffE_EEvPT_PKS8_jjjS8_T1_, .Lfunc_end180-_ZN2at6native28tensor_kernel_scan_outer_dimIfjZZZNS0_31launch_logcumsumexp_cuda_kernelERKNS_10TensorBaseES4_lENKUlvE_clEvENKUlvE0_clEvEUlffE_EEvPT_PKS8_jjjS8_T1_
                                        ; -- End function
	.section	.AMDGPU.csdata,"",@progbits
; Kernel info:
; codeLenInByte = 1156
; NumSgprs: 50
; NumVgprs: 27
; NumAgprs: 0
; TotalNumVgprs: 27
; ScratchSize: 0
; MemoryBound: 0
; FloatMode: 240
; IeeeMode: 1
; LDSByteSize: 0 bytes/workgroup (compile time only)
; SGPRBlocks: 6
; VGPRBlocks: 3
; NumSGPRsForWavesPerEU: 50
; NumVGPRsForWavesPerEU: 27
; AccumOffset: 28
; Occupancy: 8
; WaveLimiterHint : 0
; COMPUTE_PGM_RSRC2:SCRATCH_EN: 0
; COMPUTE_PGM_RSRC2:USER_SGPR: 2
; COMPUTE_PGM_RSRC2:TRAP_HANDLER: 0
; COMPUTE_PGM_RSRC2:TGID_X_EN: 1
; COMPUTE_PGM_RSRC2:TGID_Y_EN: 1
; COMPUTE_PGM_RSRC2:TGID_Z_EN: 0
; COMPUTE_PGM_RSRC2:TIDIG_COMP_CNT: 0
; COMPUTE_PGM_RSRC3_GFX90A:ACCUM_OFFSET: 6
; COMPUTE_PGM_RSRC3_GFX90A:TG_SPLIT: 0
	.section	.text._ZN2at6native28tensor_kernel_scan_outer_dimIfmZZZNS0_31launch_logcumsumexp_cuda_kernelERKNS_10TensorBaseES4_lENKUlvE_clEvENKUlvE0_clEvEUlffE_EEvPT_PKS8_jjjS8_T1_,"axG",@progbits,_ZN2at6native28tensor_kernel_scan_outer_dimIfmZZZNS0_31launch_logcumsumexp_cuda_kernelERKNS_10TensorBaseES4_lENKUlvE_clEvENKUlvE0_clEvEUlffE_EEvPT_PKS8_jjjS8_T1_,comdat
	.globl	_ZN2at6native28tensor_kernel_scan_outer_dimIfmZZZNS0_31launch_logcumsumexp_cuda_kernelERKNS_10TensorBaseES4_lENKUlvE_clEvENKUlvE0_clEvEUlffE_EEvPT_PKS8_jjjS8_T1_ ; -- Begin function _ZN2at6native28tensor_kernel_scan_outer_dimIfmZZZNS0_31launch_logcumsumexp_cuda_kernelERKNS_10TensorBaseES4_lENKUlvE_clEvENKUlvE0_clEvEUlffE_EEvPT_PKS8_jjjS8_T1_
	.p2align	8
	.type	_ZN2at6native28tensor_kernel_scan_outer_dimIfmZZZNS0_31launch_logcumsumexp_cuda_kernelERKNS_10TensorBaseES4_lENKUlvE_clEvENKUlvE0_clEvEUlffE_EEvPT_PKS8_jjjS8_T1_,@function
_ZN2at6native28tensor_kernel_scan_outer_dimIfmZZZNS0_31launch_logcumsumexp_cuda_kernelERKNS_10TensorBaseES4_lENKUlvE_clEvENKUlvE0_clEvEUlffE_EEvPT_PKS8_jjjS8_T1_: ; @_ZN2at6native28tensor_kernel_scan_outer_dimIfmZZZNS0_31launch_logcumsumexp_cuda_kernelERKNS_10TensorBaseES4_lENKUlvE_clEvENKUlvE0_clEvEUlffE_EEvPT_PKS8_jjjS8_T1_
; %bb.0:
	s_load_dwordx4 s[8:11], s[0:1], 0x10
	s_waitcnt lgkmcnt(0)
	s_cmp_ge_u32 s2, s8
	s_cbranch_scc1 .LBB181_11
; %bb.1:
	s_load_dword s4, s[0:1], 0x34
	s_load_dwordx4 s[12:15], s[0:1], 0x0
	s_load_dword s28, s[0:1], 0x28
	s_add_u32 s6, s0, 40
	s_addc_u32 s7, s1, 0
	s_waitcnt lgkmcnt(0)
	s_and_b32 s29, s4, 0xffff
	s_cmp_lg_u32 s10, 0
	s_mul_i32 s3, s3, s29
	s_cselect_b64 s[20:21], -1, 0
	v_add_u32_e32 v6, s3, v0
	s_mov_b32 s5, 0
	s_mov_b32 s4, s9
	s_mul_hi_u32 s17, s10, s9
	s_mul_i32 s16, s10, s9
	v_cndmask_b32_e64 v0, 0, 1, s[20:21]
	v_cmp_gt_u32_e64 s[0:1], s9, v6
	s_lshl_b64 s[16:17], s[16:17], 2
	s_lshl_b64 s[18:19], s[4:5], 2
	v_cmp_ne_u32_e64 s[4:5], 1, v0
	v_mov_b32_e32 v1, 0
	s_movk_i32 s3, 0x1f8
	s_mov_b32 s30, 0x3fb8aa3b
	s_mov_b32 s31, 0xc2ce8ed0
	;; [unrolled: 1-line block ×5, first 2 shown]
	v_mov_b32_e32 v7, 0x3ecc95a3
	s_mov_b32 s36, 0x3f317218
	s_mov_b32 s37, 0x33800000
	v_mov_b32_e32 v8, 0x7f800000
	v_mov_b32_e32 v2, 0x3f317218
                                        ; implicit-def: $vgpr0
	s_branch .LBB181_3
.LBB181_2:                              ;   in Loop: Header=BB181_3 Depth=1
	s_or_b64 exec, exec, s[20:21]
	s_add_i32 s2, s2, s28
	s_cmp_ge_u32 s2, s8
	s_cbranch_scc1 .LBB181_11
.LBB181_3:                              ; =>This Loop Header: Depth=1
                                        ;     Child Loop BB181_6 Depth 2
                                        ;       Child Loop BB181_9 Depth 3
	s_and_saveexec_b64 s[20:21], s[0:1]
	s_cbranch_execz .LBB181_2
; %bb.4:                                ;   in Loop: Header=BB181_3 Depth=1
	s_load_dword s38, s[6:7], 0x4
	s_mul_i32 s23, s17, s2
	s_mul_hi_u32 s24, s16, s2
	s_mul_i32 s22, s16, s2
	s_add_i32 s23, s24, s23
	s_waitcnt lgkmcnt(0)
	s_mul_i32 s38, s38, s29
	s_mov_b64 s[24:25], 0
	v_mov_b32_e32 v0, v6
	s_branch .LBB181_6
.LBB181_5:                              ;   in Loop: Header=BB181_6 Depth=2
	v_add_u32_e32 v0, s38, v0
	v_cmp_le_u32_e32 vcc, s9, v0
	s_or_b64 s[24:25], vcc, s[24:25]
	s_andn2_b64 exec, exec, s[24:25]
	s_cbranch_execz .LBB181_2
.LBB181_6:                              ;   Parent Loop BB181_3 Depth=1
                                        ; =>  This Loop Header: Depth=2
                                        ;       Child Loop BB181_9 Depth 3
	s_and_b64 vcc, exec, s[4:5]
	s_cbranch_vccnz .LBB181_5
; %bb.7:                                ;   in Loop: Header=BB181_6 Depth=2
	v_lshl_add_u64 v[4:5], v[0:1], 2, s[22:23]
	v_mov_b32_e32 v3, s11
	s_mov_b32 s39, s10
	s_branch .LBB181_9
.LBB181_8:                              ;   in Loop: Header=BB181_9 Depth=3
	s_or_b64 exec, exec, s[26:27]
	s_add_i32 s39, s39, -1
	v_lshl_add_u64 v[10:11], s[12:13], 0, v[4:5]
	s_cmp_eq_u32 s39, 0
	v_lshl_add_u64 v[4:5], v[4:5], 0, s[18:19]
	global_store_dword v[10:11], v3, off
	s_cbranch_scc1 .LBB181_5
.LBB181_9:                              ;   Parent Loop BB181_3 Depth=1
                                        ;     Parent Loop BB181_6 Depth=2
                                        ; =>    This Inner Loop Header: Depth=3
	v_lshl_add_u64 v[10:11], s[14:15], 0, v[4:5]
	global_load_dword v9, v[10:11], off
	v_max_f32_e32 v10, v3, v3
	v_cmp_u_f32_e32 vcc, v3, v3
	s_waitcnt vmcnt(0)
	v_max_f32_e32 v11, v9, v9
	v_min_f32_e32 v12, v10, v11
	v_max_f32_e32 v10, v10, v11
	v_cndmask_b32_e32 v11, v12, v3, vcc
	v_cndmask_b32_e32 v12, v10, v3, vcc
	v_cmp_u_f32_e32 vcc, v9, v9
	s_nop 1
	v_cndmask_b32_e32 v10, v11, v9, vcc
	v_cndmask_b32_e32 v9, v12, v9, vcc
	v_cmp_neq_f32_e32 vcc, v10, v9
	v_cmp_class_f32_e64 s[26:27], v10, s3
	s_or_b64 s[40:41], vcc, s[26:27]
	s_and_saveexec_b64 s[26:27], s[40:41]
	s_cbranch_execz .LBB181_8
; %bb.10:                               ;   in Loop: Header=BB181_9 Depth=3
	v_sub_f32_e32 v3, v10, v9
	v_mul_f32_e32 v10, 0x3fb8aa3b, v3
	v_fma_f32 v11, v3, s30, -v10
	v_rndne_f32_e32 v12, v10
	v_fmac_f32_e32 v11, 0x32a5705f, v3
	v_sub_f32_e32 v10, v10, v12
	v_add_f32_e32 v10, v10, v11
	v_cvt_i32_f32_e32 v11, v12
	v_exp_f32_e32 v10, v10
	v_cmp_ngt_f32_e32 vcc, s31, v3
	v_ldexp_f32 v10, v10, v11
	s_nop 0
	v_cndmask_b32_e32 v10, 0, v10, vcc
	v_cmp_nlt_f32_e32 vcc, s33, v3
	s_nop 1
	v_cndmask_b32_e32 v26, v8, v10, vcc
	v_add_f32_e32 v3, 1.0, v26
	v_add_f32_e32 v10, -1.0, v3
	v_sub_f32_e32 v11, v10, v3
	v_add_f32_e32 v11, 1.0, v11
	v_sub_f32_e32 v10, v26, v10
	v_add_f32_e32 v12, v10, v11
	v_frexp_mant_f32_e32 v13, v3
	v_cvt_f64_f32_e32 v[10:11], v3
	v_frexp_exp_i32_f64_e32 v10, v[10:11]
	v_cmp_gt_f32_e32 vcc, s35, v13
	v_cmp_lt_f32_e64 s[40:41], |v26|, s37
	s_nop 0
	v_subbrev_co_u32_e32 v18, vcc, 0, v10, vcc
	v_sub_u32_e32 v10, 0, v18
	v_ldexp_f32 v3, v3, v10
	v_ldexp_f32 v10, v12, v10
	v_add_f32_e32 v12, -1.0, v3
	v_add_f32_e32 v11, 1.0, v12
	v_sub_f32_e32 v11, v3, v11
	v_add_f32_e32 v13, v10, v11
	v_add_f32_e32 v11, 1.0, v3
	v_add_f32_e32 v14, -1.0, v11
	v_sub_f32_e32 v3, v3, v14
	v_add_f32_e32 v3, v10, v3
	v_add_f32_e32 v19, v11, v3
	v_rcp_f32_e32 v20, v19
	v_sub_f32_e32 v10, v11, v19
	v_add_f32_e32 v11, v12, v13
	v_add_f32_e32 v3, v3, v10
	v_mul_f32_e32 v22, v11, v20
	v_sub_f32_e32 v10, v12, v11
	v_mul_f32_e32 v12, v19, v22
	v_fma_f32 v14, v22, v19, -v12
	v_fmac_f32_e32 v14, v22, v3
	v_add_f32_e32 v21, v13, v10
	v_add_f32_e32 v10, v12, v14
	v_sub_f32_e32 v13, v11, v10
	v_pk_add_f32 v[16:17], v[10:11], v[12:13] neg_lo:[0,1] neg_hi:[0,1]
	v_mov_b32_e32 v15, v10
	v_pk_add_f32 v[10:11], v[16:17], v[14:15] neg_lo:[0,1] neg_hi:[0,1]
	v_cmp_eq_f32_e32 vcc, s34, v26
	v_add_f32_e32 v11, v21, v11
	v_add_f32_e32 v10, v10, v11
	;; [unrolled: 1-line block ×3, first 2 shown]
	v_mul_f32_e32 v21, v20, v11
	v_mul_f32_e32 v12, v19, v21
	v_fma_f32 v14, v21, v19, -v12
	v_fmac_f32_e32 v14, v21, v3
	v_sub_f32_e32 v3, v13, v11
	v_add_f32_e32 v3, v10, v3
	v_add_f32_e32 v10, v12, v14
	v_sub_f32_e32 v13, v11, v10
	v_pk_add_f32 v[16:17], v[10:11], v[12:13] neg_lo:[0,1] neg_hi:[0,1]
	v_mov_b32_e32 v15, v10
	v_pk_add_f32 v[10:11], v[16:17], v[14:15] neg_lo:[0,1] neg_hi:[0,1]
	s_or_b64 vcc, vcc, s[40:41]
	v_add_f32_e32 v3, v3, v11
	v_add_f32_e32 v3, v10, v3
	;; [unrolled: 1-line block ×4, first 2 shown]
	v_sub_f32_e32 v10, v11, v22
	v_mul_f32_e32 v3, v20, v3
	v_sub_f32_e32 v10, v21, v10
	v_add_f32_e32 v12, v10, v3
	v_add_f32_e32 v14, v11, v12
	v_cvt_f32_i32_e32 v10, v18
	v_mul_f32_e32 v15, v14, v14
	v_sub_f32_e32 v11, v14, v11
	v_fmamk_f32 v3, v15, 0x3e9b6dac, v7
	v_sub_f32_e32 v11, v12, v11
	v_fmaak_f32 v3, v15, v3, 0x3f2aaada
	v_ldexp_f32 v16, v11, 1
	v_mul_f32_e32 v11, v14, v15
	v_ldexp_f32 v13, v14, 1
	v_pk_mul_f32 v[14:15], v[10:11], v[2:3]
	s_nop 0
	v_fma_f32 v12, v10, s36, -v14
	v_fmac_f32_e32 v12, 0xb102e308, v10
	v_pk_add_f32 v[10:11], v[14:15], v[12:13]
	s_nop 0
	v_sub_f32_e32 v3, v11, v13
	v_sub_f32_e32 v3, v15, v3
	v_add_f32_e32 v17, v16, v3
	v_mov_b32_e32 v16, v14
	v_pk_add_f32 v[14:15], v[10:11], v[14:15] neg_lo:[0,1] neg_hi:[0,1]
	v_pk_add_f32 v[18:19], v[10:11], v[16:17]
	v_mov_b32_e32 v13, v10
	v_mov_b32_e32 v15, v19
	v_pk_add_f32 v[20:21], v[12:13], v[14:15] neg_lo:[0,1] neg_hi:[0,1]
	v_pk_add_f32 v[12:13], v[12:13], v[14:15]
	v_mov_b32_e32 v16, v17
	v_mov_b32_e32 v14, v13
	v_pk_add_f32 v[22:23], v[14:15], v[10:11] neg_lo:[0,1] neg_hi:[0,1]
	v_mov_b32_e32 v12, v19
	v_mov_b32_e32 v3, v22
	v_pk_add_f32 v[24:25], v[18:19], v[2:3] neg_lo:[0,1] neg_hi:[0,1]
	v_mov_b32_e32 v18, v11
	v_mov_b32_e32 v19, v22
	;; [unrolled: 1-line block ×3, first 2 shown]
	v_pk_add_f32 v[12:13], v[12:13], v[18:19] neg_lo:[0,1] neg_hi:[0,1]
	v_mov_b32_e32 v17, v10
	v_pk_add_f32 v[10:11], v[16:17], v[12:13] neg_lo:[0,1] neg_hi:[0,1]
	v_mov_b32_e32 v24, v20
	v_pk_add_f32 v[12:13], v[24:25], v[10:11]
	s_nop 0
	v_mov_b32_e32 v16, v13
	v_pk_add_f32 v[16:17], v[12:13], v[16:17]
	s_nop 0
	v_pk_add_f32 v[14:15], v[14:15], v[16:17]
	v_mov_b32_e32 v11, v16
	v_mov_b32_e32 v13, v14
	v_pk_add_f32 v[18:19], v[12:13], v[20:21] neg_lo:[0,1] neg_hi:[0,1]
	s_nop 0
	v_sub_f32_e32 v3, v12, v18
	v_pk_add_f32 v[10:11], v[10:11], v[18:19] neg_lo:[0,1] neg_hi:[0,1]
	v_sub_f32_e32 v3, v20, v3
	v_add_f32_e32 v3, v10, v3
	v_add_f32_e32 v3, v3, v11
	;; [unrolled: 1-line block ×3, first 2 shown]
	v_cndmask_b32_e32 v3, v3, v26, vcc
	v_add_f32_e32 v3, v9, v3
	s_branch .LBB181_8
.LBB181_11:
	s_endpgm
	.section	.rodata,"a",@progbits
	.p2align	6, 0x0
	.amdhsa_kernel _ZN2at6native28tensor_kernel_scan_outer_dimIfmZZZNS0_31launch_logcumsumexp_cuda_kernelERKNS_10TensorBaseES4_lENKUlvE_clEvENKUlvE0_clEvEUlffE_EEvPT_PKS8_jjjS8_T1_
		.amdhsa_group_segment_fixed_size 0
		.amdhsa_private_segment_fixed_size 0
		.amdhsa_kernarg_size 296
		.amdhsa_user_sgpr_count 2
		.amdhsa_user_sgpr_dispatch_ptr 0
		.amdhsa_user_sgpr_queue_ptr 0
		.amdhsa_user_sgpr_kernarg_segment_ptr 1
		.amdhsa_user_sgpr_dispatch_id 0
		.amdhsa_user_sgpr_kernarg_preload_length 0
		.amdhsa_user_sgpr_kernarg_preload_offset 0
		.amdhsa_user_sgpr_private_segment_size 0
		.amdhsa_uses_dynamic_stack 0
		.amdhsa_enable_private_segment 0
		.amdhsa_system_sgpr_workgroup_id_x 1
		.amdhsa_system_sgpr_workgroup_id_y 1
		.amdhsa_system_sgpr_workgroup_id_z 0
		.amdhsa_system_sgpr_workgroup_info 0
		.amdhsa_system_vgpr_workitem_id 0
		.amdhsa_next_free_vgpr 27
		.amdhsa_next_free_sgpr 42
		.amdhsa_accum_offset 28
		.amdhsa_reserve_vcc 1
		.amdhsa_float_round_mode_32 0
		.amdhsa_float_round_mode_16_64 0
		.amdhsa_float_denorm_mode_32 3
		.amdhsa_float_denorm_mode_16_64 3
		.amdhsa_dx10_clamp 1
		.amdhsa_ieee_mode 1
		.amdhsa_fp16_overflow 0
		.amdhsa_tg_split 0
		.amdhsa_exception_fp_ieee_invalid_op 0
		.amdhsa_exception_fp_denorm_src 0
		.amdhsa_exception_fp_ieee_div_zero 0
		.amdhsa_exception_fp_ieee_overflow 0
		.amdhsa_exception_fp_ieee_underflow 0
		.amdhsa_exception_fp_ieee_inexact 0
		.amdhsa_exception_int_div_zero 0
	.end_amdhsa_kernel
	.section	.text._ZN2at6native28tensor_kernel_scan_outer_dimIfmZZZNS0_31launch_logcumsumexp_cuda_kernelERKNS_10TensorBaseES4_lENKUlvE_clEvENKUlvE0_clEvEUlffE_EEvPT_PKS8_jjjS8_T1_,"axG",@progbits,_ZN2at6native28tensor_kernel_scan_outer_dimIfmZZZNS0_31launch_logcumsumexp_cuda_kernelERKNS_10TensorBaseES4_lENKUlvE_clEvENKUlvE0_clEvEUlffE_EEvPT_PKS8_jjjS8_T1_,comdat
.Lfunc_end181:
	.size	_ZN2at6native28tensor_kernel_scan_outer_dimIfmZZZNS0_31launch_logcumsumexp_cuda_kernelERKNS_10TensorBaseES4_lENKUlvE_clEvENKUlvE0_clEvEUlffE_EEvPT_PKS8_jjjS8_T1_, .Lfunc_end181-_ZN2at6native28tensor_kernel_scan_outer_dimIfmZZZNS0_31launch_logcumsumexp_cuda_kernelERKNS_10TensorBaseES4_lENKUlvE_clEvENKUlvE0_clEvEUlffE_EEvPT_PKS8_jjjS8_T1_
                                        ; -- End function
	.section	.AMDGPU.csdata,"",@progbits
; Kernel info:
; codeLenInByte = 1156
; NumSgprs: 48
; NumVgprs: 27
; NumAgprs: 0
; TotalNumVgprs: 27
; ScratchSize: 0
; MemoryBound: 0
; FloatMode: 240
; IeeeMode: 1
; LDSByteSize: 0 bytes/workgroup (compile time only)
; SGPRBlocks: 5
; VGPRBlocks: 3
; NumSGPRsForWavesPerEU: 48
; NumVGPRsForWavesPerEU: 27
; AccumOffset: 28
; Occupancy: 8
; WaveLimiterHint : 0
; COMPUTE_PGM_RSRC2:SCRATCH_EN: 0
; COMPUTE_PGM_RSRC2:USER_SGPR: 2
; COMPUTE_PGM_RSRC2:TRAP_HANDLER: 0
; COMPUTE_PGM_RSRC2:TGID_X_EN: 1
; COMPUTE_PGM_RSRC2:TGID_Y_EN: 1
; COMPUTE_PGM_RSRC2:TGID_Z_EN: 0
; COMPUTE_PGM_RSRC2:TIDIG_COMP_CNT: 0
; COMPUTE_PGM_RSRC3_GFX90A:ACCUM_OFFSET: 6
; COMPUTE_PGM_RSRC3_GFX90A:TG_SPLIT: 0
	.section	.text._ZN7rocprim17ROCPRIM_400000_NS6detail31init_lookback_scan_state_kernelINS1_19lookback_scan_stateIN3c107complexIdEELb0ELb0EEENS1_16block_id_wrapperIjLb0EEEEEvT_jT0_jPNSA_10value_typeE,"axG",@progbits,_ZN7rocprim17ROCPRIM_400000_NS6detail31init_lookback_scan_state_kernelINS1_19lookback_scan_stateIN3c107complexIdEELb0ELb0EEENS1_16block_id_wrapperIjLb0EEEEEvT_jT0_jPNSA_10value_typeE,comdat
	.protected	_ZN7rocprim17ROCPRIM_400000_NS6detail31init_lookback_scan_state_kernelINS1_19lookback_scan_stateIN3c107complexIdEELb0ELb0EEENS1_16block_id_wrapperIjLb0EEEEEvT_jT0_jPNSA_10value_typeE ; -- Begin function _ZN7rocprim17ROCPRIM_400000_NS6detail31init_lookback_scan_state_kernelINS1_19lookback_scan_stateIN3c107complexIdEELb0ELb0EEENS1_16block_id_wrapperIjLb0EEEEEvT_jT0_jPNSA_10value_typeE
	.globl	_ZN7rocprim17ROCPRIM_400000_NS6detail31init_lookback_scan_state_kernelINS1_19lookback_scan_stateIN3c107complexIdEELb0ELb0EEENS1_16block_id_wrapperIjLb0EEEEEvT_jT0_jPNSA_10value_typeE
	.p2align	8
	.type	_ZN7rocprim17ROCPRIM_400000_NS6detail31init_lookback_scan_state_kernelINS1_19lookback_scan_stateIN3c107complexIdEELb0ELb0EEENS1_16block_id_wrapperIjLb0EEEEEvT_jT0_jPNSA_10value_typeE,@function
_ZN7rocprim17ROCPRIM_400000_NS6detail31init_lookback_scan_state_kernelINS1_19lookback_scan_stateIN3c107complexIdEELb0ELb0EEENS1_16block_id_wrapperIjLb0EEEEEvT_jT0_jPNSA_10value_typeE: ; @_ZN7rocprim17ROCPRIM_400000_NS6detail31init_lookback_scan_state_kernelINS1_19lookback_scan_stateIN3c107complexIdEELb0ELb0EEENS1_16block_id_wrapperIjLb0EEEEEvT_jT0_jPNSA_10value_typeE
; %bb.0:
	s_load_dword s3, s[0:1], 0x3c
	s_load_dwordx2 s[6:7], s[0:1], 0x28
	s_load_dwordx2 s[4:5], s[0:1], 0x10
	s_load_dword s14, s[0:1], 0x18
	s_waitcnt lgkmcnt(0)
	s_and_b32 s3, s3, 0xffff
	s_mul_i32 s2, s2, s3
	s_cmp_eq_u64 s[6:7], 0
	v_add_u32_e32 v0, s2, v0
	s_cbranch_scc1 .LBB182_7
; %bb.1:
	s_load_dword s2, s[0:1], 0x20
	s_mov_b32 s11, 0
	s_waitcnt lgkmcnt(0)
	s_cmp_lt_u32 s2, s14
	s_cselect_b32 s3, s2, 0
	v_cmp_eq_u32_e32 vcc, s3, v0
	s_and_saveexec_b64 s[8:9], vcc
	s_cbranch_execz .LBB182_6
; %bb.2:
	s_add_i32 s10, s2, 64
	v_mov_b32_e32 v1, s10
	global_load_ubyte v1, v1, s[4:5] sc1
	s_load_dwordx4 s[0:3], s[0:1], 0x0
	s_add_u32 s12, s4, s10
	s_addc_u32 s13, s5, 0
	s_waitcnt vmcnt(0)
	v_cmp_ne_u16_e32 vcc, 0, v1
	v_readfirstlane_b32 s15, v1
	s_cbranch_vccnz .LBB182_5
; %bb.3:
	v_mov_b32_e32 v1, 0
.LBB182_4:                              ; =>This Inner Loop Header: Depth=1
	global_load_ubyte v2, v1, s[12:13] sc1
	s_waitcnt vmcnt(0)
	v_cmp_eq_u16_e32 vcc, 0, v2
	v_readfirstlane_b32 s15, v2
	s_cbranch_vccnz .LBB182_4
.LBB182_5:
	s_and_b32 s12, 0xffff, s15
	s_cmp_eq_u32 s12, 1
	s_waitcnt lgkmcnt(0)
	s_cselect_b32 s3, s1, s3
	s_cselect_b32 s2, s0, s2
	s_lshl_b64 s[0:1], s[10:11], 4
	s_add_u32 s0, s2, s0
	s_addc_u32 s1, s3, s1
	v_mov_b32_e32 v1, 0
	s_waitcnt vmcnt(0)
	global_load_dword v2, v1, s[0:1] sc1
	global_load_dword v3, v1, s[0:1] offset:4 sc1
	global_load_dword v4, v1, s[0:1] offset:8 sc1
	;; [unrolled: 1-line block ×3, first 2 shown]
	s_waitcnt vmcnt(0)
	global_store_dwordx4 v1, v[2:5], s[6:7]
.LBB182_6:
	s_or_b64 exec, exec, s[8:9]
.LBB182_7:
	v_cmp_gt_u32_e32 vcc, s14, v0
	s_and_saveexec_b64 s[0:1], vcc
	s_cbranch_execnz .LBB182_10
; %bb.8:
	s_or_b64 exec, exec, s[0:1]
	v_cmp_gt_u32_e32 vcc, 64, v0
	s_and_saveexec_b64 s[0:1], vcc
	s_cbranch_execnz .LBB182_11
.LBB182_9:
	s_endpgm
.LBB182_10:
	v_add_u32_e32 v1, 64, v0
	v_mov_b32_e32 v2, 0
	global_store_byte v1, v2, s[4:5]
	s_or_b64 exec, exec, s[0:1]
	v_cmp_gt_u32_e32 vcc, 64, v0
	s_and_saveexec_b64 s[0:1], vcc
	s_cbranch_execz .LBB182_9
.LBB182_11:
	v_mov_b32_e32 v1, 0xff
	global_store_byte v0, v1, s[4:5]
	s_endpgm
	.section	.rodata,"a",@progbits
	.p2align	6, 0x0
	.amdhsa_kernel _ZN7rocprim17ROCPRIM_400000_NS6detail31init_lookback_scan_state_kernelINS1_19lookback_scan_stateIN3c107complexIdEELb0ELb0EEENS1_16block_id_wrapperIjLb0EEEEEvT_jT0_jPNSA_10value_typeE
		.amdhsa_group_segment_fixed_size 0
		.amdhsa_private_segment_fixed_size 0
		.amdhsa_kernarg_size 304
		.amdhsa_user_sgpr_count 2
		.amdhsa_user_sgpr_dispatch_ptr 0
		.amdhsa_user_sgpr_queue_ptr 0
		.amdhsa_user_sgpr_kernarg_segment_ptr 1
		.amdhsa_user_sgpr_dispatch_id 0
		.amdhsa_user_sgpr_kernarg_preload_length 0
		.amdhsa_user_sgpr_kernarg_preload_offset 0
		.amdhsa_user_sgpr_private_segment_size 0
		.amdhsa_uses_dynamic_stack 0
		.amdhsa_enable_private_segment 0
		.amdhsa_system_sgpr_workgroup_id_x 1
		.amdhsa_system_sgpr_workgroup_id_y 0
		.amdhsa_system_sgpr_workgroup_id_z 0
		.amdhsa_system_sgpr_workgroup_info 0
		.amdhsa_system_vgpr_workitem_id 0
		.amdhsa_next_free_vgpr 6
		.amdhsa_next_free_sgpr 16
		.amdhsa_accum_offset 8
		.amdhsa_reserve_vcc 1
		.amdhsa_float_round_mode_32 0
		.amdhsa_float_round_mode_16_64 0
		.amdhsa_float_denorm_mode_32 3
		.amdhsa_float_denorm_mode_16_64 3
		.amdhsa_dx10_clamp 1
		.amdhsa_ieee_mode 1
		.amdhsa_fp16_overflow 0
		.amdhsa_tg_split 0
		.amdhsa_exception_fp_ieee_invalid_op 0
		.amdhsa_exception_fp_denorm_src 0
		.amdhsa_exception_fp_ieee_div_zero 0
		.amdhsa_exception_fp_ieee_overflow 0
		.amdhsa_exception_fp_ieee_underflow 0
		.amdhsa_exception_fp_ieee_inexact 0
		.amdhsa_exception_int_div_zero 0
	.end_amdhsa_kernel
	.section	.text._ZN7rocprim17ROCPRIM_400000_NS6detail31init_lookback_scan_state_kernelINS1_19lookback_scan_stateIN3c107complexIdEELb0ELb0EEENS1_16block_id_wrapperIjLb0EEEEEvT_jT0_jPNSA_10value_typeE,"axG",@progbits,_ZN7rocprim17ROCPRIM_400000_NS6detail31init_lookback_scan_state_kernelINS1_19lookback_scan_stateIN3c107complexIdEELb0ELb0EEENS1_16block_id_wrapperIjLb0EEEEEvT_jT0_jPNSA_10value_typeE,comdat
.Lfunc_end182:
	.size	_ZN7rocprim17ROCPRIM_400000_NS6detail31init_lookback_scan_state_kernelINS1_19lookback_scan_stateIN3c107complexIdEELb0ELb0EEENS1_16block_id_wrapperIjLb0EEEEEvT_jT0_jPNSA_10value_typeE, .Lfunc_end182-_ZN7rocprim17ROCPRIM_400000_NS6detail31init_lookback_scan_state_kernelINS1_19lookback_scan_stateIN3c107complexIdEELb0ELb0EEENS1_16block_id_wrapperIjLb0EEEEEvT_jT0_jPNSA_10value_typeE
                                        ; -- End function
	.section	.AMDGPU.csdata,"",@progbits
; Kernel info:
; codeLenInByte = 348
; NumSgprs: 22
; NumVgprs: 6
; NumAgprs: 0
; TotalNumVgprs: 6
; ScratchSize: 0
; MemoryBound: 0
; FloatMode: 240
; IeeeMode: 1
; LDSByteSize: 0 bytes/workgroup (compile time only)
; SGPRBlocks: 2
; VGPRBlocks: 0
; NumSGPRsForWavesPerEU: 22
; NumVGPRsForWavesPerEU: 6
; AccumOffset: 8
; Occupancy: 8
; WaveLimiterHint : 0
; COMPUTE_PGM_RSRC2:SCRATCH_EN: 0
; COMPUTE_PGM_RSRC2:USER_SGPR: 2
; COMPUTE_PGM_RSRC2:TRAP_HANDLER: 0
; COMPUTE_PGM_RSRC2:TGID_X_EN: 1
; COMPUTE_PGM_RSRC2:TGID_Y_EN: 0
; COMPUTE_PGM_RSRC2:TGID_Z_EN: 0
; COMPUTE_PGM_RSRC2:TIDIG_COMP_CNT: 0
; COMPUTE_PGM_RSRC3_GFX90A:ACCUM_OFFSET: 1
; COMPUTE_PGM_RSRC3_GFX90A:TG_SPLIT: 0
	.section	.text._ZN7rocprim17ROCPRIM_400000_NS6detail17trampoline_kernelINS0_14default_configENS1_20scan_config_selectorIN3c107complexIdEEEEZZNS1_9scan_implILNS1_25lookback_scan_determinismE0ELb0ELb0ES3_PKS7_PS7_S7_ZZZN2at6native31launch_logcumsumexp_cuda_kernelERKNSE_10TensorBaseESI_lENKUlvE_clEvENKUlvE1_clEvEUlS7_S7_E_S7_EEDaPvRmT3_T4_T5_mT6_P12ihipStream_tbENKUlT_T0_E_clISt17integral_constantIbLb0EESZ_EEDaSU_SV_EUlSU_E_NS1_11comp_targetILNS1_3genE0ELNS1_11target_archE4294967295ELNS1_3gpuE0ELNS1_3repE0EEENS1_30default_config_static_selectorELNS0_4arch9wavefront6targetE1EEEvT1_,"axG",@progbits,_ZN7rocprim17ROCPRIM_400000_NS6detail17trampoline_kernelINS0_14default_configENS1_20scan_config_selectorIN3c107complexIdEEEEZZNS1_9scan_implILNS1_25lookback_scan_determinismE0ELb0ELb0ES3_PKS7_PS7_S7_ZZZN2at6native31launch_logcumsumexp_cuda_kernelERKNSE_10TensorBaseESI_lENKUlvE_clEvENKUlvE1_clEvEUlS7_S7_E_S7_EEDaPvRmT3_T4_T5_mT6_P12ihipStream_tbENKUlT_T0_E_clISt17integral_constantIbLb0EESZ_EEDaSU_SV_EUlSU_E_NS1_11comp_targetILNS1_3genE0ELNS1_11target_archE4294967295ELNS1_3gpuE0ELNS1_3repE0EEENS1_30default_config_static_selectorELNS0_4arch9wavefront6targetE1EEEvT1_,comdat
	.globl	_ZN7rocprim17ROCPRIM_400000_NS6detail17trampoline_kernelINS0_14default_configENS1_20scan_config_selectorIN3c107complexIdEEEEZZNS1_9scan_implILNS1_25lookback_scan_determinismE0ELb0ELb0ES3_PKS7_PS7_S7_ZZZN2at6native31launch_logcumsumexp_cuda_kernelERKNSE_10TensorBaseESI_lENKUlvE_clEvENKUlvE1_clEvEUlS7_S7_E_S7_EEDaPvRmT3_T4_T5_mT6_P12ihipStream_tbENKUlT_T0_E_clISt17integral_constantIbLb0EESZ_EEDaSU_SV_EUlSU_E_NS1_11comp_targetILNS1_3genE0ELNS1_11target_archE4294967295ELNS1_3gpuE0ELNS1_3repE0EEENS1_30default_config_static_selectorELNS0_4arch9wavefront6targetE1EEEvT1_ ; -- Begin function _ZN7rocprim17ROCPRIM_400000_NS6detail17trampoline_kernelINS0_14default_configENS1_20scan_config_selectorIN3c107complexIdEEEEZZNS1_9scan_implILNS1_25lookback_scan_determinismE0ELb0ELb0ES3_PKS7_PS7_S7_ZZZN2at6native31launch_logcumsumexp_cuda_kernelERKNSE_10TensorBaseESI_lENKUlvE_clEvENKUlvE1_clEvEUlS7_S7_E_S7_EEDaPvRmT3_T4_T5_mT6_P12ihipStream_tbENKUlT_T0_E_clISt17integral_constantIbLb0EESZ_EEDaSU_SV_EUlSU_E_NS1_11comp_targetILNS1_3genE0ELNS1_11target_archE4294967295ELNS1_3gpuE0ELNS1_3repE0EEENS1_30default_config_static_selectorELNS0_4arch9wavefront6targetE1EEEvT1_
	.p2align	8
	.type	_ZN7rocprim17ROCPRIM_400000_NS6detail17trampoline_kernelINS0_14default_configENS1_20scan_config_selectorIN3c107complexIdEEEEZZNS1_9scan_implILNS1_25lookback_scan_determinismE0ELb0ELb0ES3_PKS7_PS7_S7_ZZZN2at6native31launch_logcumsumexp_cuda_kernelERKNSE_10TensorBaseESI_lENKUlvE_clEvENKUlvE1_clEvEUlS7_S7_E_S7_EEDaPvRmT3_T4_T5_mT6_P12ihipStream_tbENKUlT_T0_E_clISt17integral_constantIbLb0EESZ_EEDaSU_SV_EUlSU_E_NS1_11comp_targetILNS1_3genE0ELNS1_11target_archE4294967295ELNS1_3gpuE0ELNS1_3repE0EEENS1_30default_config_static_selectorELNS0_4arch9wavefront6targetE1EEEvT1_,@function
_ZN7rocprim17ROCPRIM_400000_NS6detail17trampoline_kernelINS0_14default_configENS1_20scan_config_selectorIN3c107complexIdEEEEZZNS1_9scan_implILNS1_25lookback_scan_determinismE0ELb0ELb0ES3_PKS7_PS7_S7_ZZZN2at6native31launch_logcumsumexp_cuda_kernelERKNSE_10TensorBaseESI_lENKUlvE_clEvENKUlvE1_clEvEUlS7_S7_E_S7_EEDaPvRmT3_T4_T5_mT6_P12ihipStream_tbENKUlT_T0_E_clISt17integral_constantIbLb0EESZ_EEDaSU_SV_EUlSU_E_NS1_11comp_targetILNS1_3genE0ELNS1_11target_archE4294967295ELNS1_3gpuE0ELNS1_3repE0EEENS1_30default_config_static_selectorELNS0_4arch9wavefront6targetE1EEEvT1_: ; @_ZN7rocprim17ROCPRIM_400000_NS6detail17trampoline_kernelINS0_14default_configENS1_20scan_config_selectorIN3c107complexIdEEEEZZNS1_9scan_implILNS1_25lookback_scan_determinismE0ELb0ELb0ES3_PKS7_PS7_S7_ZZZN2at6native31launch_logcumsumexp_cuda_kernelERKNSE_10TensorBaseESI_lENKUlvE_clEvENKUlvE1_clEvEUlS7_S7_E_S7_EEDaPvRmT3_T4_T5_mT6_P12ihipStream_tbENKUlT_T0_E_clISt17integral_constantIbLb0EESZ_EEDaSU_SV_EUlSU_E_NS1_11comp_targetILNS1_3genE0ELNS1_11target_archE4294967295ELNS1_3gpuE0ELNS1_3repE0EEENS1_30default_config_static_selectorELNS0_4arch9wavefront6targetE1EEEvT1_
; %bb.0:
	.section	.rodata,"a",@progbits
	.p2align	6, 0x0
	.amdhsa_kernel _ZN7rocprim17ROCPRIM_400000_NS6detail17trampoline_kernelINS0_14default_configENS1_20scan_config_selectorIN3c107complexIdEEEEZZNS1_9scan_implILNS1_25lookback_scan_determinismE0ELb0ELb0ES3_PKS7_PS7_S7_ZZZN2at6native31launch_logcumsumexp_cuda_kernelERKNSE_10TensorBaseESI_lENKUlvE_clEvENKUlvE1_clEvEUlS7_S7_E_S7_EEDaPvRmT3_T4_T5_mT6_P12ihipStream_tbENKUlT_T0_E_clISt17integral_constantIbLb0EESZ_EEDaSU_SV_EUlSU_E_NS1_11comp_targetILNS1_3genE0ELNS1_11target_archE4294967295ELNS1_3gpuE0ELNS1_3repE0EEENS1_30default_config_static_selectorELNS0_4arch9wavefront6targetE1EEEvT1_
		.amdhsa_group_segment_fixed_size 0
		.amdhsa_private_segment_fixed_size 0
		.amdhsa_kernarg_size 128
		.amdhsa_user_sgpr_count 2
		.amdhsa_user_sgpr_dispatch_ptr 0
		.amdhsa_user_sgpr_queue_ptr 0
		.amdhsa_user_sgpr_kernarg_segment_ptr 1
		.amdhsa_user_sgpr_dispatch_id 0
		.amdhsa_user_sgpr_kernarg_preload_length 0
		.amdhsa_user_sgpr_kernarg_preload_offset 0
		.amdhsa_user_sgpr_private_segment_size 0
		.amdhsa_uses_dynamic_stack 0
		.amdhsa_enable_private_segment 0
		.amdhsa_system_sgpr_workgroup_id_x 1
		.amdhsa_system_sgpr_workgroup_id_y 0
		.amdhsa_system_sgpr_workgroup_id_z 0
		.amdhsa_system_sgpr_workgroup_info 0
		.amdhsa_system_vgpr_workitem_id 0
		.amdhsa_next_free_vgpr 1
		.amdhsa_next_free_sgpr 0
		.amdhsa_accum_offset 4
		.amdhsa_reserve_vcc 0
		.amdhsa_float_round_mode_32 0
		.amdhsa_float_round_mode_16_64 0
		.amdhsa_float_denorm_mode_32 3
		.amdhsa_float_denorm_mode_16_64 3
		.amdhsa_dx10_clamp 1
		.amdhsa_ieee_mode 1
		.amdhsa_fp16_overflow 0
		.amdhsa_tg_split 0
		.amdhsa_exception_fp_ieee_invalid_op 0
		.amdhsa_exception_fp_denorm_src 0
		.amdhsa_exception_fp_ieee_div_zero 0
		.amdhsa_exception_fp_ieee_overflow 0
		.amdhsa_exception_fp_ieee_underflow 0
		.amdhsa_exception_fp_ieee_inexact 0
		.amdhsa_exception_int_div_zero 0
	.end_amdhsa_kernel
	.section	.text._ZN7rocprim17ROCPRIM_400000_NS6detail17trampoline_kernelINS0_14default_configENS1_20scan_config_selectorIN3c107complexIdEEEEZZNS1_9scan_implILNS1_25lookback_scan_determinismE0ELb0ELb0ES3_PKS7_PS7_S7_ZZZN2at6native31launch_logcumsumexp_cuda_kernelERKNSE_10TensorBaseESI_lENKUlvE_clEvENKUlvE1_clEvEUlS7_S7_E_S7_EEDaPvRmT3_T4_T5_mT6_P12ihipStream_tbENKUlT_T0_E_clISt17integral_constantIbLb0EESZ_EEDaSU_SV_EUlSU_E_NS1_11comp_targetILNS1_3genE0ELNS1_11target_archE4294967295ELNS1_3gpuE0ELNS1_3repE0EEENS1_30default_config_static_selectorELNS0_4arch9wavefront6targetE1EEEvT1_,"axG",@progbits,_ZN7rocprim17ROCPRIM_400000_NS6detail17trampoline_kernelINS0_14default_configENS1_20scan_config_selectorIN3c107complexIdEEEEZZNS1_9scan_implILNS1_25lookback_scan_determinismE0ELb0ELb0ES3_PKS7_PS7_S7_ZZZN2at6native31launch_logcumsumexp_cuda_kernelERKNSE_10TensorBaseESI_lENKUlvE_clEvENKUlvE1_clEvEUlS7_S7_E_S7_EEDaPvRmT3_T4_T5_mT6_P12ihipStream_tbENKUlT_T0_E_clISt17integral_constantIbLb0EESZ_EEDaSU_SV_EUlSU_E_NS1_11comp_targetILNS1_3genE0ELNS1_11target_archE4294967295ELNS1_3gpuE0ELNS1_3repE0EEENS1_30default_config_static_selectorELNS0_4arch9wavefront6targetE1EEEvT1_,comdat
.Lfunc_end183:
	.size	_ZN7rocprim17ROCPRIM_400000_NS6detail17trampoline_kernelINS0_14default_configENS1_20scan_config_selectorIN3c107complexIdEEEEZZNS1_9scan_implILNS1_25lookback_scan_determinismE0ELb0ELb0ES3_PKS7_PS7_S7_ZZZN2at6native31launch_logcumsumexp_cuda_kernelERKNSE_10TensorBaseESI_lENKUlvE_clEvENKUlvE1_clEvEUlS7_S7_E_S7_EEDaPvRmT3_T4_T5_mT6_P12ihipStream_tbENKUlT_T0_E_clISt17integral_constantIbLb0EESZ_EEDaSU_SV_EUlSU_E_NS1_11comp_targetILNS1_3genE0ELNS1_11target_archE4294967295ELNS1_3gpuE0ELNS1_3repE0EEENS1_30default_config_static_selectorELNS0_4arch9wavefront6targetE1EEEvT1_, .Lfunc_end183-_ZN7rocprim17ROCPRIM_400000_NS6detail17trampoline_kernelINS0_14default_configENS1_20scan_config_selectorIN3c107complexIdEEEEZZNS1_9scan_implILNS1_25lookback_scan_determinismE0ELb0ELb0ES3_PKS7_PS7_S7_ZZZN2at6native31launch_logcumsumexp_cuda_kernelERKNSE_10TensorBaseESI_lENKUlvE_clEvENKUlvE1_clEvEUlS7_S7_E_S7_EEDaPvRmT3_T4_T5_mT6_P12ihipStream_tbENKUlT_T0_E_clISt17integral_constantIbLb0EESZ_EEDaSU_SV_EUlSU_E_NS1_11comp_targetILNS1_3genE0ELNS1_11target_archE4294967295ELNS1_3gpuE0ELNS1_3repE0EEENS1_30default_config_static_selectorELNS0_4arch9wavefront6targetE1EEEvT1_
                                        ; -- End function
	.section	.AMDGPU.csdata,"",@progbits
; Kernel info:
; codeLenInByte = 0
; NumSgprs: 6
; NumVgprs: 0
; NumAgprs: 0
; TotalNumVgprs: 0
; ScratchSize: 0
; MemoryBound: 0
; FloatMode: 240
; IeeeMode: 1
; LDSByteSize: 0 bytes/workgroup (compile time only)
; SGPRBlocks: 0
; VGPRBlocks: 0
; NumSGPRsForWavesPerEU: 6
; NumVGPRsForWavesPerEU: 1
; AccumOffset: 4
; Occupancy: 8
; WaveLimiterHint : 0
; COMPUTE_PGM_RSRC2:SCRATCH_EN: 0
; COMPUTE_PGM_RSRC2:USER_SGPR: 2
; COMPUTE_PGM_RSRC2:TRAP_HANDLER: 0
; COMPUTE_PGM_RSRC2:TGID_X_EN: 1
; COMPUTE_PGM_RSRC2:TGID_Y_EN: 0
; COMPUTE_PGM_RSRC2:TGID_Z_EN: 0
; COMPUTE_PGM_RSRC2:TIDIG_COMP_CNT: 0
; COMPUTE_PGM_RSRC3_GFX90A:ACCUM_OFFSET: 0
; COMPUTE_PGM_RSRC3_GFX90A:TG_SPLIT: 0
	.text
	.p2align	2                               ; -- Begin function _ZZZZN2at6native31launch_logcumsumexp_cuda_kernelERKNS_10TensorBaseES3_lENKUlvE_clEvENKUlvE1_clEvENKUlN3c107complexIdEES8_E_clES8_S8_
	.type	_ZZZZN2at6native31launch_logcumsumexp_cuda_kernelERKNS_10TensorBaseES3_lENKUlvE_clEvENKUlvE1_clEvENKUlN3c107complexIdEES8_E_clES8_S8_,@function
_ZZZZN2at6native31launch_logcumsumexp_cuda_kernelERKNS_10TensorBaseES3_lENKUlvE_clEvENKUlvE1_clEvENKUlN3c107complexIdEES8_E_clES8_S8_: ; @_ZZZZN2at6native31launch_logcumsumexp_cuda_kernelERKNS_10TensorBaseES3_lENKUlvE_clEvENKUlvE1_clEvENKUlN3c107complexIdEES8_E_clES8_S8_
; %bb.0:
	s_waitcnt vmcnt(0) expcnt(0) lgkmcnt(0)
	s_or_saveexec_b64 s[0:1], -1
	scratch_store_dword off, v40, s32       ; 4-byte Folded Spill
	s_mov_b64 exec, s[0:1]
	v_writelane_b32 v40, s30, 0
	s_nop 1
	v_writelane_b32 v40, s31, 1
	v_cmp_o_f64_e32 vcc, v[4:5], v[4:5]
	v_cmp_o_f64_e64 s[0:1], v[6:7], v[6:7]
	s_and_b64 s[2:3], vcc, s[0:1]
	v_mov_b64_e32 v[8:9], v[6:7]
	v_mov_b64_e32 v[10:11], v[4:5]
	s_and_saveexec_b64 s[4:5], s[2:3]
; %bb.1:
	v_cmp_u_f64_e32 vcc, v[0:1], v[0:1]
	v_cmp_u_f64_e64 s[0:1], v[2:3], v[2:3]
	s_or_b64 s[0:1], vcc, s[0:1]
	v_cmp_lt_f64_e32 vcc, v[0:1], v[4:5]
	s_or_b64 vcc, vcc, s[0:1]
	s_nop 0
	v_cndmask_b32_e32 v11, v5, v1, vcc
	v_cndmask_b32_e32 v10, v4, v0, vcc
	;; [unrolled: 1-line block ×4, first 2 shown]
; %bb.2:
	s_or_b64 exec, exec, s[4:5]
	s_and_saveexec_b64 s[4:5], s[2:3]
; %bb.3:
	v_cmp_u_f64_e32 vcc, v[0:1], v[0:1]
	v_cmp_u_f64_e64 s[0:1], v[2:3], v[2:3]
	s_or_b64 s[0:1], vcc, s[0:1]
	v_cmp_ge_f64_e32 vcc, v[0:1], v[4:5]
	s_or_b64 vcc, vcc, s[0:1]
	s_nop 0
	v_cndmask_b32_e32 v5, v5, v1, vcc
	v_cndmask_b32_e32 v4, v4, v0, vcc
	;; [unrolled: 1-line block ×4, first 2 shown]
; %bb.4:
	s_or_b64 exec, exec, s[4:5]
	s_mov_b32 s2, 0
	s_mov_b32 s3, 0x7ff80000
	v_cmp_o_f64_e32 vcc, v[10:11], v[10:11]
	v_cmp_o_f64_e64 s[0:1], v[8:9], v[8:9]
	v_mov_b64_e32 v[0:1], s[2:3]
	s_and_b64 s[0:1], vcc, s[0:1]
	v_mov_b64_e32 v[2:3], v[0:1]
	s_and_saveexec_b64 s[4:5], s[0:1]
	s_cbranch_execz .LBB184_48
; %bb.5:
	s_movk_i32 s0, 0x1f8
	v_cmp_class_f64_e64 s[0:1], v[10:11], s0
	v_cmp_neq_f64_e32 vcc, v[10:11], v[4:5]
	s_or_b64 s[0:1], s[0:1], vcc
	s_and_saveexec_b64 s[2:3], s[0:1]
	s_xor_b64 s[6:7], exec, s[2:3]
	s_cbranch_execz .LBB184_21
; %bb.6:
	s_mov_b32 s0, 0
	v_add_f64 v[0:1], v[8:9], -v[6:7]
	s_mov_b32 s1, 0x41d00000
	v_cmp_nlt_f64_e64 s[2:3], |v[0:1]|, s[0:1]
	v_trig_preop_f64 v[20:21], |v[0:1]|, 0
	v_trig_preop_f64 v[18:19], |v[0:1]|, 1
	v_trig_preop_f64 v[12:13], |v[0:1]|, 2
                                        ; implicit-def: $vgpr22
                                        ; implicit-def: $vgpr2_vgpr3
                                        ; implicit-def: $vgpr8_vgpr9
	s_and_saveexec_b64 s[0:1], s[2:3]
	s_xor_b64 s[8:9], exec, s[0:1]
	s_cbranch_execz .LBB184_8
; %bb.7:
	s_mov_b32 s0, 0
	s_mov_b32 s1, 0x7b000000
	s_movk_i32 s10, 0xff80
	v_and_b32_e32 v8, 0x7fffffff, v1
	v_ldexp_f64 v[2:3], |v[0:1]|, s10
	v_cmp_ge_f64_e64 vcc, |v[0:1]|, s[0:1]
	s_mov_b32 s0, 0
	s_mov_b32 s1, 0x7ff00000
	v_cndmask_b32_e32 v3, v8, v3, vcc
	v_cndmask_b32_e32 v2, v0, v2, vcc
	v_mul_f64 v[14:15], v[20:21], v[2:3]
	v_mul_f64 v[8:9], v[18:19], v[2:3]
	v_fma_f64 v[16:17], v[20:21], v[2:3], -v[14:15]
	v_add_f64 v[22:23], v[8:9], v[16:17]
	v_add_f64 v[24:25], v[14:15], v[22:23]
	v_ldexp_f64 v[26:27], v[24:25], -2
	v_fract_f64_e32 v[28:29], v[26:27]
	v_cmp_neq_f64_e64 vcc, |v[26:27]|, s[0:1]
	v_add_f64 v[14:15], v[24:25], -v[14:15]
	v_add_f64 v[14:15], v[22:23], -v[14:15]
	v_cndmask_b32_e32 v27, 0, v29, vcc
	v_cndmask_b32_e32 v26, 0, v28, vcc
	v_add_f64 v[28:29], v[22:23], -v[8:9]
	v_add_f64 v[16:17], v[16:17], -v[28:29]
	;; [unrolled: 1-line block ×4, first 2 shown]
	v_add_f64 v[16:17], v[16:17], v[28:29]
	v_fma_f64 v[8:9], v[18:19], v[2:3], -v[8:9]
	v_mul_f64 v[28:29], v[12:13], v[2:3]
	v_add_f64 v[32:33], v[28:29], v[8:9]
	v_add_f64 v[34:35], v[32:33], v[16:17]
	v_add_f64 v[24:25], v[34:35], -v[32:33]
	v_add_f64 v[16:17], v[16:17], -v[24:25]
	v_add_f64 v[24:25], v[34:35], -v[24:25]
	v_add_f64 v[24:25], v[32:33], -v[24:25]
	v_add_f64 v[16:17], v[16:17], v[24:25]
	v_add_f64 v[24:25], v[32:33], -v[28:29]
	v_add_f64 v[8:9], v[8:9], -v[24:25]
	;; [unrolled: 1-line block ×4, first 2 shown]
	v_add_f64 v[22:23], v[14:15], v[34:35]
	v_add_f64 v[8:9], v[8:9], v[24:25]
	v_add_f64 v[14:15], v[22:23], -v[14:15]
	v_add_f64 v[8:9], v[8:9], v[16:17]
	v_fma_f64 v[2:3], v[12:13], v[2:3], -v[28:29]
	v_add_f64 v[14:15], v[34:35], -v[14:15]
	v_add_f64 v[2:3], v[2:3], v[8:9]
	v_ldexp_f64 v[8:9], v[26:27], 2
	v_add_f64 v[2:3], v[14:15], v[2:3]
	v_add_f64 v[14:15], v[22:23], v[8:9]
	v_mov_b32_e32 v16, 0x40100000
	v_cmp_gt_f64_e32 vcc, 0, v[14:15]
	v_mov_b32_e32 v30, 0
	s_mov_b32 s10, 0x33145c07
	v_cndmask_b32_e32 v31, 0, v16, vcc
	v_add_f64 v[8:9], v[8:9], v[30:31]
	v_add_f64 v[14:15], v[22:23], v[8:9]
	v_cvt_i32_f64_e32 v16, v[14:15]
	v_cvt_f64_i32_e32 v[14:15], v16
	v_add_f64 v[8:9], v[8:9], -v[14:15]
	v_add_f64 v[14:15], v[22:23], v[8:9]
	v_add_f64 v[8:9], v[14:15], -v[8:9]
	v_add_f64 v[8:9], v[22:23], -v[8:9]
	v_add_f64 v[2:3], v[2:3], v[8:9]
	v_cmp_le_f64_e32 vcc, 0.5, v[14:15]
	v_mov_b32_e32 v8, 0x3ff00000
	s_mov_b32 s11, 0x3c91a626
	v_cndmask_b32_e32 v31, 0, v8, vcc
	v_addc_co_u32_e64 v22, s[0:1], 0, v16, vcc
	v_add_f64 v[8:9], v[14:15], -v[30:31]
	v_add_f64 v[14:15], v[8:9], v[2:3]
	s_mov_b32 s0, 0x54442d18
	v_add_f64 v[8:9], v[14:15], -v[8:9]
	s_mov_b32 s1, 0x3ff921fb
	v_add_f64 v[2:3], v[2:3], -v[8:9]
	v_mul_f64 v[8:9], v[14:15], s[0:1]
	v_fma_f64 v[16:17], v[14:15], s[0:1], -v[8:9]
	v_fmac_f64_e32 v[16:17], s[10:11], v[14:15]
	v_fmac_f64_e32 v[16:17], s[0:1], v[2:3]
	v_add_f64 v[2:3], v[8:9], v[16:17]
	v_add_f64 v[8:9], v[2:3], -v[8:9]
	v_add_f64 v[8:9], v[16:17], -v[8:9]
	s_andn2_saveexec_b64 s[0:1], s[8:9]
	s_cbranch_execz .LBB184_10
	s_branch .LBB184_9
.LBB184_8:
	s_andn2_saveexec_b64 s[0:1], s[8:9]
	s_cbranch_execz .LBB184_10
.LBB184_9:
	s_mov_b32 s8, 0x6dc9c883
	s_mov_b32 s9, 0x3fe45f30
	v_mul_f64 v[2:3], |v[0:1]|, s[8:9]
	s_mov_b32 s8, 0x54442d18
	v_rndne_f64_e32 v[14:15], v[2:3]
	s_mov_b32 s9, 0xbff921fb
	v_fma_f64 v[2:3], v[14:15], s[8:9], |v[0:1]|
	s_mov_b32 s9, 0xbc91a626
	s_mov_b32 s8, 0x33145c00
	v_mul_f64 v[16:17], v[14:15], s[8:9]
	v_add_f64 v[24:25], v[2:3], v[16:17]
	v_fma_f64 v[8:9], s[8:9], v[14:15], v[2:3]
	s_mov_b32 s9, 0x3c91a626
	v_add_f64 v[2:3], v[2:3], -v[24:25]
	v_fma_f64 v[22:23], s[8:9], v[14:15], v[16:17]
	v_add_f64 v[2:3], v[2:3], v[16:17]
	v_add_f64 v[16:17], v[24:25], -v[8:9]
	v_add_f64 v[2:3], v[16:17], v[2:3]
	s_mov_b32 s8, 0x252049c0
	v_add_f64 v[16:17], v[2:3], -v[22:23]
	s_mov_b32 s9, 0xb97b839a
	v_fmac_f64_e32 v[16:17], s[8:9], v[14:15]
	v_add_f64 v[2:3], v[8:9], v[16:17]
	v_add_f64 v[8:9], v[2:3], -v[8:9]
	v_add_f64 v[8:9], v[16:17], -v[8:9]
	v_cvt_i32_f64_e32 v22, v[14:15]
.LBB184_10:
	s_or_b64 exec, exec, s[0:1]
                                        ; implicit-def: $vgpr23
                                        ; implicit-def: $vgpr14_vgpr15
                                        ; implicit-def: $vgpr16_vgpr17
	s_and_saveexec_b64 s[0:1], s[2:3]
	s_xor_b64 s[2:3], exec, s[0:1]
	s_cbranch_execz .LBB184_12
; %bb.11:
	s_mov_b32 s0, 0
	s_mov_b32 s1, 0x7b000000
	s_movk_i32 s8, 0xff80
	v_and_b32_e32 v16, 0x7fffffff, v1
	v_ldexp_f64 v[14:15], |v[0:1]|, s8
	v_cmp_ge_f64_e64 vcc, |v[0:1]|, s[0:1]
	s_mov_b32 s0, 0
	s_mov_b32 s1, 0x7ff00000
	v_cndmask_b32_e32 v15, v16, v15, vcc
	v_cndmask_b32_e32 v14, v0, v14, vcc
	v_mul_f64 v[24:25], v[20:21], v[14:15]
	v_mul_f64 v[16:17], v[18:19], v[14:15]
	v_fma_f64 v[20:21], v[20:21], v[14:15], -v[24:25]
	v_add_f64 v[26:27], v[16:17], v[20:21]
	v_add_f64 v[28:29], v[24:25], v[26:27]
	v_ldexp_f64 v[30:31], v[28:29], -2
	v_fract_f64_e32 v[32:33], v[30:31]
	v_cmp_neq_f64_e64 vcc, |v[30:31]|, s[0:1]
	v_add_f64 v[24:25], v[28:29], -v[24:25]
	v_add_f64 v[24:25], v[26:27], -v[24:25]
	v_cndmask_b32_e32 v31, 0, v33, vcc
	v_cndmask_b32_e32 v30, 0, v32, vcc
	v_add_f64 v[32:33], v[26:27], -v[16:17]
	v_add_f64 v[20:21], v[20:21], -v[32:33]
	;; [unrolled: 1-line block ×4, first 2 shown]
	v_fma_f64 v[16:17], v[18:19], v[14:15], -v[16:17]
	v_mul_f64 v[18:19], v[12:13], v[14:15]
	v_add_f64 v[20:21], v[20:21], v[32:33]
	v_add_f64 v[32:33], v[18:19], v[16:17]
	;; [unrolled: 1-line block ×3, first 2 shown]
	v_add_f64 v[28:29], v[36:37], -v[32:33]
	v_add_f64 v[20:21], v[20:21], -v[28:29]
	;; [unrolled: 1-line block ×4, first 2 shown]
	v_add_f64 v[20:21], v[20:21], v[28:29]
	v_add_f64 v[28:29], v[32:33], -v[18:19]
	v_add_f64 v[16:17], v[16:17], -v[28:29]
	;; [unrolled: 1-line block ×4, first 2 shown]
	v_add_f64 v[16:17], v[16:17], v[28:29]
	v_add_f64 v[26:27], v[24:25], v[36:37]
	;; [unrolled: 1-line block ×3, first 2 shown]
	v_fma_f64 v[12:13], v[12:13], v[14:15], -v[18:19]
	v_ldexp_f64 v[14:15], v[30:31], 2
	v_add_f64 v[12:13], v[12:13], v[16:17]
	v_add_f64 v[16:17], v[26:27], v[14:15]
	v_mov_b32_e32 v18, 0x40100000
	v_cmp_gt_f64_e32 vcc, 0, v[16:17]
	v_mov_b32_e32 v34, 0
	v_add_f64 v[24:25], v[26:27], -v[24:25]
	v_cndmask_b32_e32 v35, 0, v18, vcc
	v_add_f64 v[14:15], v[14:15], v[34:35]
	v_add_f64 v[16:17], v[26:27], v[14:15]
	v_cvt_i32_f64_e32 v18, v[16:17]
	v_cvt_f64_i32_e32 v[16:17], v18
	v_add_f64 v[14:15], v[14:15], -v[16:17]
	v_add_f64 v[16:17], v[26:27], v[14:15]
	v_add_f64 v[24:25], v[36:37], -v[24:25]
	v_add_f64 v[14:15], v[16:17], -v[14:15]
	v_add_f64 v[12:13], v[24:25], v[12:13]
	v_add_f64 v[14:15], v[26:27], -v[14:15]
	v_add_f64 v[12:13], v[12:13], v[14:15]
	v_cmp_le_f64_e32 vcc, 0.5, v[16:17]
	v_mov_b32_e32 v14, 0x3ff00000
	s_mov_b32 s8, 0x33145c07
	v_addc_co_u32_e64 v23, s[0:1], 0, v18, vcc
	v_cndmask_b32_e32 v35, 0, v14, vcc
	v_add_f64 v[14:15], v[16:17], -v[34:35]
	s_mov_b32 s0, 0x54442d18
	v_add_f64 v[16:17], v[14:15], v[12:13]
	s_mov_b32 s1, 0x3ff921fb
	v_mul_f64 v[18:19], v[16:17], s[0:1]
	v_add_f64 v[14:15], v[16:17], -v[14:15]
	v_fma_f64 v[20:21], v[16:17], s[0:1], -v[18:19]
	s_mov_b32 s9, 0x3c91a626
	v_add_f64 v[12:13], v[12:13], -v[14:15]
	v_fmac_f64_e32 v[20:21], s[8:9], v[16:17]
	v_fmac_f64_e32 v[20:21], s[0:1], v[12:13]
	v_add_f64 v[14:15], v[18:19], v[20:21]
	v_add_f64 v[12:13], v[14:15], -v[18:19]
	v_add_f64 v[16:17], v[20:21], -v[12:13]
	s_andn2_saveexec_b64 s[0:1], s[2:3]
	s_cbranch_execnz .LBB184_13
	s_branch .LBB184_14
.LBB184_12:
	s_andn2_saveexec_b64 s[0:1], s[2:3]
	s_cbranch_execz .LBB184_14
.LBB184_13:
	s_mov_b32 s2, 0x6dc9c883
	s_mov_b32 s3, 0x3fe45f30
	v_mul_f64 v[12:13], |v[0:1]|, s[2:3]
	s_mov_b32 s2, 0x54442d18
	v_rndne_f64_e32 v[12:13], v[12:13]
	s_mov_b32 s3, 0xbff921fb
	v_fma_f64 v[14:15], v[12:13], s[2:3], |v[0:1]|
	s_mov_b32 s3, 0xbc91a626
	s_mov_b32 s2, 0x33145c00
	v_mul_f64 v[18:19], v[12:13], s[2:3]
	v_add_f64 v[24:25], v[14:15], v[18:19]
	v_fma_f64 v[16:17], s[2:3], v[12:13], v[14:15]
	s_mov_b32 s3, 0x3c91a626
	v_add_f64 v[14:15], v[14:15], -v[24:25]
	v_fma_f64 v[20:21], s[2:3], v[12:13], v[18:19]
	v_add_f64 v[14:15], v[14:15], v[18:19]
	v_add_f64 v[18:19], v[24:25], -v[16:17]
	v_add_f64 v[14:15], v[18:19], v[14:15]
	s_mov_b32 s2, 0x252049c0
	v_add_f64 v[18:19], v[14:15], -v[20:21]
	s_mov_b32 s3, 0xb97b839a
	v_fmac_f64_e32 v[18:19], s[2:3], v[12:13]
	v_add_f64 v[14:15], v[16:17], v[18:19]
	v_add_f64 v[16:17], v[14:15], -v[16:17]
	v_add_f64 v[16:17], v[18:19], -v[16:17]
	v_cvt_i32_f64_e32 v23, v[12:13]
.LBB184_14:
	s_or_b64 exec, exec, s[0:1]
	s_mov_b32 s0, 0x652b82fe
	v_add_f64 v[10:11], v[10:11], -v[4:5]
	s_mov_b32 s1, 0x3ff71547
	v_mul_f64 v[12:13], v[10:11], s[0:1]
	v_rndne_f64_e32 v[12:13], v[12:13]
	s_mov_b32 s13, 0xbfe62e42
	s_mov_b32 s12, 0xfefa39ef
	v_fma_f64 v[18:19], s[12:13], v[12:13], v[10:11]
	s_mov_b32 s15, 0xbc7abc9e
	s_mov_b32 s14, 0x3b39803f
	;; [unrolled: 1-line block ×3, first 2 shown]
	v_fmac_f64_e32 v[18:19], s[14:15], v[12:13]
	v_mov_b32_e32 v20, 0xfca7ab0c
	v_mov_b32_e32 v21, 0x3e928af3
	s_mov_b32 s1, 0x3e5ade15
	v_fmac_f64_e32 v[20:21], s[0:1], v[18:19]
	v_mov_b32_e32 v24, 0x623fde64
	v_mov_b32_e32 v25, 0x3ec71dee
	v_fmac_f64_e32 v[24:25], v[18:19], v[20:21]
	v_mov_b32_e32 v20, 0x7c89e6b0
	v_mov_b32_e32 v21, 0x3efa0199
	v_fmac_f64_e32 v[20:21], v[18:19], v[24:25]
	v_mov_b32_e32 v24, 0x14761f6e
	v_mov_b32_e32 v25, 0x3f2a01a0
	v_fmac_f64_e32 v[24:25], v[18:19], v[20:21]
	v_mov_b32_e32 v20, 0x1852b7b0
	v_mov_b32_e32 v21, 0x3f56c16c
	v_fmac_f64_e32 v[20:21], v[18:19], v[24:25]
	v_mov_b32_e32 v24, 0x11122322
	v_mov_b32_e32 v25, 0x3f811111
	v_fmac_f64_e32 v[24:25], v[18:19], v[20:21]
	v_mov_b32_e32 v20, 0x555502a1
	v_mov_b32_e32 v21, 0x3fa55555
	v_fmac_f64_e32 v[20:21], v[18:19], v[24:25]
	v_mov_b32_e32 v24, 0x55555511
	v_mov_b32_e32 v25, 0x3fc55555
	v_fmac_f64_e32 v[24:25], v[18:19], v[20:21]
	v_mov_b32_e32 v20, 11
	v_mov_b32_e32 v21, 0x3fe00000
	v_fmac_f64_e32 v[20:21], v[18:19], v[24:25]
	s_mov_b32 s0, 0
	v_fma_f64 v[20:21], v[18:19], v[20:21], 1.0
	s_mov_b32 s1, 0x40900000
	v_fma_f64 v[18:19], v[18:19], v[20:21], 1.0
	v_cvt_i32_f64_e32 v12, v[12:13]
	v_cmp_nlt_f64_e32 vcc, s[0:1], v[10:11]
	s_mov_b32 s0, 0
	v_ldexp_f64 v[12:13], v[18:19], v12
	v_mov_b32_e32 v20, 0x7ff00000
	s_mov_b32 s1, 0xc090cc00
	v_cndmask_b32_e32 v13, v20, v13, vcc
	v_cmp_ngt_f64_e64 s[0:1], s[0:1], v[10:11]
	s_and_b64 vcc, s[0:1], vcc
	s_mov_b32 s8, 0x46cc5e42
	v_cndmask_b32_e64 v11, 0, v13, s[0:1]
	s_mov_b32 s0, 0x9037ab78
	s_mov_b32 s1, 0x3e21eeb6
	v_cndmask_b32_e32 v10, 0, v12, vcc
	v_mul_f64 v[12:13], v[2:3], v[2:3]
	s_mov_b32 s9, 0xbda907db
	v_mov_b64_e32 v[18:19], s[0:1]
	s_mov_b32 s0, 0xa17f65f6
	v_mul_f64 v[24:25], v[12:13], 0.5
	v_fma_f64 v[30:31], s[8:9], v[12:13], v[18:19]
	s_mov_b32 s1, 0xbe927e4f
	s_mov_b32 s10, 0x19f4ec90
	v_add_f64 v[26:27], -v[24:25], 1.0
	v_fma_f64 v[30:31], v[12:13], v[30:31], s[0:1]
	s_mov_b32 s11, 0x3efa01a0
	s_mov_b32 s18, 0x16c16967
	v_fma_f64 v[30:31], v[12:13], v[30:31], s[10:11]
	s_mov_b32 s19, 0xbf56c16c
	v_add_f64 v[32:33], -v[26:27], 1.0
	s_mov_b32 s17, 0x3fa55555
	v_fma_f64 v[30:31], v[12:13], v[30:31], s[18:19]
	s_mov_b32 s16, 0x55555555
	v_add_f64 v[24:25], v[32:33], -v[24:25]
	s_mov_b32 s20, 0xb42fdfa7
	v_mul_f64 v[28:29], v[12:13], v[12:13]
	v_fma_f64 v[30:31], v[12:13], v[30:31], s[16:17]
	v_fma_f64 v[24:25], v[2:3], -v[8:9], v[24:25]
	s_mov_b32 s21, 0xbe5ae600
	s_mov_b32 s22, 0xf9a43bb8
	v_fmac_f64_e32 v[24:25], v[28:29], v[30:31]
	s_mov_b32 s23, 0x3de5e0b2
	v_mov_b64_e32 v[28:29], s[20:21]
	s_mov_b32 s20, 0x796cde01
	v_fma_f64 v[30:31], s[22:23], v[12:13], v[28:29]
	s_mov_b32 s21, 0x3ec71de3
	s_mov_b32 s24, 0x19e83e5c
	s_mov_b32 s2, 0x11110bb3
	v_fma_f64 v[30:31], v[12:13], v[30:31], s[20:21]
	s_mov_b32 s25, 0xbf2a01a0
	s_mov_b32 s3, 0x3f811111
	v_fma_f64 v[30:31], v[12:13], v[30:31], s[24:25]
	v_add_f64 v[24:25], v[26:27], v[24:25]
	v_mul_f64 v[26:27], v[2:3], -v[12:13]
	v_fma_f64 v[30:31], v[12:13], v[30:31], s[2:3]
	v_mul_f64 v[32:33], v[8:9], 0.5
	v_fmac_f64_e32 v[32:33], v[26:27], v[30:31]
	v_fma_f64 v[8:9], v[12:13], v[32:33], -v[8:9]
	s_mov_b32 s27, 0xbfc55555
	s_mov_b32 s26, s16
	v_fmac_f64_e32 v[8:9], s[26:27], v[26:27]
	v_and_b32_e32 v21, 1, v22
	v_add_f64 v[2:3], v[2:3], -v[8:9]
	v_xor_b32_e32 v3, 0x80000000, v3
	v_cmp_eq_u32_e32 vcc, 0, v21
	v_lshlrev_b32_e32 v8, 30, v22
	s_movk_i32 s13, 0x1f8
	v_cndmask_b32_e32 v3, v3, v25, vcc
	v_and_b32_e32 v8, 0x80000000, v8
	v_cndmask_b32_e32 v2, v2, v24, vcc
	v_xor_b32_e32 v3, v3, v8
	v_cmp_class_f64_e64 vcc, v[0:1], s13
	v_mov_b32_e32 v21, 0x7ff80000
	v_and_b32_e32 v0, 1, v23
	v_cndmask_b32_e32 v2, 0, v2, vcc
	v_cndmask_b32_e32 v3, v21, v3, vcc
	v_mul_f64 v[12:13], v[10:11], v[2:3]
	v_mul_f64 v[2:3], v[14:15], v[14:15]
	v_mul_f64 v[8:9], v[2:3], 0.5
	v_fmac_f64_e32 v[18:19], s[8:9], v[2:3]
	v_add_f64 v[24:25], -v[8:9], 1.0
	v_fma_f64 v[18:19], v[2:3], v[18:19], s[0:1]
	v_add_f64 v[26:27], -v[24:25], 1.0
	v_fma_f64 v[18:19], v[2:3], v[18:19], s[10:11]
	v_add_f64 v[8:9], v[26:27], -v[8:9]
	v_fma_f64 v[18:19], v[2:3], v[18:19], s[18:19]
	v_mul_f64 v[26:27], v[2:3], v[2:3]
	v_fma_f64 v[18:19], v[2:3], v[18:19], s[16:17]
	v_fma_f64 v[8:9], v[14:15], -v[16:17], v[8:9]
	v_fmac_f64_e32 v[28:29], s[22:23], v[2:3]
	v_fmac_f64_e32 v[8:9], v[26:27], v[18:19]
	v_fma_f64 v[18:19], v[2:3], v[28:29], s[20:21]
	v_fma_f64 v[18:19], v[2:3], v[18:19], s[24:25]
	v_add_f64 v[8:9], v[24:25], v[8:9]
	v_fma_f64 v[18:19], v[2:3], v[18:19], s[2:3]
	v_mul_f64 v[24:25], v[14:15], -v[2:3]
	v_mul_f64 v[26:27], v[16:17], 0.5
	v_fmac_f64_e32 v[26:27], v[24:25], v[18:19]
	v_fma_f64 v[2:3], v[2:3], v[26:27], -v[16:17]
	v_fmac_f64_e32 v[2:3], s[26:27], v[24:25]
	v_add_f64 v[2:3], v[14:15], -v[2:3]
	v_cmp_eq_u32_e64 s[0:1], 0, v0
	s_movk_i32 s10, 0x204
	s_nop 0
	v_cndmask_b32_e64 v0, v8, v2, s[0:1]
	v_cndmask_b32_e64 v2, v9, v3, s[0:1]
	v_lshlrev_b32_e32 v3, 30, v23
	v_xor_b32_e32 v1, v3, v1
	v_and_b32_e32 v1, 0x80000000, v1
	v_xor_b32_e32 v1, v2, v1
	v_cndmask_b32_e32 v0, 0, v0, vcc
	v_cndmask_b32_e32 v1, v21, v1, vcc
	v_mul_f64 v[0:1], v[10:11], v[0:1]
	v_max_f64 v[2:3], |v[12:13]|, |v[12:13]|
	v_max_f64 v[8:9], |v[0:1]|, |v[0:1]|
	v_max_f64 v[2:3], v[2:3], v[8:9]
	v_frexp_exp_i32_f64_e32 v18, v[2:3]
	v_sub_u32_e32 v10, 0, v18
	v_ldexp_f64 v[2:3], |v[12:13]|, v10
	v_ldexp_f64 v[10:11], |v[0:1]|, v10
	v_mul_f64 v[10:11], v[10:11], v[10:11]
	v_fmac_f64_e32 v[10:11], v[2:3], v[2:3]
	v_rsq_f64_e32 v[2:3], v[10:11]
	v_cmp_eq_f64_e32 vcc, 0, v[10:11]
	v_cmp_class_f64_e64 s[0:1], v[12:13], s10
	v_cmp_class_f64_e64 s[8:9], v[0:1], s10
	v_mul_f64 v[14:15], v[10:11], v[2:3]
	v_mul_f64 v[2:3], v[2:3], 0.5
	v_fma_f64 v[16:17], -v[2:3], v[14:15], 0.5
	v_fmac_f64_e32 v[14:15], v[14:15], v[16:17]
	v_fmac_f64_e32 v[2:3], v[2:3], v[16:17]
	v_fma_f64 v[16:17], -v[14:15], v[14:15], v[10:11]
	v_fmac_f64_e32 v[14:15], v[16:17], v[2:3]
	v_cndmask_b32_e32 v3, v15, v11, vcc
	v_cndmask_b32_e32 v2, v14, v10, vcc
	v_ldexp_f64 v[2:3], v[2:3], v18
	v_cmp_u_f64_e32 vcc, v[12:13], v[0:1]
	s_or_b64 s[18:19], s[0:1], s[8:9]
	v_cmp_ngt_f64_e64 s[2:3], 0.5, v[2:3]
	v_add_f64 v[2:3], v[12:13], 1.0
	s_or_b64 s[18:19], s[18:19], vcc
	v_max_f64 v[10:11], |v[2:3]|, v[8:9]
	v_cmp_o_f64_e64 s[0:1], v[2:3], v[0:1]
	v_cmp_class_f64_e64 s[10:11], v[2:3], s10
	s_or_b64 s[2:3], s[18:19], s[2:3]
	s_and_saveexec_b64 s[18:19], s[2:3]
	s_xor_b64 s[18:19], exec, s[18:19]
	s_cbranch_execz .LBB184_16
; %bb.15:
	v_frexp_exp_i32_f64_e32 v22, v[10:11]
	v_sub_u32_e32 v14, 0, v22
	v_ldexp_f64 v[12:13], |v[2:3]|, v14
	v_ldexp_f64 v[14:15], |v[0:1]|, v14
	v_mul_f64 v[14:15], v[14:15], v[14:15]
	v_fmac_f64_e32 v[14:15], v[12:13], v[12:13]
	v_rsq_f64_e32 v[12:13], v[14:15]
	v_cmp_eq_f64_e32 vcc, 0, v[14:15]
	s_mov_b32 s17, 0x3fe55555
	s_mov_b32 s13, 0x3fe62e42
	v_mul_f64 v[16:17], v[14:15], v[12:13]
	v_mul_f64 v[12:13], v[12:13], 0.5
	v_fma_f64 v[18:19], -v[12:13], v[16:17], 0.5
	v_fmac_f64_e32 v[16:17], v[16:17], v[18:19]
	v_fmac_f64_e32 v[12:13], v[12:13], v[18:19]
	v_fma_f64 v[18:19], -v[16:17], v[16:17], v[14:15]
	v_fmac_f64_e32 v[16:17], v[18:19], v[12:13]
	v_cndmask_b32_e32 v13, v17, v15, vcc
	v_cndmask_b32_e32 v12, v16, v14, vcc
	v_ldexp_f64 v[12:13], v[12:13], v22
	v_cndmask_b32_e64 v16, 0, v12, s[0:1]
	v_cndmask_b32_e64 v17, v21, v13, s[0:1]
	s_or_b64 vcc, s[10:11], s[8:9]
	v_cndmask_b32_e32 v15, v17, v20, vcc
	v_cndmask_b32_e64 v14, v16, 0, vcc
	v_frexp_mant_f64_e32 v[22:23], v[14:15]
	v_mov_b32_e32 v19, 0x3ff00000
	v_cmp_gt_f64_e64 s[2:3], s[16:17], v[22:23]
	v_mov_b32_e32 v18, 0
	v_frexp_exp_i32_f64_e32 v24, v[14:15]
	v_cndmask_b32_e64 v19, v19, 2.0, s[2:3]
	v_mul_f64 v[18:19], v[22:23], v[18:19]
	v_add_f64 v[22:23], v[18:19], 1.0
	v_subbrev_co_u32_e64 v34, s[2:3], 0, v24, s[2:3]
	v_rcp_f64_e32 v[24:25], v[22:23]
	v_add_f64 v[28:29], v[22:23], -1.0
	v_add_f64 v[26:27], v[18:19], -1.0
	v_add_f64 v[18:19], v[18:19], -v[28:29]
	v_fma_f64 v[28:29], -v[22:23], v[24:25], 1.0
	v_fmac_f64_e32 v[24:25], v[28:29], v[24:25]
	v_fma_f64 v[28:29], -v[22:23], v[24:25], 1.0
	v_fmac_f64_e32 v[24:25], v[28:29], v[24:25]
	v_mul_f64 v[28:29], v[26:27], v[24:25]
	v_mul_f64 v[30:31], v[22:23], v[28:29]
	v_fma_f64 v[22:23], v[28:29], v[22:23], -v[30:31]
	v_fmac_f64_e32 v[22:23], v[28:29], v[18:19]
	v_add_f64 v[18:19], v[30:31], v[22:23]
	v_add_f64 v[32:33], v[26:27], -v[18:19]
	v_add_f64 v[30:31], v[18:19], -v[30:31]
	;; [unrolled: 1-line block ×5, first 2 shown]
	v_add_f64 v[18:19], v[22:23], v[18:19]
	v_add_f64 v[18:19], v[32:33], v[18:19]
	v_mul_f64 v[18:19], v[24:25], v[18:19]
	v_add_f64 v[22:23], v[28:29], v[18:19]
	v_add_f64 v[24:25], v[22:23], -v[28:29]
	s_mov_b32 s2, 0xbf559e2b
	v_add_f64 v[18:19], v[18:19], -v[24:25]
	v_mul_f64 v[24:25], v[22:23], v[22:23]
	v_mov_b32_e32 v26, 0x6b47b09a
	v_mov_b32_e32 v27, 0x3fc38538
	s_mov_b32 s3, 0x3fc3ab76
	v_fmac_f64_e32 v[26:27], s[2:3], v[24:25]
	v_mov_b32_e32 v28, 0xd7f4df2e
	v_mov_b32_e32 v29, 0x3fc7474d
	v_fmac_f64_e32 v[28:29], v[24:25], v[26:27]
	v_mov_b32_e32 v26, 0x16291751
	v_mov_b32_e32 v27, 0x3fcc71c0
	;; [unrolled: 3-line block ×5, first 2 shown]
	v_fmac_f64_e32 v[28:29], v[24:25], v[26:27]
	v_ldexp_f64 v[26:27], v[22:23], 1
	v_mul_f64 v[22:23], v[22:23], v[24:25]
	v_mul_f64 v[22:23], v[22:23], v[28:29]
	v_add_f64 v[24:25], v[26:27], v[22:23]
	v_add_f64 v[26:27], v[24:25], -v[26:27]
	v_ldexp_f64 v[18:19], v[18:19], 1
	v_add_f64 v[22:23], v[22:23], -v[26:27]
	v_add_f64 v[18:19], v[18:19], v[22:23]
	v_add_f64 v[22:23], v[24:25], v[18:19]
	v_add_f64 v[24:25], v[22:23], -v[24:25]
	v_add_f64 v[18:19], v[18:19], -v[24:25]
	v_cvt_f64_i32_e32 v[24:25], v34
	v_mul_f64 v[26:27], v[24:25], s[12:13]
	v_fma_f64 v[28:29], v[24:25], s[12:13], -v[26:27]
	s_mov_b32 s15, 0x3c7abc9e
	v_fmac_f64_e32 v[28:29], s[14:15], v[24:25]
	v_add_f64 v[24:25], v[26:27], v[28:29]
	v_add_f64 v[26:27], v[24:25], -v[26:27]
	v_add_f64 v[26:27], v[28:29], -v[26:27]
	v_add_f64 v[28:29], v[24:25], v[22:23]
	v_add_f64 v[30:31], v[28:29], -v[24:25]
	v_add_f64 v[32:33], v[28:29], -v[30:31]
	;; [unrolled: 1-line block ×4, first 2 shown]
	v_add_f64 v[22:23], v[22:23], v[24:25]
	v_add_f64 v[24:25], v[26:27], v[18:19]
	v_add_f64 v[30:31], v[24:25], -v[26:27]
	v_add_f64 v[32:33], v[24:25], -v[30:31]
	v_add_f64 v[22:23], v[24:25], v[22:23]
	v_add_f64 v[26:27], v[26:27], -v[32:33]
	v_add_f64 v[18:19], v[18:19], -v[30:31]
	v_add_f64 v[24:25], v[28:29], v[22:23]
	v_add_f64 v[18:19], v[18:19], v[26:27]
	v_add_f64 v[26:27], v[24:25], -v[28:29]
	s_mov_b32 s2, 0
	v_add_f64 v[22:23], v[22:23], -v[26:27]
	v_and_b32_e32 v13, 0x7fffffff, v13
	s_mov_b32 s3, 0x7ff00000
	v_add_f64 v[18:19], v[18:19], v[22:23]
	v_cmp_eq_f64_e64 s[2:3], s[2:3], v[12:13]
	v_add_f64 v[18:19], v[24:25], v[18:19]
	s_and_b64 s[2:3], s[0:1], s[2:3]
	v_cndmask_b32_e64 v12, v19, v17, s[2:3]
	v_cndmask_b32_e64 v13, v18, v16, s[2:3]
	v_cndmask_b32_e64 v13, v13, 0, vcc
	v_cndmask_b32_e32 v12, v12, v20, vcc
	v_cmp_ngt_f64_e32 vcc, 0, v[14:15]
	s_nop 1
	v_cndmask_b32_e32 v16, v21, v12, vcc
	v_cmp_nge_f64_e32 vcc, 0, v[14:15]
	s_nop 1
	v_cndmask_b32_e32 v12, 0, v13, vcc
	v_mov_b32_e32 v13, 0xfff00000
	v_cmp_neq_f64_e32 vcc, 0, v[14:15]
	s_nop 1
	v_cndmask_b32_e32 v13, v13, v16, vcc
.LBB184_16:
	s_andn2_saveexec_b64 s[2:3], s[18:19]
	s_cbranch_execz .LBB184_20
; %bb.17:
	v_add_f64 v[16:17], v[12:13], 2.0
	v_mul_f64 v[14:15], v[0:1], v[0:1]
	v_fmac_f64_e32 v[14:15], v[12:13], v[16:17]
	v_cmp_neq_f64_e32 vcc, 0, v[14:15]
	s_and_saveexec_b64 s[12:13], vcc
	s_cbranch_execz .LBB184_19
; %bb.18:
	v_add_f64 v[12:13], v[14:15], 1.0
	v_add_f64 v[16:17], v[12:13], -1.0
	v_add_f64 v[18:19], v[16:17], -v[12:13]
	v_add_f64 v[18:19], v[18:19], 1.0
	v_add_f64 v[16:17], v[14:15], -v[16:17]
	s_mov_b32 s14, 0x55555555
	v_add_f64 v[16:17], v[16:17], v[18:19]
	v_frexp_mant_f64_e32 v[18:19], v[12:13]
	s_mov_b32 s15, 0x3fe55555
	v_frexp_exp_i32_f64_e32 v20, v[12:13]
	v_cmp_gt_f64_e32 vcc, s[14:15], v[18:19]
	s_mov_b32 s14, 0xbf559e2b
	s_mov_b32 s15, 0x3fc3ab76
	v_subbrev_co_u32_e32 v34, vcc, 0, v20, vcc
	v_sub_u32_e32 v18, 0, v34
	v_ldexp_f64 v[12:13], v[12:13], v18
	v_ldexp_f64 v[16:17], v[16:17], v18
	v_add_f64 v[18:19], v[12:13], -1.0
	v_add_f64 v[24:25], v[12:13], 1.0
	v_add_f64 v[20:21], v[18:19], 1.0
	v_add_f64 v[26:27], v[24:25], -1.0
	v_add_f64 v[20:21], v[12:13], -v[20:21]
	v_add_f64 v[12:13], v[12:13], -v[26:27]
	v_add_f64 v[12:13], v[16:17], v[12:13]
	v_add_f64 v[20:21], v[16:17], v[20:21]
	;; [unrolled: 1-line block ×3, first 2 shown]
	v_rcp_f64_e32 v[26:27], v[16:17]
	v_add_f64 v[22:23], v[18:19], v[20:21]
	v_add_f64 v[18:19], v[22:23], -v[18:19]
	v_add_f64 v[18:19], v[20:21], -v[18:19]
	;; [unrolled: 1-line block ×4, first 2 shown]
	v_fma_f64 v[20:21], -v[16:17], v[26:27], 1.0
	v_fmac_f64_e32 v[26:27], v[20:21], v[26:27]
	v_fma_f64 v[20:21], -v[16:17], v[26:27], 1.0
	v_fmac_f64_e32 v[26:27], v[20:21], v[26:27]
	v_mul_f64 v[20:21], v[22:23], v[26:27]
	v_mul_f64 v[24:25], v[16:17], v[20:21]
	v_fma_f64 v[28:29], v[20:21], v[16:17], -v[24:25]
	v_fmac_f64_e32 v[28:29], v[20:21], v[12:13]
	v_add_f64 v[30:31], v[24:25], v[28:29]
	v_add_f64 v[32:33], v[22:23], -v[30:31]
	v_add_f64 v[22:23], v[22:23], -v[32:33]
	;; [unrolled: 1-line block ×4, first 2 shown]
	v_add_f64 v[18:19], v[18:19], v[22:23]
	v_add_f64 v[22:23], v[24:25], -v[28:29]
	v_add_f64 v[18:19], v[22:23], v[18:19]
	v_add_f64 v[22:23], v[32:33], v[18:19]
	v_add_f64 v[24:25], v[32:33], -v[22:23]
	v_add_f64 v[18:19], v[18:19], v[24:25]
	v_mul_f64 v[24:25], v[26:27], v[22:23]
	v_mul_f64 v[28:29], v[16:17], v[24:25]
	v_fma_f64 v[16:17], v[24:25], v[16:17], -v[28:29]
	v_fmac_f64_e32 v[16:17], v[24:25], v[12:13]
	v_add_f64 v[12:13], v[28:29], v[16:17]
	v_add_f64 v[30:31], v[22:23], -v[12:13]
	v_add_f64 v[22:23], v[22:23], -v[30:31]
	;; [unrolled: 1-line block ×4, first 2 shown]
	v_add_f64 v[12:13], v[18:19], v[12:13]
	v_add_f64 v[16:17], v[28:29], -v[16:17]
	v_add_f64 v[12:13], v[16:17], v[12:13]
	v_add_f64 v[16:17], v[20:21], v[24:25]
	;; [unrolled: 1-line block ×3, first 2 shown]
	v_add_f64 v[18:19], v[16:17], -v[20:21]
	v_mul_f64 v[12:13], v[26:27], v[12:13]
	v_add_f64 v[18:19], v[24:25], -v[18:19]
	v_add_f64 v[18:19], v[18:19], v[12:13]
	v_add_f64 v[12:13], v[16:17], v[18:19]
	v_add_f64 v[16:17], v[12:13], -v[16:17]
	v_add_f64 v[16:17], v[18:19], -v[16:17]
	v_mul_f64 v[18:19], v[12:13], v[12:13]
	v_mov_b32_e32 v20, 0x6b47b09a
	v_mov_b32_e32 v21, 0x3fc38538
	v_fmac_f64_e32 v[20:21], s[14:15], v[18:19]
	v_mov_b32_e32 v22, 0xd7f4df2e
	v_mov_b32_e32 v23, 0x3fc7474d
	v_fmac_f64_e32 v[22:23], v[18:19], v[20:21]
	;; [unrolled: 3-line block ×5, first 2 shown]
	v_mov_b32_e32 v22, 0x55555780
	v_mov_b32_e32 v23, 0x3fe55555
	s_mov_b32 s14, 0xfefa39ef
	v_fmac_f64_e32 v[22:23], v[18:19], v[20:21]
	v_cvt_f64_i32_e32 v[20:21], v34
	s_mov_b32 s15, 0x3fe62e42
	v_mul_f64 v[24:25], v[20:21], s[14:15]
	v_fma_f64 v[26:27], v[20:21], s[14:15], -v[24:25]
	s_mov_b32 s14, 0x3b39803f
	s_mov_b32 s15, 0x3c7abc9e
	v_fmac_f64_e32 v[26:27], s[14:15], v[20:21]
	v_add_f64 v[20:21], v[24:25], v[26:27]
	v_add_f64 v[24:25], v[20:21], -v[24:25]
	v_add_f64 v[24:25], v[26:27], -v[24:25]
	v_ldexp_f64 v[26:27], v[12:13], 1
	v_mul_f64 v[12:13], v[12:13], v[18:19]
	v_mul_f64 v[12:13], v[12:13], v[22:23]
	v_add_f64 v[18:19], v[26:27], v[12:13]
	v_add_f64 v[22:23], v[18:19], -v[26:27]
	v_ldexp_f64 v[16:17], v[16:17], 1
	v_add_f64 v[12:13], v[12:13], -v[22:23]
	v_add_f64 v[12:13], v[16:17], v[12:13]
	v_add_f64 v[16:17], v[18:19], v[12:13]
	v_add_f64 v[18:19], v[16:17], -v[18:19]
	v_add_f64 v[12:13], v[12:13], -v[18:19]
	v_add_f64 v[18:19], v[20:21], v[16:17]
	v_add_f64 v[22:23], v[18:19], -v[20:21]
	v_add_f64 v[26:27], v[18:19], -v[22:23]
	;; [unrolled: 1-line block ×4, first 2 shown]
	v_add_f64 v[16:17], v[16:17], v[20:21]
	v_add_f64 v[20:21], v[24:25], v[12:13]
	v_add_f64 v[22:23], v[20:21], -v[24:25]
	v_add_f64 v[16:17], v[20:21], v[16:17]
	v_add_f64 v[26:27], v[20:21], -v[22:23]
	v_add_f64 v[20:21], v[18:19], v[16:17]
	v_add_f64 v[24:25], v[24:25], -v[26:27]
	v_add_f64 v[12:13], v[12:13], -v[22:23]
	v_add_f64 v[18:19], v[20:21], -v[18:19]
	v_add_f64 v[12:13], v[12:13], v[24:25]
	v_add_f64 v[16:17], v[16:17], -v[18:19]
	s_mov_b32 s14, 0
	v_add_f64 v[12:13], v[12:13], v[16:17]
	s_mov_b32 s15, 0x7ff00000
	v_add_f64 v[12:13], v[20:21], v[12:13]
	v_cmp_eq_f64_e32 vcc, s[14:15], v[14:15]
	v_mov_b32_e32 v16, 0x7ff80000
	s_nop 0
	v_cndmask_b32_e32 v13, v13, v15, vcc
	v_cndmask_b32_e32 v12, v12, v14, vcc
	v_mul_f64 v[12:13], v[12:13], 0.5
	v_cmp_ngt_f64_e32 vcc, -1.0, v[14:15]
	s_nop 1
	v_cndmask_b32_e32 v13, v16, v13, vcc
	v_cmp_nge_f64_e32 vcc, -1.0, v[14:15]
	v_mov_b32_e32 v16, 0xfff00000
	s_nop 0
	v_cndmask_b32_e32 v12, 0, v12, vcc
	v_cmp_neq_f64_e32 vcc, -1.0, v[14:15]
	s_nop 1
	v_cndmask_b32_e32 v13, v16, v13, vcc
.LBB184_19:
	s_or_b64 exec, exec, s[12:13]
.LBB184_20:
	s_or_b64 exec, exec, s[2:3]
	v_mov_b32_e32 v14, 0x54442d18
	v_mov_b32_e32 v15, 0x7f3321d2
	v_cmp_gt_i32_e64 s[2:3], 0, v3
	v_mov_b32_e32 v16, 0x4002d97c
	v_ashrrev_i32_e32 v22, 31, v3
	v_cndmask_b32_e64 v14, v14, v15, s[2:3]
	v_mov_b32_e32 v15, 0x3fe921fb
	v_cndmask_b32_e64 v15, v15, v16, s[2:3]
	v_max_f64 v[16:17], |v[2:3]|, |v[2:3]|
	v_min_f64 v[8:9], v[16:17], v[8:9]
	v_div_scale_f64 v[18:19], s[14:15], v[10:11], v[10:11], v[8:9]
	v_rcp_f64_e32 v[20:21], v[18:19]
	v_and_b32_e32 v16, 0x400921fb, v22
	v_and_b32_e32 v17, 0x54442d18, v22
	s_mov_b32 s14, 0xb5e68a13
	v_fma_f64 v[22:23], -v[18:19], v[20:21], 1.0
	v_fmac_f64_e32 v[20:21], v[20:21], v[22:23]
	v_fma_f64 v[22:23], -v[18:19], v[20:21], 1.0
	v_fmac_f64_e32 v[20:21], v[20:21], v[22:23]
	v_div_scale_f64 v[22:23], vcc, v[8:9], v[10:11], v[8:9]
	v_mul_f64 v[24:25], v[22:23], v[20:21]
	v_fma_f64 v[18:19], -v[18:19], v[24:25], v[22:23]
	s_mov_b32 s15, 0x3eeba404
	s_nop 0
	v_div_fmas_f64 v[18:19], v[18:19], v[20:21], v[24:25]
	v_div_fixup_f64 v[8:9], v[18:19], v[10:11], v[8:9]
	v_mul_f64 v[10:11], v[8:9], v[8:9]
	v_mov_b32_e32 v18, 0xbd3237f4
	v_mov_b32_e32 v19, 0xbf23e260
	v_fmac_f64_e32 v[18:19], s[14:15], v[10:11]
	v_mov_b32_e32 v20, 0x69efb384
	v_mov_b32_e32 v21, 0x3f4b2bb0
	v_fmac_f64_e32 v[20:21], v[10:11], v[18:19]
	;; [unrolled: 3-line block ×19, first 2 shown]
	v_mul_f64 v[10:11], v[10:11], v[18:19]
	s_mov_b32 s12, 0x54442d18
	v_fmac_f64_e32 v[8:9], v[8:9], v[10:11]
	s_mov_b32 s13, 0x3ff921fb
	s_mov_b32 s17, 0x400921fb
	v_add_f64 v[10:11], -v[8:9], s[12:13]
	v_cmp_lt_f64_e64 vcc, |v[2:3]|, |v[0:1]|
	s_mov_b32 s13, s17
	s_brev_b32 s16, -2
	v_cndmask_b32_e32 v3, v9, v11, vcc
	v_cndmask_b32_e32 v2, v8, v10, vcc
	v_add_f64 v[8:9], -v[2:3], s[12:13]
	v_cndmask_b32_e64 v3, v3, v9, s[2:3]
	v_cndmask_b32_e64 v2, v2, v8, s[2:3]
	v_cmp_eq_f64_e32 vcc, 0, v[0:1]
	v_bfi_b32 v15, s16, v15, v1
	v_add_f64 v[10:11], v[4:5], v[12:13]
	v_cndmask_b32_e32 v0, v2, v17, vcc
	v_cndmask_b32_e32 v2, v3, v16, vcc
	s_and_b64 vcc, s[10:11], s[8:9]
	v_cndmask_b32_e32 v2, v2, v15, vcc
	v_mov_b32_e32 v3, 0x7ff80000
	v_cndmask_b32_e32 v0, v0, v14, vcc
	v_cndmask_b32_e64 v2, v3, v2, s[0:1]
	v_cndmask_b32_e64 v0, 0, v0, s[0:1]
	v_bfi_b32 v1, s16, v2, v1
	v_add_f64 v[8:9], v[6:7], v[0:1]
                                        ; implicit-def: $vgpr6_vgpr7
.LBB184_21:
	s_andn2_saveexec_b64 s[6:7], s[6:7]
	s_cbranch_execz .LBB184_47
; %bb.22:
	v_cmp_ngt_f64_e32 vcc, 0, v[10:11]
	s_and_saveexec_b64 s[8:9], vcc
	s_cbranch_execz .LBB184_46
; %bb.23:
	s_mov_b32 s0, 0
	s_mov_b32 s1, 0x41d00000
	v_cmp_nlt_f64_e64 s[2:3], |v[8:9]|, s[0:1]
	v_trig_preop_f64 v[16:17], |v[8:9]|, 0
	v_trig_preop_f64 v[14:15], |v[8:9]|, 1
	;; [unrolled: 1-line block ×3, first 2 shown]
                                        ; implicit-def: $vgpr26
                                        ; implicit-def: $vgpr0_vgpr1
                                        ; implicit-def: $vgpr2_vgpr3
	s_and_saveexec_b64 s[0:1], s[2:3]
	s_xor_b64 s[10:11], exec, s[0:1]
	s_cbranch_execz .LBB184_25
; %bb.24:
	s_mov_b32 s0, 0
	s_mov_b32 s1, 0x7b000000
	s_movk_i32 s12, 0xff80
	v_and_b32_e32 v2, 0x7fffffff, v9
	v_ldexp_f64 v[0:1], |v[8:9]|, s12
	v_cmp_ge_f64_e64 vcc, |v[8:9]|, s[0:1]
	s_mov_b32 s0, 0
	s_mov_b32 s1, 0x7ff00000
	v_cndmask_b32_e32 v1, v2, v1, vcc
	v_cndmask_b32_e32 v0, v8, v0, vcc
	v_mul_f64 v[4:5], v[16:17], v[0:1]
	v_mul_f64 v[2:3], v[14:15], v[0:1]
	v_fma_f64 v[10:11], v[16:17], v[0:1], -v[4:5]
	v_add_f64 v[18:19], v[2:3], v[10:11]
	v_add_f64 v[20:21], v[4:5], v[18:19]
	v_ldexp_f64 v[22:23], v[20:21], -2
	v_fract_f64_e32 v[24:25], v[22:23]
	v_cmp_neq_f64_e64 vcc, |v[22:23]|, s[0:1]
	v_add_f64 v[4:5], v[20:21], -v[4:5]
	v_add_f64 v[4:5], v[18:19], -v[4:5]
	v_cndmask_b32_e32 v23, 0, v25, vcc
	v_cndmask_b32_e32 v22, 0, v24, vcc
	v_add_f64 v[24:25], v[18:19], -v[2:3]
	v_add_f64 v[10:11], v[10:11], -v[24:25]
	;; [unrolled: 1-line block ×4, first 2 shown]
	v_add_f64 v[10:11], v[10:11], v[24:25]
	v_fma_f64 v[2:3], v[14:15], v[0:1], -v[2:3]
	v_mul_f64 v[24:25], v[12:13], v[0:1]
	v_add_f64 v[26:27], v[24:25], v[2:3]
	v_add_f64 v[30:31], v[26:27], v[10:11]
	v_add_f64 v[20:21], v[30:31], -v[26:27]
	v_add_f64 v[10:11], v[10:11], -v[20:21]
	;; [unrolled: 1-line block ×4, first 2 shown]
	v_add_f64 v[10:11], v[10:11], v[20:21]
	v_add_f64 v[20:21], v[26:27], -v[24:25]
	v_add_f64 v[2:3], v[2:3], -v[20:21]
	;; [unrolled: 1-line block ×4, first 2 shown]
	v_add_f64 v[18:19], v[4:5], v[30:31]
	v_add_f64 v[2:3], v[2:3], v[20:21]
	v_add_f64 v[4:5], v[18:19], -v[4:5]
	v_add_f64 v[2:3], v[2:3], v[10:11]
	v_fma_f64 v[0:1], v[12:13], v[0:1], -v[24:25]
	v_add_f64 v[4:5], v[30:31], -v[4:5]
	v_add_f64 v[0:1], v[0:1], v[2:3]
	v_ldexp_f64 v[2:3], v[22:23], 2
	v_add_f64 v[0:1], v[4:5], v[0:1]
	v_add_f64 v[4:5], v[18:19], v[2:3]
	v_mov_b32_e32 v10, 0x40100000
	v_cmp_gt_f64_e32 vcc, 0, v[4:5]
	v_mov_b32_e32 v28, 0
	s_mov_b32 s12, 0x33145c07
	v_cndmask_b32_e32 v29, 0, v10, vcc
	v_add_f64 v[2:3], v[2:3], v[28:29]
	v_add_f64 v[4:5], v[18:19], v[2:3]
	v_cvt_i32_f64_e32 v10, v[4:5]
	v_cvt_f64_i32_e32 v[4:5], v10
	v_add_f64 v[2:3], v[2:3], -v[4:5]
	v_add_f64 v[4:5], v[18:19], v[2:3]
	v_add_f64 v[2:3], v[4:5], -v[2:3]
	v_add_f64 v[2:3], v[18:19], -v[2:3]
	v_add_f64 v[0:1], v[0:1], v[2:3]
	v_cmp_le_f64_e32 vcc, 0.5, v[4:5]
	v_mov_b32_e32 v2, 0x3ff00000
	s_mov_b32 s13, 0x3c91a626
	v_cndmask_b32_e32 v29, 0, v2, vcc
	v_addc_co_u32_e64 v26, s[0:1], 0, v10, vcc
	v_add_f64 v[2:3], v[4:5], -v[28:29]
	v_add_f64 v[4:5], v[2:3], v[0:1]
	s_mov_b32 s0, 0x54442d18
	v_add_f64 v[2:3], v[4:5], -v[2:3]
	s_mov_b32 s1, 0x3ff921fb
	v_add_f64 v[0:1], v[0:1], -v[2:3]
	v_mul_f64 v[2:3], v[4:5], s[0:1]
	v_fma_f64 v[10:11], v[4:5], s[0:1], -v[2:3]
	v_fmac_f64_e32 v[10:11], s[12:13], v[4:5]
	v_fmac_f64_e32 v[10:11], s[0:1], v[0:1]
	v_add_f64 v[0:1], v[2:3], v[10:11]
	v_add_f64 v[2:3], v[0:1], -v[2:3]
	v_add_f64 v[2:3], v[10:11], -v[2:3]
	s_andn2_saveexec_b64 s[0:1], s[10:11]
	s_cbranch_execz .LBB184_27
	s_branch .LBB184_26
.LBB184_25:
	s_andn2_saveexec_b64 s[0:1], s[10:11]
	s_cbranch_execz .LBB184_27
.LBB184_26:
	s_mov_b32 s10, 0x6dc9c883
	s_mov_b32 s11, 0x3fe45f30
	v_mul_f64 v[0:1], |v[8:9]|, s[10:11]
	s_mov_b32 s10, 0x54442d18
	v_rndne_f64_e32 v[4:5], v[0:1]
	s_mov_b32 s11, 0xbff921fb
	v_fma_f64 v[0:1], v[4:5], s[10:11], |v[8:9]|
	s_mov_b32 s11, 0xbc91a626
	s_mov_b32 s10, 0x33145c00
	v_mul_f64 v[10:11], v[4:5], s[10:11]
	v_add_f64 v[20:21], v[0:1], v[10:11]
	v_fma_f64 v[2:3], s[10:11], v[4:5], v[0:1]
	s_mov_b32 s11, 0x3c91a626
	v_add_f64 v[0:1], v[0:1], -v[20:21]
	v_fma_f64 v[18:19], s[10:11], v[4:5], v[10:11]
	v_add_f64 v[0:1], v[0:1], v[10:11]
	v_add_f64 v[10:11], v[20:21], -v[2:3]
	v_add_f64 v[0:1], v[10:11], v[0:1]
	s_mov_b32 s10, 0x252049c0
	v_add_f64 v[10:11], v[0:1], -v[18:19]
	s_mov_b32 s11, 0xb97b839a
	v_fmac_f64_e32 v[10:11], s[10:11], v[4:5]
	v_add_f64 v[0:1], v[2:3], v[10:11]
	v_add_f64 v[2:3], v[0:1], -v[2:3]
	v_add_f64 v[2:3], v[10:11], -v[2:3]
	v_cvt_i32_f64_e32 v26, v[4:5]
.LBB184_27:
	s_or_b64 exec, exec, s[0:1]
                                        ; implicit-def: $vgpr27
                                        ; implicit-def: $vgpr4_vgpr5
                                        ; implicit-def: $vgpr10_vgpr11
	s_and_saveexec_b64 s[0:1], s[2:3]
	s_xor_b64 s[2:3], exec, s[0:1]
	s_cbranch_execz .LBB184_29
; %bb.28:
	s_mov_b32 s0, 0
	s_mov_b32 s1, 0x7b000000
	s_movk_i32 s10, 0xff80
	v_and_b32_e32 v10, 0x7fffffff, v9
	v_ldexp_f64 v[4:5], |v[8:9]|, s10
	v_cmp_ge_f64_e64 vcc, |v[8:9]|, s[0:1]
	s_mov_b32 s0, 0
	s_mov_b32 s1, 0x7ff00000
	v_cndmask_b32_e32 v5, v10, v5, vcc
	v_cndmask_b32_e32 v4, v8, v4, vcc
	v_mul_f64 v[18:19], v[16:17], v[4:5]
	v_mul_f64 v[10:11], v[14:15], v[4:5]
	v_fma_f64 v[16:17], v[16:17], v[4:5], -v[18:19]
	v_add_f64 v[20:21], v[10:11], v[16:17]
	v_add_f64 v[22:23], v[18:19], v[20:21]
	v_ldexp_f64 v[24:25], v[22:23], -2
	v_fract_f64_e32 v[28:29], v[24:25]
	v_cmp_neq_f64_e64 vcc, |v[24:25]|, s[0:1]
	v_add_f64 v[18:19], v[22:23], -v[18:19]
	v_add_f64 v[18:19], v[20:21], -v[18:19]
	v_cndmask_b32_e32 v25, 0, v29, vcc
	v_cndmask_b32_e32 v24, 0, v28, vcc
	v_add_f64 v[28:29], v[20:21], -v[10:11]
	v_add_f64 v[16:17], v[16:17], -v[28:29]
	;; [unrolled: 1-line block ×4, first 2 shown]
	v_fma_f64 v[10:11], v[14:15], v[4:5], -v[10:11]
	v_mul_f64 v[14:15], v[12:13], v[4:5]
	v_add_f64 v[16:17], v[16:17], v[28:29]
	v_add_f64 v[28:29], v[14:15], v[10:11]
	;; [unrolled: 1-line block ×3, first 2 shown]
	v_add_f64 v[22:23], v[32:33], -v[28:29]
	v_add_f64 v[16:17], v[16:17], -v[22:23]
	;; [unrolled: 1-line block ×4, first 2 shown]
	v_add_f64 v[16:17], v[16:17], v[22:23]
	v_add_f64 v[22:23], v[28:29], -v[14:15]
	v_add_f64 v[10:11], v[10:11], -v[22:23]
	;; [unrolled: 1-line block ×4, first 2 shown]
	v_add_f64 v[10:11], v[10:11], v[22:23]
	v_add_f64 v[10:11], v[10:11], v[16:17]
	v_fma_f64 v[4:5], v[12:13], v[4:5], -v[14:15]
	v_add_f64 v[20:21], v[18:19], v[32:33]
	v_add_f64 v[4:5], v[4:5], v[10:11]
	v_ldexp_f64 v[10:11], v[24:25], 2
	v_add_f64 v[12:13], v[20:21], v[10:11]
	v_mov_b32_e32 v14, 0x40100000
	v_cmp_gt_f64_e32 vcc, 0, v[12:13]
	v_mov_b32_e32 v30, 0
	v_add_f64 v[18:19], v[20:21], -v[18:19]
	v_cndmask_b32_e32 v31, 0, v14, vcc
	v_add_f64 v[10:11], v[10:11], v[30:31]
	v_add_f64 v[12:13], v[20:21], v[10:11]
	v_cvt_i32_f64_e32 v14, v[12:13]
	v_cvt_f64_i32_e32 v[12:13], v14
	v_add_f64 v[10:11], v[10:11], -v[12:13]
	v_add_f64 v[12:13], v[20:21], v[10:11]
	v_add_f64 v[18:19], v[32:33], -v[18:19]
	v_add_f64 v[10:11], v[12:13], -v[10:11]
	v_add_f64 v[4:5], v[18:19], v[4:5]
	v_add_f64 v[10:11], v[20:21], -v[10:11]
	v_add_f64 v[4:5], v[4:5], v[10:11]
	v_cmp_le_f64_e32 vcc, 0.5, v[12:13]
	v_mov_b32_e32 v10, 0x3ff00000
	s_mov_b32 s10, 0x33145c07
	v_cndmask_b32_e32 v31, 0, v10, vcc
	v_addc_co_u32_e64 v27, s[0:1], 0, v14, vcc
	v_add_f64 v[10:11], v[12:13], -v[30:31]
	v_add_f64 v[12:13], v[10:11], v[4:5]
	s_mov_b32 s0, 0x54442d18
	v_add_f64 v[10:11], v[12:13], -v[10:11]
	s_mov_b32 s1, 0x3ff921fb
	v_add_f64 v[4:5], v[4:5], -v[10:11]
	v_mul_f64 v[10:11], v[12:13], s[0:1]
	v_fma_f64 v[14:15], v[12:13], s[0:1], -v[10:11]
	s_mov_b32 s11, 0x3c91a626
	v_fmac_f64_e32 v[14:15], s[10:11], v[12:13]
	v_fmac_f64_e32 v[14:15], s[0:1], v[4:5]
	v_add_f64 v[4:5], v[10:11], v[14:15]
	v_add_f64 v[10:11], v[4:5], -v[10:11]
	v_add_f64 v[10:11], v[14:15], -v[10:11]
	s_andn2_saveexec_b64 s[0:1], s[2:3]
	s_cbranch_execnz .LBB184_30
	s_branch .LBB184_31
.LBB184_29:
	s_andn2_saveexec_b64 s[0:1], s[2:3]
	s_cbranch_execz .LBB184_31
.LBB184_30:
	s_mov_b32 s2, 0x6dc9c883
	s_mov_b32 s3, 0x3fe45f30
	v_mul_f64 v[4:5], |v[8:9]|, s[2:3]
	s_mov_b32 s2, 0x54442d18
	v_rndne_f64_e32 v[12:13], v[4:5]
	s_mov_b32 s3, 0xbff921fb
	v_fma_f64 v[4:5], v[12:13], s[2:3], |v[8:9]|
	s_mov_b32 s3, 0xbc91a626
	s_mov_b32 s2, 0x33145c00
	v_mul_f64 v[14:15], v[12:13], s[2:3]
	v_add_f64 v[18:19], v[4:5], v[14:15]
	v_fma_f64 v[10:11], s[2:3], v[12:13], v[4:5]
	s_mov_b32 s3, 0x3c91a626
	v_add_f64 v[4:5], v[4:5], -v[18:19]
	v_fma_f64 v[16:17], s[2:3], v[12:13], v[14:15]
	v_add_f64 v[4:5], v[4:5], v[14:15]
	v_add_f64 v[14:15], v[18:19], -v[10:11]
	v_add_f64 v[4:5], v[14:15], v[4:5]
	s_mov_b32 s2, 0x252049c0
	v_add_f64 v[14:15], v[4:5], -v[16:17]
	s_mov_b32 s3, 0xb97b839a
	v_fmac_f64_e32 v[14:15], s[2:3], v[12:13]
	v_add_f64 v[4:5], v[10:11], v[14:15]
	v_add_f64 v[10:11], v[4:5], -v[10:11]
	v_add_f64 v[10:11], v[14:15], -v[10:11]
	v_cvt_i32_f64_e32 v27, v[12:13]
.LBB184_31:
	s_or_b64 exec, exec, s[0:1]
	s_mov_b32 s0, 0
	s_mov_b32 s1, 0x41d00000
	v_cmp_nlt_f64_e64 s[2:3], |v[6:7]|, s[0:1]
	v_trig_preop_f64 v[24:25], |v[6:7]|, 0
	v_trig_preop_f64 v[22:23], |v[6:7]|, 1
	;; [unrolled: 1-line block ×3, first 2 shown]
                                        ; implicit-def: $vgpr28
                                        ; implicit-def: $vgpr12_vgpr13
                                        ; implicit-def: $vgpr14_vgpr15
	s_and_saveexec_b64 s[0:1], s[2:3]
	s_xor_b64 s[10:11], exec, s[0:1]
	s_cbranch_execz .LBB184_33
; %bb.32:
	s_mov_b32 s0, 0
	s_mov_b32 s1, 0x7b000000
	s_movk_i32 s12, 0xff80
	v_and_b32_e32 v14, 0x7fffffff, v7
	v_ldexp_f64 v[12:13], |v[6:7]|, s12
	v_cmp_ge_f64_e64 vcc, |v[6:7]|, s[0:1]
	s_mov_b32 s0, 0
	s_mov_b32 s1, 0x7ff00000
	v_cndmask_b32_e32 v13, v14, v13, vcc
	v_cndmask_b32_e32 v12, v6, v12, vcc
	v_mul_f64 v[16:17], v[24:25], v[12:13]
	v_mul_f64 v[14:15], v[22:23], v[12:13]
	v_fma_f64 v[18:19], v[24:25], v[12:13], -v[16:17]
	v_add_f64 v[28:29], v[14:15], v[18:19]
	v_add_f64 v[30:31], v[16:17], v[28:29]
	v_ldexp_f64 v[32:33], v[30:31], -2
	v_fract_f64_e32 v[34:35], v[32:33]
	v_cmp_neq_f64_e64 vcc, |v[32:33]|, s[0:1]
	v_add_f64 v[16:17], v[30:31], -v[16:17]
	v_add_f64 v[16:17], v[28:29], -v[16:17]
	v_cndmask_b32_e32 v33, 0, v35, vcc
	v_cndmask_b32_e32 v32, 0, v34, vcc
	v_add_f64 v[34:35], v[28:29], -v[14:15]
	v_add_f64 v[18:19], v[18:19], -v[34:35]
	;; [unrolled: 1-line block ×4, first 2 shown]
	v_add_f64 v[18:19], v[18:19], v[34:35]
	v_fma_f64 v[14:15], v[22:23], v[12:13], -v[14:15]
	v_mul_f64 v[34:35], v[20:21], v[12:13]
	v_add_f64 v[38:39], v[34:35], v[14:15]
	v_add_f64 v[48:49], v[38:39], v[18:19]
	v_add_f64 v[30:31], v[48:49], -v[38:39]
	v_add_f64 v[18:19], v[18:19], -v[30:31]
	;; [unrolled: 1-line block ×4, first 2 shown]
	v_add_f64 v[18:19], v[18:19], v[30:31]
	v_add_f64 v[30:31], v[38:39], -v[34:35]
	v_add_f64 v[14:15], v[14:15], -v[30:31]
	;; [unrolled: 1-line block ×4, first 2 shown]
	v_add_f64 v[28:29], v[16:17], v[48:49]
	v_add_f64 v[14:15], v[14:15], v[30:31]
	v_add_f64 v[16:17], v[28:29], -v[16:17]
	v_add_f64 v[14:15], v[14:15], v[18:19]
	v_fma_f64 v[12:13], v[20:21], v[12:13], -v[34:35]
	v_add_f64 v[16:17], v[48:49], -v[16:17]
	v_add_f64 v[12:13], v[12:13], v[14:15]
	v_ldexp_f64 v[14:15], v[32:33], 2
	v_add_f64 v[12:13], v[16:17], v[12:13]
	v_add_f64 v[16:17], v[28:29], v[14:15]
	v_mov_b32_e32 v18, 0x40100000
	v_cmp_gt_f64_e32 vcc, 0, v[16:17]
	v_mov_b32_e32 v36, 0
	s_mov_b32 s12, 0x33145c07
	v_cndmask_b32_e32 v37, 0, v18, vcc
	v_add_f64 v[14:15], v[14:15], v[36:37]
	v_add_f64 v[16:17], v[28:29], v[14:15]
	v_cvt_i32_f64_e32 v18, v[16:17]
	v_cvt_f64_i32_e32 v[16:17], v18
	v_add_f64 v[14:15], v[14:15], -v[16:17]
	v_add_f64 v[16:17], v[28:29], v[14:15]
	v_add_f64 v[14:15], v[16:17], -v[14:15]
	v_add_f64 v[14:15], v[28:29], -v[14:15]
	v_add_f64 v[12:13], v[12:13], v[14:15]
	v_cmp_le_f64_e32 vcc, 0.5, v[16:17]
	v_mov_b32_e32 v14, 0x3ff00000
	s_mov_b32 s13, 0x3c91a626
	v_cndmask_b32_e32 v37, 0, v14, vcc
	v_addc_co_u32_e64 v28, s[0:1], 0, v18, vcc
	v_add_f64 v[14:15], v[16:17], -v[36:37]
	v_add_f64 v[16:17], v[14:15], v[12:13]
	s_mov_b32 s0, 0x54442d18
	v_add_f64 v[14:15], v[16:17], -v[14:15]
	s_mov_b32 s1, 0x3ff921fb
	v_add_f64 v[12:13], v[12:13], -v[14:15]
	v_mul_f64 v[14:15], v[16:17], s[0:1]
	v_fma_f64 v[18:19], v[16:17], s[0:1], -v[14:15]
	v_fmac_f64_e32 v[18:19], s[12:13], v[16:17]
	v_fmac_f64_e32 v[18:19], s[0:1], v[12:13]
	v_add_f64 v[12:13], v[14:15], v[18:19]
	v_add_f64 v[14:15], v[12:13], -v[14:15]
	v_add_f64 v[14:15], v[18:19], -v[14:15]
	s_andn2_saveexec_b64 s[0:1], s[10:11]
	s_cbranch_execz .LBB184_35
	s_branch .LBB184_34
.LBB184_33:
	s_andn2_saveexec_b64 s[0:1], s[10:11]
	s_cbranch_execz .LBB184_35
.LBB184_34:
	s_mov_b32 s10, 0x6dc9c883
	s_mov_b32 s11, 0x3fe45f30
	v_mul_f64 v[12:13], |v[6:7]|, s[10:11]
	s_mov_b32 s10, 0x54442d18
	v_rndne_f64_e32 v[16:17], v[12:13]
	s_mov_b32 s11, 0xbff921fb
	v_fma_f64 v[12:13], v[16:17], s[10:11], |v[6:7]|
	s_mov_b32 s11, 0xbc91a626
	s_mov_b32 s10, 0x33145c00
	v_mul_f64 v[18:19], v[16:17], s[10:11]
	v_add_f64 v[30:31], v[12:13], v[18:19]
	v_fma_f64 v[14:15], s[10:11], v[16:17], v[12:13]
	s_mov_b32 s11, 0x3c91a626
	v_add_f64 v[12:13], v[12:13], -v[30:31]
	v_fma_f64 v[28:29], s[10:11], v[16:17], v[18:19]
	v_add_f64 v[12:13], v[12:13], v[18:19]
	v_add_f64 v[18:19], v[30:31], -v[14:15]
	v_add_f64 v[12:13], v[18:19], v[12:13]
	s_mov_b32 s10, 0x252049c0
	v_add_f64 v[18:19], v[12:13], -v[28:29]
	s_mov_b32 s11, 0xb97b839a
	v_fmac_f64_e32 v[18:19], s[10:11], v[16:17]
	v_add_f64 v[12:13], v[14:15], v[18:19]
	v_add_f64 v[14:15], v[12:13], -v[14:15]
	v_add_f64 v[14:15], v[18:19], -v[14:15]
	v_cvt_i32_f64_e32 v28, v[16:17]
.LBB184_35:
	s_or_b64 exec, exec, s[0:1]
                                        ; implicit-def: $vgpr29
                                        ; implicit-def: $vgpr16_vgpr17
                                        ; implicit-def: $vgpr18_vgpr19
	s_and_saveexec_b64 s[0:1], s[2:3]
	s_xor_b64 s[2:3], exec, s[0:1]
	s_cbranch_execz .LBB184_37
; %bb.36:
	s_mov_b32 s0, 0
	s_mov_b32 s1, 0x7b000000
	s_movk_i32 s10, 0xff80
	v_and_b32_e32 v18, 0x7fffffff, v7
	v_ldexp_f64 v[16:17], |v[6:7]|, s10
	v_cmp_ge_f64_e64 vcc, |v[6:7]|, s[0:1]
	s_mov_b32 s0, 0
	s_mov_b32 s1, 0x7ff00000
	v_cndmask_b32_e32 v17, v18, v17, vcc
	v_cndmask_b32_e32 v16, v6, v16, vcc
	v_mul_f64 v[30:31], v[24:25], v[16:17]
	v_mul_f64 v[18:19], v[22:23], v[16:17]
	v_fma_f64 v[24:25], v[24:25], v[16:17], -v[30:31]
	v_add_f64 v[32:33], v[18:19], v[24:25]
	v_add_f64 v[34:35], v[30:31], v[32:33]
	v_ldexp_f64 v[36:37], v[34:35], -2
	v_fract_f64_e32 v[38:39], v[36:37]
	v_cmp_neq_f64_e64 vcc, |v[36:37]|, s[0:1]
	v_add_f64 v[30:31], v[34:35], -v[30:31]
	v_add_f64 v[30:31], v[32:33], -v[30:31]
	v_cndmask_b32_e32 v37, 0, v39, vcc
	v_cndmask_b32_e32 v36, 0, v38, vcc
	v_add_f64 v[38:39], v[32:33], -v[18:19]
	v_add_f64 v[24:25], v[24:25], -v[38:39]
	;; [unrolled: 1-line block ×4, first 2 shown]
	v_fma_f64 v[18:19], v[22:23], v[16:17], -v[18:19]
	v_mul_f64 v[22:23], v[20:21], v[16:17]
	v_add_f64 v[24:25], v[24:25], v[38:39]
	v_add_f64 v[38:39], v[22:23], v[18:19]
	;; [unrolled: 1-line block ×3, first 2 shown]
	v_add_f64 v[34:35], v[50:51], -v[38:39]
	v_add_f64 v[24:25], v[24:25], -v[34:35]
	;; [unrolled: 1-line block ×4, first 2 shown]
	v_add_f64 v[24:25], v[24:25], v[34:35]
	v_add_f64 v[34:35], v[38:39], -v[22:23]
	v_add_f64 v[18:19], v[18:19], -v[34:35]
	;; [unrolled: 1-line block ×4, first 2 shown]
	v_add_f64 v[18:19], v[18:19], v[34:35]
	v_add_f64 v[18:19], v[18:19], v[24:25]
	v_fma_f64 v[16:17], v[20:21], v[16:17], -v[22:23]
	v_add_f64 v[32:33], v[30:31], v[50:51]
	v_add_f64 v[16:17], v[16:17], v[18:19]
	v_ldexp_f64 v[18:19], v[36:37], 2
	v_add_f64 v[20:21], v[32:33], v[18:19]
	v_mov_b32_e32 v22, 0x40100000
	v_cmp_gt_f64_e32 vcc, 0, v[20:21]
	v_mov_b32_e32 v48, 0
	v_add_f64 v[30:31], v[32:33], -v[30:31]
	v_cndmask_b32_e32 v49, 0, v22, vcc
	v_add_f64 v[18:19], v[18:19], v[48:49]
	v_add_f64 v[20:21], v[32:33], v[18:19]
	v_cvt_i32_f64_e32 v22, v[20:21]
	v_cvt_f64_i32_e32 v[20:21], v22
	v_add_f64 v[18:19], v[18:19], -v[20:21]
	v_add_f64 v[20:21], v[32:33], v[18:19]
	v_add_f64 v[30:31], v[50:51], -v[30:31]
	v_add_f64 v[18:19], v[20:21], -v[18:19]
	v_add_f64 v[16:17], v[30:31], v[16:17]
	v_add_f64 v[18:19], v[32:33], -v[18:19]
	v_add_f64 v[16:17], v[16:17], v[18:19]
	v_cmp_le_f64_e32 vcc, 0.5, v[20:21]
	v_mov_b32_e32 v18, 0x3ff00000
	s_mov_b32 s10, 0x33145c07
	v_cndmask_b32_e32 v49, 0, v18, vcc
	v_addc_co_u32_e64 v29, s[0:1], 0, v22, vcc
	v_add_f64 v[18:19], v[20:21], -v[48:49]
	v_add_f64 v[20:21], v[18:19], v[16:17]
	s_mov_b32 s0, 0x54442d18
	v_add_f64 v[18:19], v[20:21], -v[18:19]
	s_mov_b32 s1, 0x3ff921fb
	v_add_f64 v[16:17], v[16:17], -v[18:19]
	v_mul_f64 v[18:19], v[20:21], s[0:1]
	v_fma_f64 v[22:23], v[20:21], s[0:1], -v[18:19]
	s_mov_b32 s11, 0x3c91a626
	v_fmac_f64_e32 v[22:23], s[10:11], v[20:21]
	v_fmac_f64_e32 v[22:23], s[0:1], v[16:17]
	v_add_f64 v[16:17], v[18:19], v[22:23]
	v_add_f64 v[18:19], v[16:17], -v[18:19]
	v_add_f64 v[18:19], v[22:23], -v[18:19]
	s_andn2_saveexec_b64 s[0:1], s[2:3]
	s_cbranch_execnz .LBB184_38
	s_branch .LBB184_39
.LBB184_37:
	s_andn2_saveexec_b64 s[0:1], s[2:3]
	s_cbranch_execz .LBB184_39
.LBB184_38:
	s_mov_b32 s2, 0x6dc9c883
	s_mov_b32 s3, 0x3fe45f30
	v_mul_f64 v[16:17], |v[6:7]|, s[2:3]
	s_mov_b32 s2, 0x54442d18
	v_rndne_f64_e32 v[20:21], v[16:17]
	s_mov_b32 s3, 0xbff921fb
	v_fma_f64 v[16:17], v[20:21], s[2:3], |v[6:7]|
	s_mov_b32 s3, 0xbc91a626
	s_mov_b32 s2, 0x33145c00
	v_mul_f64 v[22:23], v[20:21], s[2:3]
	v_add_f64 v[30:31], v[16:17], v[22:23]
	v_fma_f64 v[18:19], s[2:3], v[20:21], v[16:17]
	s_mov_b32 s3, 0x3c91a626
	v_add_f64 v[16:17], v[16:17], -v[30:31]
	v_fma_f64 v[24:25], s[2:3], v[20:21], v[22:23]
	v_add_f64 v[16:17], v[16:17], v[22:23]
	v_add_f64 v[22:23], v[30:31], -v[18:19]
	v_add_f64 v[16:17], v[22:23], v[16:17]
	s_mov_b32 s2, 0x252049c0
	v_add_f64 v[22:23], v[16:17], -v[24:25]
	s_mov_b32 s3, 0xb97b839a
	v_fmac_f64_e32 v[22:23], s[2:3], v[20:21]
	v_add_f64 v[16:17], v[18:19], v[22:23]
	v_add_f64 v[18:19], v[16:17], -v[18:19]
	v_add_f64 v[18:19], v[22:23], -v[18:19]
	v_cvt_i32_f64_e32 v29, v[20:21]
.LBB184_39:
	s_or_b64 exec, exec, s[0:1]
	s_mov_b32 s0, 0xb42fdfa7
	s_mov_b32 s1, 0xbe5ae600
	;; [unrolled: 1-line block ×3, first 2 shown]
	v_mul_f64 v[24:25], v[0:1], v[0:1]
	s_mov_b32 s3, 0x3de5e0b2
	v_mov_b64_e32 v[20:21], s[0:1]
	s_mov_b32 s10, 0x796cde01
	v_fma_f64 v[30:31], s[2:3], v[24:25], v[20:21]
	s_mov_b32 s11, 0x3ec71de3
	s_mov_b32 s12, 0x19e83e5c
	v_fma_f64 v[30:31], v[24:25], v[30:31], s[10:11]
	s_mov_b32 s13, 0xbf2a01a0
	;; [unrolled: 3-line block ×3, first 2 shown]
	v_mul_f64 v[22:23], v[0:1], -v[24:25]
	v_fma_f64 v[30:31], v[24:25], v[30:31], s[18:19]
	v_mul_f64 v[32:33], v[2:3], 0.5
	v_fmac_f64_e32 v[32:33], v[22:23], v[30:31]
	s_mov_b32 s0, 0x9037ab78
	v_fma_f64 v[30:31], v[24:25], v[32:33], -v[2:3]
	s_mov_b32 s17, 0xbfc55555
	s_mov_b32 s16, 0x55555555
	;; [unrolled: 1-line block ×4, first 2 shown]
	v_fmac_f64_e32 v[30:31], s[16:17], v[22:23]
	s_mov_b32 s21, 0xbda907db
	v_mov_b64_e32 v[22:23], s[0:1]
	s_mov_b32 s22, 0xa17f65f6
	v_fma_f64 v[38:39], s[20:21], v[24:25], v[22:23]
	s_mov_b32 s23, 0xbe927e4f
	s_mov_b32 s24, 0x19f4ec90
	v_fma_f64 v[38:39], v[24:25], v[38:39], s[22:23]
	s_mov_b32 s25, 0x3efa01a0
	s_mov_b32 s26, 0x16c16967
	v_mul_f64 v[32:33], v[24:25], 0.5
	v_fma_f64 v[38:39], v[24:25], v[38:39], s[24:25]
	s_mov_b32 s27, 0xbf56c16c
	v_add_f64 v[34:35], -v[32:33], 1.0
	v_fma_f64 v[38:39], v[24:25], v[38:39], s[26:27]
	s_mov_b32 s29, 0x3fa55555
	s_mov_b32 s28, s16
	v_mul_f64 v[36:37], v[24:25], v[24:25]
	v_fma_f64 v[24:25], v[24:25], v[38:39], s[28:29]
	v_add_f64 v[38:39], -v[34:35], 1.0
	v_add_f64 v[32:33], v[38:39], -v[32:33]
	v_add_f64 v[30:31], v[0:1], -v[30:31]
	v_fma_f64 v[0:1], v[0:1], -v[2:3], v[32:33]
	v_and_b32_e32 v48, 1, v26
	v_fmac_f64_e32 v[0:1], v[36:37], v[24:25]
	v_lshlrev_b32_e32 v2, 30, v26
	v_add_f64 v[0:1], v[34:35], v[0:1]
	v_cmp_eq_u32_e32 vcc, 0, v48
	v_xor_b32_e32 v2, v2, v9
	s_movk_i32 s30, 0x1f8
	v_cndmask_b32_e32 v1, v1, v31, vcc
	v_and_b32_e32 v2, 0x80000000, v2
	v_cndmask_b32_e32 v0, v0, v30, vcc
	v_xor_b32_e32 v1, v1, v2
	v_cmp_class_f64_e64 vcc, v[8:9], s30
	v_mov_b32_e32 v24, 0x7ff80000
	s_mov_b32 s14, 0
	v_cndmask_b32_e32 v2, 0, v0, vcc
	v_cndmask_b32_e32 v3, v24, v1, vcc
	v_mul_f64 v[0:1], v[4:5], v[4:5]
	v_mul_f64 v[8:9], v[0:1], 0.5
	v_fma_f64 v[34:35], s[20:21], v[0:1], v[22:23]
	v_add_f64 v[30:31], -v[8:9], 1.0
	v_fma_f64 v[34:35], v[0:1], v[34:35], s[22:23]
	v_add_f64 v[32:33], -v[30:31], 1.0
	v_fma_f64 v[34:35], v[0:1], v[34:35], s[24:25]
	v_add_f64 v[8:9], v[32:33], -v[8:9]
	v_fma_f64 v[34:35], v[0:1], v[34:35], s[26:27]
	v_mul_f64 v[32:33], v[0:1], v[0:1]
	v_fma_f64 v[34:35], v[0:1], v[34:35], s[28:29]
	v_fma_f64 v[8:9], v[4:5], -v[10:11], v[8:9]
	v_fmac_f64_e32 v[8:9], v[32:33], v[34:35]
	v_add_f64 v[8:9], v[30:31], v[8:9]
	v_fma_f64 v[30:31], s[2:3], v[0:1], v[20:21]
	v_fma_f64 v[30:31], v[0:1], v[30:31], s[10:11]
	;; [unrolled: 1-line block ×4, first 2 shown]
	v_mul_f64 v[32:33], v[4:5], -v[0:1]
	v_mul_f64 v[34:35], v[10:11], 0.5
	v_fmac_f64_e32 v[34:35], v[32:33], v[30:31]
	v_fma_f64 v[0:1], v[0:1], v[34:35], -v[10:11]
	v_fmac_f64_e32 v[0:1], s[16:17], v[32:33]
	v_add_f64 v[0:1], v[4:5], -v[0:1]
	v_and_b32_e32 v4, 1, v27
	v_xor_b32_e32 v1, 0x80000000, v1
	v_cmp_eq_u32_e64 s[0:1], 0, v4
	v_lshlrev_b32_e32 v4, 30, v27
	v_and_b32_e32 v4, 0x80000000, v4
	v_cndmask_b32_e64 v1, v1, v9, s[0:1]
	v_cndmask_b32_e64 v0, v0, v8, s[0:1]
	v_xor_b32_e32 v1, v1, v4
	v_cndmask_b32_e32 v0, 0, v0, vcc
	v_cndmask_b32_e32 v1, v24, v1, vcc
	s_mov_b32 s15, 0x7ff00000
	v_mul_f64 v[4:5], v[0:1], s[14:15]
	v_cmp_neq_f64_e32 vcc, 0, v[0:1]
	v_mul_f64 v[26:27], v[14:15], 0.5
	v_and_b32_e32 v25, 1, v28
	v_cndmask_b32_e32 v1, 0, v5, vcc
	v_cndmask_b32_e32 v0, 0, v4, vcc
	v_mul_f64 v[4:5], v[2:3], s[14:15]
	v_cmp_neq_f64_e32 vcc, 0, v[2:3]
	s_nop 1
	v_cndmask_b32_e32 v3, 0, v5, vcc
	v_cndmask_b32_e32 v2, 0, v4, vcc
	v_mul_f64 v[4:5], v[12:13], v[12:13]
	v_fma_f64 v[10:11], s[2:3], v[4:5], v[20:21]
	v_fma_f64 v[10:11], v[4:5], v[10:11], s[10:11]
	;; [unrolled: 1-line block ×3, first 2 shown]
	v_mul_f64 v[8:9], v[12:13], -v[4:5]
	v_fma_f64 v[10:11], v[4:5], v[10:11], s[18:19]
	v_fmac_f64_e32 v[26:27], v[8:9], v[10:11]
	v_fma_f64 v[10:11], v[4:5], v[26:27], -v[14:15]
	v_fma_f64 v[32:33], s[20:21], v[4:5], v[22:23]
	v_fmac_f64_e32 v[10:11], s[16:17], v[8:9]
	v_fma_f64 v[32:33], v[4:5], v[32:33], s[22:23]
	v_add_f64 v[8:9], v[12:13], -v[10:11]
	v_mul_f64 v[10:11], v[4:5], 0.5
	v_fma_f64 v[32:33], v[4:5], v[32:33], s[24:25]
	v_add_f64 v[26:27], -v[10:11], 1.0
	v_fma_f64 v[32:33], v[4:5], v[32:33], s[26:27]
	v_mul_f64 v[30:31], v[4:5], v[4:5]
	v_fma_f64 v[4:5], v[4:5], v[32:33], s[28:29]
	v_add_f64 v[32:33], -v[26:27], 1.0
	v_add_f64 v[10:11], v[32:33], -v[10:11]
	v_fma_f64 v[10:11], v[12:13], -v[14:15], v[10:11]
	v_fmac_f64_e32 v[10:11], v[30:31], v[4:5]
	v_add_f64 v[4:5], v[26:27], v[10:11]
	v_cmp_eq_u32_e32 vcc, 0, v25
	s_nop 1
	v_cndmask_b32_e32 v4, v4, v8, vcc
	v_lshlrev_b32_e32 v8, 30, v28
	v_xor_b32_e32 v8, v8, v7
	v_cndmask_b32_e32 v5, v5, v9, vcc
	v_and_b32_e32 v8, 0x80000000, v8
	v_cmp_class_f64_e64 vcc, v[6:7], s30
	v_mul_f64 v[6:7], v[16:17], v[16:17]
	v_xor_b32_e32 v5, v5, v8
	v_mul_f64 v[8:9], v[6:7], 0.5
	v_fmac_f64_e32 v[22:23], s[20:21], v[6:7]
	v_add_f64 v[10:11], -v[8:9], 1.0
	v_fma_f64 v[14:15], v[6:7], v[22:23], s[22:23]
	v_add_f64 v[12:13], -v[10:11], 1.0
	v_fma_f64 v[14:15], v[6:7], v[14:15], s[24:25]
	v_add_f64 v[8:9], v[12:13], -v[8:9]
	v_fma_f64 v[14:15], v[6:7], v[14:15], s[26:27]
	v_mul_f64 v[12:13], v[6:7], v[6:7]
	v_fma_f64 v[14:15], v[6:7], v[14:15], s[28:29]
	v_fma_f64 v[8:9], v[16:17], -v[18:19], v[8:9]
	v_fmac_f64_e32 v[8:9], v[12:13], v[14:15]
	v_fmac_f64_e32 v[20:21], s[2:3], v[6:7]
	v_add_f64 v[8:9], v[10:11], v[8:9]
	v_fma_f64 v[10:11], v[6:7], v[20:21], s[10:11]
	v_fma_f64 v[10:11], v[6:7], v[10:11], s[12:13]
	;; [unrolled: 1-line block ×3, first 2 shown]
	v_mul_f64 v[12:13], v[16:17], -v[6:7]
	v_mul_f64 v[14:15], v[18:19], 0.5
	v_fmac_f64_e32 v[14:15], v[12:13], v[10:11]
	v_fma_f64 v[6:7], v[6:7], v[14:15], -v[18:19]
	v_fmac_f64_e32 v[6:7], s[16:17], v[12:13]
	v_and_b32_e32 v10, 1, v29
	v_add_f64 v[6:7], v[16:17], -v[6:7]
	v_cmp_eq_u32_e64 s[0:1], 0, v10
	v_xor_b32_e32 v7, 0x80000000, v7
	v_cndmask_b32_e32 v4, 0, v4, vcc
	v_cndmask_b32_e64 v6, v6, v8, s[0:1]
	v_lshlrev_b32_e32 v8, 30, v29
	v_cndmask_b32_e64 v7, v7, v9, s[0:1]
	v_and_b32_e32 v8, 0x80000000, v8
	v_xor_b32_e32 v7, v7, v8
	v_cndmask_b32_e32 v6, 0, v6, vcc
	v_cndmask_b32_e32 v7, v24, v7, vcc
	;; [unrolled: 1-line block ×3, first 2 shown]
	v_mul_f64 v[8:9], v[6:7], s[14:15]
	v_cmp_neq_f64_e32 vcc, 0, v[6:7]
	s_movk_i32 s12, 0x204
	s_nop 0
	v_cndmask_b32_e32 v7, 0, v9, vcc
	v_cndmask_b32_e32 v6, 0, v8, vcc
	v_mul_f64 v[8:9], v[4:5], s[14:15]
	v_cmp_neq_f64_e32 vcc, 0, v[4:5]
	v_add_f64 v[6:7], v[0:1], v[6:7]
	v_add_f64 v[10:11], v[6:7], -1.0
	v_cndmask_b32_e32 v5, 0, v9, vcc
	v_cndmask_b32_e32 v4, 0, v8, vcc
	v_add_f64 v[0:1], v[2:3], v[4:5]
	v_max_f64 v[2:3], |v[10:11]|, |v[10:11]|
	v_max_f64 v[4:5], |v[0:1]|, |v[0:1]|
	v_max_f64 v[2:3], v[2:3], v[4:5]
	v_frexp_exp_i32_f64_e32 v14, v[2:3]
	v_sub_u32_e32 v6, 0, v14
	v_ldexp_f64 v[2:3], |v[10:11]|, v6
	v_ldexp_f64 v[6:7], |v[0:1]|, v6
	v_mul_f64 v[6:7], v[6:7], v[6:7]
	v_fmac_f64_e32 v[6:7], v[2:3], v[2:3]
	v_rsq_f64_e32 v[2:3], v[6:7]
	v_cmp_eq_f64_e32 vcc, 0, v[6:7]
	v_cmp_class_f64_e64 s[0:1], v[10:11], s12
	v_cmp_class_f64_e64 s[10:11], v[0:1], s12
	v_mul_f64 v[8:9], v[6:7], v[2:3]
	v_mul_f64 v[2:3], v[2:3], 0.5
	v_fma_f64 v[12:13], -v[2:3], v[8:9], 0.5
	v_fmac_f64_e32 v[8:9], v[8:9], v[12:13]
	v_fmac_f64_e32 v[2:3], v[2:3], v[12:13]
	v_fma_f64 v[12:13], -v[8:9], v[8:9], v[6:7]
	v_fmac_f64_e32 v[8:9], v[12:13], v[2:3]
	v_cndmask_b32_e32 v3, v9, v7, vcc
	v_cndmask_b32_e32 v2, v8, v6, vcc
	v_ldexp_f64 v[2:3], v[2:3], v14
	v_cmp_u_f64_e32 vcc, v[10:11], v[0:1]
	s_or_b64 s[18:19], s[10:11], s[0:1]
	v_cmp_ngt_f64_e64 s[2:3], 0.5, v[2:3]
	v_add_f64 v[2:3], v[10:11], 1.0
	s_or_b64 s[18:19], s[18:19], vcc
	v_max_f64 v[6:7], |v[2:3]|, v[4:5]
	v_cmp_o_f64_e64 s[0:1], v[2:3], v[0:1]
	v_cmp_class_f64_e64 s[12:13], v[2:3], s12
	s_or_b64 s[2:3], s[18:19], s[2:3]
	s_and_saveexec_b64 s[18:19], s[2:3]
	s_xor_b64 s[18:19], exec, s[18:19]
	s_cbranch_execz .LBB184_41
; %bb.40:
	v_frexp_exp_i32_f64_e32 v16, v[6:7]
	v_sub_u32_e32 v10, 0, v16
	v_ldexp_f64 v[8:9], |v[2:3]|, v10
	v_ldexp_f64 v[10:11], |v[0:1]|, v10
	v_mul_f64 v[10:11], v[10:11], v[10:11]
	v_fmac_f64_e32 v[10:11], v[8:9], v[8:9]
	v_rsq_f64_e32 v[8:9], v[10:11]
	v_cmp_eq_f64_e32 vcc, 0, v[10:11]
	s_mov_b32 s17, 0x3fe55555
	v_mov_b32_e32 v17, 0x3ff00000
	v_mul_f64 v[12:13], v[10:11], v[8:9]
	v_mul_f64 v[8:9], v[8:9], 0.5
	v_fma_f64 v[14:15], -v[8:9], v[12:13], 0.5
	v_fmac_f64_e32 v[12:13], v[12:13], v[14:15]
	v_fmac_f64_e32 v[8:9], v[8:9], v[14:15]
	v_fma_f64 v[14:15], -v[12:13], v[12:13], v[10:11]
	v_fmac_f64_e32 v[12:13], v[14:15], v[8:9]
	v_cndmask_b32_e32 v9, v13, v11, vcc
	v_cndmask_b32_e32 v8, v12, v10, vcc
	v_ldexp_f64 v[10:11], v[8:9], v16
	v_cndmask_b32_e64 v12, 0, v10, s[0:1]
	v_cndmask_b32_e64 v14, v24, v11, s[0:1]
	v_mov_b32_e32 v13, 0x7ff00000
	s_or_b64 vcc, s[10:11], s[12:13]
	v_cndmask_b32_e32 v9, v14, v13, vcc
	v_cndmask_b32_e64 v8, v12, 0, vcc
	v_frexp_mant_f64_e32 v[18:19], v[8:9]
	v_cmp_gt_f64_e64 s[2:3], s[16:17], v[18:19]
	v_mov_b32_e32 v16, 0
	v_frexp_exp_i32_f64_e32 v15, v[8:9]
	v_cndmask_b32_e64 v17, v17, 2.0, s[2:3]
	v_mul_f64 v[16:17], v[18:19], v[16:17]
	v_add_f64 v[18:19], v[16:17], 1.0
	v_rcp_f64_e32 v[20:21], v[18:19]
	v_add_f64 v[26:27], v[18:19], -1.0
	v_add_f64 v[22:23], v[16:17], -1.0
	v_add_f64 v[16:17], v[16:17], -v[26:27]
	v_fma_f64 v[26:27], -v[18:19], v[20:21], 1.0
	v_fmac_f64_e32 v[20:21], v[26:27], v[20:21]
	v_fma_f64 v[26:27], -v[18:19], v[20:21], 1.0
	v_fmac_f64_e32 v[20:21], v[26:27], v[20:21]
	v_mul_f64 v[26:27], v[22:23], v[20:21]
	v_mul_f64 v[28:29], v[18:19], v[26:27]
	v_fma_f64 v[18:19], v[26:27], v[18:19], -v[28:29]
	v_fmac_f64_e32 v[18:19], v[26:27], v[16:17]
	v_add_f64 v[16:17], v[28:29], v[18:19]
	v_add_f64 v[30:31], v[22:23], -v[16:17]
	v_add_f64 v[28:29], v[16:17], -v[28:29]
	;; [unrolled: 1-line block ×5, first 2 shown]
	v_add_f64 v[16:17], v[18:19], v[16:17]
	v_add_f64 v[16:17], v[30:31], v[16:17]
	v_mul_f64 v[16:17], v[20:21], v[16:17]
	v_subbrev_co_u32_e64 v15, s[2:3], 0, v15, s[2:3]
	v_add_f64 v[18:19], v[26:27], v[16:17]
	v_add_f64 v[20:21], v[18:19], -v[26:27]
	s_mov_b32 s2, 0xbf559e2b
	v_add_f64 v[16:17], v[16:17], -v[20:21]
	v_mul_f64 v[20:21], v[18:19], v[18:19]
	v_mov_b32_e32 v22, 0x6b47b09a
	v_mov_b32_e32 v23, 0x3fc38538
	s_mov_b32 s3, 0x3fc3ab76
	v_fmac_f64_e32 v[22:23], s[2:3], v[20:21]
	v_mov_b32_e32 v26, 0xd7f4df2e
	v_mov_b32_e32 v27, 0x3fc7474d
	v_fmac_f64_e32 v[26:27], v[20:21], v[22:23]
	v_mov_b32_e32 v22, 0x16291751
	v_mov_b32_e32 v23, 0x3fcc71c0
	;; [unrolled: 3-line block ×5, first 2 shown]
	v_fmac_f64_e32 v[26:27], v[20:21], v[22:23]
	v_ldexp_f64 v[22:23], v[18:19], 1
	v_mul_f64 v[18:19], v[18:19], v[20:21]
	v_mul_f64 v[18:19], v[18:19], v[26:27]
	v_add_f64 v[20:21], v[22:23], v[18:19]
	v_add_f64 v[22:23], v[20:21], -v[22:23]
	v_ldexp_f64 v[16:17], v[16:17], 1
	v_add_f64 v[18:19], v[18:19], -v[22:23]
	v_add_f64 v[16:17], v[16:17], v[18:19]
	v_add_f64 v[18:19], v[20:21], v[16:17]
	v_add_f64 v[20:21], v[18:19], -v[20:21]
	s_mov_b32 s2, 0xfefa39ef
	v_add_f64 v[16:17], v[16:17], -v[20:21]
	v_cvt_f64_i32_e32 v[20:21], v15
	s_mov_b32 s3, 0x3fe62e42
	v_mul_f64 v[22:23], v[20:21], s[2:3]
	v_fma_f64 v[26:27], v[20:21], s[2:3], -v[22:23]
	s_mov_b32 s2, 0x3b39803f
	s_mov_b32 s3, 0x3c7abc9e
	v_fmac_f64_e32 v[26:27], s[2:3], v[20:21]
	v_add_f64 v[20:21], v[22:23], v[26:27]
	v_add_f64 v[22:23], v[20:21], -v[22:23]
	v_add_f64 v[22:23], v[26:27], -v[22:23]
	v_add_f64 v[26:27], v[20:21], v[18:19]
	v_add_f64 v[28:29], v[26:27], -v[20:21]
	v_add_f64 v[30:31], v[26:27], -v[28:29]
	;; [unrolled: 1-line block ×4, first 2 shown]
	v_add_f64 v[18:19], v[18:19], v[20:21]
	v_add_f64 v[20:21], v[22:23], v[16:17]
	v_add_f64 v[28:29], v[20:21], -v[22:23]
	v_add_f64 v[30:31], v[20:21], -v[28:29]
	v_add_f64 v[18:19], v[20:21], v[18:19]
	v_add_f64 v[22:23], v[22:23], -v[30:31]
	v_add_f64 v[16:17], v[16:17], -v[28:29]
	v_add_f64 v[20:21], v[26:27], v[18:19]
	v_add_f64 v[16:17], v[16:17], v[22:23]
	v_add_f64 v[22:23], v[20:21], -v[26:27]
	v_add_f64 v[18:19], v[18:19], -v[22:23]
	v_and_b32_e32 v11, 0x7fffffff, v11
	v_add_f64 v[16:17], v[16:17], v[18:19]
	v_cmp_eq_f64_e64 s[2:3], s[14:15], v[10:11]
	v_add_f64 v[16:17], v[20:21], v[16:17]
	s_and_b64 s[2:3], s[0:1], s[2:3]
	v_cndmask_b32_e64 v10, v17, v14, s[2:3]
	v_cndmask_b32_e64 v11, v16, v12, s[2:3]
	v_cndmask_b32_e64 v11, v11, 0, vcc
	v_cndmask_b32_e32 v10, v10, v13, vcc
	v_cmp_ngt_f64_e32 vcc, 0, v[8:9]
	s_nop 1
	v_cndmask_b32_e32 v12, v24, v10, vcc
	v_cmp_nge_f64_e32 vcc, 0, v[8:9]
	s_nop 1
	v_cndmask_b32_e32 v10, 0, v11, vcc
	v_mov_b32_e32 v11, 0xfff00000
	v_cmp_neq_f64_e32 vcc, 0, v[8:9]
	s_nop 1
	v_cndmask_b32_e32 v11, v11, v12, vcc
.LBB184_41:
	s_andn2_saveexec_b64 s[2:3], s[18:19]
	s_cbranch_execz .LBB184_45
; %bb.42:
	v_add_f64 v[8:9], v[10:11], 2.0
	v_mul_f64 v[8:9], v[10:11], v[8:9]
	v_fmac_f64_e32 v[8:9], v[0:1], v[0:1]
	v_cmp_neq_f64_e32 vcc, 0, v[8:9]
	s_and_saveexec_b64 s[14:15], vcc
	s_cbranch_execz .LBB184_44
; %bb.43:
	v_add_f64 v[10:11], v[8:9], 1.0
	v_add_f64 v[12:13], v[10:11], -1.0
	v_add_f64 v[14:15], v[12:13], -v[10:11]
	v_add_f64 v[14:15], v[14:15], 1.0
	v_add_f64 v[12:13], v[8:9], -v[12:13]
	s_mov_b32 s16, 0x55555555
	v_add_f64 v[12:13], v[12:13], v[14:15]
	v_frexp_mant_f64_e32 v[14:15], v[10:11]
	s_mov_b32 s17, 0x3fe55555
	v_frexp_exp_i32_f64_e32 v16, v[10:11]
	v_cmp_gt_f64_e32 vcc, s[16:17], v[14:15]
	s_mov_b32 s16, 0xbf559e2b
	s_mov_b32 s17, 0x3fc3ab76
	v_subbrev_co_u32_e32 v30, vcc, 0, v16, vcc
	v_sub_u32_e32 v14, 0, v30
	v_ldexp_f64 v[10:11], v[10:11], v14
	v_ldexp_f64 v[12:13], v[12:13], v14
	v_add_f64 v[14:15], v[10:11], -1.0
	v_add_f64 v[20:21], v[10:11], 1.0
	v_add_f64 v[16:17], v[14:15], 1.0
	v_add_f64 v[22:23], v[20:21], -1.0
	v_add_f64 v[16:17], v[10:11], -v[16:17]
	v_add_f64 v[10:11], v[10:11], -v[22:23]
	v_add_f64 v[10:11], v[12:13], v[10:11]
	v_add_f64 v[16:17], v[12:13], v[16:17]
	;; [unrolled: 1-line block ×3, first 2 shown]
	v_rcp_f64_e32 v[22:23], v[12:13]
	v_add_f64 v[18:19], v[14:15], v[16:17]
	v_add_f64 v[14:15], v[18:19], -v[14:15]
	v_add_f64 v[14:15], v[16:17], -v[14:15]
	;; [unrolled: 1-line block ×4, first 2 shown]
	v_fma_f64 v[16:17], -v[12:13], v[22:23], 1.0
	v_fmac_f64_e32 v[22:23], v[16:17], v[22:23]
	v_fma_f64 v[16:17], -v[12:13], v[22:23], 1.0
	v_fmac_f64_e32 v[22:23], v[16:17], v[22:23]
	v_mul_f64 v[16:17], v[18:19], v[22:23]
	v_mul_f64 v[20:21], v[12:13], v[16:17]
	v_fma_f64 v[24:25], v[16:17], v[12:13], -v[20:21]
	v_fmac_f64_e32 v[24:25], v[16:17], v[10:11]
	v_add_f64 v[26:27], v[20:21], v[24:25]
	v_add_f64 v[28:29], v[18:19], -v[26:27]
	v_add_f64 v[18:19], v[18:19], -v[28:29]
	;; [unrolled: 1-line block ×4, first 2 shown]
	v_add_f64 v[14:15], v[14:15], v[18:19]
	v_add_f64 v[18:19], v[20:21], -v[24:25]
	v_add_f64 v[14:15], v[18:19], v[14:15]
	v_add_f64 v[18:19], v[28:29], v[14:15]
	v_add_f64 v[20:21], v[28:29], -v[18:19]
	v_add_f64 v[14:15], v[14:15], v[20:21]
	v_mul_f64 v[20:21], v[22:23], v[18:19]
	v_mul_f64 v[24:25], v[12:13], v[20:21]
	v_fma_f64 v[12:13], v[20:21], v[12:13], -v[24:25]
	v_fmac_f64_e32 v[12:13], v[20:21], v[10:11]
	v_add_f64 v[10:11], v[24:25], v[12:13]
	v_add_f64 v[26:27], v[18:19], -v[10:11]
	v_add_f64 v[18:19], v[18:19], -v[26:27]
	;; [unrolled: 1-line block ×4, first 2 shown]
	v_add_f64 v[10:11], v[14:15], v[10:11]
	v_add_f64 v[12:13], v[24:25], -v[12:13]
	v_add_f64 v[10:11], v[12:13], v[10:11]
	v_add_f64 v[12:13], v[16:17], v[20:21]
	v_add_f64 v[10:11], v[26:27], v[10:11]
	v_add_f64 v[14:15], v[12:13], -v[16:17]
	v_mul_f64 v[10:11], v[22:23], v[10:11]
	v_add_f64 v[14:15], v[20:21], -v[14:15]
	v_add_f64 v[14:15], v[14:15], v[10:11]
	v_add_f64 v[10:11], v[12:13], v[14:15]
	v_add_f64 v[12:13], v[10:11], -v[12:13]
	v_add_f64 v[12:13], v[14:15], -v[12:13]
	v_mul_f64 v[14:15], v[10:11], v[10:11]
	v_mov_b32_e32 v16, 0x6b47b09a
	v_mov_b32_e32 v17, 0x3fc38538
	v_fmac_f64_e32 v[16:17], s[16:17], v[14:15]
	v_mov_b32_e32 v18, 0xd7f4df2e
	v_mov_b32_e32 v19, 0x3fc7474d
	v_fmac_f64_e32 v[18:19], v[14:15], v[16:17]
	;; [unrolled: 3-line block ×5, first 2 shown]
	v_mov_b32_e32 v18, 0x55555780
	v_mov_b32_e32 v19, 0x3fe55555
	s_mov_b32 s16, 0xfefa39ef
	v_fmac_f64_e32 v[18:19], v[14:15], v[16:17]
	v_cvt_f64_i32_e32 v[16:17], v30
	s_mov_b32 s17, 0x3fe62e42
	v_mul_f64 v[20:21], v[16:17], s[16:17]
	v_fma_f64 v[22:23], v[16:17], s[16:17], -v[20:21]
	s_mov_b32 s16, 0x3b39803f
	s_mov_b32 s17, 0x3c7abc9e
	v_fmac_f64_e32 v[22:23], s[16:17], v[16:17]
	v_add_f64 v[16:17], v[20:21], v[22:23]
	v_add_f64 v[20:21], v[16:17], -v[20:21]
	v_add_f64 v[20:21], v[22:23], -v[20:21]
	v_ldexp_f64 v[22:23], v[10:11], 1
	v_mul_f64 v[10:11], v[10:11], v[14:15]
	v_mul_f64 v[10:11], v[10:11], v[18:19]
	v_add_f64 v[14:15], v[22:23], v[10:11]
	v_add_f64 v[18:19], v[14:15], -v[22:23]
	v_ldexp_f64 v[12:13], v[12:13], 1
	v_add_f64 v[10:11], v[10:11], -v[18:19]
	v_add_f64 v[10:11], v[12:13], v[10:11]
	v_add_f64 v[12:13], v[14:15], v[10:11]
	v_add_f64 v[14:15], v[12:13], -v[14:15]
	v_add_f64 v[10:11], v[10:11], -v[14:15]
	v_add_f64 v[14:15], v[16:17], v[12:13]
	v_add_f64 v[18:19], v[14:15], -v[16:17]
	v_add_f64 v[22:23], v[14:15], -v[18:19]
	;; [unrolled: 1-line block ×4, first 2 shown]
	v_add_f64 v[12:13], v[12:13], v[16:17]
	v_add_f64 v[16:17], v[20:21], v[10:11]
	v_add_f64 v[18:19], v[16:17], -v[20:21]
	v_add_f64 v[12:13], v[16:17], v[12:13]
	v_add_f64 v[22:23], v[16:17], -v[18:19]
	;; [unrolled: 2-line block ×3, first 2 shown]
	v_add_f64 v[10:11], v[10:11], -v[18:19]
	v_add_f64 v[14:15], v[16:17], -v[14:15]
	v_add_f64 v[10:11], v[10:11], v[20:21]
	v_add_f64 v[12:13], v[12:13], -v[14:15]
	s_mov_b32 s16, 0
	v_add_f64 v[10:11], v[10:11], v[12:13]
	s_mov_b32 s17, 0x7ff00000
	v_add_f64 v[10:11], v[16:17], v[10:11]
	v_cmp_eq_f64_e32 vcc, s[16:17], v[8:9]
	v_mov_b32_e32 v12, 0x7ff80000
	s_nop 0
	v_cndmask_b32_e32 v11, v11, v9, vcc
	v_cndmask_b32_e32 v10, v10, v8, vcc
	v_mul_f64 v[10:11], v[10:11], 0.5
	v_cmp_ngt_f64_e32 vcc, -1.0, v[8:9]
	s_nop 1
	v_cndmask_b32_e32 v11, v12, v11, vcc
	v_cmp_nge_f64_e32 vcc, -1.0, v[8:9]
	v_mov_b32_e32 v12, 0xfff00000
	s_nop 0
	v_cndmask_b32_e32 v10, 0, v10, vcc
	v_cmp_neq_f64_e32 vcc, -1.0, v[8:9]
	s_nop 1
	v_cndmask_b32_e32 v11, v12, v11, vcc
.LBB184_44:
	s_or_b64 exec, exec, s[14:15]
.LBB184_45:
	s_or_b64 exec, exec, s[2:3]
	v_mov_b32_e32 v8, 0x54442d18
	v_mov_b32_e32 v9, 0x7f3321d2
	v_cmp_gt_i32_e64 s[2:3], 0, v3
	v_mov_b32_e32 v12, 0x4002d97c
	v_ashrrev_i32_e32 v18, 31, v3
	v_cndmask_b32_e64 v8, v8, v9, s[2:3]
	v_mov_b32_e32 v9, 0x3fe921fb
	v_cndmask_b32_e64 v9, v9, v12, s[2:3]
	v_max_f64 v[12:13], |v[2:3]|, |v[2:3]|
	v_min_f64 v[4:5], v[12:13], v[4:5]
	v_div_scale_f64 v[14:15], s[16:17], v[6:7], v[6:7], v[4:5]
	v_rcp_f64_e32 v[16:17], v[14:15]
	v_and_b32_e32 v12, 0x400921fb, v18
	v_and_b32_e32 v13, 0x54442d18, v18
	s_mov_b32 s16, 0xb5e68a13
	v_fma_f64 v[18:19], -v[14:15], v[16:17], 1.0
	v_fmac_f64_e32 v[16:17], v[16:17], v[18:19]
	v_fma_f64 v[18:19], -v[14:15], v[16:17], 1.0
	v_fmac_f64_e32 v[16:17], v[16:17], v[18:19]
	v_div_scale_f64 v[18:19], vcc, v[4:5], v[6:7], v[4:5]
	v_mul_f64 v[20:21], v[18:19], v[16:17]
	v_fma_f64 v[14:15], -v[14:15], v[20:21], v[18:19]
	s_mov_b32 s17, 0x3eeba404
	s_nop 0
	v_div_fmas_f64 v[14:15], v[14:15], v[16:17], v[20:21]
	v_div_fixup_f64 v[4:5], v[14:15], v[6:7], v[4:5]
	v_mul_f64 v[6:7], v[4:5], v[4:5]
	v_mov_b32_e32 v14, 0xbd3237f4
	v_mov_b32_e32 v15, 0xbf23e260
	v_fmac_f64_e32 v[14:15], s[16:17], v[6:7]
	v_mov_b32_e32 v16, 0x69efb384
	v_mov_b32_e32 v17, 0x3f4b2bb0
	v_fmac_f64_e32 v[16:17], v[6:7], v[14:15]
	;; [unrolled: 3-line block ×19, first 2 shown]
	v_mul_f64 v[6:7], v[6:7], v[14:15]
	s_mov_b32 s14, 0x54442d18
	v_fmac_f64_e32 v[4:5], v[4:5], v[6:7]
	s_mov_b32 s15, 0x3ff921fb
	s_mov_b32 s19, 0x400921fb
	v_add_f64 v[6:7], -v[4:5], s[14:15]
	v_cmp_lt_f64_e64 vcc, |v[2:3]|, |v[0:1]|
	s_mov_b32 s15, s19
	s_brev_b32 s18, -2
	v_cndmask_b32_e32 v3, v5, v7, vcc
	v_cndmask_b32_e32 v2, v4, v6, vcc
	v_add_f64 v[4:5], -v[2:3], s[14:15]
	v_cndmask_b32_e64 v3, v3, v5, s[2:3]
	v_cndmask_b32_e64 v2, v2, v4, s[2:3]
	v_cmp_eq_f64_e32 vcc, 0, v[0:1]
	v_bfi_b32 v9, s18, v9, v1
	s_nop 0
	v_cndmask_b32_e32 v0, v2, v13, vcc
	v_cndmask_b32_e32 v2, v3, v12, vcc
	s_and_b64 vcc, s[10:11], s[12:13]
	v_cndmask_b32_e32 v0, v0, v8, vcc
	v_cndmask_b32_e32 v2, v2, v9, vcc
	v_cndmask_b32_e64 v8, 0, v0, s[0:1]
	v_mov_b32_e32 v0, 0x7ff80000
	v_cndmask_b32_e64 v0, v0, v2, s[0:1]
	v_bfi_b32 v9, s18, v0, v1
.LBB184_46:
	s_or_b64 exec, exec, s[8:9]
.LBB184_47:
	s_or_b64 exec, exec, s[6:7]
	v_mov_b64_e32 v[0:1], v[10:11]
	v_mov_b64_e32 v[2:3], v[8:9]
.LBB184_48:
	s_or_b64 exec, exec, s[4:5]
	v_readlane_b32 s30, v40, 0
	v_readlane_b32 s31, v40, 1
	s_or_saveexec_b64 s[0:1], -1
	scratch_load_dword v40, off, s32        ; 4-byte Folded Reload
	s_mov_b64 exec, s[0:1]
	s_waitcnt vmcnt(0)
	s_setpc_b64 s[30:31]
.Lfunc_end184:
	.size	_ZZZZN2at6native31launch_logcumsumexp_cuda_kernelERKNS_10TensorBaseES3_lENKUlvE_clEvENKUlvE1_clEvENKUlN3c107complexIdEES8_E_clES8_S8_, .Lfunc_end184-_ZZZZN2at6native31launch_logcumsumexp_cuda_kernelERKNS_10TensorBaseES3_lENKUlvE_clEvENKUlvE1_clEvENKUlN3c107complexIdEES8_E_clES8_S8_
                                        ; -- End function
	.section	.AMDGPU.csdata,"",@progbits
; Function info:
; codeLenInByte = 13712
; NumSgprs: 39
; NumVgprs: 52
; NumAgprs: 0
; TotalNumVgprs: 52
; ScratchSize: 8
; MemoryBound: 0
	.section	.text._ZN7rocprim17ROCPRIM_400000_NS6detail17trampoline_kernelINS0_14default_configENS1_20scan_config_selectorIN3c107complexIdEEEEZZNS1_9scan_implILNS1_25lookback_scan_determinismE0ELb0ELb0ES3_PKS7_PS7_S7_ZZZN2at6native31launch_logcumsumexp_cuda_kernelERKNSE_10TensorBaseESI_lENKUlvE_clEvENKUlvE1_clEvEUlS7_S7_E_S7_EEDaPvRmT3_T4_T5_mT6_P12ihipStream_tbENKUlT_T0_E_clISt17integral_constantIbLb0EESZ_EEDaSU_SV_EUlSU_E_NS1_11comp_targetILNS1_3genE5ELNS1_11target_archE942ELNS1_3gpuE9ELNS1_3repE0EEENS1_30default_config_static_selectorELNS0_4arch9wavefront6targetE1EEEvT1_,"axG",@progbits,_ZN7rocprim17ROCPRIM_400000_NS6detail17trampoline_kernelINS0_14default_configENS1_20scan_config_selectorIN3c107complexIdEEEEZZNS1_9scan_implILNS1_25lookback_scan_determinismE0ELb0ELb0ES3_PKS7_PS7_S7_ZZZN2at6native31launch_logcumsumexp_cuda_kernelERKNSE_10TensorBaseESI_lENKUlvE_clEvENKUlvE1_clEvEUlS7_S7_E_S7_EEDaPvRmT3_T4_T5_mT6_P12ihipStream_tbENKUlT_T0_E_clISt17integral_constantIbLb0EESZ_EEDaSU_SV_EUlSU_E_NS1_11comp_targetILNS1_3genE5ELNS1_11target_archE942ELNS1_3gpuE9ELNS1_3repE0EEENS1_30default_config_static_selectorELNS0_4arch9wavefront6targetE1EEEvT1_,comdat
	.globl	_ZN7rocprim17ROCPRIM_400000_NS6detail17trampoline_kernelINS0_14default_configENS1_20scan_config_selectorIN3c107complexIdEEEEZZNS1_9scan_implILNS1_25lookback_scan_determinismE0ELb0ELb0ES3_PKS7_PS7_S7_ZZZN2at6native31launch_logcumsumexp_cuda_kernelERKNSE_10TensorBaseESI_lENKUlvE_clEvENKUlvE1_clEvEUlS7_S7_E_S7_EEDaPvRmT3_T4_T5_mT6_P12ihipStream_tbENKUlT_T0_E_clISt17integral_constantIbLb0EESZ_EEDaSU_SV_EUlSU_E_NS1_11comp_targetILNS1_3genE5ELNS1_11target_archE942ELNS1_3gpuE9ELNS1_3repE0EEENS1_30default_config_static_selectorELNS0_4arch9wavefront6targetE1EEEvT1_ ; -- Begin function _ZN7rocprim17ROCPRIM_400000_NS6detail17trampoline_kernelINS0_14default_configENS1_20scan_config_selectorIN3c107complexIdEEEEZZNS1_9scan_implILNS1_25lookback_scan_determinismE0ELb0ELb0ES3_PKS7_PS7_S7_ZZZN2at6native31launch_logcumsumexp_cuda_kernelERKNSE_10TensorBaseESI_lENKUlvE_clEvENKUlvE1_clEvEUlS7_S7_E_S7_EEDaPvRmT3_T4_T5_mT6_P12ihipStream_tbENKUlT_T0_E_clISt17integral_constantIbLb0EESZ_EEDaSU_SV_EUlSU_E_NS1_11comp_targetILNS1_3genE5ELNS1_11target_archE942ELNS1_3gpuE9ELNS1_3repE0EEENS1_30default_config_static_selectorELNS0_4arch9wavefront6targetE1EEEvT1_
	.p2align	8
	.type	_ZN7rocprim17ROCPRIM_400000_NS6detail17trampoline_kernelINS0_14default_configENS1_20scan_config_selectorIN3c107complexIdEEEEZZNS1_9scan_implILNS1_25lookback_scan_determinismE0ELb0ELb0ES3_PKS7_PS7_S7_ZZZN2at6native31launch_logcumsumexp_cuda_kernelERKNSE_10TensorBaseESI_lENKUlvE_clEvENKUlvE1_clEvEUlS7_S7_E_S7_EEDaPvRmT3_T4_T5_mT6_P12ihipStream_tbENKUlT_T0_E_clISt17integral_constantIbLb0EESZ_EEDaSU_SV_EUlSU_E_NS1_11comp_targetILNS1_3genE5ELNS1_11target_archE942ELNS1_3gpuE9ELNS1_3repE0EEENS1_30default_config_static_selectorELNS0_4arch9wavefront6targetE1EEEvT1_,@function
_ZN7rocprim17ROCPRIM_400000_NS6detail17trampoline_kernelINS0_14default_configENS1_20scan_config_selectorIN3c107complexIdEEEEZZNS1_9scan_implILNS1_25lookback_scan_determinismE0ELb0ELb0ES3_PKS7_PS7_S7_ZZZN2at6native31launch_logcumsumexp_cuda_kernelERKNSE_10TensorBaseESI_lENKUlvE_clEvENKUlvE1_clEvEUlS7_S7_E_S7_EEDaPvRmT3_T4_T5_mT6_P12ihipStream_tbENKUlT_T0_E_clISt17integral_constantIbLb0EESZ_EEDaSU_SV_EUlSU_E_NS1_11comp_targetILNS1_3genE5ELNS1_11target_archE942ELNS1_3gpuE9ELNS1_3repE0EEENS1_30default_config_static_selectorELNS0_4arch9wavefront6targetE1EEEvT1_: ; @_ZN7rocprim17ROCPRIM_400000_NS6detail17trampoline_kernelINS0_14default_configENS1_20scan_config_selectorIN3c107complexIdEEEEZZNS1_9scan_implILNS1_25lookback_scan_determinismE0ELb0ELb0ES3_PKS7_PS7_S7_ZZZN2at6native31launch_logcumsumexp_cuda_kernelERKNSE_10TensorBaseESI_lENKUlvE_clEvENKUlvE1_clEvEUlS7_S7_E_S7_EEDaPvRmT3_T4_T5_mT6_P12ihipStream_tbENKUlT_T0_E_clISt17integral_constantIbLb0EESZ_EEDaSU_SV_EUlSU_E_NS1_11comp_targetILNS1_3genE5ELNS1_11target_archE942ELNS1_3gpuE9ELNS1_3repE0EEENS1_30default_config_static_selectorELNS0_4arch9wavefront6targetE1EEEvT1_
; %bb.0:
	s_mov_b64 s[34:35], s[0:1]
	s_load_dwordx8 s[36:43], s[0:1], 0x0
	s_nop 0
	s_load_dword s0, s[0:1], 0x50
	s_nop 0
	s_load_dwordx4 s[52:55], s[34:35], 0x38
	s_load_dwordx2 s[60:61], s[34:35], 0x48
	s_mov_b32 s33, s2
	s_waitcnt lgkmcnt(0)
	s_lshl_b64 s[56:57], s[38:39], 4
	s_add_u32 s2, s36, s56
	s_addc_u32 s3, s37, s57
	s_add_i32 s4, s0, -1
	s_mul_i32 s5, s4, 0xe00
	s_sub_u32 s62, s42, s5
	s_subb_u32 s63, s43, 0
	s_mov_b32 s1, 0
	s_mul_i32 s0, s33, 0xe00
	s_cmp_lg_u32 s33, s4
	s_cselect_b64 s[42:43], -1, 0
	s_lshl_b64 s[58:59], s[0:1], 4
	v_mov_b32_e32 v46, v0
	s_add_u32 s2, s2, s58
	s_addc_u32 s3, s3, s59
	s_mov_b64 s[0:1], -1
	s_and_b64 vcc, exec, s[42:43]
	v_lshlrev_b32_e32 v164, 4, v46
	s_mov_b32 s32, 0
	s_cbranch_vccz .LBB185_2
; %bb.1:
	v_mov_b32_e32 v165, 0
	v_lshl_add_u64 v[44:45], s[2:3], 0, v[164:165]
	v_add_co_u32_e32 v12, vcc, 0x1000, v44
	global_load_dwordx4 v[0:3], v164, s[2:3]
	s_nop 0
	v_addc_co_u32_e32 v13, vcc, 0, v45, vcc
	v_add_co_u32_e32 v14, vcc, 0x2000, v44
	s_mov_b64 s[0:1], 0
	s_nop 0
	v_addc_co_u32_e32 v15, vcc, 0, v45, vcc
	v_add_co_u32_e32 v20, vcc, 0x3000, v44
	global_load_dwordx4 v[4:7], v[12:13], off
	global_load_dwordx4 v[8:11], v[14:15], off
	v_addc_co_u32_e32 v21, vcc, 0, v45, vcc
	v_add_co_u32_e32 v22, vcc, 0x4000, v44
	s_nop 1
	v_addc_co_u32_e32 v23, vcc, 0, v45, vcc
	v_add_co_u32_e32 v28, vcc, 0x5000, v44
	global_load_dwordx4 v[12:15], v[20:21], off
	global_load_dwordx4 v[16:19], v[22:23], off
	v_addc_co_u32_e32 v29, vcc, 0, v45, vcc
	v_add_co_u32_e32 v30, vcc, 0x6000, v44
	;; [unrolled: 7-line block ×5, first 2 shown]
	s_nop 1
	v_addc_co_u32_e32 v59, vcc, 0, v45, vcc
	global_load_dwordx4 v[48:51], v[56:57], off
	global_load_dwordx4 v[52:55], v[58:59], off
	v_add_co_u32_e32 v44, vcc, 0xd000, v44
	s_nop 1
	v_addc_co_u32_e32 v45, vcc, 0, v45, vcc
	global_load_dwordx4 v[56:59], v[44:45], off
	s_waitcnt vmcnt(13)
	ds_write_b128 v164, v[0:3]
	s_waitcnt vmcnt(12)
	ds_write_b128 v164, v[4:7] offset:4096
	s_waitcnt vmcnt(11)
	ds_write_b128 v164, v[8:11] offset:8192
	;; [unrolled: 2-line block ×13, first 2 shown]
	s_waitcnt lgkmcnt(0)
	s_barrier
.LBB185_2:
	s_andn2_b64 vcc, exec, s[0:1]
	v_cmp_gt_u32_e64 s[0:1], s62, v46
	s_cbranch_vccnz .LBB185_32
; %bb.3:
	s_load_dwordx4 s[4:7], s[2:3], 0x0
	s_waitcnt lgkmcnt(0)
	v_mov_b64_e32 v[2:3], s[6:7]
	v_mov_b64_e32 v[0:1], s[4:5]
	s_and_saveexec_b64 s[8:9], s[0:1]
	s_cbranch_execz .LBB185_5
; %bb.4:
	global_load_dwordx4 v[0:3], v164, s[2:3]
.LBB185_5:
	s_or_b64 exec, exec, s[8:9]
	v_or_b32_e32 v8, 0x100, v46
	v_cmp_gt_u32_e32 vcc, s62, v8
	v_mov_b64_e32 v[6:7], s[6:7]
	v_mov_b64_e32 v[4:5], s[4:5]
	s_and_saveexec_b64 s[0:1], vcc
	s_cbranch_execz .LBB185_7
; %bb.6:
	v_lshlrev_b32_e32 v4, 4, v8
	global_load_dwordx4 v[4:7], v4, s[2:3]
.LBB185_7:
	s_or_b64 exec, exec, s[0:1]
	v_or_b32_e32 v12, 0x200, v46
	v_cmp_gt_u32_e32 vcc, s62, v12
	v_mov_b64_e32 v[10:11], s[6:7]
	v_mov_b64_e32 v[8:9], s[4:5]
	s_and_saveexec_b64 s[0:1], vcc
	s_cbranch_execz .LBB185_9
; %bb.8:
	v_lshlrev_b32_e32 v8, 4, v12
	global_load_dwordx4 v[8:11], v8, s[2:3]
.LBB185_9:
	;; [unrolled: 11-line block ×13, first 2 shown]
	s_or_b64 exec, exec, s[0:1]
	s_waitcnt vmcnt(0)
	ds_write_b128 v164, v[0:3]
	ds_write_b128 v164, v[4:7] offset:4096
	ds_write_b128 v164, v[8:11] offset:8192
	;; [unrolled: 1-line block ×13, first 2 shown]
	s_waitcnt lgkmcnt(0)
	s_barrier
.LBB185_32:
	v_mul_u32_u24_e32 v166, 14, v46
	v_lshlrev_b32_e32 v41, 4, v166
	ds_read_b128 v[42:45], v41
	ds_read_b128 v[100:103], v41 offset:16
	ds_read_b128 v[96:99], v41 offset:32
	;; [unrolled: 1-line block ×13, first 2 shown]
	s_cmp_lg_u32 s33, 0
	s_waitcnt lgkmcnt(0)
	s_barrier
	s_cbranch_scc0 .LBB185_101
; %bb.33:
	v_mov_b32_e32 v0, v42
	v_mov_b32_e32 v1, v43
	;; [unrolled: 1-line block ×8, first 2 shown]
	s_getpc_b64 s[36:37]
	s_add_u32 s36, s36, _ZZZZN2at6native31launch_logcumsumexp_cuda_kernelERKNS_10TensorBaseES3_lENKUlvE_clEvENKUlvE1_clEvENKUlN3c107complexIdEES8_E_clES8_S8_@rel32@lo+4
	s_addc_u32 s37, s37, _ZZZZN2at6native31launch_logcumsumexp_cuda_kernelERKNS_10TensorBaseES3_lENKUlvE_clEvENKUlvE1_clEvENKUlN3c107complexIdEES8_E_clES8_S8_@rel32@hi+12
	s_swappc_b64 s[30:31], s[36:37]
	v_mov_b32_e32 v4, v96
	v_mov_b32_e32 v5, v97
	v_mov_b32_e32 v6, v98
	v_mov_b32_e32 v7, v99
	s_swappc_b64 s[30:31], s[36:37]
	v_mov_b32_e32 v4, v92
	v_mov_b32_e32 v5, v93
	v_mov_b32_e32 v6, v94
	v_mov_b32_e32 v7, v95
	;; [unrolled: 5-line block ×12, first 2 shown]
	s_swappc_b64 s[30:31], s[36:37]
	v_mov_b32_e32 v108, v0
	v_mbcnt_lo_u32_b32 v0, -1, 0
	v_mbcnt_hi_u32_b32 v112, -1, v0
	v_mov_b32_e32 v109, v1
	v_mov_b32_e32 v110, v2
	;; [unrolled: 1-line block ×3, first 2 shown]
	v_and_b32_e32 v47, 15, v112
	v_mov_b32_dpp v0, v108 row_shr:1 row_mask:0xf bank_mask:0xf
	v_mov_b32_dpp v1, v109 row_shr:1 row_mask:0xf bank_mask:0xf
	;; [unrolled: 1-line block ×4, first 2 shown]
	v_cmp_ne_u32_e32 vcc, 0, v47
	s_and_saveexec_b64 s[38:39], vcc
	s_cbranch_execz .LBB185_35
; %bb.34:
	v_mov_b32_e32 v4, v108
	v_mov_b32_e32 v5, v109
	;; [unrolled: 1-line block ×4, first 2 shown]
	s_swappc_b64 s[30:31], s[36:37]
	v_mov_b32_e32 v108, v0
	v_mov_b32_e32 v109, v1
	;; [unrolled: 1-line block ×4, first 2 shown]
.LBB185_35:
	s_or_b64 exec, exec, s[38:39]
	v_mov_b32_dpp v0, v108 row_shr:2 row_mask:0xf bank_mask:0xf
	v_mov_b32_dpp v1, v109 row_shr:2 row_mask:0xf bank_mask:0xf
	v_mov_b32_dpp v2, v110 row_shr:2 row_mask:0xf bank_mask:0xf
	v_mov_b32_dpp v3, v111 row_shr:2 row_mask:0xf bank_mask:0xf
	v_cmp_lt_u32_e32 vcc, 1, v47
	s_and_saveexec_b64 s[36:37], vcc
	s_cbranch_execz .LBB185_37
; %bb.36:
	v_mov_b32_e32 v4, v108
	v_mov_b32_e32 v5, v109
	v_mov_b32_e32 v6, v110
	v_mov_b32_e32 v7, v111
	s_getpc_b64 s[0:1]
	s_add_u32 s0, s0, _ZZZZN2at6native31launch_logcumsumexp_cuda_kernelERKNS_10TensorBaseES3_lENKUlvE_clEvENKUlvE1_clEvENKUlN3c107complexIdEES8_E_clES8_S8_@rel32@lo+4
	s_addc_u32 s1, s1, _ZZZZN2at6native31launch_logcumsumexp_cuda_kernelERKNS_10TensorBaseES3_lENKUlvE_clEvENKUlvE1_clEvENKUlN3c107complexIdEES8_E_clES8_S8_@rel32@hi+12
	s_swappc_b64 s[30:31], s[0:1]
	v_mov_b32_e32 v108, v0
	v_mov_b32_e32 v109, v1
	v_mov_b32_e32 v110, v2
	v_mov_b32_e32 v111, v3
.LBB185_37:
	s_or_b64 exec, exec, s[36:37]
	v_mov_b32_dpp v0, v108 row_shr:4 row_mask:0xf bank_mask:0xf
	v_mov_b32_dpp v1, v109 row_shr:4 row_mask:0xf bank_mask:0xf
	v_mov_b32_dpp v2, v110 row_shr:4 row_mask:0xf bank_mask:0xf
	v_mov_b32_dpp v3, v111 row_shr:4 row_mask:0xf bank_mask:0xf
	v_cmp_lt_u32_e32 vcc, 3, v47
	s_and_saveexec_b64 s[36:37], vcc
	s_cbranch_execz .LBB185_39
; %bb.38:
	v_mov_b32_e32 v4, v108
	v_mov_b32_e32 v5, v109
	v_mov_b32_e32 v6, v110
	v_mov_b32_e32 v7, v111
	s_getpc_b64 s[0:1]
	s_add_u32 s0, s0, _ZZZZN2at6native31launch_logcumsumexp_cuda_kernelERKNS_10TensorBaseES3_lENKUlvE_clEvENKUlvE1_clEvENKUlN3c107complexIdEES8_E_clES8_S8_@rel32@lo+4
	s_addc_u32 s1, s1, _ZZZZN2at6native31launch_logcumsumexp_cuda_kernelERKNS_10TensorBaseES3_lENKUlvE_clEvENKUlvE1_clEvENKUlN3c107complexIdEES8_E_clES8_S8_@rel32@hi+12
	s_swappc_b64 s[30:31], s[0:1]
	v_mov_b32_e32 v108, v0
	v_mov_b32_e32 v109, v1
	v_mov_b32_e32 v110, v2
	v_mov_b32_e32 v111, v3
.LBB185_39:
	;; [unrolled: 22-line block ×3, first 2 shown]
	s_or_b64 exec, exec, s[36:37]
	v_and_b32_e32 v4, 16, v112
	v_mov_b32_dpp v0, v108 row_bcast:15 row_mask:0xf bank_mask:0xf
	v_mov_b32_dpp v1, v109 row_bcast:15 row_mask:0xf bank_mask:0xf
	;; [unrolled: 1-line block ×4, first 2 shown]
	v_cmp_ne_u32_e32 vcc, 0, v4
	s_and_saveexec_b64 s[36:37], vcc
	s_cbranch_execz .LBB185_43
; %bb.42:
	v_mov_b32_e32 v4, v108
	v_mov_b32_e32 v5, v109
	v_mov_b32_e32 v6, v110
	v_mov_b32_e32 v7, v111
	s_getpc_b64 s[0:1]
	s_add_u32 s0, s0, _ZZZZN2at6native31launch_logcumsumexp_cuda_kernelERKNS_10TensorBaseES3_lENKUlvE_clEvENKUlvE1_clEvENKUlN3c107complexIdEES8_E_clES8_S8_@rel32@lo+4
	s_addc_u32 s1, s1, _ZZZZN2at6native31launch_logcumsumexp_cuda_kernelERKNS_10TensorBaseES3_lENKUlvE_clEvENKUlvE1_clEvENKUlN3c107complexIdEES8_E_clES8_S8_@rel32@hi+12
	s_swappc_b64 s[30:31], s[0:1]
	v_mov_b32_e32 v108, v0
	v_mov_b32_e32 v109, v1
	;; [unrolled: 1-line block ×4, first 2 shown]
.LBB185_43:
	s_or_b64 exec, exec, s[36:37]
	v_mov_b32_dpp v0, v108 row_bcast:31 row_mask:0xf bank_mask:0xf
	v_mov_b32_dpp v1, v109 row_bcast:31 row_mask:0xf bank_mask:0xf
	;; [unrolled: 1-line block ×4, first 2 shown]
	v_cmp_lt_u32_e32 vcc, 31, v112
	s_and_saveexec_b64 s[36:37], vcc
	s_cbranch_execz .LBB185_45
; %bb.44:
	v_mov_b32_e32 v4, v108
	v_mov_b32_e32 v5, v109
	;; [unrolled: 1-line block ×4, first 2 shown]
	s_getpc_b64 s[0:1]
	s_add_u32 s0, s0, _ZZZZN2at6native31launch_logcumsumexp_cuda_kernelERKNS_10TensorBaseES3_lENKUlvE_clEvENKUlvE1_clEvENKUlN3c107complexIdEES8_E_clES8_S8_@rel32@lo+4
	s_addc_u32 s1, s1, _ZZZZN2at6native31launch_logcumsumexp_cuda_kernelERKNS_10TensorBaseES3_lENKUlvE_clEvENKUlvE1_clEvENKUlN3c107complexIdEES8_E_clES8_S8_@rel32@hi+12
	s_swappc_b64 s[30:31], s[0:1]
	v_mov_b32_e32 v108, v0
	v_mov_b32_e32 v109, v1
	v_mov_b32_e32 v110, v2
	v_mov_b32_e32 v111, v3
.LBB185_45:
	s_or_b64 exec, exec, s[36:37]
	v_or_b32_e32 v0, 63, v46
	v_lshrrev_b32_e32 v47, 6, v46
	v_cmp_eq_u32_e32 vcc, v0, v46
	s_and_saveexec_b64 s[0:1], vcc
	s_cbranch_execz .LBB185_47
; %bb.46:
	v_lshlrev_b32_e32 v0, 4, v47
	ds_write_b128 v0, v[108:111]
.LBB185_47:
	s_or_b64 exec, exec, s[0:1]
	v_cmp_gt_u32_e32 vcc, 4, v46
	s_waitcnt lgkmcnt(0)
	s_barrier
	s_and_saveexec_b64 s[36:37], vcc
	s_cbranch_execz .LBB185_53
; %bb.48:
	ds_read_b128 v[4:7], v164
	v_and_b32_e32 v104, 3, v112
	v_cmp_ne_u32_e32 vcc, 0, v104
	s_waitcnt lgkmcnt(0)
	v_mov_b32_dpp v0, v4 row_shr:1 row_mask:0xf bank_mask:0xf
	v_mov_b32_dpp v1, v5 row_shr:1 row_mask:0xf bank_mask:0xf
	v_mov_b32_dpp v2, v6 row_shr:1 row_mask:0xf bank_mask:0xf
	v_mov_b32_dpp v3, v7 row_shr:1 row_mask:0xf bank_mask:0xf
	s_and_saveexec_b64 s[38:39], vcc
	s_cbranch_execz .LBB185_50
; %bb.49:
	s_getpc_b64 s[0:1]
	s_add_u32 s0, s0, _ZZZZN2at6native31launch_logcumsumexp_cuda_kernelERKNS_10TensorBaseES3_lENKUlvE_clEvENKUlvE1_clEvENKUlN3c107complexIdEES8_E_clES8_S8_@rel32@lo+4
	s_addc_u32 s1, s1, _ZZZZN2at6native31launch_logcumsumexp_cuda_kernelERKNS_10TensorBaseES3_lENKUlvE_clEvENKUlvE1_clEvENKUlN3c107complexIdEES8_E_clES8_S8_@rel32@hi+12
	s_swappc_b64 s[30:31], s[0:1]
	v_mov_b32_e32 v4, v0
	v_mov_b32_e32 v5, v1
	;; [unrolled: 1-line block ×4, first 2 shown]
.LBB185_50:
	s_or_b64 exec, exec, s[38:39]
	v_mov_b32_dpp v0, v4 row_shr:2 row_mask:0xf bank_mask:0xf
	v_mov_b32_dpp v1, v5 row_shr:2 row_mask:0xf bank_mask:0xf
	;; [unrolled: 1-line block ×4, first 2 shown]
	v_cmp_lt_u32_e32 vcc, 1, v104
	s_and_saveexec_b64 s[38:39], vcc
	s_cbranch_execz .LBB185_52
; %bb.51:
	s_getpc_b64 s[0:1]
	s_add_u32 s0, s0, _ZZZZN2at6native31launch_logcumsumexp_cuda_kernelERKNS_10TensorBaseES3_lENKUlvE_clEvENKUlvE1_clEvENKUlN3c107complexIdEES8_E_clES8_S8_@rel32@lo+4
	s_addc_u32 s1, s1, _ZZZZN2at6native31launch_logcumsumexp_cuda_kernelERKNS_10TensorBaseES3_lENKUlvE_clEvENKUlvE1_clEvENKUlN3c107complexIdEES8_E_clES8_S8_@rel32@hi+12
	s_swappc_b64 s[30:31], s[0:1]
	v_mov_b32_e32 v4, v0
	v_mov_b32_e32 v5, v1
	;; [unrolled: 1-line block ×4, first 2 shown]
.LBB185_52:
	s_or_b64 exec, exec, s[38:39]
	ds_write_b128 v164, v[4:7]
.LBB185_53:
	s_or_b64 exec, exec, s[36:37]
	v_mov_b64_e32 v[106:107], 0
	v_cmp_gt_u32_e64 s[38:39], 64, v46
	v_cmp_lt_u32_e32 vcc, 63, v46
	v_mov_b64_e32 v[104:105], v[106:107]
	s_waitcnt lgkmcnt(0)
	s_barrier
	s_and_saveexec_b64 s[36:37], vcc
	s_cbranch_execz .LBB185_55
; %bb.54:
	v_lshl_add_u32 v0, v47, 4, -16
	ds_read_b128 v[104:107], v0
	v_mov_b32_e32 v4, v108
	v_mov_b32_e32 v5, v109
	;; [unrolled: 1-line block ×4, first 2 shown]
	s_waitcnt lgkmcnt(0)
	v_mov_b32_e32 v0, v104
	v_mov_b32_e32 v1, v105
	v_mov_b32_e32 v2, v106
	v_mov_b32_e32 v3, v107
	s_getpc_b64 s[0:1]
	s_add_u32 s0, s0, _ZZZZN2at6native31launch_logcumsumexp_cuda_kernelERKNS_10TensorBaseES3_lENKUlvE_clEvENKUlvE1_clEvENKUlN3c107complexIdEES8_E_clES8_S8_@rel32@lo+4
	s_addc_u32 s1, s1, _ZZZZN2at6native31launch_logcumsumexp_cuda_kernelERKNS_10TensorBaseES3_lENKUlvE_clEvENKUlvE1_clEvENKUlN3c107complexIdEES8_E_clES8_S8_@rel32@hi+12
	s_swappc_b64 s[30:31], s[0:1]
	v_mov_b32_e32 v108, v0
	v_mov_b32_e32 v109, v1
	;; [unrolled: 1-line block ×4, first 2 shown]
.LBB185_55:
	s_or_b64 exec, exec, s[36:37]
	v_add_u32_e32 v0, -1, v112
	v_and_b32_e32 v1, 64, v112
	v_cmp_lt_i32_e32 vcc, v0, v1
	v_cmp_eq_u32_e64 s[36:37], 0, v112
	s_nop 0
	v_cndmask_b32_e32 v0, v0, v112, vcc
	v_lshlrev_b32_e32 v0, 2, v0
	ds_bpermute_b32 v47, v0, v108
	ds_bpermute_b32 v120, v0, v109
	ds_bpermute_b32 v121, v0, v110
	ds_bpermute_b32 v122, v0, v111
	s_and_saveexec_b64 s[44:45], s[38:39]
	s_cbranch_execz .LBB185_98
; %bb.56:
	v_mov_b32_e32 v1, 0
	ds_read_b128 v[108:111], v1 offset:48
	s_and_saveexec_b64 s[0:1], s[36:37]
	s_cbranch_execz .LBB185_58
; %bb.57:
	s_add_i32 s2, s33, 64
	s_mov_b32 s3, 0
	s_lshl_b64 s[4:5], s[2:3], 4
	s_add_u32 s4, s52, s4
	s_addc_u32 s5, s53, s5
	v_mov_b32_e32 v0, s2
	v_mov_b32_e32 v2, 1
	s_waitcnt lgkmcnt(0)
	global_store_dword v1, v108, s[4:5] sc1
	global_store_dword v1, v109, s[4:5] offset:4 sc1
	global_store_dword v1, v110, s[4:5] offset:8 sc1
	;; [unrolled: 1-line block ×3, first 2 shown]
	s_waitcnt vmcnt(0)
	global_store_byte v0, v2, s[60:61] sc1
.LBB185_58:
	s_or_b64 exec, exec, s[0:1]
	v_xad_u32 v116, v112, -1, s33
	v_add_u32_e32 v0, 64, v116
	global_load_ubyte v123, v0, s[60:61] sc1
	s_waitcnt vmcnt(0)
	v_cmp_eq_u16_e32 vcc, 0, v123
	s_and_saveexec_b64 s[0:1], vcc
	s_cbranch_execz .LBB185_62
; %bb.59:
	v_lshl_add_u64 v[2:3], s[60:61], 0, v[0:1]
	s_mov_b64 s[2:3], 0
.LBB185_60:                             ; =>This Inner Loop Header: Depth=1
	global_load_ubyte v123, v[2:3], off sc1
	s_waitcnt vmcnt(0)
	v_cmp_ne_u16_e32 vcc, 0, v123
	s_or_b64 s[2:3], vcc, s[2:3]
	s_andn2_b64 exec, exec, s[2:3]
	s_cbranch_execnz .LBB185_60
; %bb.61:
	s_or_b64 exec, exec, s[2:3]
.LBB185_62:
	s_or_b64 exec, exec, s[0:1]
	v_mov_b32_e32 v2, s55
	v_mov_b32_e32 v3, s53
	v_cmp_eq_u16_e32 vcc, 1, v123
	v_mov_b32_e32 v4, s52
	s_waitcnt vmcnt(0)
	v_cndmask_b32_e32 v3, v2, v3, vcc
	v_mov_b32_e32 v2, s54
	v_cndmask_b32_e32 v2, v2, v4, vcc
	v_lshl_add_u64 v[0:1], v[0:1], 4, v[2:3]
	s_waitcnt lgkmcnt(0)
	global_load_dword v4, v[0:1], off sc1
	global_load_dword v5, v[0:1], off offset:4 sc1
	global_load_dword v6, v[0:1], off offset:8 sc1
	;; [unrolled: 1-line block ×3, first 2 shown]
	v_cmp_eq_u16_e32 vcc, 2, v123
	v_lshlrev_b64 v[118:119], v112, -1
	v_and_b32_e32 v124, 63, v112
	v_and_b32_e32 v0, vcc_hi, v119
	v_and_b32_e32 v8, vcc_lo, v118
	v_cmp_ne_u32_e32 vcc, 63, v124
	v_or_b32_e32 v0, 0x80000000, v0
	v_ffbl_b32_e32 v9, v0
	v_addc_co_u32_e32 v1, vcc, 0, v112, vcc
	v_lshlrev_b32_e32 v125, 2, v1
	v_add_u32_e32 v9, 32, v9
	v_ffbl_b32_e32 v8, v8
	v_min_u32_e32 v113, v8, v9
	v_cmp_lt_u32_e32 vcc, v124, v113
	s_waitcnt vmcnt(3)
	ds_bpermute_b32 v0, v125, v4
	s_waitcnt vmcnt(2)
	ds_bpermute_b32 v1, v125, v5
	;; [unrolled: 2-line block ×4, first 2 shown]
	s_and_saveexec_b64 s[38:39], vcc
	s_cbranch_execz .LBB185_64
; %bb.63:
	s_getpc_b64 s[0:1]
	s_add_u32 s0, s0, _ZZZZN2at6native31launch_logcumsumexp_cuda_kernelERKNS_10TensorBaseES3_lENKUlvE_clEvENKUlvE1_clEvENKUlN3c107complexIdEES8_E_clES8_S8_@rel32@lo+4
	s_addc_u32 s1, s1, _ZZZZN2at6native31launch_logcumsumexp_cuda_kernelERKNS_10TensorBaseES3_lENKUlvE_clEvENKUlvE1_clEvENKUlN3c107complexIdEES8_E_clES8_S8_@rel32@hi+12
	s_swappc_b64 s[30:31], s[0:1]
	v_mov_b32_e32 v4, v0
	v_mov_b32_e32 v5, v1
	v_mov_b32_e32 v6, v2
	v_mov_b32_e32 v7, v3
.LBB185_64:
	s_or_b64 exec, exec, s[38:39]
	v_cmp_gt_u32_e32 vcc, 62, v124
	v_add_u32_e32 v127, 2, v124
	s_waitcnt lgkmcnt(3)
	v_cndmask_b32_e64 v0, 0, 1, vcc
	v_lshlrev_b32_e32 v0, 1, v0
	v_add_lshl_u32 v126, v0, v112, 2
	ds_bpermute_b32 v0, v126, v4
	s_waitcnt lgkmcnt(3)
	ds_bpermute_b32 v1, v126, v5
	s_waitcnt lgkmcnt(3)
	ds_bpermute_b32 v2, v126, v6
	s_waitcnt lgkmcnt(3)
	ds_bpermute_b32 v3, v126, v7
	v_cmp_le_u32_e32 vcc, v127, v113
	s_and_saveexec_b64 s[38:39], vcc
	s_cbranch_execz .LBB185_66
; %bb.65:
	s_getpc_b64 s[0:1]
	s_add_u32 s0, s0, _ZZZZN2at6native31launch_logcumsumexp_cuda_kernelERKNS_10TensorBaseES3_lENKUlvE_clEvENKUlvE1_clEvENKUlN3c107complexIdEES8_E_clES8_S8_@rel32@lo+4
	s_addc_u32 s1, s1, _ZZZZN2at6native31launch_logcumsumexp_cuda_kernelERKNS_10TensorBaseES3_lENKUlvE_clEvENKUlvE1_clEvENKUlN3c107complexIdEES8_E_clES8_S8_@rel32@hi+12
	s_swappc_b64 s[30:31], s[0:1]
	v_mov_b32_e32 v4, v0
	v_mov_b32_e32 v5, v1
	v_mov_b32_e32 v6, v2
	v_mov_b32_e32 v7, v3
.LBB185_66:
	s_or_b64 exec, exec, s[38:39]
	v_cmp_gt_u32_e32 vcc, 60, v124
	v_add_u32_e32 v129, 4, v124
	s_waitcnt lgkmcnt(3)
	v_cndmask_b32_e64 v0, 0, 1, vcc
	v_lshlrev_b32_e32 v0, 2, v0
	v_add_lshl_u32 v128, v0, v112, 2
	ds_bpermute_b32 v0, v128, v4
	s_waitcnt lgkmcnt(3)
	ds_bpermute_b32 v1, v128, v5
	s_waitcnt lgkmcnt(3)
	ds_bpermute_b32 v2, v128, v6
	s_waitcnt lgkmcnt(3)
	ds_bpermute_b32 v3, v128, v7
	v_cmp_le_u32_e32 vcc, v129, v113
	;; [unrolled: 27-line block ×5, first 2 shown]
	s_and_saveexec_b64 s[38:39], vcc
	s_cbranch_execz .LBB185_74
; %bb.73:
	s_getpc_b64 s[0:1]
	s_add_u32 s0, s0, _ZZZZN2at6native31launch_logcumsumexp_cuda_kernelERKNS_10TensorBaseES3_lENKUlvE_clEvENKUlvE1_clEvENKUlN3c107complexIdEES8_E_clES8_S8_@rel32@lo+4
	s_addc_u32 s1, s1, _ZZZZN2at6native31launch_logcumsumexp_cuda_kernelERKNS_10TensorBaseES3_lENKUlvE_clEvENKUlvE1_clEvENKUlN3c107complexIdEES8_E_clES8_S8_@rel32@hi+12
	s_swappc_b64 s[30:31], s[0:1]
	v_mov_b32_e32 v4, v0
	v_mov_b32_e32 v5, v1
	v_mov_b32_e32 v6, v2
	v_mov_b32_e32 v7, v3
.LBB185_74:
	s_or_b64 exec, exec, s[38:39]
	v_mov_b32_e32 v117, 0
	v_mov_b32_e32 v136, 2
	s_branch .LBB185_76
.LBB185_75:                             ;   in Loop: Header=BB185_76 Depth=1
	s_or_b64 exec, exec, s[38:39]
	s_waitcnt lgkmcnt(3)
	v_mov_b32_e32 v0, v4
	s_waitcnt lgkmcnt(2)
	v_mov_b32_e32 v1, v5
	;; [unrolled: 2-line block ×4, first 2 shown]
	v_mov_b32_e32 v4, v112
	v_mov_b32_e32 v5, v113
	;; [unrolled: 1-line block ×4, first 2 shown]
	v_subrev_u32_e32 v116, 64, v116
	s_getpc_b64 s[0:1]
	s_add_u32 s0, s0, _ZZZZN2at6native31launch_logcumsumexp_cuda_kernelERKNS_10TensorBaseES3_lENKUlvE_clEvENKUlvE1_clEvENKUlN3c107complexIdEES8_E_clES8_S8_@rel32@lo+4
	s_addc_u32 s1, s1, _ZZZZN2at6native31launch_logcumsumexp_cuda_kernelERKNS_10TensorBaseES3_lENKUlvE_clEvENKUlvE1_clEvENKUlN3c107complexIdEES8_E_clES8_S8_@rel32@hi+12
	s_swappc_b64 s[30:31], s[0:1]
	v_mov_b32_e32 v4, v0
	v_mov_b32_e32 v5, v1
	;; [unrolled: 1-line block ×4, first 2 shown]
.LBB185_76:                             ; =>This Loop Header: Depth=1
                                        ;     Child Loop BB185_79 Depth 2
	v_cmp_ne_u16_sdwa s[0:1], v123, v136 src0_sel:BYTE_0 src1_sel:DWORD
	v_mov_b64_e32 v[114:115], v[6:7]
	v_mov_b64_e32 v[112:113], v[4:5]
	s_waitcnt lgkmcnt(3)
	v_cndmask_b32_e64 v0, 0, 1, s[0:1]
	;;#ASMSTART
	;;#ASMEND
	s_nop 0
	v_cmp_ne_u32_e32 vcc, 0, v0
	s_cmp_lg_u64 vcc, exec
	s_cbranch_scc1 .LBB185_93
; %bb.77:                               ;   in Loop: Header=BB185_76 Depth=1
	global_load_ubyte v123, v116, s[60:61] sc1
	s_waitcnt vmcnt(0)
	v_cmp_eq_u16_e32 vcc, 0, v123
	s_and_saveexec_b64 s[0:1], vcc
	s_cbranch_execz .LBB185_81
; %bb.78:                               ;   in Loop: Header=BB185_76 Depth=1
	s_waitcnt lgkmcnt(2)
	v_lshl_add_u64 v[0:1], s[60:61], 0, v[116:117]
	s_mov_b64 s[2:3], 0
.LBB185_79:                             ;   Parent Loop BB185_76 Depth=1
                                        ; =>  This Inner Loop Header: Depth=2
	global_load_ubyte v123, v[0:1], off sc1
	s_waitcnt vmcnt(0)
	v_cmp_ne_u16_e32 vcc, 0, v123
	s_or_b64 s[2:3], vcc, s[2:3]
	s_andn2_b64 exec, exec, s[2:3]
	s_cbranch_execnz .LBB185_79
; %bb.80:                               ;   in Loop: Header=BB185_76 Depth=1
	s_or_b64 exec, exec, s[2:3]
.LBB185_81:                             ;   in Loop: Header=BB185_76 Depth=1
	s_or_b64 exec, exec, s[0:1]
	v_mov_b32_e32 v0, s55
	s_waitcnt lgkmcnt(2)
	v_mov_b32_e32 v1, s53
	v_cmp_eq_u16_e32 vcc, 1, v123
	s_waitcnt lgkmcnt(1)
	v_mov_b32_e32 v2, s52
	s_waitcnt vmcnt(0)
	v_cndmask_b32_e32 v1, v0, v1, vcc
	v_mov_b32_e32 v0, s54
	v_cndmask_b32_e32 v0, v0, v2, vcc
	v_lshl_add_u64 v[0:1], v[116:117], 4, v[0:1]
	s_waitcnt lgkmcnt(0)
	global_load_dword v4, v[0:1], off sc1
	global_load_dword v5, v[0:1], off offset:4 sc1
	global_load_dword v6, v[0:1], off offset:8 sc1
	global_load_dword v7, v[0:1], off offset:12 sc1
	v_cmp_eq_u16_e32 vcc, 2, v123
	s_waitcnt vmcnt(2)
	ds_bpermute_b32 v1, v125, v5
	v_and_b32_e32 v0, vcc_hi, v119
	v_or_b32_e32 v0, 0x80000000, v0
	v_ffbl_b32_e32 v9, v0
	ds_bpermute_b32 v0, v125, v4
	s_waitcnt vmcnt(1)
	ds_bpermute_b32 v2, v125, v6
	s_waitcnt vmcnt(0)
	ds_bpermute_b32 v3, v125, v7
	v_and_b32_e32 v8, vcc_lo, v118
	v_add_u32_e32 v9, 32, v9
	v_ffbl_b32_e32 v8, v8
	v_min_u32_e32 v137, v8, v9
	v_cmp_lt_u32_e32 vcc, v124, v137
	s_and_saveexec_b64 s[38:39], vcc
	s_cbranch_execz .LBB185_83
; %bb.82:                               ;   in Loop: Header=BB185_76 Depth=1
	s_getpc_b64 s[0:1]
	s_add_u32 s0, s0, _ZZZZN2at6native31launch_logcumsumexp_cuda_kernelERKNS_10TensorBaseES3_lENKUlvE_clEvENKUlvE1_clEvENKUlN3c107complexIdEES8_E_clES8_S8_@rel32@lo+4
	s_addc_u32 s1, s1, _ZZZZN2at6native31launch_logcumsumexp_cuda_kernelERKNS_10TensorBaseES3_lENKUlvE_clEvENKUlvE1_clEvENKUlN3c107complexIdEES8_E_clES8_S8_@rel32@hi+12
	s_swappc_b64 s[30:31], s[0:1]
	v_mov_b32_e32 v4, v0
	v_mov_b32_e32 v5, v1
	;; [unrolled: 1-line block ×4, first 2 shown]
.LBB185_83:                             ;   in Loop: Header=BB185_76 Depth=1
	s_or_b64 exec, exec, s[38:39]
	s_waitcnt lgkmcnt(2)
	ds_bpermute_b32 v0, v126, v4
	ds_bpermute_b32 v1, v126, v5
	s_waitcnt lgkmcnt(3)
	ds_bpermute_b32 v2, v126, v6
	s_waitcnt lgkmcnt(3)
	ds_bpermute_b32 v3, v126, v7
	v_cmp_le_u32_e32 vcc, v127, v137
	s_and_saveexec_b64 s[38:39], vcc
	s_cbranch_execz .LBB185_85
; %bb.84:                               ;   in Loop: Header=BB185_76 Depth=1
	s_getpc_b64 s[0:1]
	s_add_u32 s0, s0, _ZZZZN2at6native31launch_logcumsumexp_cuda_kernelERKNS_10TensorBaseES3_lENKUlvE_clEvENKUlvE1_clEvENKUlN3c107complexIdEES8_E_clES8_S8_@rel32@lo+4
	s_addc_u32 s1, s1, _ZZZZN2at6native31launch_logcumsumexp_cuda_kernelERKNS_10TensorBaseES3_lENKUlvE_clEvENKUlvE1_clEvENKUlN3c107complexIdEES8_E_clES8_S8_@rel32@hi+12
	s_swappc_b64 s[30:31], s[0:1]
	v_mov_b32_e32 v4, v0
	v_mov_b32_e32 v5, v1
	v_mov_b32_e32 v6, v2
	v_mov_b32_e32 v7, v3
.LBB185_85:                             ;   in Loop: Header=BB185_76 Depth=1
	s_or_b64 exec, exec, s[38:39]
	s_waitcnt lgkmcnt(3)
	ds_bpermute_b32 v0, v128, v4
	s_waitcnt lgkmcnt(3)
	ds_bpermute_b32 v1, v128, v5
	s_waitcnt lgkmcnt(3)
	ds_bpermute_b32 v2, v128, v6
	s_waitcnt lgkmcnt(3)
	ds_bpermute_b32 v3, v128, v7
	v_cmp_le_u32_e32 vcc, v129, v137
	s_and_saveexec_b64 s[38:39], vcc
	s_cbranch_execz .LBB185_87
; %bb.86:                               ;   in Loop: Header=BB185_76 Depth=1
	s_getpc_b64 s[0:1]
	s_add_u32 s0, s0, _ZZZZN2at6native31launch_logcumsumexp_cuda_kernelERKNS_10TensorBaseES3_lENKUlvE_clEvENKUlvE1_clEvENKUlN3c107complexIdEES8_E_clES8_S8_@rel32@lo+4
	s_addc_u32 s1, s1, _ZZZZN2at6native31launch_logcumsumexp_cuda_kernelERKNS_10TensorBaseES3_lENKUlvE_clEvENKUlvE1_clEvENKUlN3c107complexIdEES8_E_clES8_S8_@rel32@hi+12
	s_swappc_b64 s[30:31], s[0:1]
	v_mov_b32_e32 v4, v0
	v_mov_b32_e32 v5, v1
	v_mov_b32_e32 v6, v2
	v_mov_b32_e32 v7, v3
.LBB185_87:                             ;   in Loop: Header=BB185_76 Depth=1
	s_or_b64 exec, exec, s[38:39]
	s_waitcnt lgkmcnt(3)
	ds_bpermute_b32 v0, v130, v4
	s_waitcnt lgkmcnt(3)
	;; [unrolled: 22-line block ×4, first 2 shown]
	ds_bpermute_b32 v1, v134, v5
	s_waitcnt lgkmcnt(3)
	ds_bpermute_b32 v2, v134, v6
	s_waitcnt lgkmcnt(3)
	ds_bpermute_b32 v3, v134, v7
	v_cmp_le_u32_e32 vcc, v135, v137
	s_and_saveexec_b64 s[38:39], vcc
	s_cbranch_execz .LBB185_75
; %bb.92:                               ;   in Loop: Header=BB185_76 Depth=1
	s_getpc_b64 s[0:1]
	s_add_u32 s0, s0, _ZZZZN2at6native31launch_logcumsumexp_cuda_kernelERKNS_10TensorBaseES3_lENKUlvE_clEvENKUlvE1_clEvENKUlN3c107complexIdEES8_E_clES8_S8_@rel32@lo+4
	s_addc_u32 s1, s1, _ZZZZN2at6native31launch_logcumsumexp_cuda_kernelERKNS_10TensorBaseES3_lENKUlvE_clEvENKUlvE1_clEvENKUlN3c107complexIdEES8_E_clES8_S8_@rel32@hi+12
	s_swappc_b64 s[30:31], s[0:1]
	v_mov_b32_e32 v4, v0
	v_mov_b32_e32 v5, v1
	;; [unrolled: 1-line block ×4, first 2 shown]
	s_branch .LBB185_75
.LBB185_93:                             ;   in Loop: Header=BB185_76 Depth=1
                                        ; implicit-def: $vgpr6_vgpr7
                                        ; implicit-def: $vgpr4_vgpr5
                                        ; implicit-def: $vgpr123
	s_cbranch_execz .LBB185_76
; %bb.94:
	s_and_saveexec_b64 s[38:39], s[36:37]
	s_cbranch_execz .LBB185_96
; %bb.95:
	v_mov_b32_e32 v0, v112
	s_waitcnt lgkmcnt(2)
	v_mov_b32_e32 v1, v113
	s_waitcnt lgkmcnt(1)
	;; [unrolled: 2-line block ×3, first 2 shown]
	v_mov_b32_e32 v3, v115
	v_mov_b32_e32 v4, v108
	;; [unrolled: 1-line block ×5, first 2 shown]
	s_getpc_b64 s[0:1]
	s_add_u32 s0, s0, _ZZZZN2at6native31launch_logcumsumexp_cuda_kernelERKNS_10TensorBaseES3_lENKUlvE_clEvENKUlvE1_clEvENKUlN3c107complexIdEES8_E_clES8_S8_@rel32@lo+4
	s_addc_u32 s1, s1, _ZZZZN2at6native31launch_logcumsumexp_cuda_kernelERKNS_10TensorBaseES3_lENKUlvE_clEvENKUlvE1_clEvENKUlN3c107complexIdEES8_E_clES8_S8_@rel32@hi+12
	s_swappc_b64 s[30:31], s[0:1]
	s_add_i32 s0, s33, 64
	s_mov_b32 s1, 0
	s_lshl_b64 s[2:3], s[0:1], 4
	s_add_u32 s2, s54, s2
	s_addc_u32 s3, s55, s3
	v_mov_b32_e32 v4, 0
	global_store_dword v4, v0, s[2:3] sc1
	global_store_dword v4, v1, s[2:3] offset:4 sc1
	global_store_dword v4, v2, s[2:3] offset:8 sc1
	;; [unrolled: 1-line block ×3, first 2 shown]
	v_mov_b32_e32 v0, s0
	v_mov_b32_e32 v1, 2
	s_waitcnt vmcnt(0)
	global_store_byte v0, v1, s[60:61] sc1
.LBB185_96:
	s_or_b64 exec, exec, s[38:39]
	v_cmp_eq_u32_e32 vcc, 0, v46
	s_and_b64 exec, exec, vcc
	s_cbranch_execz .LBB185_98
; %bb.97:
	v_mov_b32_e32 v0, 0
	ds_write_b128 v0, v[112:115] offset:48
.LBB185_98:
	s_or_b64 exec, exec, s[44:45]
	v_mov_b32_e32 v0, 0
	s_waitcnt lgkmcnt(0)
	s_barrier
	ds_read_b128 v[108:111], v0 offset:48
	v_cmp_ne_u32_e32 vcc, 0, v46
	v_mov_b64_e32 v[6:7], v[44:45]
	v_mov_b64_e32 v[4:5], v[42:43]
	s_and_saveexec_b64 s[38:39], vcc
	s_cbranch_execz .LBB185_100
; %bb.99:
	v_cndmask_b32_e64 v2, v121, v106, s[36:37]
	v_cndmask_b32_e64 v3, v122, v107, s[36:37]
	;; [unrolled: 1-line block ×4, first 2 shown]
	v_mov_b32_e32 v4, v42
	v_mov_b32_e32 v5, v43
	;; [unrolled: 1-line block ×4, first 2 shown]
	s_getpc_b64 s[0:1]
	s_add_u32 s0, s0, _ZZZZN2at6native31launch_logcumsumexp_cuda_kernelERKNS_10TensorBaseES3_lENKUlvE_clEvENKUlvE1_clEvENKUlN3c107complexIdEES8_E_clES8_S8_@rel32@lo+4
	s_addc_u32 s1, s1, _ZZZZN2at6native31launch_logcumsumexp_cuda_kernelERKNS_10TensorBaseES3_lENKUlvE_clEvENKUlvE1_clEvENKUlN3c107complexIdEES8_E_clES8_S8_@rel32@hi+12
	s_swappc_b64 s[30:31], s[0:1]
	v_mov_b32_e32 v4, v0
	v_mov_b32_e32 v5, v1
	;; [unrolled: 1-line block ×4, first 2 shown]
.LBB185_100:
	s_or_b64 exec, exec, s[38:39]
	s_waitcnt lgkmcnt(0)
	v_mov_b32_e32 v0, v108
	v_mov_b32_e32 v1, v109
	;; [unrolled: 1-line block ×4, first 2 shown]
	s_getpc_b64 s[36:37]
	s_add_u32 s36, s36, _ZZZZN2at6native31launch_logcumsumexp_cuda_kernelERKNS_10TensorBaseES3_lENKUlvE_clEvENKUlvE1_clEvENKUlN3c107complexIdEES8_E_clES8_S8_@rel32@lo+4
	s_addc_u32 s37, s37, _ZZZZN2at6native31launch_logcumsumexp_cuda_kernelERKNS_10TensorBaseES3_lENKUlvE_clEvENKUlvE1_clEvENKUlN3c107complexIdEES8_E_clES8_S8_@rel32@hi+12
	s_swappc_b64 s[30:31], s[36:37]
	v_mov_b32_e32 v4, v100
	v_mov_b32_e32 v5, v101
	v_mov_b32_e32 v6, v102
	v_mov_b32_e32 v7, v103
	v_mov_b32_e32 v156, v0
	v_mov_b32_e32 v157, v1
	v_mov_b32_e32 v158, v2
	v_mov_b32_e32 v159, v3
	s_swappc_b64 s[30:31], s[36:37]
	v_mov_b32_e32 v4, v96
	v_mov_b32_e32 v5, v97
	v_mov_b32_e32 v6, v98
	v_mov_b32_e32 v7, v99
	v_mov_b32_e32 v104, v0
	v_mov_b32_e32 v105, v1
	v_mov_b32_e32 v106, v2
	v_mov_b32_e32 v107, v3
	;; [unrolled: 9-line block ×13, first 2 shown]
	s_swappc_b64 s[30:31], s[36:37]
	v_mov_b32_e32 v152, v0
	v_mov_b32_e32 v153, v1
	;; [unrolled: 1-line block ×4, first 2 shown]
	s_load_dwordx8 s[44:51], s[34:35], 0x58
	s_branch .LBB185_131
.LBB185_101:
                                        ; implicit-def: $vgpr156_vgpr157
                                        ; implicit-def: $vgpr104_vgpr105
                                        ; implicit-def: $vgpr108_vgpr109
                                        ; implicit-def: $vgpr112_vgpr113
                                        ; implicit-def: $vgpr116_vgpr117
                                        ; implicit-def: $vgpr120_vgpr121
                                        ; implicit-def: $vgpr124_vgpr125
                                        ; implicit-def: $vgpr128_vgpr129
                                        ; implicit-def: $vgpr132_vgpr133
                                        ; implicit-def: $vgpr136_vgpr137
                                        ; implicit-def: $vgpr140_vgpr141
                                        ; implicit-def: $vgpr144_vgpr145
                                        ; implicit-def: $vgpr148_vgpr149
                                        ; implicit-def: $vgpr152_vgpr153
	s_load_dwordx8 s[44:51], s[34:35], 0x58
	s_cbranch_execz .LBB185_131
; %bb.102:
	s_waitcnt lgkmcnt(0)
	s_cmp_lg_u64 s[48:49], 0
	s_cselect_b64 s[0:1], -1, 0
	v_cmp_eq_u32_e32 vcc, 0, v46
	v_cmp_ne_u32_e64 s[34:35], 0, v46
	s_and_b64 s[0:1], vcc, s[0:1]
	s_and_saveexec_b64 s[36:37], s[0:1]
	s_cbranch_execz .LBB185_104
; %bb.103:
	v_mov_b32_e32 v0, 0
	global_load_dwordx4 v[0:3], v0, s[44:45]
	v_mov_b32_e32 v4, v42
	v_mov_b32_e32 v5, v43
	;; [unrolled: 1-line block ×4, first 2 shown]
	s_getpc_b64 s[0:1]
	s_add_u32 s0, s0, _ZZZZN2at6native31launch_logcumsumexp_cuda_kernelERKNS_10TensorBaseES3_lENKUlvE_clEvENKUlvE1_clEvENKUlN3c107complexIdEES8_E_clES8_S8_@rel32@lo+4
	s_addc_u32 s1, s1, _ZZZZN2at6native31launch_logcumsumexp_cuda_kernelERKNS_10TensorBaseES3_lENKUlvE_clEvENKUlvE1_clEvENKUlN3c107complexIdEES8_E_clES8_S8_@rel32@hi+12
	s_swappc_b64 s[30:31], s[0:1]
	v_mov_b32_e32 v42, v0
	v_mov_b32_e32 v43, v1
	;; [unrolled: 1-line block ×4, first 2 shown]
.LBB185_104:
	s_or_b64 exec, exec, s[36:37]
	v_mov_b32_e32 v0, v42
	v_mov_b32_e32 v1, v43
	;; [unrolled: 1-line block ×8, first 2 shown]
	s_getpc_b64 s[36:37]
	s_add_u32 s36, s36, _ZZZZN2at6native31launch_logcumsumexp_cuda_kernelERKNS_10TensorBaseES3_lENKUlvE_clEvENKUlvE1_clEvENKUlN3c107complexIdEES8_E_clES8_S8_@rel32@lo+4
	s_addc_u32 s37, s37, _ZZZZN2at6native31launch_logcumsumexp_cuda_kernelERKNS_10TensorBaseES3_lENKUlvE_clEvENKUlvE1_clEvENKUlN3c107complexIdEES8_E_clES8_S8_@rel32@hi+12
	s_swappc_b64 s[30:31], s[36:37]
	v_mov_b32_e32 v4, v96
	v_mov_b32_e32 v5, v97
	v_mov_b32_e32 v6, v98
	v_mov_b32_e32 v7, v99
	v_mov_b32_e32 v104, v0
	v_mov_b32_e32 v105, v1
	v_mov_b32_e32 v106, v2
	v_mov_b32_e32 v107, v3
	s_swappc_b64 s[30:31], s[36:37]
	v_mov_b32_e32 v4, v92
	v_mov_b32_e32 v5, v93
	v_mov_b32_e32 v6, v94
	v_mov_b32_e32 v7, v95
	v_mov_b32_e32 v108, v0
	v_mov_b32_e32 v109, v1
	v_mov_b32_e32 v110, v2
	v_mov_b32_e32 v111, v3
	;; [unrolled: 9-line block ×12, first 2 shown]
	s_swappc_b64 s[30:31], s[36:37]
	v_mov_b32_e32 v152, v0
	v_mbcnt_lo_u32_b32 v0, -1, 0
	v_mbcnt_hi_u32_b32 v47, -1, v0
	v_mov_b32_e32 v153, v1
	v_mov_b32_e32 v154, v2
	;; [unrolled: 1-line block ×3, first 2 shown]
	v_and_b32_e32 v160, 15, v47
	v_mov_b32_dpp v4, v152 row_shr:1 row_mask:0xf bank_mask:0xf
	v_mov_b32_dpp v5, v153 row_shr:1 row_mask:0xf bank_mask:0xf
	;; [unrolled: 1-line block ×4, first 2 shown]
	v_cmp_ne_u32_e32 vcc, 0, v160
	v_mov_b64_e32 v[158:159], v[154:155]
	v_mov_b64_e32 v[156:157], v[152:153]
	v_mov_b32_e32 v0, v152
	s_and_saveexec_b64 s[38:39], vcc
	s_cbranch_execz .LBB185_106
; %bb.105:
	v_mov_b32_e32 v0, v4
	v_mov_b32_e32 v1, v5
	;; [unrolled: 1-line block ×8, first 2 shown]
	s_swappc_b64 s[30:31], s[36:37]
	v_mov_b32_e32 v156, v0
	v_mov_b32_e32 v157, v1
	;; [unrolled: 1-line block ×4, first 2 shown]
.LBB185_106:
	s_or_b64 exec, exec, s[38:39]
	v_mov_b32_dpp v4, v0 row_shr:2 row_mask:0xf bank_mask:0xf
	v_mov_b32_dpp v5, v1 row_shr:2 row_mask:0xf bank_mask:0xf
	v_mov_b32_dpp v6, v2 row_shr:2 row_mask:0xf bank_mask:0xf
	v_mov_b32_dpp v7, v3 row_shr:2 row_mask:0xf bank_mask:0xf
	v_cmp_lt_u32_e32 vcc, 1, v160
	s_and_saveexec_b64 s[36:37], vcc
	s_cbranch_execz .LBB185_108
; %bb.107:
	v_mov_b32_e32 v0, v4
	v_mov_b32_e32 v1, v5
	v_mov_b32_e32 v2, v6
	v_mov_b32_e32 v3, v7
	v_mov_b32_e32 v4, v156
	v_mov_b32_e32 v5, v157
	v_mov_b32_e32 v6, v158
	v_mov_b32_e32 v7, v159
	s_getpc_b64 s[0:1]
	s_add_u32 s0, s0, _ZZZZN2at6native31launch_logcumsumexp_cuda_kernelERKNS_10TensorBaseES3_lENKUlvE_clEvENKUlvE1_clEvENKUlN3c107complexIdEES8_E_clES8_S8_@rel32@lo+4
	s_addc_u32 s1, s1, _ZZZZN2at6native31launch_logcumsumexp_cuda_kernelERKNS_10TensorBaseES3_lENKUlvE_clEvENKUlvE1_clEvENKUlN3c107complexIdEES8_E_clES8_S8_@rel32@hi+12
	s_swappc_b64 s[30:31], s[0:1]
	v_mov_b64_e32 v[158:159], v[2:3]
	v_mov_b64_e32 v[156:157], v[0:1]
.LBB185_108:
	s_or_b64 exec, exec, s[36:37]
	v_mov_b32_dpp v4, v0 row_shr:4 row_mask:0xf bank_mask:0xf
	v_mov_b32_dpp v5, v1 row_shr:4 row_mask:0xf bank_mask:0xf
	v_mov_b32_dpp v6, v2 row_shr:4 row_mask:0xf bank_mask:0xf
	v_mov_b32_dpp v7, v3 row_shr:4 row_mask:0xf bank_mask:0xf
	v_cmp_lt_u32_e32 vcc, 3, v160
	s_and_saveexec_b64 s[36:37], vcc
	s_cbranch_execz .LBB185_110
; %bb.109:
	v_mov_b32_e32 v0, v4
	v_mov_b32_e32 v1, v5
	v_mov_b32_e32 v2, v6
	v_mov_b32_e32 v3, v7
	v_mov_b32_e32 v4, v156
	v_mov_b32_e32 v5, v157
	v_mov_b32_e32 v6, v158
	v_mov_b32_e32 v7, v159
	s_getpc_b64 s[0:1]
	s_add_u32 s0, s0, _ZZZZN2at6native31launch_logcumsumexp_cuda_kernelERKNS_10TensorBaseES3_lENKUlvE_clEvENKUlvE1_clEvENKUlN3c107complexIdEES8_E_clES8_S8_@rel32@lo+4
	s_addc_u32 s1, s1, _ZZZZN2at6native31launch_logcumsumexp_cuda_kernelERKNS_10TensorBaseES3_lENKUlvE_clEvENKUlvE1_clEvENKUlN3c107complexIdEES8_E_clES8_S8_@rel32@hi+12
	s_swappc_b64 s[30:31], s[0:1]
	v_mov_b64_e32 v[158:159], v[2:3]
	v_mov_b64_e32 v[156:157], v[0:1]
.LBB185_110:
	;; [unrolled: 24-line block ×3, first 2 shown]
	s_or_b64 exec, exec, s[36:37]
	v_and_b32_e32 v8, 16, v47
	v_mov_b32_dpp v4, v0 row_bcast:15 row_mask:0xf bank_mask:0xf
	v_mov_b32_dpp v5, v1 row_bcast:15 row_mask:0xf bank_mask:0xf
	;; [unrolled: 1-line block ×4, first 2 shown]
	v_cmp_ne_u32_e32 vcc, 0, v8
	s_and_saveexec_b64 s[36:37], vcc
	s_cbranch_execz .LBB185_114
; %bb.113:
	v_mov_b32_e32 v0, v4
	v_mov_b32_e32 v1, v5
	;; [unrolled: 1-line block ×8, first 2 shown]
	s_getpc_b64 s[0:1]
	s_add_u32 s0, s0, _ZZZZN2at6native31launch_logcumsumexp_cuda_kernelERKNS_10TensorBaseES3_lENKUlvE_clEvENKUlvE1_clEvENKUlN3c107complexIdEES8_E_clES8_S8_@rel32@lo+4
	s_addc_u32 s1, s1, _ZZZZN2at6native31launch_logcumsumexp_cuda_kernelERKNS_10TensorBaseES3_lENKUlvE_clEvENKUlvE1_clEvENKUlN3c107complexIdEES8_E_clES8_S8_@rel32@hi+12
	s_swappc_b64 s[30:31], s[0:1]
	v_mov_b32_e32 v156, v0
	v_mov_b32_e32 v157, v1
	;; [unrolled: 1-line block ×4, first 2 shown]
.LBB185_114:
	s_or_b64 exec, exec, s[36:37]
	v_mov_b32_dpp v0, v0 row_bcast:31 row_mask:0xf bank_mask:0xf
	v_mov_b32_dpp v1, v1 row_bcast:31 row_mask:0xf bank_mask:0xf
	;; [unrolled: 1-line block ×4, first 2 shown]
	v_cmp_lt_u32_e32 vcc, 31, v47
	s_and_saveexec_b64 s[36:37], vcc
	s_cbranch_execz .LBB185_116
; %bb.115:
	v_mov_b32_e32 v4, v156
	v_mov_b32_e32 v5, v157
	;; [unrolled: 1-line block ×4, first 2 shown]
	s_getpc_b64 s[0:1]
	s_add_u32 s0, s0, _ZZZZN2at6native31launch_logcumsumexp_cuda_kernelERKNS_10TensorBaseES3_lENKUlvE_clEvENKUlvE1_clEvENKUlN3c107complexIdEES8_E_clES8_S8_@rel32@lo+4
	s_addc_u32 s1, s1, _ZZZZN2at6native31launch_logcumsumexp_cuda_kernelERKNS_10TensorBaseES3_lENKUlvE_clEvENKUlvE1_clEvENKUlN3c107complexIdEES8_E_clES8_S8_@rel32@hi+12
	s_swappc_b64 s[30:31], s[0:1]
	v_mov_b32_e32 v156, v0
	v_mov_b32_e32 v157, v1
	;; [unrolled: 1-line block ×4, first 2 shown]
.LBB185_116:
	s_or_b64 exec, exec, s[36:37]
	v_or_b32_e32 v0, 63, v46
	v_lshrrev_b32_e32 v165, 6, v46
	v_cmp_eq_u32_e32 vcc, v0, v46
	s_and_saveexec_b64 s[0:1], vcc
	s_cbranch_execz .LBB185_118
; %bb.117:
	v_lshlrev_b32_e32 v0, 4, v165
	ds_write_b128 v0, v[156:159]
.LBB185_118:
	s_or_b64 exec, exec, s[0:1]
	v_cmp_gt_u32_e32 vcc, 4, v46
	s_waitcnt lgkmcnt(0)
	s_barrier
	s_and_saveexec_b64 s[36:37], vcc
	s_cbranch_execz .LBB185_124
; %bb.119:
	s_movk_i32 s0, 0xff30
	v_mad_i32_i24 v0, v46, s0, v41
	ds_read_b128 v[4:7], v0
	v_and_b32_e32 v160, 3, v47
	v_cmp_ne_u32_e32 vcc, 0, v160
	s_waitcnt lgkmcnt(0)
	v_mov_b32_dpp v0, v4 row_shr:1 row_mask:0xf bank_mask:0xf
	v_mov_b32_dpp v1, v5 row_shr:1 row_mask:0xf bank_mask:0xf
	;; [unrolled: 1-line block ×4, first 2 shown]
	s_and_saveexec_b64 s[38:39], vcc
	s_cbranch_execz .LBB185_121
; %bb.120:
	s_getpc_b64 s[0:1]
	s_add_u32 s0, s0, _ZZZZN2at6native31launch_logcumsumexp_cuda_kernelERKNS_10TensorBaseES3_lENKUlvE_clEvENKUlvE1_clEvENKUlN3c107complexIdEES8_E_clES8_S8_@rel32@lo+4
	s_addc_u32 s1, s1, _ZZZZN2at6native31launch_logcumsumexp_cuda_kernelERKNS_10TensorBaseES3_lENKUlvE_clEvENKUlvE1_clEvENKUlN3c107complexIdEES8_E_clES8_S8_@rel32@hi+12
	s_swappc_b64 s[30:31], s[0:1]
	v_mov_b32_e32 v4, v0
	v_mov_b32_e32 v5, v1
	v_mov_b32_e32 v6, v2
	v_mov_b32_e32 v7, v3
.LBB185_121:
	s_or_b64 exec, exec, s[38:39]
	v_mul_i32_i24_e32 v161, 0xffffff30, v46
	v_mov_b32_dpp v0, v4 row_shr:2 row_mask:0xf bank_mask:0xf
	v_mov_b32_dpp v1, v5 row_shr:2 row_mask:0xf bank_mask:0xf
	;; [unrolled: 1-line block ×4, first 2 shown]
	v_cmp_lt_u32_e32 vcc, 1, v160
	s_and_saveexec_b64 s[38:39], vcc
	s_cbranch_execz .LBB185_123
; %bb.122:
	s_getpc_b64 s[0:1]
	s_add_u32 s0, s0, _ZZZZN2at6native31launch_logcumsumexp_cuda_kernelERKNS_10TensorBaseES3_lENKUlvE_clEvENKUlvE1_clEvENKUlN3c107complexIdEES8_E_clES8_S8_@rel32@lo+4
	s_addc_u32 s1, s1, _ZZZZN2at6native31launch_logcumsumexp_cuda_kernelERKNS_10TensorBaseES3_lENKUlvE_clEvENKUlvE1_clEvENKUlN3c107complexIdEES8_E_clES8_S8_@rel32@hi+12
	s_swappc_b64 s[30:31], s[0:1]
	v_mov_b32_e32 v4, v0
	v_mov_b32_e32 v5, v1
	;; [unrolled: 1-line block ×4, first 2 shown]
.LBB185_123:
	s_or_b64 exec, exec, s[38:39]
	v_add_u32_e32 v0, v41, v161
	ds_write_b128 v0, v[4:7]
.LBB185_124:
	s_or_b64 exec, exec, s[36:37]
	v_mov_b64_e32 v[162:163], 0
	v_cmp_lt_u32_e32 vcc, 63, v46
	v_mov_b64_e32 v[160:161], v[162:163]
	s_waitcnt lgkmcnt(0)
	s_barrier
	s_and_saveexec_b64 s[36:37], vcc
	s_cbranch_execz .LBB185_126
; %bb.125:
	v_lshl_add_u32 v0, v165, 4, -16
	ds_read_b128 v[160:163], v0
	v_mov_b32_e32 v4, v156
	v_mov_b32_e32 v5, v157
	;; [unrolled: 1-line block ×4, first 2 shown]
	s_waitcnt lgkmcnt(0)
	v_mov_b32_e32 v0, v160
	v_mov_b32_e32 v1, v161
	;; [unrolled: 1-line block ×4, first 2 shown]
	s_getpc_b64 s[0:1]
	s_add_u32 s0, s0, _ZZZZN2at6native31launch_logcumsumexp_cuda_kernelERKNS_10TensorBaseES3_lENKUlvE_clEvENKUlvE1_clEvENKUlN3c107complexIdEES8_E_clES8_S8_@rel32@lo+4
	s_addc_u32 s1, s1, _ZZZZN2at6native31launch_logcumsumexp_cuda_kernelERKNS_10TensorBaseES3_lENKUlvE_clEvENKUlvE1_clEvENKUlN3c107complexIdEES8_E_clES8_S8_@rel32@hi+12
	s_swappc_b64 s[30:31], s[0:1]
	v_mov_b32_e32 v156, v0
	v_mov_b32_e32 v157, v1
	;; [unrolled: 1-line block ×4, first 2 shown]
.LBB185_126:
	s_or_b64 exec, exec, s[36:37]
	v_add_u32_e32 v0, -1, v47
	v_and_b32_e32 v1, 64, v47
	v_cmp_lt_i32_e32 vcc, v0, v1
	s_nop 1
	v_cndmask_b32_e32 v0, v0, v47, vcc
	v_lshlrev_b32_e32 v3, 2, v0
	ds_bpermute_b32 v0, v3, v156
	ds_bpermute_b32 v1, v3, v157
	;; [unrolled: 1-line block ×4, first 2 shown]
	s_and_saveexec_b64 s[36:37], s[34:35]
	s_cbranch_execz .LBB185_128
; %bb.127:
	v_cmp_eq_u32_e32 vcc, 0, v47
	v_mov_b32_e32 v4, v42
	v_mov_b32_e32 v5, v43
	s_waitcnt lgkmcnt(3)
	v_cndmask_b32_e32 v0, v0, v160, vcc
	s_waitcnt lgkmcnt(2)
	v_cndmask_b32_e32 v1, v1, v161, vcc
	;; [unrolled: 2-line block ×4, first 2 shown]
	v_mov_b32_e32 v6, v44
	v_mov_b32_e32 v7, v45
	s_getpc_b64 s[34:35]
	s_add_u32 s34, s34, _ZZZZN2at6native31launch_logcumsumexp_cuda_kernelERKNS_10TensorBaseES3_lENKUlvE_clEvENKUlvE1_clEvENKUlN3c107complexIdEES8_E_clES8_S8_@rel32@lo+4
	s_addc_u32 s35, s35, _ZZZZN2at6native31launch_logcumsumexp_cuda_kernelERKNS_10TensorBaseES3_lENKUlvE_clEvENKUlvE1_clEvENKUlN3c107complexIdEES8_E_clES8_S8_@rel32@hi+12
	s_swappc_b64 s[30:31], s[34:35]
	v_mov_b32_e32 v4, v100
	v_mov_b32_e32 v5, v101
	;; [unrolled: 1-line block ×8, first 2 shown]
	;;#ASMSTART
	;;#ASMEND
	s_swappc_b64 s[30:31], s[34:35]
	v_mov_b32_e32 v4, v96
	v_mov_b32_e32 v5, v97
	v_mov_b32_e32 v6, v98
	v_mov_b32_e32 v7, v99
	v_mov_b32_e32 v104, v0
	v_mov_b32_e32 v105, v1
	v_mov_b32_e32 v106, v2
	v_mov_b32_e32 v107, v3
	s_swappc_b64 s[30:31], s[34:35]
	v_mov_b32_e32 v4, v92
	v_mov_b32_e32 v5, v93
	v_mov_b32_e32 v6, v94
	v_mov_b32_e32 v7, v95
	v_mov_b32_e32 v108, v0
	v_mov_b32_e32 v109, v1
	v_mov_b32_e32 v110, v2
	v_mov_b32_e32 v111, v3
	;; [unrolled: 9-line block ×12, first 2 shown]
	s_swappc_b64 s[30:31], s[34:35]
	v_mov_b32_e32 v152, v0
	v_mov_b32_e32 v153, v1
	;; [unrolled: 1-line block ×4, first 2 shown]
.LBB185_128:
	s_or_b64 exec, exec, s[36:37]
	s_movk_i32 s0, 0xff
	v_cmp_eq_u32_e32 vcc, s0, v46
	s_and_saveexec_b64 s[0:1], vcc
	s_cbranch_execz .LBB185_130
; %bb.129:
	s_waitcnt lgkmcnt(3)
	v_mov_b32_e32 v0, 0
	s_waitcnt lgkmcnt(2)
	v_mov_b32_e32 v1, 2
	global_store_dword v0, v152, s[54:55] offset:1024 sc1
	global_store_dword v0, v153, s[54:55] offset:1028 sc1
	;; [unrolled: 1-line block ×4, first 2 shown]
	s_waitcnt vmcnt(0) lgkmcnt(0)
	global_store_byte v0, v1, s[60:61] offset:64 sc1
.LBB185_130:
	s_or_b64 exec, exec, s[0:1]
	v_mov_b64_e32 v[156:157], v[42:43]
	v_mov_b64_e32 v[158:159], v[44:45]
.LBB185_131:
	s_add_u32 s0, s40, s56
	s_addc_u32 s1, s41, s57
	s_add_u32 s0, s0, s58
	s_addc_u32 s1, s1, s59
	s_mov_b64 s[2:3], -1
	s_and_b64 vcc, exec, s[42:43]
	s_waitcnt lgkmcnt(0)
	s_barrier
	s_cbranch_vccz .LBB185_133
; %bb.132:
	v_mov_b32_e32 v165, 0
	ds_write_b128 v41, v[156:159]
	ds_write_b128 v41, v[104:107] offset:16
	ds_write_b128 v41, v[108:111] offset:32
	ds_write_b128 v41, v[112:115] offset:48
	ds_write_b128 v41, v[116:119] offset:64
	ds_write_b128 v41, v[120:123] offset:80
	ds_write_b128 v41, v[124:127] offset:96
	ds_write_b128 v41, v[128:131] offset:112
	ds_write_b128 v41, v[132:135] offset:128
	ds_write_b128 v41, v[136:139] offset:144
	ds_write_b128 v41, v[140:143] offset:160
	ds_write_b128 v41, v[144:147] offset:176
	ds_write_b128 v41, v[148:151] offset:192
	ds_write_b128 v41, v[152:155] offset:208
	s_waitcnt lgkmcnt(0)
	s_barrier
	ds_read_b128 v[0:3], v164
	ds_read_b128 v[4:7], v164 offset:4096
	ds_read_b128 v[8:11], v164 offset:8192
	;; [unrolled: 1-line block ×13, first 2 shown]
	v_lshl_add_u64 v[60:61], s[0:1], 0, v[164:165]
	s_movk_i32 s2, 0x2000
	s_waitcnt lgkmcnt(13)
	global_store_dwordx4 v164, v[0:3], s[0:1]
	s_nop 1
	v_add_co_u32_e32 v0, vcc, s2, v60
	s_movk_i32 s2, 0x4000
	s_nop 0
	v_addc_co_u32_e32 v1, vcc, 0, v61, vcc
	s_waitcnt lgkmcnt(12)
	global_store_dwordx4 v[0:1], v[4:7], off offset:-4096
	s_waitcnt lgkmcnt(11)
	global_store_dwordx4 v[0:1], v[8:11], off
	v_add_co_u32_e32 v0, vcc, s2, v60
	s_movk_i32 s2, 0x6000
	s_nop 0
	v_addc_co_u32_e32 v1, vcc, 0, v61, vcc
	s_waitcnt lgkmcnt(10)
	global_store_dwordx4 v[0:1], v[12:15], off offset:-4096
	s_waitcnt lgkmcnt(9)
	global_store_dwordx4 v[0:1], v[16:19], off
	v_add_co_u32_e32 v0, vcc, s2, v60
	s_mov_b32 s2, 0x8000
	s_nop 0
	v_addc_co_u32_e32 v1, vcc, 0, v61, vcc
	s_waitcnt lgkmcnt(8)
	global_store_dwordx4 v[0:1], v[20:23], off offset:-4096
	s_waitcnt lgkmcnt(7)
	global_store_dwordx4 v[0:1], v[24:27], off
	v_add_co_u32_e32 v0, vcc, s2, v60
	s_mov_b32 s2, 0xa000
	s_nop 0
	v_addc_co_u32_e32 v1, vcc, 0, v61, vcc
	s_waitcnt lgkmcnt(6)
	global_store_dwordx4 v[0:1], v[28:31], off offset:-4096
	s_waitcnt lgkmcnt(5)
	global_store_dwordx4 v[0:1], v[32:35], off
	v_add_co_u32_e32 v0, vcc, s2, v60
	s_mov_b64 s[2:3], 0
	s_nop 0
	v_addc_co_u32_e32 v1, vcc, 0, v61, vcc
	s_waitcnt lgkmcnt(4)
	global_store_dwordx4 v[0:1], v[36:39], off offset:-4096
	s_waitcnt lgkmcnt(3)
	global_store_dwordx4 v[0:1], v[42:45], off
	v_add_co_u32_e32 v0, vcc, 0xb000, v60
	s_nop 1
	v_addc_co_u32_e32 v1, vcc, 0, v61, vcc
	s_waitcnt lgkmcnt(2)
	global_store_dwordx4 v[0:1], v[48:51], off
	v_add_co_u32_e32 v0, vcc, 0xc000, v60
	s_nop 1
	v_addc_co_u32_e32 v1, vcc, 0, v61, vcc
	;; [unrolled: 5-line block ×3, first 2 shown]
	s_waitcnt lgkmcnt(0)
	global_store_dwordx4 v[0:1], v[56:59], off
.LBB185_133:
	s_andn2_b64 vcc, exec, s[2:3]
	s_cbranch_vccnz .LBB185_213
; %bb.134:
	ds_write_b128 v41, v[156:159]
	ds_write_b128 v41, v[104:107] offset:16
	ds_write_b128 v41, v[108:111] offset:32
	;; [unrolled: 1-line block ×13, first 2 shown]
	s_waitcnt lgkmcnt(0)
	s_barrier
	ds_read_b128 v[4:7], v164
	ds_read_b128 v[0:3], v164 offset:4096
	ds_read_b128 v[8:11], v164 offset:8192
	;; [unrolled: 1-line block ×13, first 2 shown]
	v_mov_b32_e32 v165, 0
	v_lshl_add_u64 v[44:45], s[0:1], 0, v[164:165]
	v_cmp_gt_u32_e32 vcc, s62, v46
	s_and_saveexec_b64 s[0:1], vcc
	s_cbranch_execz .LBB185_136
; %bb.135:
	s_waitcnt lgkmcnt(13)
	global_store_dwordx4 v[44:45], v[4:7], off
.LBB185_136:
	s_or_b64 exec, exec, s[0:1]
	v_or_b32_e32 v47, 0x100, v46
	v_cmp_gt_u32_e32 vcc, s62, v47
	s_and_saveexec_b64 s[0:1], vcc
	s_cbranch_execz .LBB185_138
; %bb.137:
	v_add_co_u32_e32 v60, vcc, 0x1000, v44
	s_nop 1
	v_addc_co_u32_e32 v61, vcc, 0, v45, vcc
	s_waitcnt lgkmcnt(12)
	global_store_dwordx4 v[60:61], v[0:3], off
.LBB185_138:
	s_or_b64 exec, exec, s[0:1]
	v_or_b32_e32 v47, 0x200, v46
	v_cmp_gt_u32_e32 vcc, s62, v47
	s_and_saveexec_b64 s[0:1], vcc
	s_cbranch_execz .LBB185_140
; %bb.139:
	v_add_co_u32_e32 v60, vcc, 0x2000, v44
	s_nop 1
	v_addc_co_u32_e32 v61, vcc, 0, v45, vcc
	s_waitcnt lgkmcnt(11)
	global_store_dwordx4 v[60:61], v[8:11], off
.LBB185_140:
	;; [unrolled: 12-line block ×13, first 2 shown]
	s_or_b64 exec, exec, s[0:1]
	v_cmp_lt_u64_e64 s[0:1], s[50:51], 2
	s_and_b64 vcc, exec, s[0:1]
	s_cbranch_vccnz .LBB185_213
; %bb.163:
	s_add_u32 s0, s62, -1
	s_addc_u32 s1, s63, -1
	s_add_u32 s2, 0, 0x49240800
	s_addc_u32 s3, 0, 50
	s_add_i32 s3, s3, 0x12492460
	s_mul_hi_u32 s7, s2, -14
	s_sub_i32 s7, s7, s2
	s_mul_i32 s8, s3, -14
	s_mul_i32 s4, s2, -14
	s_add_i32 s7, s7, s8
	s_mul_hi_u32 s5, s3, s4
	s_mul_i32 s6, s3, s4
	s_mul_i32 s9, s2, s7
	s_mul_hi_u32 s4, s2, s4
	s_mul_hi_u32 s8, s2, s7
	s_add_u32 s4, s4, s9
	s_addc_u32 s8, 0, s8
	s_add_u32 s4, s4, s6
	s_mul_hi_u32 s9, s3, s7
	s_addc_u32 s4, s8, s5
	s_addc_u32 s5, s9, 0
	s_mul_i32 s6, s3, s7
	s_add_u32 s4, s4, s6
	v_mov_b32_e32 v44, s4
	s_addc_u32 s5, 0, s5
	v_add_co_u32_e32 v44, vcc, s2, v44
	s_cmp_lg_u64 vcc, 0
	s_addc_u32 s2, s3, s5
	v_readfirstlane_b32 s5, v44
	s_mul_i32 s4, s0, s2
	s_mul_hi_u32 s6, s0, s5
	s_mul_hi_u32 s3, s0, s2
	s_add_u32 s4, s6, s4
	s_addc_u32 s3, 0, s3
	s_mul_hi_u32 s7, s1, s5
	s_mul_i32 s5, s1, s5
	s_add_u32 s4, s4, s5
	s_mul_hi_u32 s6, s1, s2
	s_addc_u32 s3, s3, s7
	s_addc_u32 s4, s6, 0
	s_mul_i32 s2, s1, s2
	s_add_u32 s2, s3, s2
	s_addc_u32 s3, 0, s4
	s_add_u32 s4, s2, 1
	s_addc_u32 s5, s3, 0
	s_add_u32 s6, s2, 2
	s_mul_i32 s8, s3, 14
	s_mul_hi_u32 s9, s2, 14
	s_addc_u32 s7, s3, 0
	s_add_i32 s9, s9, s8
	s_mul_i32 s8, s2, 14
	v_mov_b32_e32 v44, s8
	v_sub_co_u32_e32 v44, vcc, s0, v44
	s_cmp_lg_u64 vcc, 0
	s_subb_u32 s8, s1, s9
	v_subrev_co_u32_e32 v45, vcc, 14, v44
	s_cmp_lg_u64 vcc, 0
	s_subb_u32 s9, s8, 0
	v_readfirstlane_b32 s10, v45
	s_cmp_gt_u32 s10, 13
	s_cselect_b32 s10, -1, 0
	s_cmp_eq_u32 s9, 0
	s_cselect_b32 s9, s10, -1
	s_cmp_lg_u32 s9, 0
	s_cselect_b32 s4, s6, s4
	v_readfirstlane_b32 s6, v44
	s_cselect_b32 s5, s7, s5
	s_cmp_gt_u32 s6, 13
	s_cselect_b32 s6, -1, 0
	s_cmp_eq_u32 s8, 0
	s_cselect_b32 s6, s6, -1
	s_cmp_lg_u32 s6, 0
	v_mov_b32_e32 v47, v165
	s_cselect_b32 s3, s5, s3
	s_cselect_b32 s2, s4, s2
	v_cmp_eq_u64_e32 vcc, s[2:3], v[46:47]
	s_and_saveexec_b64 s[2:3], vcc
	s_cbranch_execz .LBB185_213
; %bb.164:
	v_mul_hi_u32_u24_e32 v45, 14, v46
	v_mov_b32_e32 v46, s1
	v_sub_co_u32_e32 v44, vcc, s0, v166
	s_nop 1
	v_subb_co_u32_e32 v45, vcc, v46, v45, vcc
	v_cmp_lt_i64_e32 vcc, 6, v[44:45]
	s_and_saveexec_b64 s[0:1], vcc
	s_xor_b64 s[0:1], exec, s[0:1]
	s_cbranch_execz .LBB185_190
; %bb.165:
	v_cmp_lt_i64_e32 vcc, 9, v[44:45]
	s_and_saveexec_b64 s[2:3], vcc
	s_xor_b64 s[2:3], exec, s[2:3]
	s_cbranch_execz .LBB185_179
; %bb.166:
	;; [unrolled: 5-line block ×4, first 2 shown]
	s_waitcnt lgkmcnt(12)
	v_mov_b32_e32 v0, 0
	s_waitcnt lgkmcnt(0)
	global_store_dwordx4 v0, v[56:59], s[46:47]
                                        ; implicit-def: $vgpr52_vgpr53_vgpr54_vgpr55
.LBB185_169:
	s_andn2_saveexec_b64 s[6:7], s[6:7]
	s_cbranch_execz .LBB185_171
; %bb.170:
	s_waitcnt lgkmcnt(12)
	v_mov_b32_e32 v0, 0
	s_waitcnt lgkmcnt(1)
	global_store_dwordx4 v0, v[52:55], s[46:47]
.LBB185_171:
	s_or_b64 exec, exec, s[6:7]
                                        ; implicit-def: $vgpr24_vgpr25_vgpr26_vgpr27
                                        ; implicit-def: $vgpr44_vgpr45
                                        ; implicit-def: $vgpr48_vgpr49_vgpr50_vgpr51
.LBB185_172:
	s_andn2_saveexec_b64 s[4:5], s[4:5]
	s_cbranch_execz .LBB185_178
; %bb.173:
	v_cmp_lt_i64_e32 vcc, 10, v[44:45]
	s_and_saveexec_b64 s[6:7], vcc
	s_xor_b64 s[6:7], exec, s[6:7]
	s_cbranch_execz .LBB185_175
; %bb.174:
	s_waitcnt lgkmcnt(12)
	v_mov_b32_e32 v0, 0
	s_waitcnt lgkmcnt(2)
	global_store_dwordx4 v0, v[48:51], s[46:47]
                                        ; implicit-def: $vgpr24_vgpr25_vgpr26_vgpr27
.LBB185_175:
	s_andn2_saveexec_b64 s[6:7], s[6:7]
	s_cbranch_execz .LBB185_177
; %bb.176:
	s_waitcnt lgkmcnt(12)
	v_mov_b32_e32 v0, 0
	s_waitcnt lgkmcnt(3)
	global_store_dwordx4 v0, v[24:27], s[46:47]
.LBB185_177:
	s_or_b64 exec, exec, s[6:7]
.LBB185_178:
	s_or_b64 exec, exec, s[4:5]
                                        ; implicit-def: $vgpr36_vgpr37_vgpr38_vgpr39
                                        ; implicit-def: $vgpr44_vgpr45
                                        ; implicit-def: $vgpr28_vgpr29_vgpr30_vgpr31
                                        ; implicit-def: $vgpr40_vgpr41_vgpr42_vgpr43
.LBB185_179:
	s_andn2_saveexec_b64 s[2:3], s[2:3]
	s_cbranch_execz .LBB185_189
; %bb.180:
	v_cmp_lt_i64_e32 vcc, 7, v[44:45]
	s_and_saveexec_b64 s[4:5], vcc
	s_xor_b64 s[4:5], exec, s[4:5]
	s_cbranch_execz .LBB185_186
; %bb.181:
	v_cmp_lt_i64_e32 vcc, 8, v[44:45]
	s_and_saveexec_b64 s[6:7], vcc
	s_xor_b64 s[6:7], exec, s[6:7]
	s_cbranch_execz .LBB185_183
; %bb.182:
	s_waitcnt lgkmcnt(12)
	v_mov_b32_e32 v0, 0
	s_waitcnt lgkmcnt(4)
	global_store_dwordx4 v0, v[40:43], s[46:47]
                                        ; implicit-def: $vgpr28_vgpr29_vgpr30_vgpr31
.LBB185_183:
	s_andn2_saveexec_b64 s[6:7], s[6:7]
	s_cbranch_execz .LBB185_185
; %bb.184:
	s_waitcnt lgkmcnt(12)
	v_mov_b32_e32 v0, 0
	s_waitcnt lgkmcnt(5)
	global_store_dwordx4 v0, v[28:31], s[46:47]
.LBB185_185:
	s_or_b64 exec, exec, s[6:7]
                                        ; implicit-def: $vgpr36_vgpr37_vgpr38_vgpr39
.LBB185_186:
	s_andn2_saveexec_b64 s[4:5], s[4:5]
	s_cbranch_execz .LBB185_188
; %bb.187:
	s_waitcnt lgkmcnt(12)
	v_mov_b32_e32 v0, 0
	s_waitcnt lgkmcnt(6)
	global_store_dwordx4 v0, v[36:39], s[46:47]
.LBB185_188:
	s_or_b64 exec, exec, s[4:5]
.LBB185_189:
	s_or_b64 exec, exec, s[2:3]
                                        ; implicit-def: $vgpr44_vgpr45
                                        ; implicit-def: $vgpr20_vgpr21_vgpr22_vgpr23
                                        ; implicit-def: $vgpr0_vgpr1_vgpr2_vgpr3
                                        ; implicit-def: $vgpr8_vgpr9_vgpr10_vgpr11
                                        ; implicit-def: $vgpr4_vgpr5_vgpr6_vgpr7
                                        ; implicit-def: $vgpr16_vgpr17_vgpr18_vgpr19
                                        ; implicit-def: $vgpr12_vgpr13_vgpr14_vgpr15
                                        ; implicit-def: $vgpr32_vgpr33_vgpr34_vgpr35
.LBB185_190:
	s_andn2_saveexec_b64 s[0:1], s[0:1]
	s_cbranch_execz .LBB185_213
; %bb.191:
	v_cmp_lt_i64_e32 vcc, 3, v[44:45]
	s_and_saveexec_b64 s[0:1], vcc
	s_xor_b64 s[0:1], exec, s[0:1]
	s_cbranch_execz .LBB185_201
; %bb.192:
	v_cmp_lt_i64_e32 vcc, 4, v[44:45]
	s_and_saveexec_b64 s[2:3], vcc
	s_xor_b64 s[2:3], exec, s[2:3]
	;; [unrolled: 5-line block ×3, first 2 shown]
	s_cbranch_execz .LBB185_195
; %bb.194:
	s_waitcnt lgkmcnt(12)
	v_mov_b32_e32 v0, 0
	s_waitcnt lgkmcnt(7)
	global_store_dwordx4 v0, v[32:35], s[46:47]
                                        ; implicit-def: $vgpr16_vgpr17_vgpr18_vgpr19
.LBB185_195:
	s_andn2_saveexec_b64 s[4:5], s[4:5]
	s_cbranch_execz .LBB185_197
; %bb.196:
	s_waitcnt lgkmcnt(12)
	v_mov_b32_e32 v0, 0
	s_waitcnt lgkmcnt(8)
	global_store_dwordx4 v0, v[16:19], s[46:47]
.LBB185_197:
	s_or_b64 exec, exec, s[4:5]
                                        ; implicit-def: $vgpr20_vgpr21_vgpr22_vgpr23
.LBB185_198:
	s_andn2_saveexec_b64 s[2:3], s[2:3]
	s_cbranch_execz .LBB185_200
; %bb.199:
	s_waitcnt lgkmcnt(12)
	v_mov_b32_e32 v0, 0
	s_waitcnt lgkmcnt(9)
	global_store_dwordx4 v0, v[20:23], s[46:47]
.LBB185_200:
	s_or_b64 exec, exec, s[2:3]
                                        ; implicit-def: $vgpr44_vgpr45
                                        ; implicit-def: $vgpr0_vgpr1_vgpr2_vgpr3
                                        ; implicit-def: $vgpr8_vgpr9_vgpr10_vgpr11
                                        ; implicit-def: $vgpr4_vgpr5_vgpr6_vgpr7
                                        ; implicit-def: $vgpr12_vgpr13_vgpr14_vgpr15
.LBB185_201:
	s_andn2_saveexec_b64 s[0:1], s[0:1]
	s_cbranch_execz .LBB185_213
; %bb.202:
	v_cmp_lt_i64_e32 vcc, 1, v[44:45]
	s_and_saveexec_b64 s[0:1], vcc
	s_xor_b64 s[0:1], exec, s[0:1]
	s_cbranch_execz .LBB185_208
; %bb.203:
	v_cmp_lt_i64_e32 vcc, 2, v[44:45]
	s_and_saveexec_b64 s[2:3], vcc
	s_xor_b64 s[2:3], exec, s[2:3]
	s_cbranch_execz .LBB185_205
; %bb.204:
	s_waitcnt lgkmcnt(12)
	v_mov_b32_e32 v0, 0
	s_waitcnt lgkmcnt(10)
	global_store_dwordx4 v0, v[12:15], s[46:47]
                                        ; implicit-def: $vgpr8_vgpr9_vgpr10_vgpr11
.LBB185_205:
	s_andn2_saveexec_b64 s[2:3], s[2:3]
	s_cbranch_execz .LBB185_207
; %bb.206:
	s_waitcnt lgkmcnt(12)
	v_mov_b32_e32 v0, 0
	s_waitcnt lgkmcnt(11)
	global_store_dwordx4 v0, v[8:11], s[46:47]
.LBB185_207:
	s_or_b64 exec, exec, s[2:3]
                                        ; implicit-def: $vgpr0_vgpr1_vgpr2_vgpr3
                                        ; implicit-def: $vgpr44_vgpr45
                                        ; implicit-def: $vgpr4_vgpr5_vgpr6_vgpr7
.LBB185_208:
	s_andn2_saveexec_b64 s[0:1], s[0:1]
	s_cbranch_execz .LBB185_213
; %bb.209:
	v_cmp_ne_u64_e32 vcc, 1, v[44:45]
	s_and_saveexec_b64 s[0:1], vcc
	s_xor_b64 s[0:1], exec, s[0:1]
	s_cbranch_execz .LBB185_211
; %bb.210:
	s_waitcnt lgkmcnt(12)
	v_mov_b32_e32 v0, 0
	global_store_dwordx4 v0, v[4:7], s[46:47]
                                        ; implicit-def: $vgpr0_vgpr1_vgpr2_vgpr3
.LBB185_211:
	s_andn2_saveexec_b64 s[0:1], s[0:1]
	s_cbranch_execz .LBB185_213
; %bb.212:
	s_waitcnt lgkmcnt(13)
	v_mov_b32_e32 v4, 0
	s_waitcnt lgkmcnt(12)
	global_store_dwordx4 v4, v[0:3], s[46:47]
.LBB185_213:
	s_endpgm
	.section	.rodata,"a",@progbits
	.p2align	6, 0x0
	.amdhsa_kernel _ZN7rocprim17ROCPRIM_400000_NS6detail17trampoline_kernelINS0_14default_configENS1_20scan_config_selectorIN3c107complexIdEEEEZZNS1_9scan_implILNS1_25lookback_scan_determinismE0ELb0ELb0ES3_PKS7_PS7_S7_ZZZN2at6native31launch_logcumsumexp_cuda_kernelERKNSE_10TensorBaseESI_lENKUlvE_clEvENKUlvE1_clEvEUlS7_S7_E_S7_EEDaPvRmT3_T4_T5_mT6_P12ihipStream_tbENKUlT_T0_E_clISt17integral_constantIbLb0EESZ_EEDaSU_SV_EUlSU_E_NS1_11comp_targetILNS1_3genE5ELNS1_11target_archE942ELNS1_3gpuE9ELNS1_3repE0EEENS1_30default_config_static_selectorELNS0_4arch9wavefront6targetE1EEEvT1_
		.amdhsa_group_segment_fixed_size 57344
		.amdhsa_private_segment_fixed_size 8
		.amdhsa_kernarg_size 128
		.amdhsa_user_sgpr_count 2
		.amdhsa_user_sgpr_dispatch_ptr 0
		.amdhsa_user_sgpr_queue_ptr 0
		.amdhsa_user_sgpr_kernarg_segment_ptr 1
		.amdhsa_user_sgpr_dispatch_id 0
		.amdhsa_user_sgpr_kernarg_preload_length 0
		.amdhsa_user_sgpr_kernarg_preload_offset 0
		.amdhsa_user_sgpr_private_segment_size 0
		.amdhsa_uses_dynamic_stack 0
		.amdhsa_enable_private_segment 1
		.amdhsa_system_sgpr_workgroup_id_x 1
		.amdhsa_system_sgpr_workgroup_id_y 0
		.amdhsa_system_sgpr_workgroup_id_z 0
		.amdhsa_system_sgpr_workgroup_info 0
		.amdhsa_system_vgpr_workitem_id 0
		.amdhsa_next_free_vgpr 167
		.amdhsa_next_free_sgpr 64
		.amdhsa_accum_offset 168
		.amdhsa_reserve_vcc 1
		.amdhsa_float_round_mode_32 0
		.amdhsa_float_round_mode_16_64 0
		.amdhsa_float_denorm_mode_32 3
		.amdhsa_float_denorm_mode_16_64 3
		.amdhsa_dx10_clamp 1
		.amdhsa_ieee_mode 1
		.amdhsa_fp16_overflow 0
		.amdhsa_tg_split 0
		.amdhsa_exception_fp_ieee_invalid_op 0
		.amdhsa_exception_fp_denorm_src 0
		.amdhsa_exception_fp_ieee_div_zero 0
		.amdhsa_exception_fp_ieee_overflow 0
		.amdhsa_exception_fp_ieee_underflow 0
		.amdhsa_exception_fp_ieee_inexact 0
		.amdhsa_exception_int_div_zero 0
	.end_amdhsa_kernel
	.section	.text._ZN7rocprim17ROCPRIM_400000_NS6detail17trampoline_kernelINS0_14default_configENS1_20scan_config_selectorIN3c107complexIdEEEEZZNS1_9scan_implILNS1_25lookback_scan_determinismE0ELb0ELb0ES3_PKS7_PS7_S7_ZZZN2at6native31launch_logcumsumexp_cuda_kernelERKNSE_10TensorBaseESI_lENKUlvE_clEvENKUlvE1_clEvEUlS7_S7_E_S7_EEDaPvRmT3_T4_T5_mT6_P12ihipStream_tbENKUlT_T0_E_clISt17integral_constantIbLb0EESZ_EEDaSU_SV_EUlSU_E_NS1_11comp_targetILNS1_3genE5ELNS1_11target_archE942ELNS1_3gpuE9ELNS1_3repE0EEENS1_30default_config_static_selectorELNS0_4arch9wavefront6targetE1EEEvT1_,"axG",@progbits,_ZN7rocprim17ROCPRIM_400000_NS6detail17trampoline_kernelINS0_14default_configENS1_20scan_config_selectorIN3c107complexIdEEEEZZNS1_9scan_implILNS1_25lookback_scan_determinismE0ELb0ELb0ES3_PKS7_PS7_S7_ZZZN2at6native31launch_logcumsumexp_cuda_kernelERKNSE_10TensorBaseESI_lENKUlvE_clEvENKUlvE1_clEvEUlS7_S7_E_S7_EEDaPvRmT3_T4_T5_mT6_P12ihipStream_tbENKUlT_T0_E_clISt17integral_constantIbLb0EESZ_EEDaSU_SV_EUlSU_E_NS1_11comp_targetILNS1_3genE5ELNS1_11target_archE942ELNS1_3gpuE9ELNS1_3repE0EEENS1_30default_config_static_selectorELNS0_4arch9wavefront6targetE1EEEvT1_,comdat
.Lfunc_end185:
	.size	_ZN7rocprim17ROCPRIM_400000_NS6detail17trampoline_kernelINS0_14default_configENS1_20scan_config_selectorIN3c107complexIdEEEEZZNS1_9scan_implILNS1_25lookback_scan_determinismE0ELb0ELb0ES3_PKS7_PS7_S7_ZZZN2at6native31launch_logcumsumexp_cuda_kernelERKNSE_10TensorBaseESI_lENKUlvE_clEvENKUlvE1_clEvEUlS7_S7_E_S7_EEDaPvRmT3_T4_T5_mT6_P12ihipStream_tbENKUlT_T0_E_clISt17integral_constantIbLb0EESZ_EEDaSU_SV_EUlSU_E_NS1_11comp_targetILNS1_3genE5ELNS1_11target_archE942ELNS1_3gpuE9ELNS1_3repE0EEENS1_30default_config_static_selectorELNS0_4arch9wavefront6targetE1EEEvT1_, .Lfunc_end185-_ZN7rocprim17ROCPRIM_400000_NS6detail17trampoline_kernelINS0_14default_configENS1_20scan_config_selectorIN3c107complexIdEEEEZZNS1_9scan_implILNS1_25lookback_scan_determinismE0ELb0ELb0ES3_PKS7_PS7_S7_ZZZN2at6native31launch_logcumsumexp_cuda_kernelERKNSE_10TensorBaseESI_lENKUlvE_clEvENKUlvE1_clEvEUlS7_S7_E_S7_EEDaPvRmT3_T4_T5_mT6_P12ihipStream_tbENKUlT_T0_E_clISt17integral_constantIbLb0EESZ_EEDaSU_SV_EUlSU_E_NS1_11comp_targetILNS1_3genE5ELNS1_11target_archE942ELNS1_3gpuE9ELNS1_3repE0EEENS1_30default_config_static_selectorELNS0_4arch9wavefront6targetE1EEEvT1_
                                        ; -- End function
	.section	.AMDGPU.csdata,"",@progbits
; Kernel info:
; codeLenInByte = 10808
; NumSgprs: 70
; NumVgprs: 167
; NumAgprs: 0
; TotalNumVgprs: 167
; ScratchSize: 8
; MemoryBound: 1
; FloatMode: 240
; IeeeMode: 1
; LDSByteSize: 57344 bytes/workgroup (compile time only)
; SGPRBlocks: 8
; VGPRBlocks: 20
; NumSGPRsForWavesPerEU: 70
; NumVGPRsForWavesPerEU: 167
; AccumOffset: 168
; Occupancy: 1
; WaveLimiterHint : 1
; COMPUTE_PGM_RSRC2:SCRATCH_EN: 1
; COMPUTE_PGM_RSRC2:USER_SGPR: 2
; COMPUTE_PGM_RSRC2:TRAP_HANDLER: 0
; COMPUTE_PGM_RSRC2:TGID_X_EN: 1
; COMPUTE_PGM_RSRC2:TGID_Y_EN: 0
; COMPUTE_PGM_RSRC2:TGID_Z_EN: 0
; COMPUTE_PGM_RSRC2:TIDIG_COMP_CNT: 0
; COMPUTE_PGM_RSRC3_GFX90A:ACCUM_OFFSET: 41
; COMPUTE_PGM_RSRC3_GFX90A:TG_SPLIT: 0
	.section	.text._ZN7rocprim17ROCPRIM_400000_NS6detail17trampoline_kernelINS0_14default_configENS1_20scan_config_selectorIN3c107complexIdEEEEZZNS1_9scan_implILNS1_25lookback_scan_determinismE0ELb0ELb0ES3_PKS7_PS7_S7_ZZZN2at6native31launch_logcumsumexp_cuda_kernelERKNSE_10TensorBaseESI_lENKUlvE_clEvENKUlvE1_clEvEUlS7_S7_E_S7_EEDaPvRmT3_T4_T5_mT6_P12ihipStream_tbENKUlT_T0_E_clISt17integral_constantIbLb0EESZ_EEDaSU_SV_EUlSU_E_NS1_11comp_targetILNS1_3genE4ELNS1_11target_archE910ELNS1_3gpuE8ELNS1_3repE0EEENS1_30default_config_static_selectorELNS0_4arch9wavefront6targetE1EEEvT1_,"axG",@progbits,_ZN7rocprim17ROCPRIM_400000_NS6detail17trampoline_kernelINS0_14default_configENS1_20scan_config_selectorIN3c107complexIdEEEEZZNS1_9scan_implILNS1_25lookback_scan_determinismE0ELb0ELb0ES3_PKS7_PS7_S7_ZZZN2at6native31launch_logcumsumexp_cuda_kernelERKNSE_10TensorBaseESI_lENKUlvE_clEvENKUlvE1_clEvEUlS7_S7_E_S7_EEDaPvRmT3_T4_T5_mT6_P12ihipStream_tbENKUlT_T0_E_clISt17integral_constantIbLb0EESZ_EEDaSU_SV_EUlSU_E_NS1_11comp_targetILNS1_3genE4ELNS1_11target_archE910ELNS1_3gpuE8ELNS1_3repE0EEENS1_30default_config_static_selectorELNS0_4arch9wavefront6targetE1EEEvT1_,comdat
	.globl	_ZN7rocprim17ROCPRIM_400000_NS6detail17trampoline_kernelINS0_14default_configENS1_20scan_config_selectorIN3c107complexIdEEEEZZNS1_9scan_implILNS1_25lookback_scan_determinismE0ELb0ELb0ES3_PKS7_PS7_S7_ZZZN2at6native31launch_logcumsumexp_cuda_kernelERKNSE_10TensorBaseESI_lENKUlvE_clEvENKUlvE1_clEvEUlS7_S7_E_S7_EEDaPvRmT3_T4_T5_mT6_P12ihipStream_tbENKUlT_T0_E_clISt17integral_constantIbLb0EESZ_EEDaSU_SV_EUlSU_E_NS1_11comp_targetILNS1_3genE4ELNS1_11target_archE910ELNS1_3gpuE8ELNS1_3repE0EEENS1_30default_config_static_selectorELNS0_4arch9wavefront6targetE1EEEvT1_ ; -- Begin function _ZN7rocprim17ROCPRIM_400000_NS6detail17trampoline_kernelINS0_14default_configENS1_20scan_config_selectorIN3c107complexIdEEEEZZNS1_9scan_implILNS1_25lookback_scan_determinismE0ELb0ELb0ES3_PKS7_PS7_S7_ZZZN2at6native31launch_logcumsumexp_cuda_kernelERKNSE_10TensorBaseESI_lENKUlvE_clEvENKUlvE1_clEvEUlS7_S7_E_S7_EEDaPvRmT3_T4_T5_mT6_P12ihipStream_tbENKUlT_T0_E_clISt17integral_constantIbLb0EESZ_EEDaSU_SV_EUlSU_E_NS1_11comp_targetILNS1_3genE4ELNS1_11target_archE910ELNS1_3gpuE8ELNS1_3repE0EEENS1_30default_config_static_selectorELNS0_4arch9wavefront6targetE1EEEvT1_
	.p2align	8
	.type	_ZN7rocprim17ROCPRIM_400000_NS6detail17trampoline_kernelINS0_14default_configENS1_20scan_config_selectorIN3c107complexIdEEEEZZNS1_9scan_implILNS1_25lookback_scan_determinismE0ELb0ELb0ES3_PKS7_PS7_S7_ZZZN2at6native31launch_logcumsumexp_cuda_kernelERKNSE_10TensorBaseESI_lENKUlvE_clEvENKUlvE1_clEvEUlS7_S7_E_S7_EEDaPvRmT3_T4_T5_mT6_P12ihipStream_tbENKUlT_T0_E_clISt17integral_constantIbLb0EESZ_EEDaSU_SV_EUlSU_E_NS1_11comp_targetILNS1_3genE4ELNS1_11target_archE910ELNS1_3gpuE8ELNS1_3repE0EEENS1_30default_config_static_selectorELNS0_4arch9wavefront6targetE1EEEvT1_,@function
_ZN7rocprim17ROCPRIM_400000_NS6detail17trampoline_kernelINS0_14default_configENS1_20scan_config_selectorIN3c107complexIdEEEEZZNS1_9scan_implILNS1_25lookback_scan_determinismE0ELb0ELb0ES3_PKS7_PS7_S7_ZZZN2at6native31launch_logcumsumexp_cuda_kernelERKNSE_10TensorBaseESI_lENKUlvE_clEvENKUlvE1_clEvEUlS7_S7_E_S7_EEDaPvRmT3_T4_T5_mT6_P12ihipStream_tbENKUlT_T0_E_clISt17integral_constantIbLb0EESZ_EEDaSU_SV_EUlSU_E_NS1_11comp_targetILNS1_3genE4ELNS1_11target_archE910ELNS1_3gpuE8ELNS1_3repE0EEENS1_30default_config_static_selectorELNS0_4arch9wavefront6targetE1EEEvT1_: ; @_ZN7rocprim17ROCPRIM_400000_NS6detail17trampoline_kernelINS0_14default_configENS1_20scan_config_selectorIN3c107complexIdEEEEZZNS1_9scan_implILNS1_25lookback_scan_determinismE0ELb0ELb0ES3_PKS7_PS7_S7_ZZZN2at6native31launch_logcumsumexp_cuda_kernelERKNSE_10TensorBaseESI_lENKUlvE_clEvENKUlvE1_clEvEUlS7_S7_E_S7_EEDaPvRmT3_T4_T5_mT6_P12ihipStream_tbENKUlT_T0_E_clISt17integral_constantIbLb0EESZ_EEDaSU_SV_EUlSU_E_NS1_11comp_targetILNS1_3genE4ELNS1_11target_archE910ELNS1_3gpuE8ELNS1_3repE0EEENS1_30default_config_static_selectorELNS0_4arch9wavefront6targetE1EEEvT1_
; %bb.0:
	.section	.rodata,"a",@progbits
	.p2align	6, 0x0
	.amdhsa_kernel _ZN7rocprim17ROCPRIM_400000_NS6detail17trampoline_kernelINS0_14default_configENS1_20scan_config_selectorIN3c107complexIdEEEEZZNS1_9scan_implILNS1_25lookback_scan_determinismE0ELb0ELb0ES3_PKS7_PS7_S7_ZZZN2at6native31launch_logcumsumexp_cuda_kernelERKNSE_10TensorBaseESI_lENKUlvE_clEvENKUlvE1_clEvEUlS7_S7_E_S7_EEDaPvRmT3_T4_T5_mT6_P12ihipStream_tbENKUlT_T0_E_clISt17integral_constantIbLb0EESZ_EEDaSU_SV_EUlSU_E_NS1_11comp_targetILNS1_3genE4ELNS1_11target_archE910ELNS1_3gpuE8ELNS1_3repE0EEENS1_30default_config_static_selectorELNS0_4arch9wavefront6targetE1EEEvT1_
		.amdhsa_group_segment_fixed_size 0
		.amdhsa_private_segment_fixed_size 0
		.amdhsa_kernarg_size 128
		.amdhsa_user_sgpr_count 2
		.amdhsa_user_sgpr_dispatch_ptr 0
		.amdhsa_user_sgpr_queue_ptr 0
		.amdhsa_user_sgpr_kernarg_segment_ptr 1
		.amdhsa_user_sgpr_dispatch_id 0
		.amdhsa_user_sgpr_kernarg_preload_length 0
		.amdhsa_user_sgpr_kernarg_preload_offset 0
		.amdhsa_user_sgpr_private_segment_size 0
		.amdhsa_uses_dynamic_stack 0
		.amdhsa_enable_private_segment 0
		.amdhsa_system_sgpr_workgroup_id_x 1
		.amdhsa_system_sgpr_workgroup_id_y 0
		.amdhsa_system_sgpr_workgroup_id_z 0
		.amdhsa_system_sgpr_workgroup_info 0
		.amdhsa_system_vgpr_workitem_id 0
		.amdhsa_next_free_vgpr 1
		.amdhsa_next_free_sgpr 0
		.amdhsa_accum_offset 4
		.amdhsa_reserve_vcc 0
		.amdhsa_float_round_mode_32 0
		.amdhsa_float_round_mode_16_64 0
		.amdhsa_float_denorm_mode_32 3
		.amdhsa_float_denorm_mode_16_64 3
		.amdhsa_dx10_clamp 1
		.amdhsa_ieee_mode 1
		.amdhsa_fp16_overflow 0
		.amdhsa_tg_split 0
		.amdhsa_exception_fp_ieee_invalid_op 0
		.amdhsa_exception_fp_denorm_src 0
		.amdhsa_exception_fp_ieee_div_zero 0
		.amdhsa_exception_fp_ieee_overflow 0
		.amdhsa_exception_fp_ieee_underflow 0
		.amdhsa_exception_fp_ieee_inexact 0
		.amdhsa_exception_int_div_zero 0
	.end_amdhsa_kernel
	.section	.text._ZN7rocprim17ROCPRIM_400000_NS6detail17trampoline_kernelINS0_14default_configENS1_20scan_config_selectorIN3c107complexIdEEEEZZNS1_9scan_implILNS1_25lookback_scan_determinismE0ELb0ELb0ES3_PKS7_PS7_S7_ZZZN2at6native31launch_logcumsumexp_cuda_kernelERKNSE_10TensorBaseESI_lENKUlvE_clEvENKUlvE1_clEvEUlS7_S7_E_S7_EEDaPvRmT3_T4_T5_mT6_P12ihipStream_tbENKUlT_T0_E_clISt17integral_constantIbLb0EESZ_EEDaSU_SV_EUlSU_E_NS1_11comp_targetILNS1_3genE4ELNS1_11target_archE910ELNS1_3gpuE8ELNS1_3repE0EEENS1_30default_config_static_selectorELNS0_4arch9wavefront6targetE1EEEvT1_,"axG",@progbits,_ZN7rocprim17ROCPRIM_400000_NS6detail17trampoline_kernelINS0_14default_configENS1_20scan_config_selectorIN3c107complexIdEEEEZZNS1_9scan_implILNS1_25lookback_scan_determinismE0ELb0ELb0ES3_PKS7_PS7_S7_ZZZN2at6native31launch_logcumsumexp_cuda_kernelERKNSE_10TensorBaseESI_lENKUlvE_clEvENKUlvE1_clEvEUlS7_S7_E_S7_EEDaPvRmT3_T4_T5_mT6_P12ihipStream_tbENKUlT_T0_E_clISt17integral_constantIbLb0EESZ_EEDaSU_SV_EUlSU_E_NS1_11comp_targetILNS1_3genE4ELNS1_11target_archE910ELNS1_3gpuE8ELNS1_3repE0EEENS1_30default_config_static_selectorELNS0_4arch9wavefront6targetE1EEEvT1_,comdat
.Lfunc_end186:
	.size	_ZN7rocprim17ROCPRIM_400000_NS6detail17trampoline_kernelINS0_14default_configENS1_20scan_config_selectorIN3c107complexIdEEEEZZNS1_9scan_implILNS1_25lookback_scan_determinismE0ELb0ELb0ES3_PKS7_PS7_S7_ZZZN2at6native31launch_logcumsumexp_cuda_kernelERKNSE_10TensorBaseESI_lENKUlvE_clEvENKUlvE1_clEvEUlS7_S7_E_S7_EEDaPvRmT3_T4_T5_mT6_P12ihipStream_tbENKUlT_T0_E_clISt17integral_constantIbLb0EESZ_EEDaSU_SV_EUlSU_E_NS1_11comp_targetILNS1_3genE4ELNS1_11target_archE910ELNS1_3gpuE8ELNS1_3repE0EEENS1_30default_config_static_selectorELNS0_4arch9wavefront6targetE1EEEvT1_, .Lfunc_end186-_ZN7rocprim17ROCPRIM_400000_NS6detail17trampoline_kernelINS0_14default_configENS1_20scan_config_selectorIN3c107complexIdEEEEZZNS1_9scan_implILNS1_25lookback_scan_determinismE0ELb0ELb0ES3_PKS7_PS7_S7_ZZZN2at6native31launch_logcumsumexp_cuda_kernelERKNSE_10TensorBaseESI_lENKUlvE_clEvENKUlvE1_clEvEUlS7_S7_E_S7_EEDaPvRmT3_T4_T5_mT6_P12ihipStream_tbENKUlT_T0_E_clISt17integral_constantIbLb0EESZ_EEDaSU_SV_EUlSU_E_NS1_11comp_targetILNS1_3genE4ELNS1_11target_archE910ELNS1_3gpuE8ELNS1_3repE0EEENS1_30default_config_static_selectorELNS0_4arch9wavefront6targetE1EEEvT1_
                                        ; -- End function
	.section	.AMDGPU.csdata,"",@progbits
; Kernel info:
; codeLenInByte = 0
; NumSgprs: 6
; NumVgprs: 0
; NumAgprs: 0
; TotalNumVgprs: 0
; ScratchSize: 0
; MemoryBound: 0
; FloatMode: 240
; IeeeMode: 1
; LDSByteSize: 0 bytes/workgroup (compile time only)
; SGPRBlocks: 0
; VGPRBlocks: 0
; NumSGPRsForWavesPerEU: 6
; NumVGPRsForWavesPerEU: 1
; AccumOffset: 4
; Occupancy: 8
; WaveLimiterHint : 0
; COMPUTE_PGM_RSRC2:SCRATCH_EN: 0
; COMPUTE_PGM_RSRC2:USER_SGPR: 2
; COMPUTE_PGM_RSRC2:TRAP_HANDLER: 0
; COMPUTE_PGM_RSRC2:TGID_X_EN: 1
; COMPUTE_PGM_RSRC2:TGID_Y_EN: 0
; COMPUTE_PGM_RSRC2:TGID_Z_EN: 0
; COMPUTE_PGM_RSRC2:TIDIG_COMP_CNT: 0
; COMPUTE_PGM_RSRC3_GFX90A:ACCUM_OFFSET: 0
; COMPUTE_PGM_RSRC3_GFX90A:TG_SPLIT: 0
	.section	.text._ZN7rocprim17ROCPRIM_400000_NS6detail17trampoline_kernelINS0_14default_configENS1_20scan_config_selectorIN3c107complexIdEEEEZZNS1_9scan_implILNS1_25lookback_scan_determinismE0ELb0ELb0ES3_PKS7_PS7_S7_ZZZN2at6native31launch_logcumsumexp_cuda_kernelERKNSE_10TensorBaseESI_lENKUlvE_clEvENKUlvE1_clEvEUlS7_S7_E_S7_EEDaPvRmT3_T4_T5_mT6_P12ihipStream_tbENKUlT_T0_E_clISt17integral_constantIbLb0EESZ_EEDaSU_SV_EUlSU_E_NS1_11comp_targetILNS1_3genE3ELNS1_11target_archE908ELNS1_3gpuE7ELNS1_3repE0EEENS1_30default_config_static_selectorELNS0_4arch9wavefront6targetE1EEEvT1_,"axG",@progbits,_ZN7rocprim17ROCPRIM_400000_NS6detail17trampoline_kernelINS0_14default_configENS1_20scan_config_selectorIN3c107complexIdEEEEZZNS1_9scan_implILNS1_25lookback_scan_determinismE0ELb0ELb0ES3_PKS7_PS7_S7_ZZZN2at6native31launch_logcumsumexp_cuda_kernelERKNSE_10TensorBaseESI_lENKUlvE_clEvENKUlvE1_clEvEUlS7_S7_E_S7_EEDaPvRmT3_T4_T5_mT6_P12ihipStream_tbENKUlT_T0_E_clISt17integral_constantIbLb0EESZ_EEDaSU_SV_EUlSU_E_NS1_11comp_targetILNS1_3genE3ELNS1_11target_archE908ELNS1_3gpuE7ELNS1_3repE0EEENS1_30default_config_static_selectorELNS0_4arch9wavefront6targetE1EEEvT1_,comdat
	.globl	_ZN7rocprim17ROCPRIM_400000_NS6detail17trampoline_kernelINS0_14default_configENS1_20scan_config_selectorIN3c107complexIdEEEEZZNS1_9scan_implILNS1_25lookback_scan_determinismE0ELb0ELb0ES3_PKS7_PS7_S7_ZZZN2at6native31launch_logcumsumexp_cuda_kernelERKNSE_10TensorBaseESI_lENKUlvE_clEvENKUlvE1_clEvEUlS7_S7_E_S7_EEDaPvRmT3_T4_T5_mT6_P12ihipStream_tbENKUlT_T0_E_clISt17integral_constantIbLb0EESZ_EEDaSU_SV_EUlSU_E_NS1_11comp_targetILNS1_3genE3ELNS1_11target_archE908ELNS1_3gpuE7ELNS1_3repE0EEENS1_30default_config_static_selectorELNS0_4arch9wavefront6targetE1EEEvT1_ ; -- Begin function _ZN7rocprim17ROCPRIM_400000_NS6detail17trampoline_kernelINS0_14default_configENS1_20scan_config_selectorIN3c107complexIdEEEEZZNS1_9scan_implILNS1_25lookback_scan_determinismE0ELb0ELb0ES3_PKS7_PS7_S7_ZZZN2at6native31launch_logcumsumexp_cuda_kernelERKNSE_10TensorBaseESI_lENKUlvE_clEvENKUlvE1_clEvEUlS7_S7_E_S7_EEDaPvRmT3_T4_T5_mT6_P12ihipStream_tbENKUlT_T0_E_clISt17integral_constantIbLb0EESZ_EEDaSU_SV_EUlSU_E_NS1_11comp_targetILNS1_3genE3ELNS1_11target_archE908ELNS1_3gpuE7ELNS1_3repE0EEENS1_30default_config_static_selectorELNS0_4arch9wavefront6targetE1EEEvT1_
	.p2align	8
	.type	_ZN7rocprim17ROCPRIM_400000_NS6detail17trampoline_kernelINS0_14default_configENS1_20scan_config_selectorIN3c107complexIdEEEEZZNS1_9scan_implILNS1_25lookback_scan_determinismE0ELb0ELb0ES3_PKS7_PS7_S7_ZZZN2at6native31launch_logcumsumexp_cuda_kernelERKNSE_10TensorBaseESI_lENKUlvE_clEvENKUlvE1_clEvEUlS7_S7_E_S7_EEDaPvRmT3_T4_T5_mT6_P12ihipStream_tbENKUlT_T0_E_clISt17integral_constantIbLb0EESZ_EEDaSU_SV_EUlSU_E_NS1_11comp_targetILNS1_3genE3ELNS1_11target_archE908ELNS1_3gpuE7ELNS1_3repE0EEENS1_30default_config_static_selectorELNS0_4arch9wavefront6targetE1EEEvT1_,@function
_ZN7rocprim17ROCPRIM_400000_NS6detail17trampoline_kernelINS0_14default_configENS1_20scan_config_selectorIN3c107complexIdEEEEZZNS1_9scan_implILNS1_25lookback_scan_determinismE0ELb0ELb0ES3_PKS7_PS7_S7_ZZZN2at6native31launch_logcumsumexp_cuda_kernelERKNSE_10TensorBaseESI_lENKUlvE_clEvENKUlvE1_clEvEUlS7_S7_E_S7_EEDaPvRmT3_T4_T5_mT6_P12ihipStream_tbENKUlT_T0_E_clISt17integral_constantIbLb0EESZ_EEDaSU_SV_EUlSU_E_NS1_11comp_targetILNS1_3genE3ELNS1_11target_archE908ELNS1_3gpuE7ELNS1_3repE0EEENS1_30default_config_static_selectorELNS0_4arch9wavefront6targetE1EEEvT1_: ; @_ZN7rocprim17ROCPRIM_400000_NS6detail17trampoline_kernelINS0_14default_configENS1_20scan_config_selectorIN3c107complexIdEEEEZZNS1_9scan_implILNS1_25lookback_scan_determinismE0ELb0ELb0ES3_PKS7_PS7_S7_ZZZN2at6native31launch_logcumsumexp_cuda_kernelERKNSE_10TensorBaseESI_lENKUlvE_clEvENKUlvE1_clEvEUlS7_S7_E_S7_EEDaPvRmT3_T4_T5_mT6_P12ihipStream_tbENKUlT_T0_E_clISt17integral_constantIbLb0EESZ_EEDaSU_SV_EUlSU_E_NS1_11comp_targetILNS1_3genE3ELNS1_11target_archE908ELNS1_3gpuE7ELNS1_3repE0EEENS1_30default_config_static_selectorELNS0_4arch9wavefront6targetE1EEEvT1_
; %bb.0:
	.section	.rodata,"a",@progbits
	.p2align	6, 0x0
	.amdhsa_kernel _ZN7rocprim17ROCPRIM_400000_NS6detail17trampoline_kernelINS0_14default_configENS1_20scan_config_selectorIN3c107complexIdEEEEZZNS1_9scan_implILNS1_25lookback_scan_determinismE0ELb0ELb0ES3_PKS7_PS7_S7_ZZZN2at6native31launch_logcumsumexp_cuda_kernelERKNSE_10TensorBaseESI_lENKUlvE_clEvENKUlvE1_clEvEUlS7_S7_E_S7_EEDaPvRmT3_T4_T5_mT6_P12ihipStream_tbENKUlT_T0_E_clISt17integral_constantIbLb0EESZ_EEDaSU_SV_EUlSU_E_NS1_11comp_targetILNS1_3genE3ELNS1_11target_archE908ELNS1_3gpuE7ELNS1_3repE0EEENS1_30default_config_static_selectorELNS0_4arch9wavefront6targetE1EEEvT1_
		.amdhsa_group_segment_fixed_size 0
		.amdhsa_private_segment_fixed_size 0
		.amdhsa_kernarg_size 128
		.amdhsa_user_sgpr_count 2
		.amdhsa_user_sgpr_dispatch_ptr 0
		.amdhsa_user_sgpr_queue_ptr 0
		.amdhsa_user_sgpr_kernarg_segment_ptr 1
		.amdhsa_user_sgpr_dispatch_id 0
		.amdhsa_user_sgpr_kernarg_preload_length 0
		.amdhsa_user_sgpr_kernarg_preload_offset 0
		.amdhsa_user_sgpr_private_segment_size 0
		.amdhsa_uses_dynamic_stack 0
		.amdhsa_enable_private_segment 0
		.amdhsa_system_sgpr_workgroup_id_x 1
		.amdhsa_system_sgpr_workgroup_id_y 0
		.amdhsa_system_sgpr_workgroup_id_z 0
		.amdhsa_system_sgpr_workgroup_info 0
		.amdhsa_system_vgpr_workitem_id 0
		.amdhsa_next_free_vgpr 1
		.amdhsa_next_free_sgpr 0
		.amdhsa_accum_offset 4
		.amdhsa_reserve_vcc 0
		.amdhsa_float_round_mode_32 0
		.amdhsa_float_round_mode_16_64 0
		.amdhsa_float_denorm_mode_32 3
		.amdhsa_float_denorm_mode_16_64 3
		.amdhsa_dx10_clamp 1
		.amdhsa_ieee_mode 1
		.amdhsa_fp16_overflow 0
		.amdhsa_tg_split 0
		.amdhsa_exception_fp_ieee_invalid_op 0
		.amdhsa_exception_fp_denorm_src 0
		.amdhsa_exception_fp_ieee_div_zero 0
		.amdhsa_exception_fp_ieee_overflow 0
		.amdhsa_exception_fp_ieee_underflow 0
		.amdhsa_exception_fp_ieee_inexact 0
		.amdhsa_exception_int_div_zero 0
	.end_amdhsa_kernel
	.section	.text._ZN7rocprim17ROCPRIM_400000_NS6detail17trampoline_kernelINS0_14default_configENS1_20scan_config_selectorIN3c107complexIdEEEEZZNS1_9scan_implILNS1_25lookback_scan_determinismE0ELb0ELb0ES3_PKS7_PS7_S7_ZZZN2at6native31launch_logcumsumexp_cuda_kernelERKNSE_10TensorBaseESI_lENKUlvE_clEvENKUlvE1_clEvEUlS7_S7_E_S7_EEDaPvRmT3_T4_T5_mT6_P12ihipStream_tbENKUlT_T0_E_clISt17integral_constantIbLb0EESZ_EEDaSU_SV_EUlSU_E_NS1_11comp_targetILNS1_3genE3ELNS1_11target_archE908ELNS1_3gpuE7ELNS1_3repE0EEENS1_30default_config_static_selectorELNS0_4arch9wavefront6targetE1EEEvT1_,"axG",@progbits,_ZN7rocprim17ROCPRIM_400000_NS6detail17trampoline_kernelINS0_14default_configENS1_20scan_config_selectorIN3c107complexIdEEEEZZNS1_9scan_implILNS1_25lookback_scan_determinismE0ELb0ELb0ES3_PKS7_PS7_S7_ZZZN2at6native31launch_logcumsumexp_cuda_kernelERKNSE_10TensorBaseESI_lENKUlvE_clEvENKUlvE1_clEvEUlS7_S7_E_S7_EEDaPvRmT3_T4_T5_mT6_P12ihipStream_tbENKUlT_T0_E_clISt17integral_constantIbLb0EESZ_EEDaSU_SV_EUlSU_E_NS1_11comp_targetILNS1_3genE3ELNS1_11target_archE908ELNS1_3gpuE7ELNS1_3repE0EEENS1_30default_config_static_selectorELNS0_4arch9wavefront6targetE1EEEvT1_,comdat
.Lfunc_end187:
	.size	_ZN7rocprim17ROCPRIM_400000_NS6detail17trampoline_kernelINS0_14default_configENS1_20scan_config_selectorIN3c107complexIdEEEEZZNS1_9scan_implILNS1_25lookback_scan_determinismE0ELb0ELb0ES3_PKS7_PS7_S7_ZZZN2at6native31launch_logcumsumexp_cuda_kernelERKNSE_10TensorBaseESI_lENKUlvE_clEvENKUlvE1_clEvEUlS7_S7_E_S7_EEDaPvRmT3_T4_T5_mT6_P12ihipStream_tbENKUlT_T0_E_clISt17integral_constantIbLb0EESZ_EEDaSU_SV_EUlSU_E_NS1_11comp_targetILNS1_3genE3ELNS1_11target_archE908ELNS1_3gpuE7ELNS1_3repE0EEENS1_30default_config_static_selectorELNS0_4arch9wavefront6targetE1EEEvT1_, .Lfunc_end187-_ZN7rocprim17ROCPRIM_400000_NS6detail17trampoline_kernelINS0_14default_configENS1_20scan_config_selectorIN3c107complexIdEEEEZZNS1_9scan_implILNS1_25lookback_scan_determinismE0ELb0ELb0ES3_PKS7_PS7_S7_ZZZN2at6native31launch_logcumsumexp_cuda_kernelERKNSE_10TensorBaseESI_lENKUlvE_clEvENKUlvE1_clEvEUlS7_S7_E_S7_EEDaPvRmT3_T4_T5_mT6_P12ihipStream_tbENKUlT_T0_E_clISt17integral_constantIbLb0EESZ_EEDaSU_SV_EUlSU_E_NS1_11comp_targetILNS1_3genE3ELNS1_11target_archE908ELNS1_3gpuE7ELNS1_3repE0EEENS1_30default_config_static_selectorELNS0_4arch9wavefront6targetE1EEEvT1_
                                        ; -- End function
	.section	.AMDGPU.csdata,"",@progbits
; Kernel info:
; codeLenInByte = 0
; NumSgprs: 6
; NumVgprs: 0
; NumAgprs: 0
; TotalNumVgprs: 0
; ScratchSize: 0
; MemoryBound: 0
; FloatMode: 240
; IeeeMode: 1
; LDSByteSize: 0 bytes/workgroup (compile time only)
; SGPRBlocks: 0
; VGPRBlocks: 0
; NumSGPRsForWavesPerEU: 6
; NumVGPRsForWavesPerEU: 1
; AccumOffset: 4
; Occupancy: 8
; WaveLimiterHint : 0
; COMPUTE_PGM_RSRC2:SCRATCH_EN: 0
; COMPUTE_PGM_RSRC2:USER_SGPR: 2
; COMPUTE_PGM_RSRC2:TRAP_HANDLER: 0
; COMPUTE_PGM_RSRC2:TGID_X_EN: 1
; COMPUTE_PGM_RSRC2:TGID_Y_EN: 0
; COMPUTE_PGM_RSRC2:TGID_Z_EN: 0
; COMPUTE_PGM_RSRC2:TIDIG_COMP_CNT: 0
; COMPUTE_PGM_RSRC3_GFX90A:ACCUM_OFFSET: 0
; COMPUTE_PGM_RSRC3_GFX90A:TG_SPLIT: 0
	.section	.text._ZN7rocprim17ROCPRIM_400000_NS6detail17trampoline_kernelINS0_14default_configENS1_20scan_config_selectorIN3c107complexIdEEEEZZNS1_9scan_implILNS1_25lookback_scan_determinismE0ELb0ELb0ES3_PKS7_PS7_S7_ZZZN2at6native31launch_logcumsumexp_cuda_kernelERKNSE_10TensorBaseESI_lENKUlvE_clEvENKUlvE1_clEvEUlS7_S7_E_S7_EEDaPvRmT3_T4_T5_mT6_P12ihipStream_tbENKUlT_T0_E_clISt17integral_constantIbLb0EESZ_EEDaSU_SV_EUlSU_E_NS1_11comp_targetILNS1_3genE2ELNS1_11target_archE906ELNS1_3gpuE6ELNS1_3repE0EEENS1_30default_config_static_selectorELNS0_4arch9wavefront6targetE1EEEvT1_,"axG",@progbits,_ZN7rocprim17ROCPRIM_400000_NS6detail17trampoline_kernelINS0_14default_configENS1_20scan_config_selectorIN3c107complexIdEEEEZZNS1_9scan_implILNS1_25lookback_scan_determinismE0ELb0ELb0ES3_PKS7_PS7_S7_ZZZN2at6native31launch_logcumsumexp_cuda_kernelERKNSE_10TensorBaseESI_lENKUlvE_clEvENKUlvE1_clEvEUlS7_S7_E_S7_EEDaPvRmT3_T4_T5_mT6_P12ihipStream_tbENKUlT_T0_E_clISt17integral_constantIbLb0EESZ_EEDaSU_SV_EUlSU_E_NS1_11comp_targetILNS1_3genE2ELNS1_11target_archE906ELNS1_3gpuE6ELNS1_3repE0EEENS1_30default_config_static_selectorELNS0_4arch9wavefront6targetE1EEEvT1_,comdat
	.globl	_ZN7rocprim17ROCPRIM_400000_NS6detail17trampoline_kernelINS0_14default_configENS1_20scan_config_selectorIN3c107complexIdEEEEZZNS1_9scan_implILNS1_25lookback_scan_determinismE0ELb0ELb0ES3_PKS7_PS7_S7_ZZZN2at6native31launch_logcumsumexp_cuda_kernelERKNSE_10TensorBaseESI_lENKUlvE_clEvENKUlvE1_clEvEUlS7_S7_E_S7_EEDaPvRmT3_T4_T5_mT6_P12ihipStream_tbENKUlT_T0_E_clISt17integral_constantIbLb0EESZ_EEDaSU_SV_EUlSU_E_NS1_11comp_targetILNS1_3genE2ELNS1_11target_archE906ELNS1_3gpuE6ELNS1_3repE0EEENS1_30default_config_static_selectorELNS0_4arch9wavefront6targetE1EEEvT1_ ; -- Begin function _ZN7rocprim17ROCPRIM_400000_NS6detail17trampoline_kernelINS0_14default_configENS1_20scan_config_selectorIN3c107complexIdEEEEZZNS1_9scan_implILNS1_25lookback_scan_determinismE0ELb0ELb0ES3_PKS7_PS7_S7_ZZZN2at6native31launch_logcumsumexp_cuda_kernelERKNSE_10TensorBaseESI_lENKUlvE_clEvENKUlvE1_clEvEUlS7_S7_E_S7_EEDaPvRmT3_T4_T5_mT6_P12ihipStream_tbENKUlT_T0_E_clISt17integral_constantIbLb0EESZ_EEDaSU_SV_EUlSU_E_NS1_11comp_targetILNS1_3genE2ELNS1_11target_archE906ELNS1_3gpuE6ELNS1_3repE0EEENS1_30default_config_static_selectorELNS0_4arch9wavefront6targetE1EEEvT1_
	.p2align	8
	.type	_ZN7rocprim17ROCPRIM_400000_NS6detail17trampoline_kernelINS0_14default_configENS1_20scan_config_selectorIN3c107complexIdEEEEZZNS1_9scan_implILNS1_25lookback_scan_determinismE0ELb0ELb0ES3_PKS7_PS7_S7_ZZZN2at6native31launch_logcumsumexp_cuda_kernelERKNSE_10TensorBaseESI_lENKUlvE_clEvENKUlvE1_clEvEUlS7_S7_E_S7_EEDaPvRmT3_T4_T5_mT6_P12ihipStream_tbENKUlT_T0_E_clISt17integral_constantIbLb0EESZ_EEDaSU_SV_EUlSU_E_NS1_11comp_targetILNS1_3genE2ELNS1_11target_archE906ELNS1_3gpuE6ELNS1_3repE0EEENS1_30default_config_static_selectorELNS0_4arch9wavefront6targetE1EEEvT1_,@function
_ZN7rocprim17ROCPRIM_400000_NS6detail17trampoline_kernelINS0_14default_configENS1_20scan_config_selectorIN3c107complexIdEEEEZZNS1_9scan_implILNS1_25lookback_scan_determinismE0ELb0ELb0ES3_PKS7_PS7_S7_ZZZN2at6native31launch_logcumsumexp_cuda_kernelERKNSE_10TensorBaseESI_lENKUlvE_clEvENKUlvE1_clEvEUlS7_S7_E_S7_EEDaPvRmT3_T4_T5_mT6_P12ihipStream_tbENKUlT_T0_E_clISt17integral_constantIbLb0EESZ_EEDaSU_SV_EUlSU_E_NS1_11comp_targetILNS1_3genE2ELNS1_11target_archE906ELNS1_3gpuE6ELNS1_3repE0EEENS1_30default_config_static_selectorELNS0_4arch9wavefront6targetE1EEEvT1_: ; @_ZN7rocprim17ROCPRIM_400000_NS6detail17trampoline_kernelINS0_14default_configENS1_20scan_config_selectorIN3c107complexIdEEEEZZNS1_9scan_implILNS1_25lookback_scan_determinismE0ELb0ELb0ES3_PKS7_PS7_S7_ZZZN2at6native31launch_logcumsumexp_cuda_kernelERKNSE_10TensorBaseESI_lENKUlvE_clEvENKUlvE1_clEvEUlS7_S7_E_S7_EEDaPvRmT3_T4_T5_mT6_P12ihipStream_tbENKUlT_T0_E_clISt17integral_constantIbLb0EESZ_EEDaSU_SV_EUlSU_E_NS1_11comp_targetILNS1_3genE2ELNS1_11target_archE906ELNS1_3gpuE6ELNS1_3repE0EEENS1_30default_config_static_selectorELNS0_4arch9wavefront6targetE1EEEvT1_
; %bb.0:
	.section	.rodata,"a",@progbits
	.p2align	6, 0x0
	.amdhsa_kernel _ZN7rocprim17ROCPRIM_400000_NS6detail17trampoline_kernelINS0_14default_configENS1_20scan_config_selectorIN3c107complexIdEEEEZZNS1_9scan_implILNS1_25lookback_scan_determinismE0ELb0ELb0ES3_PKS7_PS7_S7_ZZZN2at6native31launch_logcumsumexp_cuda_kernelERKNSE_10TensorBaseESI_lENKUlvE_clEvENKUlvE1_clEvEUlS7_S7_E_S7_EEDaPvRmT3_T4_T5_mT6_P12ihipStream_tbENKUlT_T0_E_clISt17integral_constantIbLb0EESZ_EEDaSU_SV_EUlSU_E_NS1_11comp_targetILNS1_3genE2ELNS1_11target_archE906ELNS1_3gpuE6ELNS1_3repE0EEENS1_30default_config_static_selectorELNS0_4arch9wavefront6targetE1EEEvT1_
		.amdhsa_group_segment_fixed_size 0
		.amdhsa_private_segment_fixed_size 0
		.amdhsa_kernarg_size 128
		.amdhsa_user_sgpr_count 2
		.amdhsa_user_sgpr_dispatch_ptr 0
		.amdhsa_user_sgpr_queue_ptr 0
		.amdhsa_user_sgpr_kernarg_segment_ptr 1
		.amdhsa_user_sgpr_dispatch_id 0
		.amdhsa_user_sgpr_kernarg_preload_length 0
		.amdhsa_user_sgpr_kernarg_preload_offset 0
		.amdhsa_user_sgpr_private_segment_size 0
		.amdhsa_uses_dynamic_stack 0
		.amdhsa_enable_private_segment 0
		.amdhsa_system_sgpr_workgroup_id_x 1
		.amdhsa_system_sgpr_workgroup_id_y 0
		.amdhsa_system_sgpr_workgroup_id_z 0
		.amdhsa_system_sgpr_workgroup_info 0
		.amdhsa_system_vgpr_workitem_id 0
		.amdhsa_next_free_vgpr 1
		.amdhsa_next_free_sgpr 0
		.amdhsa_accum_offset 4
		.amdhsa_reserve_vcc 0
		.amdhsa_float_round_mode_32 0
		.amdhsa_float_round_mode_16_64 0
		.amdhsa_float_denorm_mode_32 3
		.amdhsa_float_denorm_mode_16_64 3
		.amdhsa_dx10_clamp 1
		.amdhsa_ieee_mode 1
		.amdhsa_fp16_overflow 0
		.amdhsa_tg_split 0
		.amdhsa_exception_fp_ieee_invalid_op 0
		.amdhsa_exception_fp_denorm_src 0
		.amdhsa_exception_fp_ieee_div_zero 0
		.amdhsa_exception_fp_ieee_overflow 0
		.amdhsa_exception_fp_ieee_underflow 0
		.amdhsa_exception_fp_ieee_inexact 0
		.amdhsa_exception_int_div_zero 0
	.end_amdhsa_kernel
	.section	.text._ZN7rocprim17ROCPRIM_400000_NS6detail17trampoline_kernelINS0_14default_configENS1_20scan_config_selectorIN3c107complexIdEEEEZZNS1_9scan_implILNS1_25lookback_scan_determinismE0ELb0ELb0ES3_PKS7_PS7_S7_ZZZN2at6native31launch_logcumsumexp_cuda_kernelERKNSE_10TensorBaseESI_lENKUlvE_clEvENKUlvE1_clEvEUlS7_S7_E_S7_EEDaPvRmT3_T4_T5_mT6_P12ihipStream_tbENKUlT_T0_E_clISt17integral_constantIbLb0EESZ_EEDaSU_SV_EUlSU_E_NS1_11comp_targetILNS1_3genE2ELNS1_11target_archE906ELNS1_3gpuE6ELNS1_3repE0EEENS1_30default_config_static_selectorELNS0_4arch9wavefront6targetE1EEEvT1_,"axG",@progbits,_ZN7rocprim17ROCPRIM_400000_NS6detail17trampoline_kernelINS0_14default_configENS1_20scan_config_selectorIN3c107complexIdEEEEZZNS1_9scan_implILNS1_25lookback_scan_determinismE0ELb0ELb0ES3_PKS7_PS7_S7_ZZZN2at6native31launch_logcumsumexp_cuda_kernelERKNSE_10TensorBaseESI_lENKUlvE_clEvENKUlvE1_clEvEUlS7_S7_E_S7_EEDaPvRmT3_T4_T5_mT6_P12ihipStream_tbENKUlT_T0_E_clISt17integral_constantIbLb0EESZ_EEDaSU_SV_EUlSU_E_NS1_11comp_targetILNS1_3genE2ELNS1_11target_archE906ELNS1_3gpuE6ELNS1_3repE0EEENS1_30default_config_static_selectorELNS0_4arch9wavefront6targetE1EEEvT1_,comdat
.Lfunc_end188:
	.size	_ZN7rocprim17ROCPRIM_400000_NS6detail17trampoline_kernelINS0_14default_configENS1_20scan_config_selectorIN3c107complexIdEEEEZZNS1_9scan_implILNS1_25lookback_scan_determinismE0ELb0ELb0ES3_PKS7_PS7_S7_ZZZN2at6native31launch_logcumsumexp_cuda_kernelERKNSE_10TensorBaseESI_lENKUlvE_clEvENKUlvE1_clEvEUlS7_S7_E_S7_EEDaPvRmT3_T4_T5_mT6_P12ihipStream_tbENKUlT_T0_E_clISt17integral_constantIbLb0EESZ_EEDaSU_SV_EUlSU_E_NS1_11comp_targetILNS1_3genE2ELNS1_11target_archE906ELNS1_3gpuE6ELNS1_3repE0EEENS1_30default_config_static_selectorELNS0_4arch9wavefront6targetE1EEEvT1_, .Lfunc_end188-_ZN7rocprim17ROCPRIM_400000_NS6detail17trampoline_kernelINS0_14default_configENS1_20scan_config_selectorIN3c107complexIdEEEEZZNS1_9scan_implILNS1_25lookback_scan_determinismE0ELb0ELb0ES3_PKS7_PS7_S7_ZZZN2at6native31launch_logcumsumexp_cuda_kernelERKNSE_10TensorBaseESI_lENKUlvE_clEvENKUlvE1_clEvEUlS7_S7_E_S7_EEDaPvRmT3_T4_T5_mT6_P12ihipStream_tbENKUlT_T0_E_clISt17integral_constantIbLb0EESZ_EEDaSU_SV_EUlSU_E_NS1_11comp_targetILNS1_3genE2ELNS1_11target_archE906ELNS1_3gpuE6ELNS1_3repE0EEENS1_30default_config_static_selectorELNS0_4arch9wavefront6targetE1EEEvT1_
                                        ; -- End function
	.section	.AMDGPU.csdata,"",@progbits
; Kernel info:
; codeLenInByte = 0
; NumSgprs: 6
; NumVgprs: 0
; NumAgprs: 0
; TotalNumVgprs: 0
; ScratchSize: 0
; MemoryBound: 0
; FloatMode: 240
; IeeeMode: 1
; LDSByteSize: 0 bytes/workgroup (compile time only)
; SGPRBlocks: 0
; VGPRBlocks: 0
; NumSGPRsForWavesPerEU: 6
; NumVGPRsForWavesPerEU: 1
; AccumOffset: 4
; Occupancy: 8
; WaveLimiterHint : 0
; COMPUTE_PGM_RSRC2:SCRATCH_EN: 0
; COMPUTE_PGM_RSRC2:USER_SGPR: 2
; COMPUTE_PGM_RSRC2:TRAP_HANDLER: 0
; COMPUTE_PGM_RSRC2:TGID_X_EN: 1
; COMPUTE_PGM_RSRC2:TGID_Y_EN: 0
; COMPUTE_PGM_RSRC2:TGID_Z_EN: 0
; COMPUTE_PGM_RSRC2:TIDIG_COMP_CNT: 0
; COMPUTE_PGM_RSRC3_GFX90A:ACCUM_OFFSET: 0
; COMPUTE_PGM_RSRC3_GFX90A:TG_SPLIT: 0
	.section	.text._ZN7rocprim17ROCPRIM_400000_NS6detail17trampoline_kernelINS0_14default_configENS1_20scan_config_selectorIN3c107complexIdEEEEZZNS1_9scan_implILNS1_25lookback_scan_determinismE0ELb0ELb0ES3_PKS7_PS7_S7_ZZZN2at6native31launch_logcumsumexp_cuda_kernelERKNSE_10TensorBaseESI_lENKUlvE_clEvENKUlvE1_clEvEUlS7_S7_E_S7_EEDaPvRmT3_T4_T5_mT6_P12ihipStream_tbENKUlT_T0_E_clISt17integral_constantIbLb0EESZ_EEDaSU_SV_EUlSU_E_NS1_11comp_targetILNS1_3genE10ELNS1_11target_archE1201ELNS1_3gpuE5ELNS1_3repE0EEENS1_30default_config_static_selectorELNS0_4arch9wavefront6targetE1EEEvT1_,"axG",@progbits,_ZN7rocprim17ROCPRIM_400000_NS6detail17trampoline_kernelINS0_14default_configENS1_20scan_config_selectorIN3c107complexIdEEEEZZNS1_9scan_implILNS1_25lookback_scan_determinismE0ELb0ELb0ES3_PKS7_PS7_S7_ZZZN2at6native31launch_logcumsumexp_cuda_kernelERKNSE_10TensorBaseESI_lENKUlvE_clEvENKUlvE1_clEvEUlS7_S7_E_S7_EEDaPvRmT3_T4_T5_mT6_P12ihipStream_tbENKUlT_T0_E_clISt17integral_constantIbLb0EESZ_EEDaSU_SV_EUlSU_E_NS1_11comp_targetILNS1_3genE10ELNS1_11target_archE1201ELNS1_3gpuE5ELNS1_3repE0EEENS1_30default_config_static_selectorELNS0_4arch9wavefront6targetE1EEEvT1_,comdat
	.globl	_ZN7rocprim17ROCPRIM_400000_NS6detail17trampoline_kernelINS0_14default_configENS1_20scan_config_selectorIN3c107complexIdEEEEZZNS1_9scan_implILNS1_25lookback_scan_determinismE0ELb0ELb0ES3_PKS7_PS7_S7_ZZZN2at6native31launch_logcumsumexp_cuda_kernelERKNSE_10TensorBaseESI_lENKUlvE_clEvENKUlvE1_clEvEUlS7_S7_E_S7_EEDaPvRmT3_T4_T5_mT6_P12ihipStream_tbENKUlT_T0_E_clISt17integral_constantIbLb0EESZ_EEDaSU_SV_EUlSU_E_NS1_11comp_targetILNS1_3genE10ELNS1_11target_archE1201ELNS1_3gpuE5ELNS1_3repE0EEENS1_30default_config_static_selectorELNS0_4arch9wavefront6targetE1EEEvT1_ ; -- Begin function _ZN7rocprim17ROCPRIM_400000_NS6detail17trampoline_kernelINS0_14default_configENS1_20scan_config_selectorIN3c107complexIdEEEEZZNS1_9scan_implILNS1_25lookback_scan_determinismE0ELb0ELb0ES3_PKS7_PS7_S7_ZZZN2at6native31launch_logcumsumexp_cuda_kernelERKNSE_10TensorBaseESI_lENKUlvE_clEvENKUlvE1_clEvEUlS7_S7_E_S7_EEDaPvRmT3_T4_T5_mT6_P12ihipStream_tbENKUlT_T0_E_clISt17integral_constantIbLb0EESZ_EEDaSU_SV_EUlSU_E_NS1_11comp_targetILNS1_3genE10ELNS1_11target_archE1201ELNS1_3gpuE5ELNS1_3repE0EEENS1_30default_config_static_selectorELNS0_4arch9wavefront6targetE1EEEvT1_
	.p2align	8
	.type	_ZN7rocprim17ROCPRIM_400000_NS6detail17trampoline_kernelINS0_14default_configENS1_20scan_config_selectorIN3c107complexIdEEEEZZNS1_9scan_implILNS1_25lookback_scan_determinismE0ELb0ELb0ES3_PKS7_PS7_S7_ZZZN2at6native31launch_logcumsumexp_cuda_kernelERKNSE_10TensorBaseESI_lENKUlvE_clEvENKUlvE1_clEvEUlS7_S7_E_S7_EEDaPvRmT3_T4_T5_mT6_P12ihipStream_tbENKUlT_T0_E_clISt17integral_constantIbLb0EESZ_EEDaSU_SV_EUlSU_E_NS1_11comp_targetILNS1_3genE10ELNS1_11target_archE1201ELNS1_3gpuE5ELNS1_3repE0EEENS1_30default_config_static_selectorELNS0_4arch9wavefront6targetE1EEEvT1_,@function
_ZN7rocprim17ROCPRIM_400000_NS6detail17trampoline_kernelINS0_14default_configENS1_20scan_config_selectorIN3c107complexIdEEEEZZNS1_9scan_implILNS1_25lookback_scan_determinismE0ELb0ELb0ES3_PKS7_PS7_S7_ZZZN2at6native31launch_logcumsumexp_cuda_kernelERKNSE_10TensorBaseESI_lENKUlvE_clEvENKUlvE1_clEvEUlS7_S7_E_S7_EEDaPvRmT3_T4_T5_mT6_P12ihipStream_tbENKUlT_T0_E_clISt17integral_constantIbLb0EESZ_EEDaSU_SV_EUlSU_E_NS1_11comp_targetILNS1_3genE10ELNS1_11target_archE1201ELNS1_3gpuE5ELNS1_3repE0EEENS1_30default_config_static_selectorELNS0_4arch9wavefront6targetE1EEEvT1_: ; @_ZN7rocprim17ROCPRIM_400000_NS6detail17trampoline_kernelINS0_14default_configENS1_20scan_config_selectorIN3c107complexIdEEEEZZNS1_9scan_implILNS1_25lookback_scan_determinismE0ELb0ELb0ES3_PKS7_PS7_S7_ZZZN2at6native31launch_logcumsumexp_cuda_kernelERKNSE_10TensorBaseESI_lENKUlvE_clEvENKUlvE1_clEvEUlS7_S7_E_S7_EEDaPvRmT3_T4_T5_mT6_P12ihipStream_tbENKUlT_T0_E_clISt17integral_constantIbLb0EESZ_EEDaSU_SV_EUlSU_E_NS1_11comp_targetILNS1_3genE10ELNS1_11target_archE1201ELNS1_3gpuE5ELNS1_3repE0EEENS1_30default_config_static_selectorELNS0_4arch9wavefront6targetE1EEEvT1_
; %bb.0:
	.section	.rodata,"a",@progbits
	.p2align	6, 0x0
	.amdhsa_kernel _ZN7rocprim17ROCPRIM_400000_NS6detail17trampoline_kernelINS0_14default_configENS1_20scan_config_selectorIN3c107complexIdEEEEZZNS1_9scan_implILNS1_25lookback_scan_determinismE0ELb0ELb0ES3_PKS7_PS7_S7_ZZZN2at6native31launch_logcumsumexp_cuda_kernelERKNSE_10TensorBaseESI_lENKUlvE_clEvENKUlvE1_clEvEUlS7_S7_E_S7_EEDaPvRmT3_T4_T5_mT6_P12ihipStream_tbENKUlT_T0_E_clISt17integral_constantIbLb0EESZ_EEDaSU_SV_EUlSU_E_NS1_11comp_targetILNS1_3genE10ELNS1_11target_archE1201ELNS1_3gpuE5ELNS1_3repE0EEENS1_30default_config_static_selectorELNS0_4arch9wavefront6targetE1EEEvT1_
		.amdhsa_group_segment_fixed_size 0
		.amdhsa_private_segment_fixed_size 0
		.amdhsa_kernarg_size 128
		.amdhsa_user_sgpr_count 2
		.amdhsa_user_sgpr_dispatch_ptr 0
		.amdhsa_user_sgpr_queue_ptr 0
		.amdhsa_user_sgpr_kernarg_segment_ptr 1
		.amdhsa_user_sgpr_dispatch_id 0
		.amdhsa_user_sgpr_kernarg_preload_length 0
		.amdhsa_user_sgpr_kernarg_preload_offset 0
		.amdhsa_user_sgpr_private_segment_size 0
		.amdhsa_uses_dynamic_stack 0
		.amdhsa_enable_private_segment 0
		.amdhsa_system_sgpr_workgroup_id_x 1
		.amdhsa_system_sgpr_workgroup_id_y 0
		.amdhsa_system_sgpr_workgroup_id_z 0
		.amdhsa_system_sgpr_workgroup_info 0
		.amdhsa_system_vgpr_workitem_id 0
		.amdhsa_next_free_vgpr 1
		.amdhsa_next_free_sgpr 0
		.amdhsa_accum_offset 4
		.amdhsa_reserve_vcc 0
		.amdhsa_float_round_mode_32 0
		.amdhsa_float_round_mode_16_64 0
		.amdhsa_float_denorm_mode_32 3
		.amdhsa_float_denorm_mode_16_64 3
		.amdhsa_dx10_clamp 1
		.amdhsa_ieee_mode 1
		.amdhsa_fp16_overflow 0
		.amdhsa_tg_split 0
		.amdhsa_exception_fp_ieee_invalid_op 0
		.amdhsa_exception_fp_denorm_src 0
		.amdhsa_exception_fp_ieee_div_zero 0
		.amdhsa_exception_fp_ieee_overflow 0
		.amdhsa_exception_fp_ieee_underflow 0
		.amdhsa_exception_fp_ieee_inexact 0
		.amdhsa_exception_int_div_zero 0
	.end_amdhsa_kernel
	.section	.text._ZN7rocprim17ROCPRIM_400000_NS6detail17trampoline_kernelINS0_14default_configENS1_20scan_config_selectorIN3c107complexIdEEEEZZNS1_9scan_implILNS1_25lookback_scan_determinismE0ELb0ELb0ES3_PKS7_PS7_S7_ZZZN2at6native31launch_logcumsumexp_cuda_kernelERKNSE_10TensorBaseESI_lENKUlvE_clEvENKUlvE1_clEvEUlS7_S7_E_S7_EEDaPvRmT3_T4_T5_mT6_P12ihipStream_tbENKUlT_T0_E_clISt17integral_constantIbLb0EESZ_EEDaSU_SV_EUlSU_E_NS1_11comp_targetILNS1_3genE10ELNS1_11target_archE1201ELNS1_3gpuE5ELNS1_3repE0EEENS1_30default_config_static_selectorELNS0_4arch9wavefront6targetE1EEEvT1_,"axG",@progbits,_ZN7rocprim17ROCPRIM_400000_NS6detail17trampoline_kernelINS0_14default_configENS1_20scan_config_selectorIN3c107complexIdEEEEZZNS1_9scan_implILNS1_25lookback_scan_determinismE0ELb0ELb0ES3_PKS7_PS7_S7_ZZZN2at6native31launch_logcumsumexp_cuda_kernelERKNSE_10TensorBaseESI_lENKUlvE_clEvENKUlvE1_clEvEUlS7_S7_E_S7_EEDaPvRmT3_T4_T5_mT6_P12ihipStream_tbENKUlT_T0_E_clISt17integral_constantIbLb0EESZ_EEDaSU_SV_EUlSU_E_NS1_11comp_targetILNS1_3genE10ELNS1_11target_archE1201ELNS1_3gpuE5ELNS1_3repE0EEENS1_30default_config_static_selectorELNS0_4arch9wavefront6targetE1EEEvT1_,comdat
.Lfunc_end189:
	.size	_ZN7rocprim17ROCPRIM_400000_NS6detail17trampoline_kernelINS0_14default_configENS1_20scan_config_selectorIN3c107complexIdEEEEZZNS1_9scan_implILNS1_25lookback_scan_determinismE0ELb0ELb0ES3_PKS7_PS7_S7_ZZZN2at6native31launch_logcumsumexp_cuda_kernelERKNSE_10TensorBaseESI_lENKUlvE_clEvENKUlvE1_clEvEUlS7_S7_E_S7_EEDaPvRmT3_T4_T5_mT6_P12ihipStream_tbENKUlT_T0_E_clISt17integral_constantIbLb0EESZ_EEDaSU_SV_EUlSU_E_NS1_11comp_targetILNS1_3genE10ELNS1_11target_archE1201ELNS1_3gpuE5ELNS1_3repE0EEENS1_30default_config_static_selectorELNS0_4arch9wavefront6targetE1EEEvT1_, .Lfunc_end189-_ZN7rocprim17ROCPRIM_400000_NS6detail17trampoline_kernelINS0_14default_configENS1_20scan_config_selectorIN3c107complexIdEEEEZZNS1_9scan_implILNS1_25lookback_scan_determinismE0ELb0ELb0ES3_PKS7_PS7_S7_ZZZN2at6native31launch_logcumsumexp_cuda_kernelERKNSE_10TensorBaseESI_lENKUlvE_clEvENKUlvE1_clEvEUlS7_S7_E_S7_EEDaPvRmT3_T4_T5_mT6_P12ihipStream_tbENKUlT_T0_E_clISt17integral_constantIbLb0EESZ_EEDaSU_SV_EUlSU_E_NS1_11comp_targetILNS1_3genE10ELNS1_11target_archE1201ELNS1_3gpuE5ELNS1_3repE0EEENS1_30default_config_static_selectorELNS0_4arch9wavefront6targetE1EEEvT1_
                                        ; -- End function
	.section	.AMDGPU.csdata,"",@progbits
; Kernel info:
; codeLenInByte = 0
; NumSgprs: 6
; NumVgprs: 0
; NumAgprs: 0
; TotalNumVgprs: 0
; ScratchSize: 0
; MemoryBound: 0
; FloatMode: 240
; IeeeMode: 1
; LDSByteSize: 0 bytes/workgroup (compile time only)
; SGPRBlocks: 0
; VGPRBlocks: 0
; NumSGPRsForWavesPerEU: 6
; NumVGPRsForWavesPerEU: 1
; AccumOffset: 4
; Occupancy: 8
; WaveLimiterHint : 0
; COMPUTE_PGM_RSRC2:SCRATCH_EN: 0
; COMPUTE_PGM_RSRC2:USER_SGPR: 2
; COMPUTE_PGM_RSRC2:TRAP_HANDLER: 0
; COMPUTE_PGM_RSRC2:TGID_X_EN: 1
; COMPUTE_PGM_RSRC2:TGID_Y_EN: 0
; COMPUTE_PGM_RSRC2:TGID_Z_EN: 0
; COMPUTE_PGM_RSRC2:TIDIG_COMP_CNT: 0
; COMPUTE_PGM_RSRC3_GFX90A:ACCUM_OFFSET: 0
; COMPUTE_PGM_RSRC3_GFX90A:TG_SPLIT: 0
	.section	.text._ZN7rocprim17ROCPRIM_400000_NS6detail17trampoline_kernelINS0_14default_configENS1_20scan_config_selectorIN3c107complexIdEEEEZZNS1_9scan_implILNS1_25lookback_scan_determinismE0ELb0ELb0ES3_PKS7_PS7_S7_ZZZN2at6native31launch_logcumsumexp_cuda_kernelERKNSE_10TensorBaseESI_lENKUlvE_clEvENKUlvE1_clEvEUlS7_S7_E_S7_EEDaPvRmT3_T4_T5_mT6_P12ihipStream_tbENKUlT_T0_E_clISt17integral_constantIbLb0EESZ_EEDaSU_SV_EUlSU_E_NS1_11comp_targetILNS1_3genE10ELNS1_11target_archE1200ELNS1_3gpuE4ELNS1_3repE0EEENS1_30default_config_static_selectorELNS0_4arch9wavefront6targetE1EEEvT1_,"axG",@progbits,_ZN7rocprim17ROCPRIM_400000_NS6detail17trampoline_kernelINS0_14default_configENS1_20scan_config_selectorIN3c107complexIdEEEEZZNS1_9scan_implILNS1_25lookback_scan_determinismE0ELb0ELb0ES3_PKS7_PS7_S7_ZZZN2at6native31launch_logcumsumexp_cuda_kernelERKNSE_10TensorBaseESI_lENKUlvE_clEvENKUlvE1_clEvEUlS7_S7_E_S7_EEDaPvRmT3_T4_T5_mT6_P12ihipStream_tbENKUlT_T0_E_clISt17integral_constantIbLb0EESZ_EEDaSU_SV_EUlSU_E_NS1_11comp_targetILNS1_3genE10ELNS1_11target_archE1200ELNS1_3gpuE4ELNS1_3repE0EEENS1_30default_config_static_selectorELNS0_4arch9wavefront6targetE1EEEvT1_,comdat
	.globl	_ZN7rocprim17ROCPRIM_400000_NS6detail17trampoline_kernelINS0_14default_configENS1_20scan_config_selectorIN3c107complexIdEEEEZZNS1_9scan_implILNS1_25lookback_scan_determinismE0ELb0ELb0ES3_PKS7_PS7_S7_ZZZN2at6native31launch_logcumsumexp_cuda_kernelERKNSE_10TensorBaseESI_lENKUlvE_clEvENKUlvE1_clEvEUlS7_S7_E_S7_EEDaPvRmT3_T4_T5_mT6_P12ihipStream_tbENKUlT_T0_E_clISt17integral_constantIbLb0EESZ_EEDaSU_SV_EUlSU_E_NS1_11comp_targetILNS1_3genE10ELNS1_11target_archE1200ELNS1_3gpuE4ELNS1_3repE0EEENS1_30default_config_static_selectorELNS0_4arch9wavefront6targetE1EEEvT1_ ; -- Begin function _ZN7rocprim17ROCPRIM_400000_NS6detail17trampoline_kernelINS0_14default_configENS1_20scan_config_selectorIN3c107complexIdEEEEZZNS1_9scan_implILNS1_25lookback_scan_determinismE0ELb0ELb0ES3_PKS7_PS7_S7_ZZZN2at6native31launch_logcumsumexp_cuda_kernelERKNSE_10TensorBaseESI_lENKUlvE_clEvENKUlvE1_clEvEUlS7_S7_E_S7_EEDaPvRmT3_T4_T5_mT6_P12ihipStream_tbENKUlT_T0_E_clISt17integral_constantIbLb0EESZ_EEDaSU_SV_EUlSU_E_NS1_11comp_targetILNS1_3genE10ELNS1_11target_archE1200ELNS1_3gpuE4ELNS1_3repE0EEENS1_30default_config_static_selectorELNS0_4arch9wavefront6targetE1EEEvT1_
	.p2align	8
	.type	_ZN7rocprim17ROCPRIM_400000_NS6detail17trampoline_kernelINS0_14default_configENS1_20scan_config_selectorIN3c107complexIdEEEEZZNS1_9scan_implILNS1_25lookback_scan_determinismE0ELb0ELb0ES3_PKS7_PS7_S7_ZZZN2at6native31launch_logcumsumexp_cuda_kernelERKNSE_10TensorBaseESI_lENKUlvE_clEvENKUlvE1_clEvEUlS7_S7_E_S7_EEDaPvRmT3_T4_T5_mT6_P12ihipStream_tbENKUlT_T0_E_clISt17integral_constantIbLb0EESZ_EEDaSU_SV_EUlSU_E_NS1_11comp_targetILNS1_3genE10ELNS1_11target_archE1200ELNS1_3gpuE4ELNS1_3repE0EEENS1_30default_config_static_selectorELNS0_4arch9wavefront6targetE1EEEvT1_,@function
_ZN7rocprim17ROCPRIM_400000_NS6detail17trampoline_kernelINS0_14default_configENS1_20scan_config_selectorIN3c107complexIdEEEEZZNS1_9scan_implILNS1_25lookback_scan_determinismE0ELb0ELb0ES3_PKS7_PS7_S7_ZZZN2at6native31launch_logcumsumexp_cuda_kernelERKNSE_10TensorBaseESI_lENKUlvE_clEvENKUlvE1_clEvEUlS7_S7_E_S7_EEDaPvRmT3_T4_T5_mT6_P12ihipStream_tbENKUlT_T0_E_clISt17integral_constantIbLb0EESZ_EEDaSU_SV_EUlSU_E_NS1_11comp_targetILNS1_3genE10ELNS1_11target_archE1200ELNS1_3gpuE4ELNS1_3repE0EEENS1_30default_config_static_selectorELNS0_4arch9wavefront6targetE1EEEvT1_: ; @_ZN7rocprim17ROCPRIM_400000_NS6detail17trampoline_kernelINS0_14default_configENS1_20scan_config_selectorIN3c107complexIdEEEEZZNS1_9scan_implILNS1_25lookback_scan_determinismE0ELb0ELb0ES3_PKS7_PS7_S7_ZZZN2at6native31launch_logcumsumexp_cuda_kernelERKNSE_10TensorBaseESI_lENKUlvE_clEvENKUlvE1_clEvEUlS7_S7_E_S7_EEDaPvRmT3_T4_T5_mT6_P12ihipStream_tbENKUlT_T0_E_clISt17integral_constantIbLb0EESZ_EEDaSU_SV_EUlSU_E_NS1_11comp_targetILNS1_3genE10ELNS1_11target_archE1200ELNS1_3gpuE4ELNS1_3repE0EEENS1_30default_config_static_selectorELNS0_4arch9wavefront6targetE1EEEvT1_
; %bb.0:
	.section	.rodata,"a",@progbits
	.p2align	6, 0x0
	.amdhsa_kernel _ZN7rocprim17ROCPRIM_400000_NS6detail17trampoline_kernelINS0_14default_configENS1_20scan_config_selectorIN3c107complexIdEEEEZZNS1_9scan_implILNS1_25lookback_scan_determinismE0ELb0ELb0ES3_PKS7_PS7_S7_ZZZN2at6native31launch_logcumsumexp_cuda_kernelERKNSE_10TensorBaseESI_lENKUlvE_clEvENKUlvE1_clEvEUlS7_S7_E_S7_EEDaPvRmT3_T4_T5_mT6_P12ihipStream_tbENKUlT_T0_E_clISt17integral_constantIbLb0EESZ_EEDaSU_SV_EUlSU_E_NS1_11comp_targetILNS1_3genE10ELNS1_11target_archE1200ELNS1_3gpuE4ELNS1_3repE0EEENS1_30default_config_static_selectorELNS0_4arch9wavefront6targetE1EEEvT1_
		.amdhsa_group_segment_fixed_size 0
		.amdhsa_private_segment_fixed_size 0
		.amdhsa_kernarg_size 128
		.amdhsa_user_sgpr_count 2
		.amdhsa_user_sgpr_dispatch_ptr 0
		.amdhsa_user_sgpr_queue_ptr 0
		.amdhsa_user_sgpr_kernarg_segment_ptr 1
		.amdhsa_user_sgpr_dispatch_id 0
		.amdhsa_user_sgpr_kernarg_preload_length 0
		.amdhsa_user_sgpr_kernarg_preload_offset 0
		.amdhsa_user_sgpr_private_segment_size 0
		.amdhsa_uses_dynamic_stack 0
		.amdhsa_enable_private_segment 0
		.amdhsa_system_sgpr_workgroup_id_x 1
		.amdhsa_system_sgpr_workgroup_id_y 0
		.amdhsa_system_sgpr_workgroup_id_z 0
		.amdhsa_system_sgpr_workgroup_info 0
		.amdhsa_system_vgpr_workitem_id 0
		.amdhsa_next_free_vgpr 1
		.amdhsa_next_free_sgpr 0
		.amdhsa_accum_offset 4
		.amdhsa_reserve_vcc 0
		.amdhsa_float_round_mode_32 0
		.amdhsa_float_round_mode_16_64 0
		.amdhsa_float_denorm_mode_32 3
		.amdhsa_float_denorm_mode_16_64 3
		.amdhsa_dx10_clamp 1
		.amdhsa_ieee_mode 1
		.amdhsa_fp16_overflow 0
		.amdhsa_tg_split 0
		.amdhsa_exception_fp_ieee_invalid_op 0
		.amdhsa_exception_fp_denorm_src 0
		.amdhsa_exception_fp_ieee_div_zero 0
		.amdhsa_exception_fp_ieee_overflow 0
		.amdhsa_exception_fp_ieee_underflow 0
		.amdhsa_exception_fp_ieee_inexact 0
		.amdhsa_exception_int_div_zero 0
	.end_amdhsa_kernel
	.section	.text._ZN7rocprim17ROCPRIM_400000_NS6detail17trampoline_kernelINS0_14default_configENS1_20scan_config_selectorIN3c107complexIdEEEEZZNS1_9scan_implILNS1_25lookback_scan_determinismE0ELb0ELb0ES3_PKS7_PS7_S7_ZZZN2at6native31launch_logcumsumexp_cuda_kernelERKNSE_10TensorBaseESI_lENKUlvE_clEvENKUlvE1_clEvEUlS7_S7_E_S7_EEDaPvRmT3_T4_T5_mT6_P12ihipStream_tbENKUlT_T0_E_clISt17integral_constantIbLb0EESZ_EEDaSU_SV_EUlSU_E_NS1_11comp_targetILNS1_3genE10ELNS1_11target_archE1200ELNS1_3gpuE4ELNS1_3repE0EEENS1_30default_config_static_selectorELNS0_4arch9wavefront6targetE1EEEvT1_,"axG",@progbits,_ZN7rocprim17ROCPRIM_400000_NS6detail17trampoline_kernelINS0_14default_configENS1_20scan_config_selectorIN3c107complexIdEEEEZZNS1_9scan_implILNS1_25lookback_scan_determinismE0ELb0ELb0ES3_PKS7_PS7_S7_ZZZN2at6native31launch_logcumsumexp_cuda_kernelERKNSE_10TensorBaseESI_lENKUlvE_clEvENKUlvE1_clEvEUlS7_S7_E_S7_EEDaPvRmT3_T4_T5_mT6_P12ihipStream_tbENKUlT_T0_E_clISt17integral_constantIbLb0EESZ_EEDaSU_SV_EUlSU_E_NS1_11comp_targetILNS1_3genE10ELNS1_11target_archE1200ELNS1_3gpuE4ELNS1_3repE0EEENS1_30default_config_static_selectorELNS0_4arch9wavefront6targetE1EEEvT1_,comdat
.Lfunc_end190:
	.size	_ZN7rocprim17ROCPRIM_400000_NS6detail17trampoline_kernelINS0_14default_configENS1_20scan_config_selectorIN3c107complexIdEEEEZZNS1_9scan_implILNS1_25lookback_scan_determinismE0ELb0ELb0ES3_PKS7_PS7_S7_ZZZN2at6native31launch_logcumsumexp_cuda_kernelERKNSE_10TensorBaseESI_lENKUlvE_clEvENKUlvE1_clEvEUlS7_S7_E_S7_EEDaPvRmT3_T4_T5_mT6_P12ihipStream_tbENKUlT_T0_E_clISt17integral_constantIbLb0EESZ_EEDaSU_SV_EUlSU_E_NS1_11comp_targetILNS1_3genE10ELNS1_11target_archE1200ELNS1_3gpuE4ELNS1_3repE0EEENS1_30default_config_static_selectorELNS0_4arch9wavefront6targetE1EEEvT1_, .Lfunc_end190-_ZN7rocprim17ROCPRIM_400000_NS6detail17trampoline_kernelINS0_14default_configENS1_20scan_config_selectorIN3c107complexIdEEEEZZNS1_9scan_implILNS1_25lookback_scan_determinismE0ELb0ELb0ES3_PKS7_PS7_S7_ZZZN2at6native31launch_logcumsumexp_cuda_kernelERKNSE_10TensorBaseESI_lENKUlvE_clEvENKUlvE1_clEvEUlS7_S7_E_S7_EEDaPvRmT3_T4_T5_mT6_P12ihipStream_tbENKUlT_T0_E_clISt17integral_constantIbLb0EESZ_EEDaSU_SV_EUlSU_E_NS1_11comp_targetILNS1_3genE10ELNS1_11target_archE1200ELNS1_3gpuE4ELNS1_3repE0EEENS1_30default_config_static_selectorELNS0_4arch9wavefront6targetE1EEEvT1_
                                        ; -- End function
	.section	.AMDGPU.csdata,"",@progbits
; Kernel info:
; codeLenInByte = 0
; NumSgprs: 6
; NumVgprs: 0
; NumAgprs: 0
; TotalNumVgprs: 0
; ScratchSize: 0
; MemoryBound: 0
; FloatMode: 240
; IeeeMode: 1
; LDSByteSize: 0 bytes/workgroup (compile time only)
; SGPRBlocks: 0
; VGPRBlocks: 0
; NumSGPRsForWavesPerEU: 6
; NumVGPRsForWavesPerEU: 1
; AccumOffset: 4
; Occupancy: 8
; WaveLimiterHint : 0
; COMPUTE_PGM_RSRC2:SCRATCH_EN: 0
; COMPUTE_PGM_RSRC2:USER_SGPR: 2
; COMPUTE_PGM_RSRC2:TRAP_HANDLER: 0
; COMPUTE_PGM_RSRC2:TGID_X_EN: 1
; COMPUTE_PGM_RSRC2:TGID_Y_EN: 0
; COMPUTE_PGM_RSRC2:TGID_Z_EN: 0
; COMPUTE_PGM_RSRC2:TIDIG_COMP_CNT: 0
; COMPUTE_PGM_RSRC3_GFX90A:ACCUM_OFFSET: 0
; COMPUTE_PGM_RSRC3_GFX90A:TG_SPLIT: 0
	.section	.text._ZN7rocprim17ROCPRIM_400000_NS6detail17trampoline_kernelINS0_14default_configENS1_20scan_config_selectorIN3c107complexIdEEEEZZNS1_9scan_implILNS1_25lookback_scan_determinismE0ELb0ELb0ES3_PKS7_PS7_S7_ZZZN2at6native31launch_logcumsumexp_cuda_kernelERKNSE_10TensorBaseESI_lENKUlvE_clEvENKUlvE1_clEvEUlS7_S7_E_S7_EEDaPvRmT3_T4_T5_mT6_P12ihipStream_tbENKUlT_T0_E_clISt17integral_constantIbLb0EESZ_EEDaSU_SV_EUlSU_E_NS1_11comp_targetILNS1_3genE9ELNS1_11target_archE1100ELNS1_3gpuE3ELNS1_3repE0EEENS1_30default_config_static_selectorELNS0_4arch9wavefront6targetE1EEEvT1_,"axG",@progbits,_ZN7rocprim17ROCPRIM_400000_NS6detail17trampoline_kernelINS0_14default_configENS1_20scan_config_selectorIN3c107complexIdEEEEZZNS1_9scan_implILNS1_25lookback_scan_determinismE0ELb0ELb0ES3_PKS7_PS7_S7_ZZZN2at6native31launch_logcumsumexp_cuda_kernelERKNSE_10TensorBaseESI_lENKUlvE_clEvENKUlvE1_clEvEUlS7_S7_E_S7_EEDaPvRmT3_T4_T5_mT6_P12ihipStream_tbENKUlT_T0_E_clISt17integral_constantIbLb0EESZ_EEDaSU_SV_EUlSU_E_NS1_11comp_targetILNS1_3genE9ELNS1_11target_archE1100ELNS1_3gpuE3ELNS1_3repE0EEENS1_30default_config_static_selectorELNS0_4arch9wavefront6targetE1EEEvT1_,comdat
	.globl	_ZN7rocprim17ROCPRIM_400000_NS6detail17trampoline_kernelINS0_14default_configENS1_20scan_config_selectorIN3c107complexIdEEEEZZNS1_9scan_implILNS1_25lookback_scan_determinismE0ELb0ELb0ES3_PKS7_PS7_S7_ZZZN2at6native31launch_logcumsumexp_cuda_kernelERKNSE_10TensorBaseESI_lENKUlvE_clEvENKUlvE1_clEvEUlS7_S7_E_S7_EEDaPvRmT3_T4_T5_mT6_P12ihipStream_tbENKUlT_T0_E_clISt17integral_constantIbLb0EESZ_EEDaSU_SV_EUlSU_E_NS1_11comp_targetILNS1_3genE9ELNS1_11target_archE1100ELNS1_3gpuE3ELNS1_3repE0EEENS1_30default_config_static_selectorELNS0_4arch9wavefront6targetE1EEEvT1_ ; -- Begin function _ZN7rocprim17ROCPRIM_400000_NS6detail17trampoline_kernelINS0_14default_configENS1_20scan_config_selectorIN3c107complexIdEEEEZZNS1_9scan_implILNS1_25lookback_scan_determinismE0ELb0ELb0ES3_PKS7_PS7_S7_ZZZN2at6native31launch_logcumsumexp_cuda_kernelERKNSE_10TensorBaseESI_lENKUlvE_clEvENKUlvE1_clEvEUlS7_S7_E_S7_EEDaPvRmT3_T4_T5_mT6_P12ihipStream_tbENKUlT_T0_E_clISt17integral_constantIbLb0EESZ_EEDaSU_SV_EUlSU_E_NS1_11comp_targetILNS1_3genE9ELNS1_11target_archE1100ELNS1_3gpuE3ELNS1_3repE0EEENS1_30default_config_static_selectorELNS0_4arch9wavefront6targetE1EEEvT1_
	.p2align	8
	.type	_ZN7rocprim17ROCPRIM_400000_NS6detail17trampoline_kernelINS0_14default_configENS1_20scan_config_selectorIN3c107complexIdEEEEZZNS1_9scan_implILNS1_25lookback_scan_determinismE0ELb0ELb0ES3_PKS7_PS7_S7_ZZZN2at6native31launch_logcumsumexp_cuda_kernelERKNSE_10TensorBaseESI_lENKUlvE_clEvENKUlvE1_clEvEUlS7_S7_E_S7_EEDaPvRmT3_T4_T5_mT6_P12ihipStream_tbENKUlT_T0_E_clISt17integral_constantIbLb0EESZ_EEDaSU_SV_EUlSU_E_NS1_11comp_targetILNS1_3genE9ELNS1_11target_archE1100ELNS1_3gpuE3ELNS1_3repE0EEENS1_30default_config_static_selectorELNS0_4arch9wavefront6targetE1EEEvT1_,@function
_ZN7rocprim17ROCPRIM_400000_NS6detail17trampoline_kernelINS0_14default_configENS1_20scan_config_selectorIN3c107complexIdEEEEZZNS1_9scan_implILNS1_25lookback_scan_determinismE0ELb0ELb0ES3_PKS7_PS7_S7_ZZZN2at6native31launch_logcumsumexp_cuda_kernelERKNSE_10TensorBaseESI_lENKUlvE_clEvENKUlvE1_clEvEUlS7_S7_E_S7_EEDaPvRmT3_T4_T5_mT6_P12ihipStream_tbENKUlT_T0_E_clISt17integral_constantIbLb0EESZ_EEDaSU_SV_EUlSU_E_NS1_11comp_targetILNS1_3genE9ELNS1_11target_archE1100ELNS1_3gpuE3ELNS1_3repE0EEENS1_30default_config_static_selectorELNS0_4arch9wavefront6targetE1EEEvT1_: ; @_ZN7rocprim17ROCPRIM_400000_NS6detail17trampoline_kernelINS0_14default_configENS1_20scan_config_selectorIN3c107complexIdEEEEZZNS1_9scan_implILNS1_25lookback_scan_determinismE0ELb0ELb0ES3_PKS7_PS7_S7_ZZZN2at6native31launch_logcumsumexp_cuda_kernelERKNSE_10TensorBaseESI_lENKUlvE_clEvENKUlvE1_clEvEUlS7_S7_E_S7_EEDaPvRmT3_T4_T5_mT6_P12ihipStream_tbENKUlT_T0_E_clISt17integral_constantIbLb0EESZ_EEDaSU_SV_EUlSU_E_NS1_11comp_targetILNS1_3genE9ELNS1_11target_archE1100ELNS1_3gpuE3ELNS1_3repE0EEENS1_30default_config_static_selectorELNS0_4arch9wavefront6targetE1EEEvT1_
; %bb.0:
	.section	.rodata,"a",@progbits
	.p2align	6, 0x0
	.amdhsa_kernel _ZN7rocprim17ROCPRIM_400000_NS6detail17trampoline_kernelINS0_14default_configENS1_20scan_config_selectorIN3c107complexIdEEEEZZNS1_9scan_implILNS1_25lookback_scan_determinismE0ELb0ELb0ES3_PKS7_PS7_S7_ZZZN2at6native31launch_logcumsumexp_cuda_kernelERKNSE_10TensorBaseESI_lENKUlvE_clEvENKUlvE1_clEvEUlS7_S7_E_S7_EEDaPvRmT3_T4_T5_mT6_P12ihipStream_tbENKUlT_T0_E_clISt17integral_constantIbLb0EESZ_EEDaSU_SV_EUlSU_E_NS1_11comp_targetILNS1_3genE9ELNS1_11target_archE1100ELNS1_3gpuE3ELNS1_3repE0EEENS1_30default_config_static_selectorELNS0_4arch9wavefront6targetE1EEEvT1_
		.amdhsa_group_segment_fixed_size 0
		.amdhsa_private_segment_fixed_size 0
		.amdhsa_kernarg_size 128
		.amdhsa_user_sgpr_count 2
		.amdhsa_user_sgpr_dispatch_ptr 0
		.amdhsa_user_sgpr_queue_ptr 0
		.amdhsa_user_sgpr_kernarg_segment_ptr 1
		.amdhsa_user_sgpr_dispatch_id 0
		.amdhsa_user_sgpr_kernarg_preload_length 0
		.amdhsa_user_sgpr_kernarg_preload_offset 0
		.amdhsa_user_sgpr_private_segment_size 0
		.amdhsa_uses_dynamic_stack 0
		.amdhsa_enable_private_segment 0
		.amdhsa_system_sgpr_workgroup_id_x 1
		.amdhsa_system_sgpr_workgroup_id_y 0
		.amdhsa_system_sgpr_workgroup_id_z 0
		.amdhsa_system_sgpr_workgroup_info 0
		.amdhsa_system_vgpr_workitem_id 0
		.amdhsa_next_free_vgpr 1
		.amdhsa_next_free_sgpr 0
		.amdhsa_accum_offset 4
		.amdhsa_reserve_vcc 0
		.amdhsa_float_round_mode_32 0
		.amdhsa_float_round_mode_16_64 0
		.amdhsa_float_denorm_mode_32 3
		.amdhsa_float_denorm_mode_16_64 3
		.amdhsa_dx10_clamp 1
		.amdhsa_ieee_mode 1
		.amdhsa_fp16_overflow 0
		.amdhsa_tg_split 0
		.amdhsa_exception_fp_ieee_invalid_op 0
		.amdhsa_exception_fp_denorm_src 0
		.amdhsa_exception_fp_ieee_div_zero 0
		.amdhsa_exception_fp_ieee_overflow 0
		.amdhsa_exception_fp_ieee_underflow 0
		.amdhsa_exception_fp_ieee_inexact 0
		.amdhsa_exception_int_div_zero 0
	.end_amdhsa_kernel
	.section	.text._ZN7rocprim17ROCPRIM_400000_NS6detail17trampoline_kernelINS0_14default_configENS1_20scan_config_selectorIN3c107complexIdEEEEZZNS1_9scan_implILNS1_25lookback_scan_determinismE0ELb0ELb0ES3_PKS7_PS7_S7_ZZZN2at6native31launch_logcumsumexp_cuda_kernelERKNSE_10TensorBaseESI_lENKUlvE_clEvENKUlvE1_clEvEUlS7_S7_E_S7_EEDaPvRmT3_T4_T5_mT6_P12ihipStream_tbENKUlT_T0_E_clISt17integral_constantIbLb0EESZ_EEDaSU_SV_EUlSU_E_NS1_11comp_targetILNS1_3genE9ELNS1_11target_archE1100ELNS1_3gpuE3ELNS1_3repE0EEENS1_30default_config_static_selectorELNS0_4arch9wavefront6targetE1EEEvT1_,"axG",@progbits,_ZN7rocprim17ROCPRIM_400000_NS6detail17trampoline_kernelINS0_14default_configENS1_20scan_config_selectorIN3c107complexIdEEEEZZNS1_9scan_implILNS1_25lookback_scan_determinismE0ELb0ELb0ES3_PKS7_PS7_S7_ZZZN2at6native31launch_logcumsumexp_cuda_kernelERKNSE_10TensorBaseESI_lENKUlvE_clEvENKUlvE1_clEvEUlS7_S7_E_S7_EEDaPvRmT3_T4_T5_mT6_P12ihipStream_tbENKUlT_T0_E_clISt17integral_constantIbLb0EESZ_EEDaSU_SV_EUlSU_E_NS1_11comp_targetILNS1_3genE9ELNS1_11target_archE1100ELNS1_3gpuE3ELNS1_3repE0EEENS1_30default_config_static_selectorELNS0_4arch9wavefront6targetE1EEEvT1_,comdat
.Lfunc_end191:
	.size	_ZN7rocprim17ROCPRIM_400000_NS6detail17trampoline_kernelINS0_14default_configENS1_20scan_config_selectorIN3c107complexIdEEEEZZNS1_9scan_implILNS1_25lookback_scan_determinismE0ELb0ELb0ES3_PKS7_PS7_S7_ZZZN2at6native31launch_logcumsumexp_cuda_kernelERKNSE_10TensorBaseESI_lENKUlvE_clEvENKUlvE1_clEvEUlS7_S7_E_S7_EEDaPvRmT3_T4_T5_mT6_P12ihipStream_tbENKUlT_T0_E_clISt17integral_constantIbLb0EESZ_EEDaSU_SV_EUlSU_E_NS1_11comp_targetILNS1_3genE9ELNS1_11target_archE1100ELNS1_3gpuE3ELNS1_3repE0EEENS1_30default_config_static_selectorELNS0_4arch9wavefront6targetE1EEEvT1_, .Lfunc_end191-_ZN7rocprim17ROCPRIM_400000_NS6detail17trampoline_kernelINS0_14default_configENS1_20scan_config_selectorIN3c107complexIdEEEEZZNS1_9scan_implILNS1_25lookback_scan_determinismE0ELb0ELb0ES3_PKS7_PS7_S7_ZZZN2at6native31launch_logcumsumexp_cuda_kernelERKNSE_10TensorBaseESI_lENKUlvE_clEvENKUlvE1_clEvEUlS7_S7_E_S7_EEDaPvRmT3_T4_T5_mT6_P12ihipStream_tbENKUlT_T0_E_clISt17integral_constantIbLb0EESZ_EEDaSU_SV_EUlSU_E_NS1_11comp_targetILNS1_3genE9ELNS1_11target_archE1100ELNS1_3gpuE3ELNS1_3repE0EEENS1_30default_config_static_selectorELNS0_4arch9wavefront6targetE1EEEvT1_
                                        ; -- End function
	.section	.AMDGPU.csdata,"",@progbits
; Kernel info:
; codeLenInByte = 0
; NumSgprs: 6
; NumVgprs: 0
; NumAgprs: 0
; TotalNumVgprs: 0
; ScratchSize: 0
; MemoryBound: 0
; FloatMode: 240
; IeeeMode: 1
; LDSByteSize: 0 bytes/workgroup (compile time only)
; SGPRBlocks: 0
; VGPRBlocks: 0
; NumSGPRsForWavesPerEU: 6
; NumVGPRsForWavesPerEU: 1
; AccumOffset: 4
; Occupancy: 8
; WaveLimiterHint : 0
; COMPUTE_PGM_RSRC2:SCRATCH_EN: 0
; COMPUTE_PGM_RSRC2:USER_SGPR: 2
; COMPUTE_PGM_RSRC2:TRAP_HANDLER: 0
; COMPUTE_PGM_RSRC2:TGID_X_EN: 1
; COMPUTE_PGM_RSRC2:TGID_Y_EN: 0
; COMPUTE_PGM_RSRC2:TGID_Z_EN: 0
; COMPUTE_PGM_RSRC2:TIDIG_COMP_CNT: 0
; COMPUTE_PGM_RSRC3_GFX90A:ACCUM_OFFSET: 0
; COMPUTE_PGM_RSRC3_GFX90A:TG_SPLIT: 0
	.section	.text._ZN7rocprim17ROCPRIM_400000_NS6detail17trampoline_kernelINS0_14default_configENS1_20scan_config_selectorIN3c107complexIdEEEEZZNS1_9scan_implILNS1_25lookback_scan_determinismE0ELb0ELb0ES3_PKS7_PS7_S7_ZZZN2at6native31launch_logcumsumexp_cuda_kernelERKNSE_10TensorBaseESI_lENKUlvE_clEvENKUlvE1_clEvEUlS7_S7_E_S7_EEDaPvRmT3_T4_T5_mT6_P12ihipStream_tbENKUlT_T0_E_clISt17integral_constantIbLb0EESZ_EEDaSU_SV_EUlSU_E_NS1_11comp_targetILNS1_3genE8ELNS1_11target_archE1030ELNS1_3gpuE2ELNS1_3repE0EEENS1_30default_config_static_selectorELNS0_4arch9wavefront6targetE1EEEvT1_,"axG",@progbits,_ZN7rocprim17ROCPRIM_400000_NS6detail17trampoline_kernelINS0_14default_configENS1_20scan_config_selectorIN3c107complexIdEEEEZZNS1_9scan_implILNS1_25lookback_scan_determinismE0ELb0ELb0ES3_PKS7_PS7_S7_ZZZN2at6native31launch_logcumsumexp_cuda_kernelERKNSE_10TensorBaseESI_lENKUlvE_clEvENKUlvE1_clEvEUlS7_S7_E_S7_EEDaPvRmT3_T4_T5_mT6_P12ihipStream_tbENKUlT_T0_E_clISt17integral_constantIbLb0EESZ_EEDaSU_SV_EUlSU_E_NS1_11comp_targetILNS1_3genE8ELNS1_11target_archE1030ELNS1_3gpuE2ELNS1_3repE0EEENS1_30default_config_static_selectorELNS0_4arch9wavefront6targetE1EEEvT1_,comdat
	.globl	_ZN7rocprim17ROCPRIM_400000_NS6detail17trampoline_kernelINS0_14default_configENS1_20scan_config_selectorIN3c107complexIdEEEEZZNS1_9scan_implILNS1_25lookback_scan_determinismE0ELb0ELb0ES3_PKS7_PS7_S7_ZZZN2at6native31launch_logcumsumexp_cuda_kernelERKNSE_10TensorBaseESI_lENKUlvE_clEvENKUlvE1_clEvEUlS7_S7_E_S7_EEDaPvRmT3_T4_T5_mT6_P12ihipStream_tbENKUlT_T0_E_clISt17integral_constantIbLb0EESZ_EEDaSU_SV_EUlSU_E_NS1_11comp_targetILNS1_3genE8ELNS1_11target_archE1030ELNS1_3gpuE2ELNS1_3repE0EEENS1_30default_config_static_selectorELNS0_4arch9wavefront6targetE1EEEvT1_ ; -- Begin function _ZN7rocprim17ROCPRIM_400000_NS6detail17trampoline_kernelINS0_14default_configENS1_20scan_config_selectorIN3c107complexIdEEEEZZNS1_9scan_implILNS1_25lookback_scan_determinismE0ELb0ELb0ES3_PKS7_PS7_S7_ZZZN2at6native31launch_logcumsumexp_cuda_kernelERKNSE_10TensorBaseESI_lENKUlvE_clEvENKUlvE1_clEvEUlS7_S7_E_S7_EEDaPvRmT3_T4_T5_mT6_P12ihipStream_tbENKUlT_T0_E_clISt17integral_constantIbLb0EESZ_EEDaSU_SV_EUlSU_E_NS1_11comp_targetILNS1_3genE8ELNS1_11target_archE1030ELNS1_3gpuE2ELNS1_3repE0EEENS1_30default_config_static_selectorELNS0_4arch9wavefront6targetE1EEEvT1_
	.p2align	8
	.type	_ZN7rocprim17ROCPRIM_400000_NS6detail17trampoline_kernelINS0_14default_configENS1_20scan_config_selectorIN3c107complexIdEEEEZZNS1_9scan_implILNS1_25lookback_scan_determinismE0ELb0ELb0ES3_PKS7_PS7_S7_ZZZN2at6native31launch_logcumsumexp_cuda_kernelERKNSE_10TensorBaseESI_lENKUlvE_clEvENKUlvE1_clEvEUlS7_S7_E_S7_EEDaPvRmT3_T4_T5_mT6_P12ihipStream_tbENKUlT_T0_E_clISt17integral_constantIbLb0EESZ_EEDaSU_SV_EUlSU_E_NS1_11comp_targetILNS1_3genE8ELNS1_11target_archE1030ELNS1_3gpuE2ELNS1_3repE0EEENS1_30default_config_static_selectorELNS0_4arch9wavefront6targetE1EEEvT1_,@function
_ZN7rocprim17ROCPRIM_400000_NS6detail17trampoline_kernelINS0_14default_configENS1_20scan_config_selectorIN3c107complexIdEEEEZZNS1_9scan_implILNS1_25lookback_scan_determinismE0ELb0ELb0ES3_PKS7_PS7_S7_ZZZN2at6native31launch_logcumsumexp_cuda_kernelERKNSE_10TensorBaseESI_lENKUlvE_clEvENKUlvE1_clEvEUlS7_S7_E_S7_EEDaPvRmT3_T4_T5_mT6_P12ihipStream_tbENKUlT_T0_E_clISt17integral_constantIbLb0EESZ_EEDaSU_SV_EUlSU_E_NS1_11comp_targetILNS1_3genE8ELNS1_11target_archE1030ELNS1_3gpuE2ELNS1_3repE0EEENS1_30default_config_static_selectorELNS0_4arch9wavefront6targetE1EEEvT1_: ; @_ZN7rocprim17ROCPRIM_400000_NS6detail17trampoline_kernelINS0_14default_configENS1_20scan_config_selectorIN3c107complexIdEEEEZZNS1_9scan_implILNS1_25lookback_scan_determinismE0ELb0ELb0ES3_PKS7_PS7_S7_ZZZN2at6native31launch_logcumsumexp_cuda_kernelERKNSE_10TensorBaseESI_lENKUlvE_clEvENKUlvE1_clEvEUlS7_S7_E_S7_EEDaPvRmT3_T4_T5_mT6_P12ihipStream_tbENKUlT_T0_E_clISt17integral_constantIbLb0EESZ_EEDaSU_SV_EUlSU_E_NS1_11comp_targetILNS1_3genE8ELNS1_11target_archE1030ELNS1_3gpuE2ELNS1_3repE0EEENS1_30default_config_static_selectorELNS0_4arch9wavefront6targetE1EEEvT1_
; %bb.0:
	.section	.rodata,"a",@progbits
	.p2align	6, 0x0
	.amdhsa_kernel _ZN7rocprim17ROCPRIM_400000_NS6detail17trampoline_kernelINS0_14default_configENS1_20scan_config_selectorIN3c107complexIdEEEEZZNS1_9scan_implILNS1_25lookback_scan_determinismE0ELb0ELb0ES3_PKS7_PS7_S7_ZZZN2at6native31launch_logcumsumexp_cuda_kernelERKNSE_10TensorBaseESI_lENKUlvE_clEvENKUlvE1_clEvEUlS7_S7_E_S7_EEDaPvRmT3_T4_T5_mT6_P12ihipStream_tbENKUlT_T0_E_clISt17integral_constantIbLb0EESZ_EEDaSU_SV_EUlSU_E_NS1_11comp_targetILNS1_3genE8ELNS1_11target_archE1030ELNS1_3gpuE2ELNS1_3repE0EEENS1_30default_config_static_selectorELNS0_4arch9wavefront6targetE1EEEvT1_
		.amdhsa_group_segment_fixed_size 0
		.amdhsa_private_segment_fixed_size 0
		.amdhsa_kernarg_size 128
		.amdhsa_user_sgpr_count 2
		.amdhsa_user_sgpr_dispatch_ptr 0
		.amdhsa_user_sgpr_queue_ptr 0
		.amdhsa_user_sgpr_kernarg_segment_ptr 1
		.amdhsa_user_sgpr_dispatch_id 0
		.amdhsa_user_sgpr_kernarg_preload_length 0
		.amdhsa_user_sgpr_kernarg_preload_offset 0
		.amdhsa_user_sgpr_private_segment_size 0
		.amdhsa_uses_dynamic_stack 0
		.amdhsa_enable_private_segment 0
		.amdhsa_system_sgpr_workgroup_id_x 1
		.amdhsa_system_sgpr_workgroup_id_y 0
		.amdhsa_system_sgpr_workgroup_id_z 0
		.amdhsa_system_sgpr_workgroup_info 0
		.amdhsa_system_vgpr_workitem_id 0
		.amdhsa_next_free_vgpr 1
		.amdhsa_next_free_sgpr 0
		.amdhsa_accum_offset 4
		.amdhsa_reserve_vcc 0
		.amdhsa_float_round_mode_32 0
		.amdhsa_float_round_mode_16_64 0
		.amdhsa_float_denorm_mode_32 3
		.amdhsa_float_denorm_mode_16_64 3
		.amdhsa_dx10_clamp 1
		.amdhsa_ieee_mode 1
		.amdhsa_fp16_overflow 0
		.amdhsa_tg_split 0
		.amdhsa_exception_fp_ieee_invalid_op 0
		.amdhsa_exception_fp_denorm_src 0
		.amdhsa_exception_fp_ieee_div_zero 0
		.amdhsa_exception_fp_ieee_overflow 0
		.amdhsa_exception_fp_ieee_underflow 0
		.amdhsa_exception_fp_ieee_inexact 0
		.amdhsa_exception_int_div_zero 0
	.end_amdhsa_kernel
	.section	.text._ZN7rocprim17ROCPRIM_400000_NS6detail17trampoline_kernelINS0_14default_configENS1_20scan_config_selectorIN3c107complexIdEEEEZZNS1_9scan_implILNS1_25lookback_scan_determinismE0ELb0ELb0ES3_PKS7_PS7_S7_ZZZN2at6native31launch_logcumsumexp_cuda_kernelERKNSE_10TensorBaseESI_lENKUlvE_clEvENKUlvE1_clEvEUlS7_S7_E_S7_EEDaPvRmT3_T4_T5_mT6_P12ihipStream_tbENKUlT_T0_E_clISt17integral_constantIbLb0EESZ_EEDaSU_SV_EUlSU_E_NS1_11comp_targetILNS1_3genE8ELNS1_11target_archE1030ELNS1_3gpuE2ELNS1_3repE0EEENS1_30default_config_static_selectorELNS0_4arch9wavefront6targetE1EEEvT1_,"axG",@progbits,_ZN7rocprim17ROCPRIM_400000_NS6detail17trampoline_kernelINS0_14default_configENS1_20scan_config_selectorIN3c107complexIdEEEEZZNS1_9scan_implILNS1_25lookback_scan_determinismE0ELb0ELb0ES3_PKS7_PS7_S7_ZZZN2at6native31launch_logcumsumexp_cuda_kernelERKNSE_10TensorBaseESI_lENKUlvE_clEvENKUlvE1_clEvEUlS7_S7_E_S7_EEDaPvRmT3_T4_T5_mT6_P12ihipStream_tbENKUlT_T0_E_clISt17integral_constantIbLb0EESZ_EEDaSU_SV_EUlSU_E_NS1_11comp_targetILNS1_3genE8ELNS1_11target_archE1030ELNS1_3gpuE2ELNS1_3repE0EEENS1_30default_config_static_selectorELNS0_4arch9wavefront6targetE1EEEvT1_,comdat
.Lfunc_end192:
	.size	_ZN7rocprim17ROCPRIM_400000_NS6detail17trampoline_kernelINS0_14default_configENS1_20scan_config_selectorIN3c107complexIdEEEEZZNS1_9scan_implILNS1_25lookback_scan_determinismE0ELb0ELb0ES3_PKS7_PS7_S7_ZZZN2at6native31launch_logcumsumexp_cuda_kernelERKNSE_10TensorBaseESI_lENKUlvE_clEvENKUlvE1_clEvEUlS7_S7_E_S7_EEDaPvRmT3_T4_T5_mT6_P12ihipStream_tbENKUlT_T0_E_clISt17integral_constantIbLb0EESZ_EEDaSU_SV_EUlSU_E_NS1_11comp_targetILNS1_3genE8ELNS1_11target_archE1030ELNS1_3gpuE2ELNS1_3repE0EEENS1_30default_config_static_selectorELNS0_4arch9wavefront6targetE1EEEvT1_, .Lfunc_end192-_ZN7rocprim17ROCPRIM_400000_NS6detail17trampoline_kernelINS0_14default_configENS1_20scan_config_selectorIN3c107complexIdEEEEZZNS1_9scan_implILNS1_25lookback_scan_determinismE0ELb0ELb0ES3_PKS7_PS7_S7_ZZZN2at6native31launch_logcumsumexp_cuda_kernelERKNSE_10TensorBaseESI_lENKUlvE_clEvENKUlvE1_clEvEUlS7_S7_E_S7_EEDaPvRmT3_T4_T5_mT6_P12ihipStream_tbENKUlT_T0_E_clISt17integral_constantIbLb0EESZ_EEDaSU_SV_EUlSU_E_NS1_11comp_targetILNS1_3genE8ELNS1_11target_archE1030ELNS1_3gpuE2ELNS1_3repE0EEENS1_30default_config_static_selectorELNS0_4arch9wavefront6targetE1EEEvT1_
                                        ; -- End function
	.section	.AMDGPU.csdata,"",@progbits
; Kernel info:
; codeLenInByte = 0
; NumSgprs: 6
; NumVgprs: 0
; NumAgprs: 0
; TotalNumVgprs: 0
; ScratchSize: 0
; MemoryBound: 0
; FloatMode: 240
; IeeeMode: 1
; LDSByteSize: 0 bytes/workgroup (compile time only)
; SGPRBlocks: 0
; VGPRBlocks: 0
; NumSGPRsForWavesPerEU: 6
; NumVGPRsForWavesPerEU: 1
; AccumOffset: 4
; Occupancy: 8
; WaveLimiterHint : 0
; COMPUTE_PGM_RSRC2:SCRATCH_EN: 0
; COMPUTE_PGM_RSRC2:USER_SGPR: 2
; COMPUTE_PGM_RSRC2:TRAP_HANDLER: 0
; COMPUTE_PGM_RSRC2:TGID_X_EN: 1
; COMPUTE_PGM_RSRC2:TGID_Y_EN: 0
; COMPUTE_PGM_RSRC2:TGID_Z_EN: 0
; COMPUTE_PGM_RSRC2:TIDIG_COMP_CNT: 0
; COMPUTE_PGM_RSRC3_GFX90A:ACCUM_OFFSET: 0
; COMPUTE_PGM_RSRC3_GFX90A:TG_SPLIT: 0
	.section	.text._ZN7rocprim17ROCPRIM_400000_NS6detail17trampoline_kernelINS0_14default_configENS1_25transform_config_selectorIN3c107complexIdEELb1EEEZNS1_14transform_implILb1ES3_S8_PS7_SA_NS0_8identityIS7_EEEE10hipError_tT2_T3_mT4_P12ihipStream_tbEUlT_E_NS1_11comp_targetILNS1_3genE0ELNS1_11target_archE4294967295ELNS1_3gpuE0ELNS1_3repE0EEENS1_30default_config_static_selectorELNS0_4arch9wavefront6targetE1EEEvT1_,"axG",@progbits,_ZN7rocprim17ROCPRIM_400000_NS6detail17trampoline_kernelINS0_14default_configENS1_25transform_config_selectorIN3c107complexIdEELb1EEEZNS1_14transform_implILb1ES3_S8_PS7_SA_NS0_8identityIS7_EEEE10hipError_tT2_T3_mT4_P12ihipStream_tbEUlT_E_NS1_11comp_targetILNS1_3genE0ELNS1_11target_archE4294967295ELNS1_3gpuE0ELNS1_3repE0EEENS1_30default_config_static_selectorELNS0_4arch9wavefront6targetE1EEEvT1_,comdat
	.protected	_ZN7rocprim17ROCPRIM_400000_NS6detail17trampoline_kernelINS0_14default_configENS1_25transform_config_selectorIN3c107complexIdEELb1EEEZNS1_14transform_implILb1ES3_S8_PS7_SA_NS0_8identityIS7_EEEE10hipError_tT2_T3_mT4_P12ihipStream_tbEUlT_E_NS1_11comp_targetILNS1_3genE0ELNS1_11target_archE4294967295ELNS1_3gpuE0ELNS1_3repE0EEENS1_30default_config_static_selectorELNS0_4arch9wavefront6targetE1EEEvT1_ ; -- Begin function _ZN7rocprim17ROCPRIM_400000_NS6detail17trampoline_kernelINS0_14default_configENS1_25transform_config_selectorIN3c107complexIdEELb1EEEZNS1_14transform_implILb1ES3_S8_PS7_SA_NS0_8identityIS7_EEEE10hipError_tT2_T3_mT4_P12ihipStream_tbEUlT_E_NS1_11comp_targetILNS1_3genE0ELNS1_11target_archE4294967295ELNS1_3gpuE0ELNS1_3repE0EEENS1_30default_config_static_selectorELNS0_4arch9wavefront6targetE1EEEvT1_
	.globl	_ZN7rocprim17ROCPRIM_400000_NS6detail17trampoline_kernelINS0_14default_configENS1_25transform_config_selectorIN3c107complexIdEELb1EEEZNS1_14transform_implILb1ES3_S8_PS7_SA_NS0_8identityIS7_EEEE10hipError_tT2_T3_mT4_P12ihipStream_tbEUlT_E_NS1_11comp_targetILNS1_3genE0ELNS1_11target_archE4294967295ELNS1_3gpuE0ELNS1_3repE0EEENS1_30default_config_static_selectorELNS0_4arch9wavefront6targetE1EEEvT1_
	.p2align	8
	.type	_ZN7rocprim17ROCPRIM_400000_NS6detail17trampoline_kernelINS0_14default_configENS1_25transform_config_selectorIN3c107complexIdEELb1EEEZNS1_14transform_implILb1ES3_S8_PS7_SA_NS0_8identityIS7_EEEE10hipError_tT2_T3_mT4_P12ihipStream_tbEUlT_E_NS1_11comp_targetILNS1_3genE0ELNS1_11target_archE4294967295ELNS1_3gpuE0ELNS1_3repE0EEENS1_30default_config_static_selectorELNS0_4arch9wavefront6targetE1EEEvT1_,@function
_ZN7rocprim17ROCPRIM_400000_NS6detail17trampoline_kernelINS0_14default_configENS1_25transform_config_selectorIN3c107complexIdEELb1EEEZNS1_14transform_implILb1ES3_S8_PS7_SA_NS0_8identityIS7_EEEE10hipError_tT2_T3_mT4_P12ihipStream_tbEUlT_E_NS1_11comp_targetILNS1_3genE0ELNS1_11target_archE4294967295ELNS1_3gpuE0ELNS1_3repE0EEENS1_30default_config_static_selectorELNS0_4arch9wavefront6targetE1EEEvT1_: ; @_ZN7rocprim17ROCPRIM_400000_NS6detail17trampoline_kernelINS0_14default_configENS1_25transform_config_selectorIN3c107complexIdEELb1EEEZNS1_14transform_implILb1ES3_S8_PS7_SA_NS0_8identityIS7_EEEE10hipError_tT2_T3_mT4_P12ihipStream_tbEUlT_E_NS1_11comp_targetILNS1_3genE0ELNS1_11target_archE4294967295ELNS1_3gpuE0ELNS1_3repE0EEENS1_30default_config_static_selectorELNS0_4arch9wavefront6targetE1EEEvT1_
; %bb.0:
	.section	.rodata,"a",@progbits
	.p2align	6, 0x0
	.amdhsa_kernel _ZN7rocprim17ROCPRIM_400000_NS6detail17trampoline_kernelINS0_14default_configENS1_25transform_config_selectorIN3c107complexIdEELb1EEEZNS1_14transform_implILb1ES3_S8_PS7_SA_NS0_8identityIS7_EEEE10hipError_tT2_T3_mT4_P12ihipStream_tbEUlT_E_NS1_11comp_targetILNS1_3genE0ELNS1_11target_archE4294967295ELNS1_3gpuE0ELNS1_3repE0EEENS1_30default_config_static_selectorELNS0_4arch9wavefront6targetE1EEEvT1_
		.amdhsa_group_segment_fixed_size 0
		.amdhsa_private_segment_fixed_size 0
		.amdhsa_kernarg_size 40
		.amdhsa_user_sgpr_count 2
		.amdhsa_user_sgpr_dispatch_ptr 0
		.amdhsa_user_sgpr_queue_ptr 0
		.amdhsa_user_sgpr_kernarg_segment_ptr 1
		.amdhsa_user_sgpr_dispatch_id 0
		.amdhsa_user_sgpr_kernarg_preload_length 0
		.amdhsa_user_sgpr_kernarg_preload_offset 0
		.amdhsa_user_sgpr_private_segment_size 0
		.amdhsa_uses_dynamic_stack 0
		.amdhsa_enable_private_segment 0
		.amdhsa_system_sgpr_workgroup_id_x 1
		.amdhsa_system_sgpr_workgroup_id_y 0
		.amdhsa_system_sgpr_workgroup_id_z 0
		.amdhsa_system_sgpr_workgroup_info 0
		.amdhsa_system_vgpr_workitem_id 0
		.amdhsa_next_free_vgpr 1
		.amdhsa_next_free_sgpr 0
		.amdhsa_accum_offset 4
		.amdhsa_reserve_vcc 0
		.amdhsa_float_round_mode_32 0
		.amdhsa_float_round_mode_16_64 0
		.amdhsa_float_denorm_mode_32 3
		.amdhsa_float_denorm_mode_16_64 3
		.amdhsa_dx10_clamp 1
		.amdhsa_ieee_mode 1
		.amdhsa_fp16_overflow 0
		.amdhsa_tg_split 0
		.amdhsa_exception_fp_ieee_invalid_op 0
		.amdhsa_exception_fp_denorm_src 0
		.amdhsa_exception_fp_ieee_div_zero 0
		.amdhsa_exception_fp_ieee_overflow 0
		.amdhsa_exception_fp_ieee_underflow 0
		.amdhsa_exception_fp_ieee_inexact 0
		.amdhsa_exception_int_div_zero 0
	.end_amdhsa_kernel
	.section	.text._ZN7rocprim17ROCPRIM_400000_NS6detail17trampoline_kernelINS0_14default_configENS1_25transform_config_selectorIN3c107complexIdEELb1EEEZNS1_14transform_implILb1ES3_S8_PS7_SA_NS0_8identityIS7_EEEE10hipError_tT2_T3_mT4_P12ihipStream_tbEUlT_E_NS1_11comp_targetILNS1_3genE0ELNS1_11target_archE4294967295ELNS1_3gpuE0ELNS1_3repE0EEENS1_30default_config_static_selectorELNS0_4arch9wavefront6targetE1EEEvT1_,"axG",@progbits,_ZN7rocprim17ROCPRIM_400000_NS6detail17trampoline_kernelINS0_14default_configENS1_25transform_config_selectorIN3c107complexIdEELb1EEEZNS1_14transform_implILb1ES3_S8_PS7_SA_NS0_8identityIS7_EEEE10hipError_tT2_T3_mT4_P12ihipStream_tbEUlT_E_NS1_11comp_targetILNS1_3genE0ELNS1_11target_archE4294967295ELNS1_3gpuE0ELNS1_3repE0EEENS1_30default_config_static_selectorELNS0_4arch9wavefront6targetE1EEEvT1_,comdat
.Lfunc_end193:
	.size	_ZN7rocprim17ROCPRIM_400000_NS6detail17trampoline_kernelINS0_14default_configENS1_25transform_config_selectorIN3c107complexIdEELb1EEEZNS1_14transform_implILb1ES3_S8_PS7_SA_NS0_8identityIS7_EEEE10hipError_tT2_T3_mT4_P12ihipStream_tbEUlT_E_NS1_11comp_targetILNS1_3genE0ELNS1_11target_archE4294967295ELNS1_3gpuE0ELNS1_3repE0EEENS1_30default_config_static_selectorELNS0_4arch9wavefront6targetE1EEEvT1_, .Lfunc_end193-_ZN7rocprim17ROCPRIM_400000_NS6detail17trampoline_kernelINS0_14default_configENS1_25transform_config_selectorIN3c107complexIdEELb1EEEZNS1_14transform_implILb1ES3_S8_PS7_SA_NS0_8identityIS7_EEEE10hipError_tT2_T3_mT4_P12ihipStream_tbEUlT_E_NS1_11comp_targetILNS1_3genE0ELNS1_11target_archE4294967295ELNS1_3gpuE0ELNS1_3repE0EEENS1_30default_config_static_selectorELNS0_4arch9wavefront6targetE1EEEvT1_
                                        ; -- End function
	.section	.AMDGPU.csdata,"",@progbits
; Kernel info:
; codeLenInByte = 0
; NumSgprs: 6
; NumVgprs: 0
; NumAgprs: 0
; TotalNumVgprs: 0
; ScratchSize: 0
; MemoryBound: 0
; FloatMode: 240
; IeeeMode: 1
; LDSByteSize: 0 bytes/workgroup (compile time only)
; SGPRBlocks: 0
; VGPRBlocks: 0
; NumSGPRsForWavesPerEU: 6
; NumVGPRsForWavesPerEU: 1
; AccumOffset: 4
; Occupancy: 8
; WaveLimiterHint : 0
; COMPUTE_PGM_RSRC2:SCRATCH_EN: 0
; COMPUTE_PGM_RSRC2:USER_SGPR: 2
; COMPUTE_PGM_RSRC2:TRAP_HANDLER: 0
; COMPUTE_PGM_RSRC2:TGID_X_EN: 1
; COMPUTE_PGM_RSRC2:TGID_Y_EN: 0
; COMPUTE_PGM_RSRC2:TGID_Z_EN: 0
; COMPUTE_PGM_RSRC2:TIDIG_COMP_CNT: 0
; COMPUTE_PGM_RSRC3_GFX90A:ACCUM_OFFSET: 0
; COMPUTE_PGM_RSRC3_GFX90A:TG_SPLIT: 0
	.section	.text._ZN7rocprim17ROCPRIM_400000_NS6detail17trampoline_kernelINS0_14default_configENS1_25transform_config_selectorIN3c107complexIdEELb1EEEZNS1_14transform_implILb1ES3_S8_PS7_SA_NS0_8identityIS7_EEEE10hipError_tT2_T3_mT4_P12ihipStream_tbEUlT_E_NS1_11comp_targetILNS1_3genE10ELNS1_11target_archE1201ELNS1_3gpuE5ELNS1_3repE0EEENS1_30default_config_static_selectorELNS0_4arch9wavefront6targetE1EEEvT1_,"axG",@progbits,_ZN7rocprim17ROCPRIM_400000_NS6detail17trampoline_kernelINS0_14default_configENS1_25transform_config_selectorIN3c107complexIdEELb1EEEZNS1_14transform_implILb1ES3_S8_PS7_SA_NS0_8identityIS7_EEEE10hipError_tT2_T3_mT4_P12ihipStream_tbEUlT_E_NS1_11comp_targetILNS1_3genE10ELNS1_11target_archE1201ELNS1_3gpuE5ELNS1_3repE0EEENS1_30default_config_static_selectorELNS0_4arch9wavefront6targetE1EEEvT1_,comdat
	.protected	_ZN7rocprim17ROCPRIM_400000_NS6detail17trampoline_kernelINS0_14default_configENS1_25transform_config_selectorIN3c107complexIdEELb1EEEZNS1_14transform_implILb1ES3_S8_PS7_SA_NS0_8identityIS7_EEEE10hipError_tT2_T3_mT4_P12ihipStream_tbEUlT_E_NS1_11comp_targetILNS1_3genE10ELNS1_11target_archE1201ELNS1_3gpuE5ELNS1_3repE0EEENS1_30default_config_static_selectorELNS0_4arch9wavefront6targetE1EEEvT1_ ; -- Begin function _ZN7rocprim17ROCPRIM_400000_NS6detail17trampoline_kernelINS0_14default_configENS1_25transform_config_selectorIN3c107complexIdEELb1EEEZNS1_14transform_implILb1ES3_S8_PS7_SA_NS0_8identityIS7_EEEE10hipError_tT2_T3_mT4_P12ihipStream_tbEUlT_E_NS1_11comp_targetILNS1_3genE10ELNS1_11target_archE1201ELNS1_3gpuE5ELNS1_3repE0EEENS1_30default_config_static_selectorELNS0_4arch9wavefront6targetE1EEEvT1_
	.globl	_ZN7rocprim17ROCPRIM_400000_NS6detail17trampoline_kernelINS0_14default_configENS1_25transform_config_selectorIN3c107complexIdEELb1EEEZNS1_14transform_implILb1ES3_S8_PS7_SA_NS0_8identityIS7_EEEE10hipError_tT2_T3_mT4_P12ihipStream_tbEUlT_E_NS1_11comp_targetILNS1_3genE10ELNS1_11target_archE1201ELNS1_3gpuE5ELNS1_3repE0EEENS1_30default_config_static_selectorELNS0_4arch9wavefront6targetE1EEEvT1_
	.p2align	8
	.type	_ZN7rocprim17ROCPRIM_400000_NS6detail17trampoline_kernelINS0_14default_configENS1_25transform_config_selectorIN3c107complexIdEELb1EEEZNS1_14transform_implILb1ES3_S8_PS7_SA_NS0_8identityIS7_EEEE10hipError_tT2_T3_mT4_P12ihipStream_tbEUlT_E_NS1_11comp_targetILNS1_3genE10ELNS1_11target_archE1201ELNS1_3gpuE5ELNS1_3repE0EEENS1_30default_config_static_selectorELNS0_4arch9wavefront6targetE1EEEvT1_,@function
_ZN7rocprim17ROCPRIM_400000_NS6detail17trampoline_kernelINS0_14default_configENS1_25transform_config_selectorIN3c107complexIdEELb1EEEZNS1_14transform_implILb1ES3_S8_PS7_SA_NS0_8identityIS7_EEEE10hipError_tT2_T3_mT4_P12ihipStream_tbEUlT_E_NS1_11comp_targetILNS1_3genE10ELNS1_11target_archE1201ELNS1_3gpuE5ELNS1_3repE0EEENS1_30default_config_static_selectorELNS0_4arch9wavefront6targetE1EEEvT1_: ; @_ZN7rocprim17ROCPRIM_400000_NS6detail17trampoline_kernelINS0_14default_configENS1_25transform_config_selectorIN3c107complexIdEELb1EEEZNS1_14transform_implILb1ES3_S8_PS7_SA_NS0_8identityIS7_EEEE10hipError_tT2_T3_mT4_P12ihipStream_tbEUlT_E_NS1_11comp_targetILNS1_3genE10ELNS1_11target_archE1201ELNS1_3gpuE5ELNS1_3repE0EEENS1_30default_config_static_selectorELNS0_4arch9wavefront6targetE1EEEvT1_
; %bb.0:
	.section	.rodata,"a",@progbits
	.p2align	6, 0x0
	.amdhsa_kernel _ZN7rocprim17ROCPRIM_400000_NS6detail17trampoline_kernelINS0_14default_configENS1_25transform_config_selectorIN3c107complexIdEELb1EEEZNS1_14transform_implILb1ES3_S8_PS7_SA_NS0_8identityIS7_EEEE10hipError_tT2_T3_mT4_P12ihipStream_tbEUlT_E_NS1_11comp_targetILNS1_3genE10ELNS1_11target_archE1201ELNS1_3gpuE5ELNS1_3repE0EEENS1_30default_config_static_selectorELNS0_4arch9wavefront6targetE1EEEvT1_
		.amdhsa_group_segment_fixed_size 0
		.amdhsa_private_segment_fixed_size 0
		.amdhsa_kernarg_size 40
		.amdhsa_user_sgpr_count 2
		.amdhsa_user_sgpr_dispatch_ptr 0
		.amdhsa_user_sgpr_queue_ptr 0
		.amdhsa_user_sgpr_kernarg_segment_ptr 1
		.amdhsa_user_sgpr_dispatch_id 0
		.amdhsa_user_sgpr_kernarg_preload_length 0
		.amdhsa_user_sgpr_kernarg_preload_offset 0
		.amdhsa_user_sgpr_private_segment_size 0
		.amdhsa_uses_dynamic_stack 0
		.amdhsa_enable_private_segment 0
		.amdhsa_system_sgpr_workgroup_id_x 1
		.amdhsa_system_sgpr_workgroup_id_y 0
		.amdhsa_system_sgpr_workgroup_id_z 0
		.amdhsa_system_sgpr_workgroup_info 0
		.amdhsa_system_vgpr_workitem_id 0
		.amdhsa_next_free_vgpr 1
		.amdhsa_next_free_sgpr 0
		.amdhsa_accum_offset 4
		.amdhsa_reserve_vcc 0
		.amdhsa_float_round_mode_32 0
		.amdhsa_float_round_mode_16_64 0
		.amdhsa_float_denorm_mode_32 3
		.amdhsa_float_denorm_mode_16_64 3
		.amdhsa_dx10_clamp 1
		.amdhsa_ieee_mode 1
		.amdhsa_fp16_overflow 0
		.amdhsa_tg_split 0
		.amdhsa_exception_fp_ieee_invalid_op 0
		.amdhsa_exception_fp_denorm_src 0
		.amdhsa_exception_fp_ieee_div_zero 0
		.amdhsa_exception_fp_ieee_overflow 0
		.amdhsa_exception_fp_ieee_underflow 0
		.amdhsa_exception_fp_ieee_inexact 0
		.amdhsa_exception_int_div_zero 0
	.end_amdhsa_kernel
	.section	.text._ZN7rocprim17ROCPRIM_400000_NS6detail17trampoline_kernelINS0_14default_configENS1_25transform_config_selectorIN3c107complexIdEELb1EEEZNS1_14transform_implILb1ES3_S8_PS7_SA_NS0_8identityIS7_EEEE10hipError_tT2_T3_mT4_P12ihipStream_tbEUlT_E_NS1_11comp_targetILNS1_3genE10ELNS1_11target_archE1201ELNS1_3gpuE5ELNS1_3repE0EEENS1_30default_config_static_selectorELNS0_4arch9wavefront6targetE1EEEvT1_,"axG",@progbits,_ZN7rocprim17ROCPRIM_400000_NS6detail17trampoline_kernelINS0_14default_configENS1_25transform_config_selectorIN3c107complexIdEELb1EEEZNS1_14transform_implILb1ES3_S8_PS7_SA_NS0_8identityIS7_EEEE10hipError_tT2_T3_mT4_P12ihipStream_tbEUlT_E_NS1_11comp_targetILNS1_3genE10ELNS1_11target_archE1201ELNS1_3gpuE5ELNS1_3repE0EEENS1_30default_config_static_selectorELNS0_4arch9wavefront6targetE1EEEvT1_,comdat
.Lfunc_end194:
	.size	_ZN7rocprim17ROCPRIM_400000_NS6detail17trampoline_kernelINS0_14default_configENS1_25transform_config_selectorIN3c107complexIdEELb1EEEZNS1_14transform_implILb1ES3_S8_PS7_SA_NS0_8identityIS7_EEEE10hipError_tT2_T3_mT4_P12ihipStream_tbEUlT_E_NS1_11comp_targetILNS1_3genE10ELNS1_11target_archE1201ELNS1_3gpuE5ELNS1_3repE0EEENS1_30default_config_static_selectorELNS0_4arch9wavefront6targetE1EEEvT1_, .Lfunc_end194-_ZN7rocprim17ROCPRIM_400000_NS6detail17trampoline_kernelINS0_14default_configENS1_25transform_config_selectorIN3c107complexIdEELb1EEEZNS1_14transform_implILb1ES3_S8_PS7_SA_NS0_8identityIS7_EEEE10hipError_tT2_T3_mT4_P12ihipStream_tbEUlT_E_NS1_11comp_targetILNS1_3genE10ELNS1_11target_archE1201ELNS1_3gpuE5ELNS1_3repE0EEENS1_30default_config_static_selectorELNS0_4arch9wavefront6targetE1EEEvT1_
                                        ; -- End function
	.section	.AMDGPU.csdata,"",@progbits
; Kernel info:
; codeLenInByte = 0
; NumSgprs: 6
; NumVgprs: 0
; NumAgprs: 0
; TotalNumVgprs: 0
; ScratchSize: 0
; MemoryBound: 0
; FloatMode: 240
; IeeeMode: 1
; LDSByteSize: 0 bytes/workgroup (compile time only)
; SGPRBlocks: 0
; VGPRBlocks: 0
; NumSGPRsForWavesPerEU: 6
; NumVGPRsForWavesPerEU: 1
; AccumOffset: 4
; Occupancy: 8
; WaveLimiterHint : 0
; COMPUTE_PGM_RSRC2:SCRATCH_EN: 0
; COMPUTE_PGM_RSRC2:USER_SGPR: 2
; COMPUTE_PGM_RSRC2:TRAP_HANDLER: 0
; COMPUTE_PGM_RSRC2:TGID_X_EN: 1
; COMPUTE_PGM_RSRC2:TGID_Y_EN: 0
; COMPUTE_PGM_RSRC2:TGID_Z_EN: 0
; COMPUTE_PGM_RSRC2:TIDIG_COMP_CNT: 0
; COMPUTE_PGM_RSRC3_GFX90A:ACCUM_OFFSET: 0
; COMPUTE_PGM_RSRC3_GFX90A:TG_SPLIT: 0
	.section	.text._ZN7rocprim17ROCPRIM_400000_NS6detail17trampoline_kernelINS0_14default_configENS1_25transform_config_selectorIN3c107complexIdEELb1EEEZNS1_14transform_implILb1ES3_S8_PS7_SA_NS0_8identityIS7_EEEE10hipError_tT2_T3_mT4_P12ihipStream_tbEUlT_E_NS1_11comp_targetILNS1_3genE5ELNS1_11target_archE942ELNS1_3gpuE9ELNS1_3repE0EEENS1_30default_config_static_selectorELNS0_4arch9wavefront6targetE1EEEvT1_,"axG",@progbits,_ZN7rocprim17ROCPRIM_400000_NS6detail17trampoline_kernelINS0_14default_configENS1_25transform_config_selectorIN3c107complexIdEELb1EEEZNS1_14transform_implILb1ES3_S8_PS7_SA_NS0_8identityIS7_EEEE10hipError_tT2_T3_mT4_P12ihipStream_tbEUlT_E_NS1_11comp_targetILNS1_3genE5ELNS1_11target_archE942ELNS1_3gpuE9ELNS1_3repE0EEENS1_30default_config_static_selectorELNS0_4arch9wavefront6targetE1EEEvT1_,comdat
	.protected	_ZN7rocprim17ROCPRIM_400000_NS6detail17trampoline_kernelINS0_14default_configENS1_25transform_config_selectorIN3c107complexIdEELb1EEEZNS1_14transform_implILb1ES3_S8_PS7_SA_NS0_8identityIS7_EEEE10hipError_tT2_T3_mT4_P12ihipStream_tbEUlT_E_NS1_11comp_targetILNS1_3genE5ELNS1_11target_archE942ELNS1_3gpuE9ELNS1_3repE0EEENS1_30default_config_static_selectorELNS0_4arch9wavefront6targetE1EEEvT1_ ; -- Begin function _ZN7rocprim17ROCPRIM_400000_NS6detail17trampoline_kernelINS0_14default_configENS1_25transform_config_selectorIN3c107complexIdEELb1EEEZNS1_14transform_implILb1ES3_S8_PS7_SA_NS0_8identityIS7_EEEE10hipError_tT2_T3_mT4_P12ihipStream_tbEUlT_E_NS1_11comp_targetILNS1_3genE5ELNS1_11target_archE942ELNS1_3gpuE9ELNS1_3repE0EEENS1_30default_config_static_selectorELNS0_4arch9wavefront6targetE1EEEvT1_
	.globl	_ZN7rocprim17ROCPRIM_400000_NS6detail17trampoline_kernelINS0_14default_configENS1_25transform_config_selectorIN3c107complexIdEELb1EEEZNS1_14transform_implILb1ES3_S8_PS7_SA_NS0_8identityIS7_EEEE10hipError_tT2_T3_mT4_P12ihipStream_tbEUlT_E_NS1_11comp_targetILNS1_3genE5ELNS1_11target_archE942ELNS1_3gpuE9ELNS1_3repE0EEENS1_30default_config_static_selectorELNS0_4arch9wavefront6targetE1EEEvT1_
	.p2align	8
	.type	_ZN7rocprim17ROCPRIM_400000_NS6detail17trampoline_kernelINS0_14default_configENS1_25transform_config_selectorIN3c107complexIdEELb1EEEZNS1_14transform_implILb1ES3_S8_PS7_SA_NS0_8identityIS7_EEEE10hipError_tT2_T3_mT4_P12ihipStream_tbEUlT_E_NS1_11comp_targetILNS1_3genE5ELNS1_11target_archE942ELNS1_3gpuE9ELNS1_3repE0EEENS1_30default_config_static_selectorELNS0_4arch9wavefront6targetE1EEEvT1_,@function
_ZN7rocprim17ROCPRIM_400000_NS6detail17trampoline_kernelINS0_14default_configENS1_25transform_config_selectorIN3c107complexIdEELb1EEEZNS1_14transform_implILb1ES3_S8_PS7_SA_NS0_8identityIS7_EEEE10hipError_tT2_T3_mT4_P12ihipStream_tbEUlT_E_NS1_11comp_targetILNS1_3genE5ELNS1_11target_archE942ELNS1_3gpuE9ELNS1_3repE0EEENS1_30default_config_static_selectorELNS0_4arch9wavefront6targetE1EEEvT1_: ; @_ZN7rocprim17ROCPRIM_400000_NS6detail17trampoline_kernelINS0_14default_configENS1_25transform_config_selectorIN3c107complexIdEELb1EEEZNS1_14transform_implILb1ES3_S8_PS7_SA_NS0_8identityIS7_EEEE10hipError_tT2_T3_mT4_P12ihipStream_tbEUlT_E_NS1_11comp_targetILNS1_3genE5ELNS1_11target_archE942ELNS1_3gpuE9ELNS1_3repE0EEENS1_30default_config_static_selectorELNS0_4arch9wavefront6targetE1EEEvT1_
; %bb.0:
	s_load_dword s3, s[0:1], 0x28
	s_load_dword s5, s[0:1], 0x10
	s_lshl_b32 s4, s2, 8
	s_waitcnt lgkmcnt(0)
	s_add_i32 s3, s3, -1
	s_cmp_lg_u32 s2, s3
	s_cselect_b64 s[2:3], -1, 0
	s_sub_i32 s5, s5, s4
	v_cmp_gt_u32_e32 vcc, s5, v0
	s_or_b64 s[2:3], vcc, s[2:3]
	s_and_saveexec_b64 s[6:7], s[2:3]
	s_cbranch_execz .LBB195_2
; %bb.1:
	s_load_dwordx4 s[8:11], s[0:1], 0x0
	s_load_dwordx2 s[2:3], s[0:1], 0x18
	s_mov_b32 s5, 0
	v_lshlrev_b32_e32 v4, 4, v0
	s_waitcnt lgkmcnt(0)
	s_lshl_b64 s[0:1], s[10:11], 4
	s_add_u32 s6, s8, s0
	s_addc_u32 s7, s9, s1
	s_lshl_b64 s[4:5], s[4:5], 4
	s_add_u32 s6, s6, s4
	s_addc_u32 s7, s7, s5
	global_load_dwordx4 v[0:3], v4, s[6:7]
	s_add_u32 s0, s2, s0
	s_addc_u32 s1, s3, s1
	s_add_u32 s0, s0, s4
	s_addc_u32 s1, s1, s5
	s_waitcnt vmcnt(0)
	global_store_dwordx4 v4, v[0:3], s[0:1]
.LBB195_2:
	s_endpgm
	.section	.rodata,"a",@progbits
	.p2align	6, 0x0
	.amdhsa_kernel _ZN7rocprim17ROCPRIM_400000_NS6detail17trampoline_kernelINS0_14default_configENS1_25transform_config_selectorIN3c107complexIdEELb1EEEZNS1_14transform_implILb1ES3_S8_PS7_SA_NS0_8identityIS7_EEEE10hipError_tT2_T3_mT4_P12ihipStream_tbEUlT_E_NS1_11comp_targetILNS1_3genE5ELNS1_11target_archE942ELNS1_3gpuE9ELNS1_3repE0EEENS1_30default_config_static_selectorELNS0_4arch9wavefront6targetE1EEEvT1_
		.amdhsa_group_segment_fixed_size 0
		.amdhsa_private_segment_fixed_size 0
		.amdhsa_kernarg_size 296
		.amdhsa_user_sgpr_count 2
		.amdhsa_user_sgpr_dispatch_ptr 0
		.amdhsa_user_sgpr_queue_ptr 0
		.amdhsa_user_sgpr_kernarg_segment_ptr 1
		.amdhsa_user_sgpr_dispatch_id 0
		.amdhsa_user_sgpr_kernarg_preload_length 0
		.amdhsa_user_sgpr_kernarg_preload_offset 0
		.amdhsa_user_sgpr_private_segment_size 0
		.amdhsa_uses_dynamic_stack 0
		.amdhsa_enable_private_segment 0
		.amdhsa_system_sgpr_workgroup_id_x 1
		.amdhsa_system_sgpr_workgroup_id_y 0
		.amdhsa_system_sgpr_workgroup_id_z 0
		.amdhsa_system_sgpr_workgroup_info 0
		.amdhsa_system_vgpr_workitem_id 0
		.amdhsa_next_free_vgpr 5
		.amdhsa_next_free_sgpr 12
		.amdhsa_accum_offset 8
		.amdhsa_reserve_vcc 1
		.amdhsa_float_round_mode_32 0
		.amdhsa_float_round_mode_16_64 0
		.amdhsa_float_denorm_mode_32 3
		.amdhsa_float_denorm_mode_16_64 3
		.amdhsa_dx10_clamp 1
		.amdhsa_ieee_mode 1
		.amdhsa_fp16_overflow 0
		.amdhsa_tg_split 0
		.amdhsa_exception_fp_ieee_invalid_op 0
		.amdhsa_exception_fp_denorm_src 0
		.amdhsa_exception_fp_ieee_div_zero 0
		.amdhsa_exception_fp_ieee_overflow 0
		.amdhsa_exception_fp_ieee_underflow 0
		.amdhsa_exception_fp_ieee_inexact 0
		.amdhsa_exception_int_div_zero 0
	.end_amdhsa_kernel
	.section	.text._ZN7rocprim17ROCPRIM_400000_NS6detail17trampoline_kernelINS0_14default_configENS1_25transform_config_selectorIN3c107complexIdEELb1EEEZNS1_14transform_implILb1ES3_S8_PS7_SA_NS0_8identityIS7_EEEE10hipError_tT2_T3_mT4_P12ihipStream_tbEUlT_E_NS1_11comp_targetILNS1_3genE5ELNS1_11target_archE942ELNS1_3gpuE9ELNS1_3repE0EEENS1_30default_config_static_selectorELNS0_4arch9wavefront6targetE1EEEvT1_,"axG",@progbits,_ZN7rocprim17ROCPRIM_400000_NS6detail17trampoline_kernelINS0_14default_configENS1_25transform_config_selectorIN3c107complexIdEELb1EEEZNS1_14transform_implILb1ES3_S8_PS7_SA_NS0_8identityIS7_EEEE10hipError_tT2_T3_mT4_P12ihipStream_tbEUlT_E_NS1_11comp_targetILNS1_3genE5ELNS1_11target_archE942ELNS1_3gpuE9ELNS1_3repE0EEENS1_30default_config_static_selectorELNS0_4arch9wavefront6targetE1EEEvT1_,comdat
.Lfunc_end195:
	.size	_ZN7rocprim17ROCPRIM_400000_NS6detail17trampoline_kernelINS0_14default_configENS1_25transform_config_selectorIN3c107complexIdEELb1EEEZNS1_14transform_implILb1ES3_S8_PS7_SA_NS0_8identityIS7_EEEE10hipError_tT2_T3_mT4_P12ihipStream_tbEUlT_E_NS1_11comp_targetILNS1_3genE5ELNS1_11target_archE942ELNS1_3gpuE9ELNS1_3repE0EEENS1_30default_config_static_selectorELNS0_4arch9wavefront6targetE1EEEvT1_, .Lfunc_end195-_ZN7rocprim17ROCPRIM_400000_NS6detail17trampoline_kernelINS0_14default_configENS1_25transform_config_selectorIN3c107complexIdEELb1EEEZNS1_14transform_implILb1ES3_S8_PS7_SA_NS0_8identityIS7_EEEE10hipError_tT2_T3_mT4_P12ihipStream_tbEUlT_E_NS1_11comp_targetILNS1_3genE5ELNS1_11target_archE942ELNS1_3gpuE9ELNS1_3repE0EEENS1_30default_config_static_selectorELNS0_4arch9wavefront6targetE1EEEvT1_
                                        ; -- End function
	.section	.AMDGPU.csdata,"",@progbits
; Kernel info:
; codeLenInByte = 148
; NumSgprs: 18
; NumVgprs: 5
; NumAgprs: 0
; TotalNumVgprs: 5
; ScratchSize: 0
; MemoryBound: 0
; FloatMode: 240
; IeeeMode: 1
; LDSByteSize: 0 bytes/workgroup (compile time only)
; SGPRBlocks: 2
; VGPRBlocks: 0
; NumSGPRsForWavesPerEU: 18
; NumVGPRsForWavesPerEU: 5
; AccumOffset: 8
; Occupancy: 8
; WaveLimiterHint : 0
; COMPUTE_PGM_RSRC2:SCRATCH_EN: 0
; COMPUTE_PGM_RSRC2:USER_SGPR: 2
; COMPUTE_PGM_RSRC2:TRAP_HANDLER: 0
; COMPUTE_PGM_RSRC2:TGID_X_EN: 1
; COMPUTE_PGM_RSRC2:TGID_Y_EN: 0
; COMPUTE_PGM_RSRC2:TGID_Z_EN: 0
; COMPUTE_PGM_RSRC2:TIDIG_COMP_CNT: 0
; COMPUTE_PGM_RSRC3_GFX90A:ACCUM_OFFSET: 1
; COMPUTE_PGM_RSRC3_GFX90A:TG_SPLIT: 0
	.section	.text._ZN7rocprim17ROCPRIM_400000_NS6detail17trampoline_kernelINS0_14default_configENS1_25transform_config_selectorIN3c107complexIdEELb1EEEZNS1_14transform_implILb1ES3_S8_PS7_SA_NS0_8identityIS7_EEEE10hipError_tT2_T3_mT4_P12ihipStream_tbEUlT_E_NS1_11comp_targetILNS1_3genE4ELNS1_11target_archE910ELNS1_3gpuE8ELNS1_3repE0EEENS1_30default_config_static_selectorELNS0_4arch9wavefront6targetE1EEEvT1_,"axG",@progbits,_ZN7rocprim17ROCPRIM_400000_NS6detail17trampoline_kernelINS0_14default_configENS1_25transform_config_selectorIN3c107complexIdEELb1EEEZNS1_14transform_implILb1ES3_S8_PS7_SA_NS0_8identityIS7_EEEE10hipError_tT2_T3_mT4_P12ihipStream_tbEUlT_E_NS1_11comp_targetILNS1_3genE4ELNS1_11target_archE910ELNS1_3gpuE8ELNS1_3repE0EEENS1_30default_config_static_selectorELNS0_4arch9wavefront6targetE1EEEvT1_,comdat
	.protected	_ZN7rocprim17ROCPRIM_400000_NS6detail17trampoline_kernelINS0_14default_configENS1_25transform_config_selectorIN3c107complexIdEELb1EEEZNS1_14transform_implILb1ES3_S8_PS7_SA_NS0_8identityIS7_EEEE10hipError_tT2_T3_mT4_P12ihipStream_tbEUlT_E_NS1_11comp_targetILNS1_3genE4ELNS1_11target_archE910ELNS1_3gpuE8ELNS1_3repE0EEENS1_30default_config_static_selectorELNS0_4arch9wavefront6targetE1EEEvT1_ ; -- Begin function _ZN7rocprim17ROCPRIM_400000_NS6detail17trampoline_kernelINS0_14default_configENS1_25transform_config_selectorIN3c107complexIdEELb1EEEZNS1_14transform_implILb1ES3_S8_PS7_SA_NS0_8identityIS7_EEEE10hipError_tT2_T3_mT4_P12ihipStream_tbEUlT_E_NS1_11comp_targetILNS1_3genE4ELNS1_11target_archE910ELNS1_3gpuE8ELNS1_3repE0EEENS1_30default_config_static_selectorELNS0_4arch9wavefront6targetE1EEEvT1_
	.globl	_ZN7rocprim17ROCPRIM_400000_NS6detail17trampoline_kernelINS0_14default_configENS1_25transform_config_selectorIN3c107complexIdEELb1EEEZNS1_14transform_implILb1ES3_S8_PS7_SA_NS0_8identityIS7_EEEE10hipError_tT2_T3_mT4_P12ihipStream_tbEUlT_E_NS1_11comp_targetILNS1_3genE4ELNS1_11target_archE910ELNS1_3gpuE8ELNS1_3repE0EEENS1_30default_config_static_selectorELNS0_4arch9wavefront6targetE1EEEvT1_
	.p2align	8
	.type	_ZN7rocprim17ROCPRIM_400000_NS6detail17trampoline_kernelINS0_14default_configENS1_25transform_config_selectorIN3c107complexIdEELb1EEEZNS1_14transform_implILb1ES3_S8_PS7_SA_NS0_8identityIS7_EEEE10hipError_tT2_T3_mT4_P12ihipStream_tbEUlT_E_NS1_11comp_targetILNS1_3genE4ELNS1_11target_archE910ELNS1_3gpuE8ELNS1_3repE0EEENS1_30default_config_static_selectorELNS0_4arch9wavefront6targetE1EEEvT1_,@function
_ZN7rocprim17ROCPRIM_400000_NS6detail17trampoline_kernelINS0_14default_configENS1_25transform_config_selectorIN3c107complexIdEELb1EEEZNS1_14transform_implILb1ES3_S8_PS7_SA_NS0_8identityIS7_EEEE10hipError_tT2_T3_mT4_P12ihipStream_tbEUlT_E_NS1_11comp_targetILNS1_3genE4ELNS1_11target_archE910ELNS1_3gpuE8ELNS1_3repE0EEENS1_30default_config_static_selectorELNS0_4arch9wavefront6targetE1EEEvT1_: ; @_ZN7rocprim17ROCPRIM_400000_NS6detail17trampoline_kernelINS0_14default_configENS1_25transform_config_selectorIN3c107complexIdEELb1EEEZNS1_14transform_implILb1ES3_S8_PS7_SA_NS0_8identityIS7_EEEE10hipError_tT2_T3_mT4_P12ihipStream_tbEUlT_E_NS1_11comp_targetILNS1_3genE4ELNS1_11target_archE910ELNS1_3gpuE8ELNS1_3repE0EEENS1_30default_config_static_selectorELNS0_4arch9wavefront6targetE1EEEvT1_
; %bb.0:
	.section	.rodata,"a",@progbits
	.p2align	6, 0x0
	.amdhsa_kernel _ZN7rocprim17ROCPRIM_400000_NS6detail17trampoline_kernelINS0_14default_configENS1_25transform_config_selectorIN3c107complexIdEELb1EEEZNS1_14transform_implILb1ES3_S8_PS7_SA_NS0_8identityIS7_EEEE10hipError_tT2_T3_mT4_P12ihipStream_tbEUlT_E_NS1_11comp_targetILNS1_3genE4ELNS1_11target_archE910ELNS1_3gpuE8ELNS1_3repE0EEENS1_30default_config_static_selectorELNS0_4arch9wavefront6targetE1EEEvT1_
		.amdhsa_group_segment_fixed_size 0
		.amdhsa_private_segment_fixed_size 0
		.amdhsa_kernarg_size 40
		.amdhsa_user_sgpr_count 2
		.amdhsa_user_sgpr_dispatch_ptr 0
		.amdhsa_user_sgpr_queue_ptr 0
		.amdhsa_user_sgpr_kernarg_segment_ptr 1
		.amdhsa_user_sgpr_dispatch_id 0
		.amdhsa_user_sgpr_kernarg_preload_length 0
		.amdhsa_user_sgpr_kernarg_preload_offset 0
		.amdhsa_user_sgpr_private_segment_size 0
		.amdhsa_uses_dynamic_stack 0
		.amdhsa_enable_private_segment 0
		.amdhsa_system_sgpr_workgroup_id_x 1
		.amdhsa_system_sgpr_workgroup_id_y 0
		.amdhsa_system_sgpr_workgroup_id_z 0
		.amdhsa_system_sgpr_workgroup_info 0
		.amdhsa_system_vgpr_workitem_id 0
		.amdhsa_next_free_vgpr 1
		.amdhsa_next_free_sgpr 0
		.amdhsa_accum_offset 4
		.amdhsa_reserve_vcc 0
		.amdhsa_float_round_mode_32 0
		.amdhsa_float_round_mode_16_64 0
		.amdhsa_float_denorm_mode_32 3
		.amdhsa_float_denorm_mode_16_64 3
		.amdhsa_dx10_clamp 1
		.amdhsa_ieee_mode 1
		.amdhsa_fp16_overflow 0
		.amdhsa_tg_split 0
		.amdhsa_exception_fp_ieee_invalid_op 0
		.amdhsa_exception_fp_denorm_src 0
		.amdhsa_exception_fp_ieee_div_zero 0
		.amdhsa_exception_fp_ieee_overflow 0
		.amdhsa_exception_fp_ieee_underflow 0
		.amdhsa_exception_fp_ieee_inexact 0
		.amdhsa_exception_int_div_zero 0
	.end_amdhsa_kernel
	.section	.text._ZN7rocprim17ROCPRIM_400000_NS6detail17trampoline_kernelINS0_14default_configENS1_25transform_config_selectorIN3c107complexIdEELb1EEEZNS1_14transform_implILb1ES3_S8_PS7_SA_NS0_8identityIS7_EEEE10hipError_tT2_T3_mT4_P12ihipStream_tbEUlT_E_NS1_11comp_targetILNS1_3genE4ELNS1_11target_archE910ELNS1_3gpuE8ELNS1_3repE0EEENS1_30default_config_static_selectorELNS0_4arch9wavefront6targetE1EEEvT1_,"axG",@progbits,_ZN7rocprim17ROCPRIM_400000_NS6detail17trampoline_kernelINS0_14default_configENS1_25transform_config_selectorIN3c107complexIdEELb1EEEZNS1_14transform_implILb1ES3_S8_PS7_SA_NS0_8identityIS7_EEEE10hipError_tT2_T3_mT4_P12ihipStream_tbEUlT_E_NS1_11comp_targetILNS1_3genE4ELNS1_11target_archE910ELNS1_3gpuE8ELNS1_3repE0EEENS1_30default_config_static_selectorELNS0_4arch9wavefront6targetE1EEEvT1_,comdat
.Lfunc_end196:
	.size	_ZN7rocprim17ROCPRIM_400000_NS6detail17trampoline_kernelINS0_14default_configENS1_25transform_config_selectorIN3c107complexIdEELb1EEEZNS1_14transform_implILb1ES3_S8_PS7_SA_NS0_8identityIS7_EEEE10hipError_tT2_T3_mT4_P12ihipStream_tbEUlT_E_NS1_11comp_targetILNS1_3genE4ELNS1_11target_archE910ELNS1_3gpuE8ELNS1_3repE0EEENS1_30default_config_static_selectorELNS0_4arch9wavefront6targetE1EEEvT1_, .Lfunc_end196-_ZN7rocprim17ROCPRIM_400000_NS6detail17trampoline_kernelINS0_14default_configENS1_25transform_config_selectorIN3c107complexIdEELb1EEEZNS1_14transform_implILb1ES3_S8_PS7_SA_NS0_8identityIS7_EEEE10hipError_tT2_T3_mT4_P12ihipStream_tbEUlT_E_NS1_11comp_targetILNS1_3genE4ELNS1_11target_archE910ELNS1_3gpuE8ELNS1_3repE0EEENS1_30default_config_static_selectorELNS0_4arch9wavefront6targetE1EEEvT1_
                                        ; -- End function
	.section	.AMDGPU.csdata,"",@progbits
; Kernel info:
; codeLenInByte = 0
; NumSgprs: 6
; NumVgprs: 0
; NumAgprs: 0
; TotalNumVgprs: 0
; ScratchSize: 0
; MemoryBound: 0
; FloatMode: 240
; IeeeMode: 1
; LDSByteSize: 0 bytes/workgroup (compile time only)
; SGPRBlocks: 0
; VGPRBlocks: 0
; NumSGPRsForWavesPerEU: 6
; NumVGPRsForWavesPerEU: 1
; AccumOffset: 4
; Occupancy: 8
; WaveLimiterHint : 0
; COMPUTE_PGM_RSRC2:SCRATCH_EN: 0
; COMPUTE_PGM_RSRC2:USER_SGPR: 2
; COMPUTE_PGM_RSRC2:TRAP_HANDLER: 0
; COMPUTE_PGM_RSRC2:TGID_X_EN: 1
; COMPUTE_PGM_RSRC2:TGID_Y_EN: 0
; COMPUTE_PGM_RSRC2:TGID_Z_EN: 0
; COMPUTE_PGM_RSRC2:TIDIG_COMP_CNT: 0
; COMPUTE_PGM_RSRC3_GFX90A:ACCUM_OFFSET: 0
; COMPUTE_PGM_RSRC3_GFX90A:TG_SPLIT: 0
	.section	.text._ZN7rocprim17ROCPRIM_400000_NS6detail17trampoline_kernelINS0_14default_configENS1_25transform_config_selectorIN3c107complexIdEELb1EEEZNS1_14transform_implILb1ES3_S8_PS7_SA_NS0_8identityIS7_EEEE10hipError_tT2_T3_mT4_P12ihipStream_tbEUlT_E_NS1_11comp_targetILNS1_3genE3ELNS1_11target_archE908ELNS1_3gpuE7ELNS1_3repE0EEENS1_30default_config_static_selectorELNS0_4arch9wavefront6targetE1EEEvT1_,"axG",@progbits,_ZN7rocprim17ROCPRIM_400000_NS6detail17trampoline_kernelINS0_14default_configENS1_25transform_config_selectorIN3c107complexIdEELb1EEEZNS1_14transform_implILb1ES3_S8_PS7_SA_NS0_8identityIS7_EEEE10hipError_tT2_T3_mT4_P12ihipStream_tbEUlT_E_NS1_11comp_targetILNS1_3genE3ELNS1_11target_archE908ELNS1_3gpuE7ELNS1_3repE0EEENS1_30default_config_static_selectorELNS0_4arch9wavefront6targetE1EEEvT1_,comdat
	.protected	_ZN7rocprim17ROCPRIM_400000_NS6detail17trampoline_kernelINS0_14default_configENS1_25transform_config_selectorIN3c107complexIdEELb1EEEZNS1_14transform_implILb1ES3_S8_PS7_SA_NS0_8identityIS7_EEEE10hipError_tT2_T3_mT4_P12ihipStream_tbEUlT_E_NS1_11comp_targetILNS1_3genE3ELNS1_11target_archE908ELNS1_3gpuE7ELNS1_3repE0EEENS1_30default_config_static_selectorELNS0_4arch9wavefront6targetE1EEEvT1_ ; -- Begin function _ZN7rocprim17ROCPRIM_400000_NS6detail17trampoline_kernelINS0_14default_configENS1_25transform_config_selectorIN3c107complexIdEELb1EEEZNS1_14transform_implILb1ES3_S8_PS7_SA_NS0_8identityIS7_EEEE10hipError_tT2_T3_mT4_P12ihipStream_tbEUlT_E_NS1_11comp_targetILNS1_3genE3ELNS1_11target_archE908ELNS1_3gpuE7ELNS1_3repE0EEENS1_30default_config_static_selectorELNS0_4arch9wavefront6targetE1EEEvT1_
	.globl	_ZN7rocprim17ROCPRIM_400000_NS6detail17trampoline_kernelINS0_14default_configENS1_25transform_config_selectorIN3c107complexIdEELb1EEEZNS1_14transform_implILb1ES3_S8_PS7_SA_NS0_8identityIS7_EEEE10hipError_tT2_T3_mT4_P12ihipStream_tbEUlT_E_NS1_11comp_targetILNS1_3genE3ELNS1_11target_archE908ELNS1_3gpuE7ELNS1_3repE0EEENS1_30default_config_static_selectorELNS0_4arch9wavefront6targetE1EEEvT1_
	.p2align	8
	.type	_ZN7rocprim17ROCPRIM_400000_NS6detail17trampoline_kernelINS0_14default_configENS1_25transform_config_selectorIN3c107complexIdEELb1EEEZNS1_14transform_implILb1ES3_S8_PS7_SA_NS0_8identityIS7_EEEE10hipError_tT2_T3_mT4_P12ihipStream_tbEUlT_E_NS1_11comp_targetILNS1_3genE3ELNS1_11target_archE908ELNS1_3gpuE7ELNS1_3repE0EEENS1_30default_config_static_selectorELNS0_4arch9wavefront6targetE1EEEvT1_,@function
_ZN7rocprim17ROCPRIM_400000_NS6detail17trampoline_kernelINS0_14default_configENS1_25transform_config_selectorIN3c107complexIdEELb1EEEZNS1_14transform_implILb1ES3_S8_PS7_SA_NS0_8identityIS7_EEEE10hipError_tT2_T3_mT4_P12ihipStream_tbEUlT_E_NS1_11comp_targetILNS1_3genE3ELNS1_11target_archE908ELNS1_3gpuE7ELNS1_3repE0EEENS1_30default_config_static_selectorELNS0_4arch9wavefront6targetE1EEEvT1_: ; @_ZN7rocprim17ROCPRIM_400000_NS6detail17trampoline_kernelINS0_14default_configENS1_25transform_config_selectorIN3c107complexIdEELb1EEEZNS1_14transform_implILb1ES3_S8_PS7_SA_NS0_8identityIS7_EEEE10hipError_tT2_T3_mT4_P12ihipStream_tbEUlT_E_NS1_11comp_targetILNS1_3genE3ELNS1_11target_archE908ELNS1_3gpuE7ELNS1_3repE0EEENS1_30default_config_static_selectorELNS0_4arch9wavefront6targetE1EEEvT1_
; %bb.0:
	.section	.rodata,"a",@progbits
	.p2align	6, 0x0
	.amdhsa_kernel _ZN7rocprim17ROCPRIM_400000_NS6detail17trampoline_kernelINS0_14default_configENS1_25transform_config_selectorIN3c107complexIdEELb1EEEZNS1_14transform_implILb1ES3_S8_PS7_SA_NS0_8identityIS7_EEEE10hipError_tT2_T3_mT4_P12ihipStream_tbEUlT_E_NS1_11comp_targetILNS1_3genE3ELNS1_11target_archE908ELNS1_3gpuE7ELNS1_3repE0EEENS1_30default_config_static_selectorELNS0_4arch9wavefront6targetE1EEEvT1_
		.amdhsa_group_segment_fixed_size 0
		.amdhsa_private_segment_fixed_size 0
		.amdhsa_kernarg_size 40
		.amdhsa_user_sgpr_count 2
		.amdhsa_user_sgpr_dispatch_ptr 0
		.amdhsa_user_sgpr_queue_ptr 0
		.amdhsa_user_sgpr_kernarg_segment_ptr 1
		.amdhsa_user_sgpr_dispatch_id 0
		.amdhsa_user_sgpr_kernarg_preload_length 0
		.amdhsa_user_sgpr_kernarg_preload_offset 0
		.amdhsa_user_sgpr_private_segment_size 0
		.amdhsa_uses_dynamic_stack 0
		.amdhsa_enable_private_segment 0
		.amdhsa_system_sgpr_workgroup_id_x 1
		.amdhsa_system_sgpr_workgroup_id_y 0
		.amdhsa_system_sgpr_workgroup_id_z 0
		.amdhsa_system_sgpr_workgroup_info 0
		.amdhsa_system_vgpr_workitem_id 0
		.amdhsa_next_free_vgpr 1
		.amdhsa_next_free_sgpr 0
		.amdhsa_accum_offset 4
		.amdhsa_reserve_vcc 0
		.amdhsa_float_round_mode_32 0
		.amdhsa_float_round_mode_16_64 0
		.amdhsa_float_denorm_mode_32 3
		.amdhsa_float_denorm_mode_16_64 3
		.amdhsa_dx10_clamp 1
		.amdhsa_ieee_mode 1
		.amdhsa_fp16_overflow 0
		.amdhsa_tg_split 0
		.amdhsa_exception_fp_ieee_invalid_op 0
		.amdhsa_exception_fp_denorm_src 0
		.amdhsa_exception_fp_ieee_div_zero 0
		.amdhsa_exception_fp_ieee_overflow 0
		.amdhsa_exception_fp_ieee_underflow 0
		.amdhsa_exception_fp_ieee_inexact 0
		.amdhsa_exception_int_div_zero 0
	.end_amdhsa_kernel
	.section	.text._ZN7rocprim17ROCPRIM_400000_NS6detail17trampoline_kernelINS0_14default_configENS1_25transform_config_selectorIN3c107complexIdEELb1EEEZNS1_14transform_implILb1ES3_S8_PS7_SA_NS0_8identityIS7_EEEE10hipError_tT2_T3_mT4_P12ihipStream_tbEUlT_E_NS1_11comp_targetILNS1_3genE3ELNS1_11target_archE908ELNS1_3gpuE7ELNS1_3repE0EEENS1_30default_config_static_selectorELNS0_4arch9wavefront6targetE1EEEvT1_,"axG",@progbits,_ZN7rocprim17ROCPRIM_400000_NS6detail17trampoline_kernelINS0_14default_configENS1_25transform_config_selectorIN3c107complexIdEELb1EEEZNS1_14transform_implILb1ES3_S8_PS7_SA_NS0_8identityIS7_EEEE10hipError_tT2_T3_mT4_P12ihipStream_tbEUlT_E_NS1_11comp_targetILNS1_3genE3ELNS1_11target_archE908ELNS1_3gpuE7ELNS1_3repE0EEENS1_30default_config_static_selectorELNS0_4arch9wavefront6targetE1EEEvT1_,comdat
.Lfunc_end197:
	.size	_ZN7rocprim17ROCPRIM_400000_NS6detail17trampoline_kernelINS0_14default_configENS1_25transform_config_selectorIN3c107complexIdEELb1EEEZNS1_14transform_implILb1ES3_S8_PS7_SA_NS0_8identityIS7_EEEE10hipError_tT2_T3_mT4_P12ihipStream_tbEUlT_E_NS1_11comp_targetILNS1_3genE3ELNS1_11target_archE908ELNS1_3gpuE7ELNS1_3repE0EEENS1_30default_config_static_selectorELNS0_4arch9wavefront6targetE1EEEvT1_, .Lfunc_end197-_ZN7rocprim17ROCPRIM_400000_NS6detail17trampoline_kernelINS0_14default_configENS1_25transform_config_selectorIN3c107complexIdEELb1EEEZNS1_14transform_implILb1ES3_S8_PS7_SA_NS0_8identityIS7_EEEE10hipError_tT2_T3_mT4_P12ihipStream_tbEUlT_E_NS1_11comp_targetILNS1_3genE3ELNS1_11target_archE908ELNS1_3gpuE7ELNS1_3repE0EEENS1_30default_config_static_selectorELNS0_4arch9wavefront6targetE1EEEvT1_
                                        ; -- End function
	.section	.AMDGPU.csdata,"",@progbits
; Kernel info:
; codeLenInByte = 0
; NumSgprs: 6
; NumVgprs: 0
; NumAgprs: 0
; TotalNumVgprs: 0
; ScratchSize: 0
; MemoryBound: 0
; FloatMode: 240
; IeeeMode: 1
; LDSByteSize: 0 bytes/workgroup (compile time only)
; SGPRBlocks: 0
; VGPRBlocks: 0
; NumSGPRsForWavesPerEU: 6
; NumVGPRsForWavesPerEU: 1
; AccumOffset: 4
; Occupancy: 8
; WaveLimiterHint : 0
; COMPUTE_PGM_RSRC2:SCRATCH_EN: 0
; COMPUTE_PGM_RSRC2:USER_SGPR: 2
; COMPUTE_PGM_RSRC2:TRAP_HANDLER: 0
; COMPUTE_PGM_RSRC2:TGID_X_EN: 1
; COMPUTE_PGM_RSRC2:TGID_Y_EN: 0
; COMPUTE_PGM_RSRC2:TGID_Z_EN: 0
; COMPUTE_PGM_RSRC2:TIDIG_COMP_CNT: 0
; COMPUTE_PGM_RSRC3_GFX90A:ACCUM_OFFSET: 0
; COMPUTE_PGM_RSRC3_GFX90A:TG_SPLIT: 0
	.section	.text._ZN7rocprim17ROCPRIM_400000_NS6detail17trampoline_kernelINS0_14default_configENS1_25transform_config_selectorIN3c107complexIdEELb1EEEZNS1_14transform_implILb1ES3_S8_PS7_SA_NS0_8identityIS7_EEEE10hipError_tT2_T3_mT4_P12ihipStream_tbEUlT_E_NS1_11comp_targetILNS1_3genE2ELNS1_11target_archE906ELNS1_3gpuE6ELNS1_3repE0EEENS1_30default_config_static_selectorELNS0_4arch9wavefront6targetE1EEEvT1_,"axG",@progbits,_ZN7rocprim17ROCPRIM_400000_NS6detail17trampoline_kernelINS0_14default_configENS1_25transform_config_selectorIN3c107complexIdEELb1EEEZNS1_14transform_implILb1ES3_S8_PS7_SA_NS0_8identityIS7_EEEE10hipError_tT2_T3_mT4_P12ihipStream_tbEUlT_E_NS1_11comp_targetILNS1_3genE2ELNS1_11target_archE906ELNS1_3gpuE6ELNS1_3repE0EEENS1_30default_config_static_selectorELNS0_4arch9wavefront6targetE1EEEvT1_,comdat
	.protected	_ZN7rocprim17ROCPRIM_400000_NS6detail17trampoline_kernelINS0_14default_configENS1_25transform_config_selectorIN3c107complexIdEELb1EEEZNS1_14transform_implILb1ES3_S8_PS7_SA_NS0_8identityIS7_EEEE10hipError_tT2_T3_mT4_P12ihipStream_tbEUlT_E_NS1_11comp_targetILNS1_3genE2ELNS1_11target_archE906ELNS1_3gpuE6ELNS1_3repE0EEENS1_30default_config_static_selectorELNS0_4arch9wavefront6targetE1EEEvT1_ ; -- Begin function _ZN7rocprim17ROCPRIM_400000_NS6detail17trampoline_kernelINS0_14default_configENS1_25transform_config_selectorIN3c107complexIdEELb1EEEZNS1_14transform_implILb1ES3_S8_PS7_SA_NS0_8identityIS7_EEEE10hipError_tT2_T3_mT4_P12ihipStream_tbEUlT_E_NS1_11comp_targetILNS1_3genE2ELNS1_11target_archE906ELNS1_3gpuE6ELNS1_3repE0EEENS1_30default_config_static_selectorELNS0_4arch9wavefront6targetE1EEEvT1_
	.globl	_ZN7rocprim17ROCPRIM_400000_NS6detail17trampoline_kernelINS0_14default_configENS1_25transform_config_selectorIN3c107complexIdEELb1EEEZNS1_14transform_implILb1ES3_S8_PS7_SA_NS0_8identityIS7_EEEE10hipError_tT2_T3_mT4_P12ihipStream_tbEUlT_E_NS1_11comp_targetILNS1_3genE2ELNS1_11target_archE906ELNS1_3gpuE6ELNS1_3repE0EEENS1_30default_config_static_selectorELNS0_4arch9wavefront6targetE1EEEvT1_
	.p2align	8
	.type	_ZN7rocprim17ROCPRIM_400000_NS6detail17trampoline_kernelINS0_14default_configENS1_25transform_config_selectorIN3c107complexIdEELb1EEEZNS1_14transform_implILb1ES3_S8_PS7_SA_NS0_8identityIS7_EEEE10hipError_tT2_T3_mT4_P12ihipStream_tbEUlT_E_NS1_11comp_targetILNS1_3genE2ELNS1_11target_archE906ELNS1_3gpuE6ELNS1_3repE0EEENS1_30default_config_static_selectorELNS0_4arch9wavefront6targetE1EEEvT1_,@function
_ZN7rocprim17ROCPRIM_400000_NS6detail17trampoline_kernelINS0_14default_configENS1_25transform_config_selectorIN3c107complexIdEELb1EEEZNS1_14transform_implILb1ES3_S8_PS7_SA_NS0_8identityIS7_EEEE10hipError_tT2_T3_mT4_P12ihipStream_tbEUlT_E_NS1_11comp_targetILNS1_3genE2ELNS1_11target_archE906ELNS1_3gpuE6ELNS1_3repE0EEENS1_30default_config_static_selectorELNS0_4arch9wavefront6targetE1EEEvT1_: ; @_ZN7rocprim17ROCPRIM_400000_NS6detail17trampoline_kernelINS0_14default_configENS1_25transform_config_selectorIN3c107complexIdEELb1EEEZNS1_14transform_implILb1ES3_S8_PS7_SA_NS0_8identityIS7_EEEE10hipError_tT2_T3_mT4_P12ihipStream_tbEUlT_E_NS1_11comp_targetILNS1_3genE2ELNS1_11target_archE906ELNS1_3gpuE6ELNS1_3repE0EEENS1_30default_config_static_selectorELNS0_4arch9wavefront6targetE1EEEvT1_
; %bb.0:
	.section	.rodata,"a",@progbits
	.p2align	6, 0x0
	.amdhsa_kernel _ZN7rocprim17ROCPRIM_400000_NS6detail17trampoline_kernelINS0_14default_configENS1_25transform_config_selectorIN3c107complexIdEELb1EEEZNS1_14transform_implILb1ES3_S8_PS7_SA_NS0_8identityIS7_EEEE10hipError_tT2_T3_mT4_P12ihipStream_tbEUlT_E_NS1_11comp_targetILNS1_3genE2ELNS1_11target_archE906ELNS1_3gpuE6ELNS1_3repE0EEENS1_30default_config_static_selectorELNS0_4arch9wavefront6targetE1EEEvT1_
		.amdhsa_group_segment_fixed_size 0
		.amdhsa_private_segment_fixed_size 0
		.amdhsa_kernarg_size 40
		.amdhsa_user_sgpr_count 2
		.amdhsa_user_sgpr_dispatch_ptr 0
		.amdhsa_user_sgpr_queue_ptr 0
		.amdhsa_user_sgpr_kernarg_segment_ptr 1
		.amdhsa_user_sgpr_dispatch_id 0
		.amdhsa_user_sgpr_kernarg_preload_length 0
		.amdhsa_user_sgpr_kernarg_preload_offset 0
		.amdhsa_user_sgpr_private_segment_size 0
		.amdhsa_uses_dynamic_stack 0
		.amdhsa_enable_private_segment 0
		.amdhsa_system_sgpr_workgroup_id_x 1
		.amdhsa_system_sgpr_workgroup_id_y 0
		.amdhsa_system_sgpr_workgroup_id_z 0
		.amdhsa_system_sgpr_workgroup_info 0
		.amdhsa_system_vgpr_workitem_id 0
		.amdhsa_next_free_vgpr 1
		.amdhsa_next_free_sgpr 0
		.amdhsa_accum_offset 4
		.amdhsa_reserve_vcc 0
		.amdhsa_float_round_mode_32 0
		.amdhsa_float_round_mode_16_64 0
		.amdhsa_float_denorm_mode_32 3
		.amdhsa_float_denorm_mode_16_64 3
		.amdhsa_dx10_clamp 1
		.amdhsa_ieee_mode 1
		.amdhsa_fp16_overflow 0
		.amdhsa_tg_split 0
		.amdhsa_exception_fp_ieee_invalid_op 0
		.amdhsa_exception_fp_denorm_src 0
		.amdhsa_exception_fp_ieee_div_zero 0
		.amdhsa_exception_fp_ieee_overflow 0
		.amdhsa_exception_fp_ieee_underflow 0
		.amdhsa_exception_fp_ieee_inexact 0
		.amdhsa_exception_int_div_zero 0
	.end_amdhsa_kernel
	.section	.text._ZN7rocprim17ROCPRIM_400000_NS6detail17trampoline_kernelINS0_14default_configENS1_25transform_config_selectorIN3c107complexIdEELb1EEEZNS1_14transform_implILb1ES3_S8_PS7_SA_NS0_8identityIS7_EEEE10hipError_tT2_T3_mT4_P12ihipStream_tbEUlT_E_NS1_11comp_targetILNS1_3genE2ELNS1_11target_archE906ELNS1_3gpuE6ELNS1_3repE0EEENS1_30default_config_static_selectorELNS0_4arch9wavefront6targetE1EEEvT1_,"axG",@progbits,_ZN7rocprim17ROCPRIM_400000_NS6detail17trampoline_kernelINS0_14default_configENS1_25transform_config_selectorIN3c107complexIdEELb1EEEZNS1_14transform_implILb1ES3_S8_PS7_SA_NS0_8identityIS7_EEEE10hipError_tT2_T3_mT4_P12ihipStream_tbEUlT_E_NS1_11comp_targetILNS1_3genE2ELNS1_11target_archE906ELNS1_3gpuE6ELNS1_3repE0EEENS1_30default_config_static_selectorELNS0_4arch9wavefront6targetE1EEEvT1_,comdat
.Lfunc_end198:
	.size	_ZN7rocprim17ROCPRIM_400000_NS6detail17trampoline_kernelINS0_14default_configENS1_25transform_config_selectorIN3c107complexIdEELb1EEEZNS1_14transform_implILb1ES3_S8_PS7_SA_NS0_8identityIS7_EEEE10hipError_tT2_T3_mT4_P12ihipStream_tbEUlT_E_NS1_11comp_targetILNS1_3genE2ELNS1_11target_archE906ELNS1_3gpuE6ELNS1_3repE0EEENS1_30default_config_static_selectorELNS0_4arch9wavefront6targetE1EEEvT1_, .Lfunc_end198-_ZN7rocprim17ROCPRIM_400000_NS6detail17trampoline_kernelINS0_14default_configENS1_25transform_config_selectorIN3c107complexIdEELb1EEEZNS1_14transform_implILb1ES3_S8_PS7_SA_NS0_8identityIS7_EEEE10hipError_tT2_T3_mT4_P12ihipStream_tbEUlT_E_NS1_11comp_targetILNS1_3genE2ELNS1_11target_archE906ELNS1_3gpuE6ELNS1_3repE0EEENS1_30default_config_static_selectorELNS0_4arch9wavefront6targetE1EEEvT1_
                                        ; -- End function
	.section	.AMDGPU.csdata,"",@progbits
; Kernel info:
; codeLenInByte = 0
; NumSgprs: 6
; NumVgprs: 0
; NumAgprs: 0
; TotalNumVgprs: 0
; ScratchSize: 0
; MemoryBound: 0
; FloatMode: 240
; IeeeMode: 1
; LDSByteSize: 0 bytes/workgroup (compile time only)
; SGPRBlocks: 0
; VGPRBlocks: 0
; NumSGPRsForWavesPerEU: 6
; NumVGPRsForWavesPerEU: 1
; AccumOffset: 4
; Occupancy: 8
; WaveLimiterHint : 0
; COMPUTE_PGM_RSRC2:SCRATCH_EN: 0
; COMPUTE_PGM_RSRC2:USER_SGPR: 2
; COMPUTE_PGM_RSRC2:TRAP_HANDLER: 0
; COMPUTE_PGM_RSRC2:TGID_X_EN: 1
; COMPUTE_PGM_RSRC2:TGID_Y_EN: 0
; COMPUTE_PGM_RSRC2:TGID_Z_EN: 0
; COMPUTE_PGM_RSRC2:TIDIG_COMP_CNT: 0
; COMPUTE_PGM_RSRC3_GFX90A:ACCUM_OFFSET: 0
; COMPUTE_PGM_RSRC3_GFX90A:TG_SPLIT: 0
	.section	.text._ZN7rocprim17ROCPRIM_400000_NS6detail17trampoline_kernelINS0_14default_configENS1_25transform_config_selectorIN3c107complexIdEELb1EEEZNS1_14transform_implILb1ES3_S8_PS7_SA_NS0_8identityIS7_EEEE10hipError_tT2_T3_mT4_P12ihipStream_tbEUlT_E_NS1_11comp_targetILNS1_3genE9ELNS1_11target_archE1100ELNS1_3gpuE3ELNS1_3repE0EEENS1_30default_config_static_selectorELNS0_4arch9wavefront6targetE1EEEvT1_,"axG",@progbits,_ZN7rocprim17ROCPRIM_400000_NS6detail17trampoline_kernelINS0_14default_configENS1_25transform_config_selectorIN3c107complexIdEELb1EEEZNS1_14transform_implILb1ES3_S8_PS7_SA_NS0_8identityIS7_EEEE10hipError_tT2_T3_mT4_P12ihipStream_tbEUlT_E_NS1_11comp_targetILNS1_3genE9ELNS1_11target_archE1100ELNS1_3gpuE3ELNS1_3repE0EEENS1_30default_config_static_selectorELNS0_4arch9wavefront6targetE1EEEvT1_,comdat
	.protected	_ZN7rocprim17ROCPRIM_400000_NS6detail17trampoline_kernelINS0_14default_configENS1_25transform_config_selectorIN3c107complexIdEELb1EEEZNS1_14transform_implILb1ES3_S8_PS7_SA_NS0_8identityIS7_EEEE10hipError_tT2_T3_mT4_P12ihipStream_tbEUlT_E_NS1_11comp_targetILNS1_3genE9ELNS1_11target_archE1100ELNS1_3gpuE3ELNS1_3repE0EEENS1_30default_config_static_selectorELNS0_4arch9wavefront6targetE1EEEvT1_ ; -- Begin function _ZN7rocprim17ROCPRIM_400000_NS6detail17trampoline_kernelINS0_14default_configENS1_25transform_config_selectorIN3c107complexIdEELb1EEEZNS1_14transform_implILb1ES3_S8_PS7_SA_NS0_8identityIS7_EEEE10hipError_tT2_T3_mT4_P12ihipStream_tbEUlT_E_NS1_11comp_targetILNS1_3genE9ELNS1_11target_archE1100ELNS1_3gpuE3ELNS1_3repE0EEENS1_30default_config_static_selectorELNS0_4arch9wavefront6targetE1EEEvT1_
	.globl	_ZN7rocprim17ROCPRIM_400000_NS6detail17trampoline_kernelINS0_14default_configENS1_25transform_config_selectorIN3c107complexIdEELb1EEEZNS1_14transform_implILb1ES3_S8_PS7_SA_NS0_8identityIS7_EEEE10hipError_tT2_T3_mT4_P12ihipStream_tbEUlT_E_NS1_11comp_targetILNS1_3genE9ELNS1_11target_archE1100ELNS1_3gpuE3ELNS1_3repE0EEENS1_30default_config_static_selectorELNS0_4arch9wavefront6targetE1EEEvT1_
	.p2align	8
	.type	_ZN7rocprim17ROCPRIM_400000_NS6detail17trampoline_kernelINS0_14default_configENS1_25transform_config_selectorIN3c107complexIdEELb1EEEZNS1_14transform_implILb1ES3_S8_PS7_SA_NS0_8identityIS7_EEEE10hipError_tT2_T3_mT4_P12ihipStream_tbEUlT_E_NS1_11comp_targetILNS1_3genE9ELNS1_11target_archE1100ELNS1_3gpuE3ELNS1_3repE0EEENS1_30default_config_static_selectorELNS0_4arch9wavefront6targetE1EEEvT1_,@function
_ZN7rocprim17ROCPRIM_400000_NS6detail17trampoline_kernelINS0_14default_configENS1_25transform_config_selectorIN3c107complexIdEELb1EEEZNS1_14transform_implILb1ES3_S8_PS7_SA_NS0_8identityIS7_EEEE10hipError_tT2_T3_mT4_P12ihipStream_tbEUlT_E_NS1_11comp_targetILNS1_3genE9ELNS1_11target_archE1100ELNS1_3gpuE3ELNS1_3repE0EEENS1_30default_config_static_selectorELNS0_4arch9wavefront6targetE1EEEvT1_: ; @_ZN7rocprim17ROCPRIM_400000_NS6detail17trampoline_kernelINS0_14default_configENS1_25transform_config_selectorIN3c107complexIdEELb1EEEZNS1_14transform_implILb1ES3_S8_PS7_SA_NS0_8identityIS7_EEEE10hipError_tT2_T3_mT4_P12ihipStream_tbEUlT_E_NS1_11comp_targetILNS1_3genE9ELNS1_11target_archE1100ELNS1_3gpuE3ELNS1_3repE0EEENS1_30default_config_static_selectorELNS0_4arch9wavefront6targetE1EEEvT1_
; %bb.0:
	.section	.rodata,"a",@progbits
	.p2align	6, 0x0
	.amdhsa_kernel _ZN7rocprim17ROCPRIM_400000_NS6detail17trampoline_kernelINS0_14default_configENS1_25transform_config_selectorIN3c107complexIdEELb1EEEZNS1_14transform_implILb1ES3_S8_PS7_SA_NS0_8identityIS7_EEEE10hipError_tT2_T3_mT4_P12ihipStream_tbEUlT_E_NS1_11comp_targetILNS1_3genE9ELNS1_11target_archE1100ELNS1_3gpuE3ELNS1_3repE0EEENS1_30default_config_static_selectorELNS0_4arch9wavefront6targetE1EEEvT1_
		.amdhsa_group_segment_fixed_size 0
		.amdhsa_private_segment_fixed_size 0
		.amdhsa_kernarg_size 40
		.amdhsa_user_sgpr_count 2
		.amdhsa_user_sgpr_dispatch_ptr 0
		.amdhsa_user_sgpr_queue_ptr 0
		.amdhsa_user_sgpr_kernarg_segment_ptr 1
		.amdhsa_user_sgpr_dispatch_id 0
		.amdhsa_user_sgpr_kernarg_preload_length 0
		.amdhsa_user_sgpr_kernarg_preload_offset 0
		.amdhsa_user_sgpr_private_segment_size 0
		.amdhsa_uses_dynamic_stack 0
		.amdhsa_enable_private_segment 0
		.amdhsa_system_sgpr_workgroup_id_x 1
		.amdhsa_system_sgpr_workgroup_id_y 0
		.amdhsa_system_sgpr_workgroup_id_z 0
		.amdhsa_system_sgpr_workgroup_info 0
		.amdhsa_system_vgpr_workitem_id 0
		.amdhsa_next_free_vgpr 1
		.amdhsa_next_free_sgpr 0
		.amdhsa_accum_offset 4
		.amdhsa_reserve_vcc 0
		.amdhsa_float_round_mode_32 0
		.amdhsa_float_round_mode_16_64 0
		.amdhsa_float_denorm_mode_32 3
		.amdhsa_float_denorm_mode_16_64 3
		.amdhsa_dx10_clamp 1
		.amdhsa_ieee_mode 1
		.amdhsa_fp16_overflow 0
		.amdhsa_tg_split 0
		.amdhsa_exception_fp_ieee_invalid_op 0
		.amdhsa_exception_fp_denorm_src 0
		.amdhsa_exception_fp_ieee_div_zero 0
		.amdhsa_exception_fp_ieee_overflow 0
		.amdhsa_exception_fp_ieee_underflow 0
		.amdhsa_exception_fp_ieee_inexact 0
		.amdhsa_exception_int_div_zero 0
	.end_amdhsa_kernel
	.section	.text._ZN7rocprim17ROCPRIM_400000_NS6detail17trampoline_kernelINS0_14default_configENS1_25transform_config_selectorIN3c107complexIdEELb1EEEZNS1_14transform_implILb1ES3_S8_PS7_SA_NS0_8identityIS7_EEEE10hipError_tT2_T3_mT4_P12ihipStream_tbEUlT_E_NS1_11comp_targetILNS1_3genE9ELNS1_11target_archE1100ELNS1_3gpuE3ELNS1_3repE0EEENS1_30default_config_static_selectorELNS0_4arch9wavefront6targetE1EEEvT1_,"axG",@progbits,_ZN7rocprim17ROCPRIM_400000_NS6detail17trampoline_kernelINS0_14default_configENS1_25transform_config_selectorIN3c107complexIdEELb1EEEZNS1_14transform_implILb1ES3_S8_PS7_SA_NS0_8identityIS7_EEEE10hipError_tT2_T3_mT4_P12ihipStream_tbEUlT_E_NS1_11comp_targetILNS1_3genE9ELNS1_11target_archE1100ELNS1_3gpuE3ELNS1_3repE0EEENS1_30default_config_static_selectorELNS0_4arch9wavefront6targetE1EEEvT1_,comdat
.Lfunc_end199:
	.size	_ZN7rocprim17ROCPRIM_400000_NS6detail17trampoline_kernelINS0_14default_configENS1_25transform_config_selectorIN3c107complexIdEELb1EEEZNS1_14transform_implILb1ES3_S8_PS7_SA_NS0_8identityIS7_EEEE10hipError_tT2_T3_mT4_P12ihipStream_tbEUlT_E_NS1_11comp_targetILNS1_3genE9ELNS1_11target_archE1100ELNS1_3gpuE3ELNS1_3repE0EEENS1_30default_config_static_selectorELNS0_4arch9wavefront6targetE1EEEvT1_, .Lfunc_end199-_ZN7rocprim17ROCPRIM_400000_NS6detail17trampoline_kernelINS0_14default_configENS1_25transform_config_selectorIN3c107complexIdEELb1EEEZNS1_14transform_implILb1ES3_S8_PS7_SA_NS0_8identityIS7_EEEE10hipError_tT2_T3_mT4_P12ihipStream_tbEUlT_E_NS1_11comp_targetILNS1_3genE9ELNS1_11target_archE1100ELNS1_3gpuE3ELNS1_3repE0EEENS1_30default_config_static_selectorELNS0_4arch9wavefront6targetE1EEEvT1_
                                        ; -- End function
	.section	.AMDGPU.csdata,"",@progbits
; Kernel info:
; codeLenInByte = 0
; NumSgprs: 6
; NumVgprs: 0
; NumAgprs: 0
; TotalNumVgprs: 0
; ScratchSize: 0
; MemoryBound: 0
; FloatMode: 240
; IeeeMode: 1
; LDSByteSize: 0 bytes/workgroup (compile time only)
; SGPRBlocks: 0
; VGPRBlocks: 0
; NumSGPRsForWavesPerEU: 6
; NumVGPRsForWavesPerEU: 1
; AccumOffset: 4
; Occupancy: 8
; WaveLimiterHint : 0
; COMPUTE_PGM_RSRC2:SCRATCH_EN: 0
; COMPUTE_PGM_RSRC2:USER_SGPR: 2
; COMPUTE_PGM_RSRC2:TRAP_HANDLER: 0
; COMPUTE_PGM_RSRC2:TGID_X_EN: 1
; COMPUTE_PGM_RSRC2:TGID_Y_EN: 0
; COMPUTE_PGM_RSRC2:TGID_Z_EN: 0
; COMPUTE_PGM_RSRC2:TIDIG_COMP_CNT: 0
; COMPUTE_PGM_RSRC3_GFX90A:ACCUM_OFFSET: 0
; COMPUTE_PGM_RSRC3_GFX90A:TG_SPLIT: 0
	.section	.text._ZN7rocprim17ROCPRIM_400000_NS6detail17trampoline_kernelINS0_14default_configENS1_25transform_config_selectorIN3c107complexIdEELb1EEEZNS1_14transform_implILb1ES3_S8_PS7_SA_NS0_8identityIS7_EEEE10hipError_tT2_T3_mT4_P12ihipStream_tbEUlT_E_NS1_11comp_targetILNS1_3genE8ELNS1_11target_archE1030ELNS1_3gpuE2ELNS1_3repE0EEENS1_30default_config_static_selectorELNS0_4arch9wavefront6targetE1EEEvT1_,"axG",@progbits,_ZN7rocprim17ROCPRIM_400000_NS6detail17trampoline_kernelINS0_14default_configENS1_25transform_config_selectorIN3c107complexIdEELb1EEEZNS1_14transform_implILb1ES3_S8_PS7_SA_NS0_8identityIS7_EEEE10hipError_tT2_T3_mT4_P12ihipStream_tbEUlT_E_NS1_11comp_targetILNS1_3genE8ELNS1_11target_archE1030ELNS1_3gpuE2ELNS1_3repE0EEENS1_30default_config_static_selectorELNS0_4arch9wavefront6targetE1EEEvT1_,comdat
	.protected	_ZN7rocprim17ROCPRIM_400000_NS6detail17trampoline_kernelINS0_14default_configENS1_25transform_config_selectorIN3c107complexIdEELb1EEEZNS1_14transform_implILb1ES3_S8_PS7_SA_NS0_8identityIS7_EEEE10hipError_tT2_T3_mT4_P12ihipStream_tbEUlT_E_NS1_11comp_targetILNS1_3genE8ELNS1_11target_archE1030ELNS1_3gpuE2ELNS1_3repE0EEENS1_30default_config_static_selectorELNS0_4arch9wavefront6targetE1EEEvT1_ ; -- Begin function _ZN7rocprim17ROCPRIM_400000_NS6detail17trampoline_kernelINS0_14default_configENS1_25transform_config_selectorIN3c107complexIdEELb1EEEZNS1_14transform_implILb1ES3_S8_PS7_SA_NS0_8identityIS7_EEEE10hipError_tT2_T3_mT4_P12ihipStream_tbEUlT_E_NS1_11comp_targetILNS1_3genE8ELNS1_11target_archE1030ELNS1_3gpuE2ELNS1_3repE0EEENS1_30default_config_static_selectorELNS0_4arch9wavefront6targetE1EEEvT1_
	.globl	_ZN7rocprim17ROCPRIM_400000_NS6detail17trampoline_kernelINS0_14default_configENS1_25transform_config_selectorIN3c107complexIdEELb1EEEZNS1_14transform_implILb1ES3_S8_PS7_SA_NS0_8identityIS7_EEEE10hipError_tT2_T3_mT4_P12ihipStream_tbEUlT_E_NS1_11comp_targetILNS1_3genE8ELNS1_11target_archE1030ELNS1_3gpuE2ELNS1_3repE0EEENS1_30default_config_static_selectorELNS0_4arch9wavefront6targetE1EEEvT1_
	.p2align	8
	.type	_ZN7rocprim17ROCPRIM_400000_NS6detail17trampoline_kernelINS0_14default_configENS1_25transform_config_selectorIN3c107complexIdEELb1EEEZNS1_14transform_implILb1ES3_S8_PS7_SA_NS0_8identityIS7_EEEE10hipError_tT2_T3_mT4_P12ihipStream_tbEUlT_E_NS1_11comp_targetILNS1_3genE8ELNS1_11target_archE1030ELNS1_3gpuE2ELNS1_3repE0EEENS1_30default_config_static_selectorELNS0_4arch9wavefront6targetE1EEEvT1_,@function
_ZN7rocprim17ROCPRIM_400000_NS6detail17trampoline_kernelINS0_14default_configENS1_25transform_config_selectorIN3c107complexIdEELb1EEEZNS1_14transform_implILb1ES3_S8_PS7_SA_NS0_8identityIS7_EEEE10hipError_tT2_T3_mT4_P12ihipStream_tbEUlT_E_NS1_11comp_targetILNS1_3genE8ELNS1_11target_archE1030ELNS1_3gpuE2ELNS1_3repE0EEENS1_30default_config_static_selectorELNS0_4arch9wavefront6targetE1EEEvT1_: ; @_ZN7rocprim17ROCPRIM_400000_NS6detail17trampoline_kernelINS0_14default_configENS1_25transform_config_selectorIN3c107complexIdEELb1EEEZNS1_14transform_implILb1ES3_S8_PS7_SA_NS0_8identityIS7_EEEE10hipError_tT2_T3_mT4_P12ihipStream_tbEUlT_E_NS1_11comp_targetILNS1_3genE8ELNS1_11target_archE1030ELNS1_3gpuE2ELNS1_3repE0EEENS1_30default_config_static_selectorELNS0_4arch9wavefront6targetE1EEEvT1_
; %bb.0:
	.section	.rodata,"a",@progbits
	.p2align	6, 0x0
	.amdhsa_kernel _ZN7rocprim17ROCPRIM_400000_NS6detail17trampoline_kernelINS0_14default_configENS1_25transform_config_selectorIN3c107complexIdEELb1EEEZNS1_14transform_implILb1ES3_S8_PS7_SA_NS0_8identityIS7_EEEE10hipError_tT2_T3_mT4_P12ihipStream_tbEUlT_E_NS1_11comp_targetILNS1_3genE8ELNS1_11target_archE1030ELNS1_3gpuE2ELNS1_3repE0EEENS1_30default_config_static_selectorELNS0_4arch9wavefront6targetE1EEEvT1_
		.amdhsa_group_segment_fixed_size 0
		.amdhsa_private_segment_fixed_size 0
		.amdhsa_kernarg_size 40
		.amdhsa_user_sgpr_count 2
		.amdhsa_user_sgpr_dispatch_ptr 0
		.amdhsa_user_sgpr_queue_ptr 0
		.amdhsa_user_sgpr_kernarg_segment_ptr 1
		.amdhsa_user_sgpr_dispatch_id 0
		.amdhsa_user_sgpr_kernarg_preload_length 0
		.amdhsa_user_sgpr_kernarg_preload_offset 0
		.amdhsa_user_sgpr_private_segment_size 0
		.amdhsa_uses_dynamic_stack 0
		.amdhsa_enable_private_segment 0
		.amdhsa_system_sgpr_workgroup_id_x 1
		.amdhsa_system_sgpr_workgroup_id_y 0
		.amdhsa_system_sgpr_workgroup_id_z 0
		.amdhsa_system_sgpr_workgroup_info 0
		.amdhsa_system_vgpr_workitem_id 0
		.amdhsa_next_free_vgpr 1
		.amdhsa_next_free_sgpr 0
		.amdhsa_accum_offset 4
		.amdhsa_reserve_vcc 0
		.amdhsa_float_round_mode_32 0
		.amdhsa_float_round_mode_16_64 0
		.amdhsa_float_denorm_mode_32 3
		.amdhsa_float_denorm_mode_16_64 3
		.amdhsa_dx10_clamp 1
		.amdhsa_ieee_mode 1
		.amdhsa_fp16_overflow 0
		.amdhsa_tg_split 0
		.amdhsa_exception_fp_ieee_invalid_op 0
		.amdhsa_exception_fp_denorm_src 0
		.amdhsa_exception_fp_ieee_div_zero 0
		.amdhsa_exception_fp_ieee_overflow 0
		.amdhsa_exception_fp_ieee_underflow 0
		.amdhsa_exception_fp_ieee_inexact 0
		.amdhsa_exception_int_div_zero 0
	.end_amdhsa_kernel
	.section	.text._ZN7rocprim17ROCPRIM_400000_NS6detail17trampoline_kernelINS0_14default_configENS1_25transform_config_selectorIN3c107complexIdEELb1EEEZNS1_14transform_implILb1ES3_S8_PS7_SA_NS0_8identityIS7_EEEE10hipError_tT2_T3_mT4_P12ihipStream_tbEUlT_E_NS1_11comp_targetILNS1_3genE8ELNS1_11target_archE1030ELNS1_3gpuE2ELNS1_3repE0EEENS1_30default_config_static_selectorELNS0_4arch9wavefront6targetE1EEEvT1_,"axG",@progbits,_ZN7rocprim17ROCPRIM_400000_NS6detail17trampoline_kernelINS0_14default_configENS1_25transform_config_selectorIN3c107complexIdEELb1EEEZNS1_14transform_implILb1ES3_S8_PS7_SA_NS0_8identityIS7_EEEE10hipError_tT2_T3_mT4_P12ihipStream_tbEUlT_E_NS1_11comp_targetILNS1_3genE8ELNS1_11target_archE1030ELNS1_3gpuE2ELNS1_3repE0EEENS1_30default_config_static_selectorELNS0_4arch9wavefront6targetE1EEEvT1_,comdat
.Lfunc_end200:
	.size	_ZN7rocprim17ROCPRIM_400000_NS6detail17trampoline_kernelINS0_14default_configENS1_25transform_config_selectorIN3c107complexIdEELb1EEEZNS1_14transform_implILb1ES3_S8_PS7_SA_NS0_8identityIS7_EEEE10hipError_tT2_T3_mT4_P12ihipStream_tbEUlT_E_NS1_11comp_targetILNS1_3genE8ELNS1_11target_archE1030ELNS1_3gpuE2ELNS1_3repE0EEENS1_30default_config_static_selectorELNS0_4arch9wavefront6targetE1EEEvT1_, .Lfunc_end200-_ZN7rocprim17ROCPRIM_400000_NS6detail17trampoline_kernelINS0_14default_configENS1_25transform_config_selectorIN3c107complexIdEELb1EEEZNS1_14transform_implILb1ES3_S8_PS7_SA_NS0_8identityIS7_EEEE10hipError_tT2_T3_mT4_P12ihipStream_tbEUlT_E_NS1_11comp_targetILNS1_3genE8ELNS1_11target_archE1030ELNS1_3gpuE2ELNS1_3repE0EEENS1_30default_config_static_selectorELNS0_4arch9wavefront6targetE1EEEvT1_
                                        ; -- End function
	.section	.AMDGPU.csdata,"",@progbits
; Kernel info:
; codeLenInByte = 0
; NumSgprs: 6
; NumVgprs: 0
; NumAgprs: 0
; TotalNumVgprs: 0
; ScratchSize: 0
; MemoryBound: 0
; FloatMode: 240
; IeeeMode: 1
; LDSByteSize: 0 bytes/workgroup (compile time only)
; SGPRBlocks: 0
; VGPRBlocks: 0
; NumSGPRsForWavesPerEU: 6
; NumVGPRsForWavesPerEU: 1
; AccumOffset: 4
; Occupancy: 8
; WaveLimiterHint : 0
; COMPUTE_PGM_RSRC2:SCRATCH_EN: 0
; COMPUTE_PGM_RSRC2:USER_SGPR: 2
; COMPUTE_PGM_RSRC2:TRAP_HANDLER: 0
; COMPUTE_PGM_RSRC2:TGID_X_EN: 1
; COMPUTE_PGM_RSRC2:TGID_Y_EN: 0
; COMPUTE_PGM_RSRC2:TGID_Z_EN: 0
; COMPUTE_PGM_RSRC2:TIDIG_COMP_CNT: 0
; COMPUTE_PGM_RSRC3_GFX90A:ACCUM_OFFSET: 0
; COMPUTE_PGM_RSRC3_GFX90A:TG_SPLIT: 0
	.section	.text._ZN7rocprim17ROCPRIM_400000_NS6detail17trampoline_kernelINS0_14default_configENS1_20scan_config_selectorIN3c107complexIdEEEEZZNS1_9scan_implILNS1_25lookback_scan_determinismE0ELb0ELb0ES3_PKS7_PS7_S7_ZZZN2at6native31launch_logcumsumexp_cuda_kernelERKNSE_10TensorBaseESI_lENKUlvE_clEvENKUlvE1_clEvEUlS7_S7_E_S7_EEDaPvRmT3_T4_T5_mT6_P12ihipStream_tbENKUlT_T0_E_clISt17integral_constantIbLb0EESZ_EEDaSU_SV_EUlSU_E0_NS1_11comp_targetILNS1_3genE0ELNS1_11target_archE4294967295ELNS1_3gpuE0ELNS1_3repE0EEENS1_30default_config_static_selectorELNS0_4arch9wavefront6targetE1EEEvT1_,"axG",@progbits,_ZN7rocprim17ROCPRIM_400000_NS6detail17trampoline_kernelINS0_14default_configENS1_20scan_config_selectorIN3c107complexIdEEEEZZNS1_9scan_implILNS1_25lookback_scan_determinismE0ELb0ELb0ES3_PKS7_PS7_S7_ZZZN2at6native31launch_logcumsumexp_cuda_kernelERKNSE_10TensorBaseESI_lENKUlvE_clEvENKUlvE1_clEvEUlS7_S7_E_S7_EEDaPvRmT3_T4_T5_mT6_P12ihipStream_tbENKUlT_T0_E_clISt17integral_constantIbLb0EESZ_EEDaSU_SV_EUlSU_E0_NS1_11comp_targetILNS1_3genE0ELNS1_11target_archE4294967295ELNS1_3gpuE0ELNS1_3repE0EEENS1_30default_config_static_selectorELNS0_4arch9wavefront6targetE1EEEvT1_,comdat
	.globl	_ZN7rocprim17ROCPRIM_400000_NS6detail17trampoline_kernelINS0_14default_configENS1_20scan_config_selectorIN3c107complexIdEEEEZZNS1_9scan_implILNS1_25lookback_scan_determinismE0ELb0ELb0ES3_PKS7_PS7_S7_ZZZN2at6native31launch_logcumsumexp_cuda_kernelERKNSE_10TensorBaseESI_lENKUlvE_clEvENKUlvE1_clEvEUlS7_S7_E_S7_EEDaPvRmT3_T4_T5_mT6_P12ihipStream_tbENKUlT_T0_E_clISt17integral_constantIbLb0EESZ_EEDaSU_SV_EUlSU_E0_NS1_11comp_targetILNS1_3genE0ELNS1_11target_archE4294967295ELNS1_3gpuE0ELNS1_3repE0EEENS1_30default_config_static_selectorELNS0_4arch9wavefront6targetE1EEEvT1_ ; -- Begin function _ZN7rocprim17ROCPRIM_400000_NS6detail17trampoline_kernelINS0_14default_configENS1_20scan_config_selectorIN3c107complexIdEEEEZZNS1_9scan_implILNS1_25lookback_scan_determinismE0ELb0ELb0ES3_PKS7_PS7_S7_ZZZN2at6native31launch_logcumsumexp_cuda_kernelERKNSE_10TensorBaseESI_lENKUlvE_clEvENKUlvE1_clEvEUlS7_S7_E_S7_EEDaPvRmT3_T4_T5_mT6_P12ihipStream_tbENKUlT_T0_E_clISt17integral_constantIbLb0EESZ_EEDaSU_SV_EUlSU_E0_NS1_11comp_targetILNS1_3genE0ELNS1_11target_archE4294967295ELNS1_3gpuE0ELNS1_3repE0EEENS1_30default_config_static_selectorELNS0_4arch9wavefront6targetE1EEEvT1_
	.p2align	8
	.type	_ZN7rocprim17ROCPRIM_400000_NS6detail17trampoline_kernelINS0_14default_configENS1_20scan_config_selectorIN3c107complexIdEEEEZZNS1_9scan_implILNS1_25lookback_scan_determinismE0ELb0ELb0ES3_PKS7_PS7_S7_ZZZN2at6native31launch_logcumsumexp_cuda_kernelERKNSE_10TensorBaseESI_lENKUlvE_clEvENKUlvE1_clEvEUlS7_S7_E_S7_EEDaPvRmT3_T4_T5_mT6_P12ihipStream_tbENKUlT_T0_E_clISt17integral_constantIbLb0EESZ_EEDaSU_SV_EUlSU_E0_NS1_11comp_targetILNS1_3genE0ELNS1_11target_archE4294967295ELNS1_3gpuE0ELNS1_3repE0EEENS1_30default_config_static_selectorELNS0_4arch9wavefront6targetE1EEEvT1_,@function
_ZN7rocprim17ROCPRIM_400000_NS6detail17trampoline_kernelINS0_14default_configENS1_20scan_config_selectorIN3c107complexIdEEEEZZNS1_9scan_implILNS1_25lookback_scan_determinismE0ELb0ELb0ES3_PKS7_PS7_S7_ZZZN2at6native31launch_logcumsumexp_cuda_kernelERKNSE_10TensorBaseESI_lENKUlvE_clEvENKUlvE1_clEvEUlS7_S7_E_S7_EEDaPvRmT3_T4_T5_mT6_P12ihipStream_tbENKUlT_T0_E_clISt17integral_constantIbLb0EESZ_EEDaSU_SV_EUlSU_E0_NS1_11comp_targetILNS1_3genE0ELNS1_11target_archE4294967295ELNS1_3gpuE0ELNS1_3repE0EEENS1_30default_config_static_selectorELNS0_4arch9wavefront6targetE1EEEvT1_: ; @_ZN7rocprim17ROCPRIM_400000_NS6detail17trampoline_kernelINS0_14default_configENS1_20scan_config_selectorIN3c107complexIdEEEEZZNS1_9scan_implILNS1_25lookback_scan_determinismE0ELb0ELb0ES3_PKS7_PS7_S7_ZZZN2at6native31launch_logcumsumexp_cuda_kernelERKNSE_10TensorBaseESI_lENKUlvE_clEvENKUlvE1_clEvEUlS7_S7_E_S7_EEDaPvRmT3_T4_T5_mT6_P12ihipStream_tbENKUlT_T0_E_clISt17integral_constantIbLb0EESZ_EEDaSU_SV_EUlSU_E0_NS1_11comp_targetILNS1_3genE0ELNS1_11target_archE4294967295ELNS1_3gpuE0ELNS1_3repE0EEENS1_30default_config_static_selectorELNS0_4arch9wavefront6targetE1EEEvT1_
; %bb.0:
	.section	.rodata,"a",@progbits
	.p2align	6, 0x0
	.amdhsa_kernel _ZN7rocprim17ROCPRIM_400000_NS6detail17trampoline_kernelINS0_14default_configENS1_20scan_config_selectorIN3c107complexIdEEEEZZNS1_9scan_implILNS1_25lookback_scan_determinismE0ELb0ELb0ES3_PKS7_PS7_S7_ZZZN2at6native31launch_logcumsumexp_cuda_kernelERKNSE_10TensorBaseESI_lENKUlvE_clEvENKUlvE1_clEvEUlS7_S7_E_S7_EEDaPvRmT3_T4_T5_mT6_P12ihipStream_tbENKUlT_T0_E_clISt17integral_constantIbLb0EESZ_EEDaSU_SV_EUlSU_E0_NS1_11comp_targetILNS1_3genE0ELNS1_11target_archE4294967295ELNS1_3gpuE0ELNS1_3repE0EEENS1_30default_config_static_selectorELNS0_4arch9wavefront6targetE1EEEvT1_
		.amdhsa_group_segment_fixed_size 0
		.amdhsa_private_segment_fixed_size 0
		.amdhsa_kernarg_size 48
		.amdhsa_user_sgpr_count 2
		.amdhsa_user_sgpr_dispatch_ptr 0
		.amdhsa_user_sgpr_queue_ptr 0
		.amdhsa_user_sgpr_kernarg_segment_ptr 1
		.amdhsa_user_sgpr_dispatch_id 0
		.amdhsa_user_sgpr_kernarg_preload_length 0
		.amdhsa_user_sgpr_kernarg_preload_offset 0
		.amdhsa_user_sgpr_private_segment_size 0
		.amdhsa_uses_dynamic_stack 0
		.amdhsa_enable_private_segment 0
		.amdhsa_system_sgpr_workgroup_id_x 1
		.amdhsa_system_sgpr_workgroup_id_y 0
		.amdhsa_system_sgpr_workgroup_id_z 0
		.amdhsa_system_sgpr_workgroup_info 0
		.amdhsa_system_vgpr_workitem_id 0
		.amdhsa_next_free_vgpr 1
		.amdhsa_next_free_sgpr 0
		.amdhsa_accum_offset 4
		.amdhsa_reserve_vcc 0
		.amdhsa_float_round_mode_32 0
		.amdhsa_float_round_mode_16_64 0
		.amdhsa_float_denorm_mode_32 3
		.amdhsa_float_denorm_mode_16_64 3
		.amdhsa_dx10_clamp 1
		.amdhsa_ieee_mode 1
		.amdhsa_fp16_overflow 0
		.amdhsa_tg_split 0
		.amdhsa_exception_fp_ieee_invalid_op 0
		.amdhsa_exception_fp_denorm_src 0
		.amdhsa_exception_fp_ieee_div_zero 0
		.amdhsa_exception_fp_ieee_overflow 0
		.amdhsa_exception_fp_ieee_underflow 0
		.amdhsa_exception_fp_ieee_inexact 0
		.amdhsa_exception_int_div_zero 0
	.end_amdhsa_kernel
	.section	.text._ZN7rocprim17ROCPRIM_400000_NS6detail17trampoline_kernelINS0_14default_configENS1_20scan_config_selectorIN3c107complexIdEEEEZZNS1_9scan_implILNS1_25lookback_scan_determinismE0ELb0ELb0ES3_PKS7_PS7_S7_ZZZN2at6native31launch_logcumsumexp_cuda_kernelERKNSE_10TensorBaseESI_lENKUlvE_clEvENKUlvE1_clEvEUlS7_S7_E_S7_EEDaPvRmT3_T4_T5_mT6_P12ihipStream_tbENKUlT_T0_E_clISt17integral_constantIbLb0EESZ_EEDaSU_SV_EUlSU_E0_NS1_11comp_targetILNS1_3genE0ELNS1_11target_archE4294967295ELNS1_3gpuE0ELNS1_3repE0EEENS1_30default_config_static_selectorELNS0_4arch9wavefront6targetE1EEEvT1_,"axG",@progbits,_ZN7rocprim17ROCPRIM_400000_NS6detail17trampoline_kernelINS0_14default_configENS1_20scan_config_selectorIN3c107complexIdEEEEZZNS1_9scan_implILNS1_25lookback_scan_determinismE0ELb0ELb0ES3_PKS7_PS7_S7_ZZZN2at6native31launch_logcumsumexp_cuda_kernelERKNSE_10TensorBaseESI_lENKUlvE_clEvENKUlvE1_clEvEUlS7_S7_E_S7_EEDaPvRmT3_T4_T5_mT6_P12ihipStream_tbENKUlT_T0_E_clISt17integral_constantIbLb0EESZ_EEDaSU_SV_EUlSU_E0_NS1_11comp_targetILNS1_3genE0ELNS1_11target_archE4294967295ELNS1_3gpuE0ELNS1_3repE0EEENS1_30default_config_static_selectorELNS0_4arch9wavefront6targetE1EEEvT1_,comdat
.Lfunc_end201:
	.size	_ZN7rocprim17ROCPRIM_400000_NS6detail17trampoline_kernelINS0_14default_configENS1_20scan_config_selectorIN3c107complexIdEEEEZZNS1_9scan_implILNS1_25lookback_scan_determinismE0ELb0ELb0ES3_PKS7_PS7_S7_ZZZN2at6native31launch_logcumsumexp_cuda_kernelERKNSE_10TensorBaseESI_lENKUlvE_clEvENKUlvE1_clEvEUlS7_S7_E_S7_EEDaPvRmT3_T4_T5_mT6_P12ihipStream_tbENKUlT_T0_E_clISt17integral_constantIbLb0EESZ_EEDaSU_SV_EUlSU_E0_NS1_11comp_targetILNS1_3genE0ELNS1_11target_archE4294967295ELNS1_3gpuE0ELNS1_3repE0EEENS1_30default_config_static_selectorELNS0_4arch9wavefront6targetE1EEEvT1_, .Lfunc_end201-_ZN7rocprim17ROCPRIM_400000_NS6detail17trampoline_kernelINS0_14default_configENS1_20scan_config_selectorIN3c107complexIdEEEEZZNS1_9scan_implILNS1_25lookback_scan_determinismE0ELb0ELb0ES3_PKS7_PS7_S7_ZZZN2at6native31launch_logcumsumexp_cuda_kernelERKNSE_10TensorBaseESI_lENKUlvE_clEvENKUlvE1_clEvEUlS7_S7_E_S7_EEDaPvRmT3_T4_T5_mT6_P12ihipStream_tbENKUlT_T0_E_clISt17integral_constantIbLb0EESZ_EEDaSU_SV_EUlSU_E0_NS1_11comp_targetILNS1_3genE0ELNS1_11target_archE4294967295ELNS1_3gpuE0ELNS1_3repE0EEENS1_30default_config_static_selectorELNS0_4arch9wavefront6targetE1EEEvT1_
                                        ; -- End function
	.section	.AMDGPU.csdata,"",@progbits
; Kernel info:
; codeLenInByte = 0
; NumSgprs: 6
; NumVgprs: 0
; NumAgprs: 0
; TotalNumVgprs: 0
; ScratchSize: 0
; MemoryBound: 0
; FloatMode: 240
; IeeeMode: 1
; LDSByteSize: 0 bytes/workgroup (compile time only)
; SGPRBlocks: 0
; VGPRBlocks: 0
; NumSGPRsForWavesPerEU: 6
; NumVGPRsForWavesPerEU: 1
; AccumOffset: 4
; Occupancy: 8
; WaveLimiterHint : 0
; COMPUTE_PGM_RSRC2:SCRATCH_EN: 0
; COMPUTE_PGM_RSRC2:USER_SGPR: 2
; COMPUTE_PGM_RSRC2:TRAP_HANDLER: 0
; COMPUTE_PGM_RSRC2:TGID_X_EN: 1
; COMPUTE_PGM_RSRC2:TGID_Y_EN: 0
; COMPUTE_PGM_RSRC2:TGID_Z_EN: 0
; COMPUTE_PGM_RSRC2:TIDIG_COMP_CNT: 0
; COMPUTE_PGM_RSRC3_GFX90A:ACCUM_OFFSET: 0
; COMPUTE_PGM_RSRC3_GFX90A:TG_SPLIT: 0
	.section	.text._ZN7rocprim17ROCPRIM_400000_NS6detail17trampoline_kernelINS0_14default_configENS1_20scan_config_selectorIN3c107complexIdEEEEZZNS1_9scan_implILNS1_25lookback_scan_determinismE0ELb0ELb0ES3_PKS7_PS7_S7_ZZZN2at6native31launch_logcumsumexp_cuda_kernelERKNSE_10TensorBaseESI_lENKUlvE_clEvENKUlvE1_clEvEUlS7_S7_E_S7_EEDaPvRmT3_T4_T5_mT6_P12ihipStream_tbENKUlT_T0_E_clISt17integral_constantIbLb0EESZ_EEDaSU_SV_EUlSU_E0_NS1_11comp_targetILNS1_3genE5ELNS1_11target_archE942ELNS1_3gpuE9ELNS1_3repE0EEENS1_30default_config_static_selectorELNS0_4arch9wavefront6targetE1EEEvT1_,"axG",@progbits,_ZN7rocprim17ROCPRIM_400000_NS6detail17trampoline_kernelINS0_14default_configENS1_20scan_config_selectorIN3c107complexIdEEEEZZNS1_9scan_implILNS1_25lookback_scan_determinismE0ELb0ELb0ES3_PKS7_PS7_S7_ZZZN2at6native31launch_logcumsumexp_cuda_kernelERKNSE_10TensorBaseESI_lENKUlvE_clEvENKUlvE1_clEvEUlS7_S7_E_S7_EEDaPvRmT3_T4_T5_mT6_P12ihipStream_tbENKUlT_T0_E_clISt17integral_constantIbLb0EESZ_EEDaSU_SV_EUlSU_E0_NS1_11comp_targetILNS1_3genE5ELNS1_11target_archE942ELNS1_3gpuE9ELNS1_3repE0EEENS1_30default_config_static_selectorELNS0_4arch9wavefront6targetE1EEEvT1_,comdat
	.globl	_ZN7rocprim17ROCPRIM_400000_NS6detail17trampoline_kernelINS0_14default_configENS1_20scan_config_selectorIN3c107complexIdEEEEZZNS1_9scan_implILNS1_25lookback_scan_determinismE0ELb0ELb0ES3_PKS7_PS7_S7_ZZZN2at6native31launch_logcumsumexp_cuda_kernelERKNSE_10TensorBaseESI_lENKUlvE_clEvENKUlvE1_clEvEUlS7_S7_E_S7_EEDaPvRmT3_T4_T5_mT6_P12ihipStream_tbENKUlT_T0_E_clISt17integral_constantIbLb0EESZ_EEDaSU_SV_EUlSU_E0_NS1_11comp_targetILNS1_3genE5ELNS1_11target_archE942ELNS1_3gpuE9ELNS1_3repE0EEENS1_30default_config_static_selectorELNS0_4arch9wavefront6targetE1EEEvT1_ ; -- Begin function _ZN7rocprim17ROCPRIM_400000_NS6detail17trampoline_kernelINS0_14default_configENS1_20scan_config_selectorIN3c107complexIdEEEEZZNS1_9scan_implILNS1_25lookback_scan_determinismE0ELb0ELb0ES3_PKS7_PS7_S7_ZZZN2at6native31launch_logcumsumexp_cuda_kernelERKNSE_10TensorBaseESI_lENKUlvE_clEvENKUlvE1_clEvEUlS7_S7_E_S7_EEDaPvRmT3_T4_T5_mT6_P12ihipStream_tbENKUlT_T0_E_clISt17integral_constantIbLb0EESZ_EEDaSU_SV_EUlSU_E0_NS1_11comp_targetILNS1_3genE5ELNS1_11target_archE942ELNS1_3gpuE9ELNS1_3repE0EEENS1_30default_config_static_selectorELNS0_4arch9wavefront6targetE1EEEvT1_
	.p2align	8
	.type	_ZN7rocprim17ROCPRIM_400000_NS6detail17trampoline_kernelINS0_14default_configENS1_20scan_config_selectorIN3c107complexIdEEEEZZNS1_9scan_implILNS1_25lookback_scan_determinismE0ELb0ELb0ES3_PKS7_PS7_S7_ZZZN2at6native31launch_logcumsumexp_cuda_kernelERKNSE_10TensorBaseESI_lENKUlvE_clEvENKUlvE1_clEvEUlS7_S7_E_S7_EEDaPvRmT3_T4_T5_mT6_P12ihipStream_tbENKUlT_T0_E_clISt17integral_constantIbLb0EESZ_EEDaSU_SV_EUlSU_E0_NS1_11comp_targetILNS1_3genE5ELNS1_11target_archE942ELNS1_3gpuE9ELNS1_3repE0EEENS1_30default_config_static_selectorELNS0_4arch9wavefront6targetE1EEEvT1_,@function
_ZN7rocprim17ROCPRIM_400000_NS6detail17trampoline_kernelINS0_14default_configENS1_20scan_config_selectorIN3c107complexIdEEEEZZNS1_9scan_implILNS1_25lookback_scan_determinismE0ELb0ELb0ES3_PKS7_PS7_S7_ZZZN2at6native31launch_logcumsumexp_cuda_kernelERKNSE_10TensorBaseESI_lENKUlvE_clEvENKUlvE1_clEvEUlS7_S7_E_S7_EEDaPvRmT3_T4_T5_mT6_P12ihipStream_tbENKUlT_T0_E_clISt17integral_constantIbLb0EESZ_EEDaSU_SV_EUlSU_E0_NS1_11comp_targetILNS1_3genE5ELNS1_11target_archE942ELNS1_3gpuE9ELNS1_3repE0EEENS1_30default_config_static_selectorELNS0_4arch9wavefront6targetE1EEEvT1_: ; @_ZN7rocprim17ROCPRIM_400000_NS6detail17trampoline_kernelINS0_14default_configENS1_20scan_config_selectorIN3c107complexIdEEEEZZNS1_9scan_implILNS1_25lookback_scan_determinismE0ELb0ELb0ES3_PKS7_PS7_S7_ZZZN2at6native31launch_logcumsumexp_cuda_kernelERKNSE_10TensorBaseESI_lENKUlvE_clEvENKUlvE1_clEvEUlS7_S7_E_S7_EEDaPvRmT3_T4_T5_mT6_P12ihipStream_tbENKUlT_T0_E_clISt17integral_constantIbLb0EESZ_EEDaSU_SV_EUlSU_E0_NS1_11comp_targetILNS1_3genE5ELNS1_11target_archE942ELNS1_3gpuE9ELNS1_3repE0EEENS1_30default_config_static_selectorELNS0_4arch9wavefront6targetE1EEEvT1_
; %bb.0:
	s_mov_b64 s[62:63], s[0:1]
	s_load_dwordx4 s[0:3], s[0:1], 0x0
	v_mov_b32_e32 v41, v0
	v_lshlrev_b32_e32 v164, 4, v41
	s_mov_b32 s32, 0
	s_waitcnt lgkmcnt(0)
	s_load_dwordx4 s[4:7], s[0:1], 0x0
	v_cmp_gt_u32_e64 s[34:35], s2, v41
	s_waitcnt lgkmcnt(0)
	v_mov_b64_e32 v[2:3], s[6:7]
	v_mov_b64_e32 v[0:1], s[4:5]
	s_and_saveexec_b64 s[8:9], s[34:35]
	s_cbranch_execz .LBB202_2
; %bb.1:
	global_load_dwordx4 v[0:3], v164, s[0:1]
.LBB202_2:
	s_or_b64 exec, exec, s[8:9]
	v_or_b32_e32 v8, 0x100, v41
	v_cmp_gt_u32_e64 s[36:37], s2, v8
	v_mov_b64_e32 v[6:7], s[6:7]
	v_mov_b64_e32 v[4:5], s[4:5]
	s_and_saveexec_b64 s[8:9], s[36:37]
	s_cbranch_execz .LBB202_4
; %bb.3:
	v_lshlrev_b32_e32 v4, 4, v8
	global_load_dwordx4 v[4:7], v4, s[0:1]
.LBB202_4:
	s_or_b64 exec, exec, s[8:9]
	v_or_b32_e32 v12, 0x200, v41
	v_cmp_gt_u32_e64 s[38:39], s2, v12
	v_mov_b64_e32 v[10:11], s[6:7]
	v_mov_b64_e32 v[8:9], s[4:5]
	s_and_saveexec_b64 s[8:9], s[38:39]
	s_cbranch_execz .LBB202_6
; %bb.5:
	v_lshlrev_b32_e32 v8, 4, v12
	global_load_dwordx4 v[8:11], v8, s[0:1]
.LBB202_6:
	;; [unrolled: 11-line block ×13, first 2 shown]
	s_or_b64 exec, exec, s[2:3]
	s_movk_i32 s0, 0xd0
	s_waitcnt vmcnt(0)
	ds_write_b128 v164, v[0:3]
	ds_write_b128 v164, v[4:7] offset:4096
	ds_write_b128 v164, v[8:11] offset:8192
	;; [unrolled: 1-line block ×13, first 2 shown]
	v_mad_u32_u24 v46, v41, s0, v164
	s_waitcnt lgkmcnt(0)
	s_barrier
	ds_read_b128 v[42:45], v46
	ds_read_b128 v[128:131], v46 offset:16
	ds_read_b128 v[124:127], v46 offset:32
	;; [unrolled: 1-line block ×13, first 2 shown]
	s_waitcnt lgkmcnt(13)
	v_mov_b32_e32 v0, v42
	v_mov_b32_e32 v1, v43
	;; [unrolled: 1-line block ×4, first 2 shown]
	s_waitcnt lgkmcnt(12)
	v_mov_b32_e32 v4, v128
	v_mov_b32_e32 v5, v129
	;; [unrolled: 1-line block ×4, first 2 shown]
	s_waitcnt lgkmcnt(0)
	s_barrier
	s_getpc_b64 s[64:65]
	s_add_u32 s64, s64, _ZZZZN2at6native31launch_logcumsumexp_cuda_kernelERKNS_10TensorBaseES3_lENKUlvE_clEvENKUlvE1_clEvENKUlN3c107complexIdEES8_E_clES8_S8_@rel32@lo+4
	s_addc_u32 s65, s65, _ZZZZN2at6native31launch_logcumsumexp_cuda_kernelERKNS_10TensorBaseES3_lENKUlvE_clEvENKUlvE1_clEvENKUlN3c107complexIdEES8_E_clES8_S8_@rel32@hi+12
	s_swappc_b64 s[30:31], s[64:65]
	v_mov_b32_e32 v4, v124
	v_mov_b32_e32 v5, v125
	v_mov_b32_e32 v6, v126
	v_mov_b32_e32 v7, v127
	v_mov_b32_e32 v52, v0
	v_mov_b32_e32 v53, v1
	v_mov_b32_e32 v54, v2
	v_mov_b32_e32 v55, v3
	s_swappc_b64 s[30:31], s[64:65]
	v_mov_b32_e32 v4, v116
	v_mov_b32_e32 v5, v117
	v_mov_b32_e32 v6, v118
	v_mov_b32_e32 v7, v119
	v_mov_b32_e32 v64, v0
	v_mov_b32_e32 v65, v1
	v_mov_b32_e32 v66, v2
	v_mov_b32_e32 v67, v3
	;; [unrolled: 9-line block ×12, first 2 shown]
	s_swappc_b64 s[30:31], s[64:65]
	v_mov_b32_e32 v152, v0
	v_mbcnt_lo_u32_b32 v0, -1, 0
	v_mbcnt_hi_u32_b32 v47, -1, v0
	v_mov_b32_e32 v153, v1
	v_mov_b32_e32 v154, v2
	;; [unrolled: 1-line block ×3, first 2 shown]
	v_and_b32_e32 v160, 15, v47
	v_mov_b32_dpp v4, v152 row_shr:1 row_mask:0xf bank_mask:0xf
	v_mov_b32_dpp v5, v153 row_shr:1 row_mask:0xf bank_mask:0xf
	v_mov_b32_dpp v6, v154 row_shr:1 row_mask:0xf bank_mask:0xf
	v_mov_b32_dpp v7, v155 row_shr:1 row_mask:0xf bank_mask:0xf
	v_cmp_ne_u32_e32 vcc, 0, v160
	v_mov_b64_e32 v[158:159], v[154:155]
	v_mov_b64_e32 v[156:157], v[152:153]
	v_mov_b32_e32 v0, v152
	s_and_saveexec_b64 s[66:67], vcc
	s_cbranch_execz .LBB202_30
; %bb.29:
	v_mov_b32_e32 v0, v4
	v_mov_b32_e32 v1, v5
	;; [unrolled: 1-line block ×8, first 2 shown]
	s_swappc_b64 s[30:31], s[64:65]
	v_mov_b32_e32 v156, v0
	v_mov_b32_e32 v157, v1
	;; [unrolled: 1-line block ×4, first 2 shown]
.LBB202_30:
	s_or_b64 exec, exec, s[66:67]
	v_mov_b32_dpp v4, v0 row_shr:2 row_mask:0xf bank_mask:0xf
	v_mov_b32_dpp v5, v1 row_shr:2 row_mask:0xf bank_mask:0xf
	v_mov_b32_dpp v6, v2 row_shr:2 row_mask:0xf bank_mask:0xf
	v_mov_b32_dpp v7, v3 row_shr:2 row_mask:0xf bank_mask:0xf
	v_cmp_lt_u32_e32 vcc, 1, v160
	s_and_saveexec_b64 s[64:65], vcc
	s_cbranch_execz .LBB202_32
; %bb.31:
	v_mov_b32_e32 v0, v4
	v_mov_b32_e32 v1, v5
	v_mov_b32_e32 v2, v6
	v_mov_b32_e32 v3, v7
	v_mov_b32_e32 v4, v156
	v_mov_b32_e32 v5, v157
	v_mov_b32_e32 v6, v158
	v_mov_b32_e32 v7, v159
	s_getpc_b64 s[0:1]
	s_add_u32 s0, s0, _ZZZZN2at6native31launch_logcumsumexp_cuda_kernelERKNS_10TensorBaseES3_lENKUlvE_clEvENKUlvE1_clEvENKUlN3c107complexIdEES8_E_clES8_S8_@rel32@lo+4
	s_addc_u32 s1, s1, _ZZZZN2at6native31launch_logcumsumexp_cuda_kernelERKNS_10TensorBaseES3_lENKUlvE_clEvENKUlvE1_clEvENKUlN3c107complexIdEES8_E_clES8_S8_@rel32@hi+12
	s_swappc_b64 s[30:31], s[0:1]
	v_mov_b64_e32 v[158:159], v[2:3]
	v_mov_b64_e32 v[156:157], v[0:1]
.LBB202_32:
	s_or_b64 exec, exec, s[64:65]
	v_mov_b32_dpp v4, v0 row_shr:4 row_mask:0xf bank_mask:0xf
	v_mov_b32_dpp v5, v1 row_shr:4 row_mask:0xf bank_mask:0xf
	v_mov_b32_dpp v6, v2 row_shr:4 row_mask:0xf bank_mask:0xf
	v_mov_b32_dpp v7, v3 row_shr:4 row_mask:0xf bank_mask:0xf
	v_cmp_lt_u32_e32 vcc, 3, v160
	s_and_saveexec_b64 s[64:65], vcc
	s_cbranch_execz .LBB202_34
; %bb.33:
	v_mov_b32_e32 v0, v4
	v_mov_b32_e32 v1, v5
	v_mov_b32_e32 v2, v6
	v_mov_b32_e32 v3, v7
	v_mov_b32_e32 v4, v156
	v_mov_b32_e32 v5, v157
	v_mov_b32_e32 v6, v158
	v_mov_b32_e32 v7, v159
	s_getpc_b64 s[0:1]
	s_add_u32 s0, s0, _ZZZZN2at6native31launch_logcumsumexp_cuda_kernelERKNS_10TensorBaseES3_lENKUlvE_clEvENKUlvE1_clEvENKUlN3c107complexIdEES8_E_clES8_S8_@rel32@lo+4
	s_addc_u32 s1, s1, _ZZZZN2at6native31launch_logcumsumexp_cuda_kernelERKNS_10TensorBaseES3_lENKUlvE_clEvENKUlvE1_clEvENKUlN3c107complexIdEES8_E_clES8_S8_@rel32@hi+12
	s_swappc_b64 s[30:31], s[0:1]
	v_mov_b64_e32 v[158:159], v[2:3]
	v_mov_b64_e32 v[156:157], v[0:1]
.LBB202_34:
	;; [unrolled: 24-line block ×3, first 2 shown]
	s_or_b64 exec, exec, s[64:65]
	v_and_b32_e32 v8, 16, v47
	v_mov_b32_dpp v4, v0 row_bcast:15 row_mask:0xf bank_mask:0xf
	v_mov_b32_dpp v5, v1 row_bcast:15 row_mask:0xf bank_mask:0xf
	;; [unrolled: 1-line block ×4, first 2 shown]
	v_cmp_ne_u32_e32 vcc, 0, v8
	s_and_saveexec_b64 s[64:65], vcc
	s_cbranch_execz .LBB202_38
; %bb.37:
	v_mov_b32_e32 v0, v4
	v_mov_b32_e32 v1, v5
	;; [unrolled: 1-line block ×8, first 2 shown]
	s_getpc_b64 s[0:1]
	s_add_u32 s0, s0, _ZZZZN2at6native31launch_logcumsumexp_cuda_kernelERKNS_10TensorBaseES3_lENKUlvE_clEvENKUlvE1_clEvENKUlN3c107complexIdEES8_E_clES8_S8_@rel32@lo+4
	s_addc_u32 s1, s1, _ZZZZN2at6native31launch_logcumsumexp_cuda_kernelERKNS_10TensorBaseES3_lENKUlvE_clEvENKUlvE1_clEvENKUlN3c107complexIdEES8_E_clES8_S8_@rel32@hi+12
	s_swappc_b64 s[30:31], s[0:1]
	v_mov_b32_e32 v156, v0
	v_mov_b32_e32 v157, v1
	v_mov_b32_e32 v158, v2
	v_mov_b32_e32 v159, v3
.LBB202_38:
	s_or_b64 exec, exec, s[64:65]
	v_mov_b32_dpp v0, v0 row_bcast:31 row_mask:0xf bank_mask:0xf
	v_mov_b32_dpp v1, v1 row_bcast:31 row_mask:0xf bank_mask:0xf
	;; [unrolled: 1-line block ×4, first 2 shown]
	v_cmp_lt_u32_e32 vcc, 31, v47
	s_and_saveexec_b64 s[64:65], vcc
	s_cbranch_execz .LBB202_40
; %bb.39:
	v_mov_b32_e32 v4, v156
	v_mov_b32_e32 v5, v157
	;; [unrolled: 1-line block ×4, first 2 shown]
	s_getpc_b64 s[0:1]
	s_add_u32 s0, s0, _ZZZZN2at6native31launch_logcumsumexp_cuda_kernelERKNS_10TensorBaseES3_lENKUlvE_clEvENKUlvE1_clEvENKUlN3c107complexIdEES8_E_clES8_S8_@rel32@lo+4
	s_addc_u32 s1, s1, _ZZZZN2at6native31launch_logcumsumexp_cuda_kernelERKNS_10TensorBaseES3_lENKUlvE_clEvENKUlvE1_clEvENKUlN3c107complexIdEES8_E_clES8_S8_@rel32@hi+12
	s_swappc_b64 s[30:31], s[0:1]
	v_mov_b32_e32 v156, v0
	v_mov_b32_e32 v157, v1
	;; [unrolled: 1-line block ×4, first 2 shown]
.LBB202_40:
	s_or_b64 exec, exec, s[64:65]
	v_or_b32_e32 v0, 63, v41
	v_lshrrev_b32_e32 v165, 6, v41
	v_cmp_eq_u32_e32 vcc, v0, v41
	s_and_saveexec_b64 s[0:1], vcc
	s_cbranch_execz .LBB202_42
; %bb.41:
	v_lshlrev_b32_e32 v0, 4, v165
	ds_write_b128 v0, v[156:159]
.LBB202_42:
	s_or_b64 exec, exec, s[0:1]
	v_cmp_gt_u32_e32 vcc, 4, v41
	s_waitcnt lgkmcnt(0)
	s_barrier
	s_and_saveexec_b64 s[64:65], vcc
	s_cbranch_execz .LBB202_48
; %bb.43:
	ds_read_b128 v[4:7], v164
	v_and_b32_e32 v160, 3, v47
	v_cmp_ne_u32_e32 vcc, 0, v160
	s_waitcnt lgkmcnt(0)
	v_mov_b32_dpp v0, v4 row_shr:1 row_mask:0xf bank_mask:0xf
	v_mov_b32_dpp v1, v5 row_shr:1 row_mask:0xf bank_mask:0xf
	;; [unrolled: 1-line block ×4, first 2 shown]
	s_and_saveexec_b64 s[66:67], vcc
	s_cbranch_execz .LBB202_45
; %bb.44:
	s_getpc_b64 s[0:1]
	s_add_u32 s0, s0, _ZZZZN2at6native31launch_logcumsumexp_cuda_kernelERKNS_10TensorBaseES3_lENKUlvE_clEvENKUlvE1_clEvENKUlN3c107complexIdEES8_E_clES8_S8_@rel32@lo+4
	s_addc_u32 s1, s1, _ZZZZN2at6native31launch_logcumsumexp_cuda_kernelERKNS_10TensorBaseES3_lENKUlvE_clEvENKUlvE1_clEvENKUlN3c107complexIdEES8_E_clES8_S8_@rel32@hi+12
	s_swappc_b64 s[30:31], s[0:1]
	v_mov_b32_e32 v4, v0
	v_mov_b32_e32 v5, v1
	;; [unrolled: 1-line block ×4, first 2 shown]
.LBB202_45:
	s_or_b64 exec, exec, s[66:67]
	v_mov_b32_dpp v0, v4 row_shr:2 row_mask:0xf bank_mask:0xf
	v_mov_b32_dpp v1, v5 row_shr:2 row_mask:0xf bank_mask:0xf
	;; [unrolled: 1-line block ×4, first 2 shown]
	v_cmp_lt_u32_e32 vcc, 1, v160
	s_and_saveexec_b64 s[66:67], vcc
	s_cbranch_execz .LBB202_47
; %bb.46:
	s_getpc_b64 s[0:1]
	s_add_u32 s0, s0, _ZZZZN2at6native31launch_logcumsumexp_cuda_kernelERKNS_10TensorBaseES3_lENKUlvE_clEvENKUlvE1_clEvENKUlN3c107complexIdEES8_E_clES8_S8_@rel32@lo+4
	s_addc_u32 s1, s1, _ZZZZN2at6native31launch_logcumsumexp_cuda_kernelERKNS_10TensorBaseES3_lENKUlvE_clEvENKUlvE1_clEvENKUlN3c107complexIdEES8_E_clES8_S8_@rel32@hi+12
	s_swappc_b64 s[30:31], s[0:1]
	v_mov_b32_e32 v4, v0
	v_mov_b32_e32 v5, v1
	;; [unrolled: 1-line block ×4, first 2 shown]
.LBB202_47:
	s_or_b64 exec, exec, s[66:67]
	ds_write_b128 v164, v[4:7]
.LBB202_48:
	s_or_b64 exec, exec, s[64:65]
	s_load_dwordx2 s[62:63], s[62:63], 0x28
	v_mov_b64_e32 v[162:163], 0
	v_cmp_lt_u32_e32 vcc, 63, v41
	v_mov_b64_e32 v[160:161], v[162:163]
	s_waitcnt lgkmcnt(0)
	s_barrier
	s_and_saveexec_b64 s[64:65], vcc
	s_cbranch_execz .LBB202_50
; %bb.49:
	v_lshl_add_u32 v0, v165, 4, -16
	ds_read_b128 v[160:163], v0
	v_mov_b32_e32 v4, v156
	v_mov_b32_e32 v5, v157
	;; [unrolled: 1-line block ×4, first 2 shown]
	s_waitcnt lgkmcnt(0)
	v_mov_b32_e32 v0, v160
	v_mov_b32_e32 v1, v161
	;; [unrolled: 1-line block ×4, first 2 shown]
	s_getpc_b64 s[0:1]
	s_add_u32 s0, s0, _ZZZZN2at6native31launch_logcumsumexp_cuda_kernelERKNS_10TensorBaseES3_lENKUlvE_clEvENKUlvE1_clEvENKUlN3c107complexIdEES8_E_clES8_S8_@rel32@lo+4
	s_addc_u32 s1, s1, _ZZZZN2at6native31launch_logcumsumexp_cuda_kernelERKNS_10TensorBaseES3_lENKUlvE_clEvENKUlvE1_clEvENKUlN3c107complexIdEES8_E_clES8_S8_@rel32@hi+12
	s_swappc_b64 s[30:31], s[0:1]
	v_mov_b32_e32 v156, v0
	v_mov_b32_e32 v157, v1
	;; [unrolled: 1-line block ×4, first 2 shown]
.LBB202_50:
	s_or_b64 exec, exec, s[64:65]
	v_add_u32_e32 v0, -1, v47
	v_and_b32_e32 v1, 64, v47
	v_cmp_lt_i32_e32 vcc, v0, v1
	s_nop 1
	v_cndmask_b32_e32 v0, v0, v47, vcc
	v_lshlrev_b32_e32 v3, 2, v0
	ds_bpermute_b32 v0, v3, v156
	ds_bpermute_b32 v1, v3, v157
	ds_bpermute_b32 v2, v3, v158
	ds_bpermute_b32 v3, v3, v159
	v_cmp_ne_u32_e32 vcc, 0, v41
	s_and_saveexec_b64 s[64:65], vcc
	s_cbranch_execz .LBB202_52
; %bb.51:
	v_cmp_eq_u32_e32 vcc, 0, v47
	v_mov_b32_e32 v4, v42
	v_mov_b32_e32 v5, v43
	s_waitcnt lgkmcnt(3)
	v_cndmask_b32_e32 v0, v0, v160, vcc
	s_waitcnt lgkmcnt(2)
	v_cndmask_b32_e32 v1, v1, v161, vcc
	;; [unrolled: 2-line block ×4, first 2 shown]
	v_mov_b32_e32 v6, v44
	v_mov_b32_e32 v7, v45
	s_getpc_b64 s[66:67]
	s_add_u32 s66, s66, _ZZZZN2at6native31launch_logcumsumexp_cuda_kernelERKNS_10TensorBaseES3_lENKUlvE_clEvENKUlvE1_clEvENKUlN3c107complexIdEES8_E_clES8_S8_@rel32@lo+4
	s_addc_u32 s67, s67, _ZZZZN2at6native31launch_logcumsumexp_cuda_kernelERKNS_10TensorBaseES3_lENKUlvE_clEvENKUlvE1_clEvENKUlN3c107complexIdEES8_E_clES8_S8_@rel32@hi+12
	s_swappc_b64 s[30:31], s[66:67]
	v_mov_b32_e32 v4, v128
	v_mov_b32_e32 v5, v129
	;; [unrolled: 1-line block ×8, first 2 shown]
	;;#ASMSTART
	;;#ASMEND
	s_swappc_b64 s[30:31], s[66:67]
	v_mov_b32_e32 v4, v124
	v_mov_b32_e32 v5, v125
	v_mov_b32_e32 v6, v126
	v_mov_b32_e32 v7, v127
	v_mov_b32_e32 v52, v0
	v_mov_b32_e32 v53, v1
	v_mov_b32_e32 v54, v2
	v_mov_b32_e32 v55, v3
	s_swappc_b64 s[30:31], s[66:67]
	v_mov_b32_e32 v4, v116
	v_mov_b32_e32 v5, v117
	v_mov_b32_e32 v6, v118
	v_mov_b32_e32 v7, v119
	v_mov_b32_e32 v64, v0
	v_mov_b32_e32 v65, v1
	v_mov_b32_e32 v66, v2
	v_mov_b32_e32 v67, v3
	;; [unrolled: 9-line block ×12, first 2 shown]
	s_swappc_b64 s[30:31], s[66:67]
	v_mov_b32_e32 v152, v0
	v_mov_b32_e32 v153, v1
	;; [unrolled: 1-line block ×4, first 2 shown]
.LBB202_52:
	s_or_b64 exec, exec, s[64:65]
	s_movk_i32 s0, 0xff30
	s_waitcnt lgkmcnt(3)
	v_mad_i32_i24 v0, v41, s0, v46
	s_waitcnt lgkmcnt(0)
	s_barrier
	ds_write_b128 v46, v[42:45]
	ds_write_b128 v46, v[52:55] offset:16
	ds_write_b128 v46, v[64:67] offset:32
	;; [unrolled: 1-line block ×13, first 2 shown]
	s_waitcnt lgkmcnt(0)
	s_barrier
	ds_read_b128 v[48:51], v0 offset:4096
	ds_read_b128 v[44:47], v0 offset:8192
	;; [unrolled: 1-line block ×13, first 2 shown]
	v_mov_b32_e32 v165, 0
	v_lshl_add_u64 v[52:53], s[62:63], 0, v[164:165]
	s_and_saveexec_b64 s[0:1], s[34:35]
	s_cbranch_execnz .LBB202_67
; %bb.53:
	s_or_b64 exec, exec, s[0:1]
	s_and_saveexec_b64 s[0:1], s[36:37]
	s_cbranch_execnz .LBB202_68
.LBB202_54:
	s_or_b64 exec, exec, s[0:1]
	s_and_saveexec_b64 s[0:1], s[38:39]
	s_cbranch_execnz .LBB202_69
.LBB202_55:
	s_or_b64 exec, exec, s[0:1]
	s_and_saveexec_b64 s[0:1], s[40:41]
	s_cbranch_execnz .LBB202_70
.LBB202_56:
	s_or_b64 exec, exec, s[0:1]
	s_and_saveexec_b64 s[0:1], s[42:43]
	s_cbranch_execnz .LBB202_71
.LBB202_57:
	s_or_b64 exec, exec, s[0:1]
	s_and_saveexec_b64 s[0:1], s[44:45]
	s_cbranch_execnz .LBB202_72
.LBB202_58:
	s_or_b64 exec, exec, s[0:1]
	s_and_saveexec_b64 s[0:1], s[46:47]
	s_cbranch_execnz .LBB202_73
.LBB202_59:
	s_or_b64 exec, exec, s[0:1]
	s_and_saveexec_b64 s[0:1], s[48:49]
	s_cbranch_execnz .LBB202_74
.LBB202_60:
	s_or_b64 exec, exec, s[0:1]
	s_and_saveexec_b64 s[0:1], s[50:51]
	s_cbranch_execnz .LBB202_75
.LBB202_61:
	s_or_b64 exec, exec, s[0:1]
	s_and_saveexec_b64 s[0:1], s[52:53]
	s_cbranch_execnz .LBB202_76
.LBB202_62:
	s_or_b64 exec, exec, s[0:1]
	s_and_saveexec_b64 s[0:1], s[54:55]
	s_cbranch_execnz .LBB202_77
.LBB202_63:
	s_or_b64 exec, exec, s[0:1]
	s_and_saveexec_b64 s[0:1], s[56:57]
	s_cbranch_execnz .LBB202_78
.LBB202_64:
	s_or_b64 exec, exec, s[0:1]
	s_and_saveexec_b64 s[0:1], s[58:59]
	s_cbranch_execnz .LBB202_79
.LBB202_65:
	s_or_b64 exec, exec, s[0:1]
	s_and_saveexec_b64 s[0:1], s[60:61]
	s_cbranch_execnz .LBB202_80
.LBB202_66:
	s_endpgm
.LBB202_67:
	ds_read_b128 v[54:57], v164
	s_waitcnt lgkmcnt(0)
	global_store_dwordx4 v[52:53], v[54:57], off
	s_or_b64 exec, exec, s[0:1]
	s_and_saveexec_b64 s[0:1], s[36:37]
	s_cbranch_execz .LBB202_54
.LBB202_68:
	v_add_co_u32_e32 v54, vcc, 0x1000, v52
	s_nop 1
	v_addc_co_u32_e32 v55, vcc, 0, v53, vcc
	s_waitcnt lgkmcnt(12)
	global_store_dwordx4 v[54:55], v[48:51], off
	s_or_b64 exec, exec, s[0:1]
	s_and_saveexec_b64 s[0:1], s[38:39]
	s_cbranch_execz .LBB202_55
.LBB202_69:
	s_waitcnt lgkmcnt(12)
	v_add_co_u32_e32 v48, vcc, 0x2000, v52
	s_nop 1
	v_addc_co_u32_e32 v49, vcc, 0, v53, vcc
	s_waitcnt lgkmcnt(11)
	global_store_dwordx4 v[48:49], v[44:47], off
	s_or_b64 exec, exec, s[0:1]
	s_and_saveexec_b64 s[0:1], s[40:41]
	s_cbranch_execz .LBB202_56
.LBB202_70:
	s_waitcnt lgkmcnt(11)
	v_add_co_u32_e32 v44, vcc, 0x3000, v52
	s_nop 1
	v_addc_co_u32_e32 v45, vcc, 0, v53, vcc
	s_waitcnt lgkmcnt(9)
	global_store_dwordx4 v[44:45], v[40:43], off
	s_or_b64 exec, exec, s[0:1]
	s_and_saveexec_b64 s[0:1], s[42:43]
	s_cbranch_execz .LBB202_57
.LBB202_71:
	s_waitcnt lgkmcnt(9)
	v_add_co_u32_e32 v40, vcc, 0x4000, v52
	s_nop 1
	v_addc_co_u32_e32 v41, vcc, 0, v53, vcc
	global_store_dwordx4 v[40:41], v[36:39], off
	s_or_b64 exec, exec, s[0:1]
	s_and_saveexec_b64 s[0:1], s[44:45]
	s_cbranch_execz .LBB202_58
.LBB202_72:
	s_waitcnt lgkmcnt(10)
	v_add_co_u32_e32 v36, vcc, 0x5000, v52
	s_nop 1
	v_addc_co_u32_e32 v37, vcc, 0, v53, vcc
	s_waitcnt lgkmcnt(8)
	global_store_dwordx4 v[36:37], v[32:35], off
	s_or_b64 exec, exec, s[0:1]
	s_and_saveexec_b64 s[0:1], s[46:47]
	s_cbranch_execz .LBB202_59
.LBB202_73:
	s_waitcnt lgkmcnt(8)
	v_add_co_u32_e32 v32, vcc, 0x6000, v52
	s_nop 1
	v_addc_co_u32_e32 v33, vcc, 0, v53, vcc
	s_waitcnt lgkmcnt(7)
	global_store_dwordx4 v[32:33], v[28:31], off
	s_or_b64 exec, exec, s[0:1]
	s_and_saveexec_b64 s[0:1], s[48:49]
	s_cbranch_execz .LBB202_60
.LBB202_74:
	s_waitcnt lgkmcnt(7)
	v_add_co_u32_e32 v28, vcc, 0x7000, v52
	s_nop 1
	v_addc_co_u32_e32 v29, vcc, 0, v53, vcc
	s_waitcnt lgkmcnt(6)
	global_store_dwordx4 v[28:29], v[24:27], off
	s_or_b64 exec, exec, s[0:1]
	s_and_saveexec_b64 s[0:1], s[50:51]
	s_cbranch_execz .LBB202_61
.LBB202_75:
	s_waitcnt lgkmcnt(6)
	v_add_co_u32_e32 v24, vcc, 0x8000, v52
	s_nop 1
	v_addc_co_u32_e32 v25, vcc, 0, v53, vcc
	s_waitcnt lgkmcnt(3)
	global_store_dwordx4 v[24:25], v[20:23], off
	s_or_b64 exec, exec, s[0:1]
	s_and_saveexec_b64 s[0:1], s[52:53]
	s_cbranch_execz .LBB202_62
.LBB202_76:
	s_waitcnt lgkmcnt(3)
	v_add_co_u32_e32 v20, vcc, 0x9000, v52
	s_nop 1
	v_addc_co_u32_e32 v21, vcc, 0, v53, vcc
	global_store_dwordx4 v[20:21], v[16:19], off
	s_or_b64 exec, exec, s[0:1]
	s_and_saveexec_b64 s[0:1], s[54:55]
	s_cbranch_execz .LBB202_63
.LBB202_77:
	s_waitcnt lgkmcnt(5)
	v_add_co_u32_e32 v16, vcc, 0xa000, v52
	s_nop 1
	v_addc_co_u32_e32 v17, vcc, 0, v53, vcc
	s_waitcnt lgkmcnt(4)
	global_store_dwordx4 v[16:17], v[12:15], off
	s_or_b64 exec, exec, s[0:1]
	s_and_saveexec_b64 s[0:1], s[56:57]
	s_cbranch_execz .LBB202_64
.LBB202_78:
	s_waitcnt lgkmcnt(4)
	v_add_co_u32_e32 v12, vcc, 0xb000, v52
	s_nop 1
	v_addc_co_u32_e32 v13, vcc, 0, v53, vcc
	s_waitcnt lgkmcnt(1)
	global_store_dwordx4 v[12:13], v[8:11], off
	s_or_b64 exec, exec, s[0:1]
	s_and_saveexec_b64 s[0:1], s[58:59]
	s_cbranch_execz .LBB202_65
.LBB202_79:
	s_waitcnt lgkmcnt(1)
	v_add_co_u32_e32 v8, vcc, 0xc000, v52
	s_nop 1
	v_addc_co_u32_e32 v9, vcc, 0, v53, vcc
	global_store_dwordx4 v[8:9], v[4:7], off
	s_or_b64 exec, exec, s[0:1]
	s_and_saveexec_b64 s[0:1], s[60:61]
	s_cbranch_execz .LBB202_66
.LBB202_80:
	s_waitcnt lgkmcnt(2)
	v_add_co_u32_e32 v4, vcc, 0xd000, v52
	s_nop 1
	v_addc_co_u32_e32 v5, vcc, 0, v53, vcc
	s_waitcnt lgkmcnt(0)
	global_store_dwordx4 v[4:5], v[0:3], off
	s_endpgm
	.section	.rodata,"a",@progbits
	.p2align	6, 0x0
	.amdhsa_kernel _ZN7rocprim17ROCPRIM_400000_NS6detail17trampoline_kernelINS0_14default_configENS1_20scan_config_selectorIN3c107complexIdEEEEZZNS1_9scan_implILNS1_25lookback_scan_determinismE0ELb0ELb0ES3_PKS7_PS7_S7_ZZZN2at6native31launch_logcumsumexp_cuda_kernelERKNSE_10TensorBaseESI_lENKUlvE_clEvENKUlvE1_clEvEUlS7_S7_E_S7_EEDaPvRmT3_T4_T5_mT6_P12ihipStream_tbENKUlT_T0_E_clISt17integral_constantIbLb0EESZ_EEDaSU_SV_EUlSU_E0_NS1_11comp_targetILNS1_3genE5ELNS1_11target_archE942ELNS1_3gpuE9ELNS1_3repE0EEENS1_30default_config_static_selectorELNS0_4arch9wavefront6targetE1EEEvT1_
		.amdhsa_group_segment_fixed_size 57344
		.amdhsa_private_segment_fixed_size 8
		.amdhsa_kernarg_size 48
		.amdhsa_user_sgpr_count 2
		.amdhsa_user_sgpr_dispatch_ptr 0
		.amdhsa_user_sgpr_queue_ptr 0
		.amdhsa_user_sgpr_kernarg_segment_ptr 1
		.amdhsa_user_sgpr_dispatch_id 0
		.amdhsa_user_sgpr_kernarg_preload_length 0
		.amdhsa_user_sgpr_kernarg_preload_offset 0
		.amdhsa_user_sgpr_private_segment_size 0
		.amdhsa_uses_dynamic_stack 0
		.amdhsa_enable_private_segment 1
		.amdhsa_system_sgpr_workgroup_id_x 1
		.amdhsa_system_sgpr_workgroup_id_y 0
		.amdhsa_system_sgpr_workgroup_id_z 0
		.amdhsa_system_sgpr_workgroup_info 0
		.amdhsa_system_vgpr_workitem_id 0
		.amdhsa_next_free_vgpr 166
		.amdhsa_next_free_sgpr 68
		.amdhsa_accum_offset 168
		.amdhsa_reserve_vcc 1
		.amdhsa_float_round_mode_32 0
		.amdhsa_float_round_mode_16_64 0
		.amdhsa_float_denorm_mode_32 3
		.amdhsa_float_denorm_mode_16_64 3
		.amdhsa_dx10_clamp 1
		.amdhsa_ieee_mode 1
		.amdhsa_fp16_overflow 0
		.amdhsa_tg_split 0
		.amdhsa_exception_fp_ieee_invalid_op 0
		.amdhsa_exception_fp_denorm_src 0
		.amdhsa_exception_fp_ieee_div_zero 0
		.amdhsa_exception_fp_ieee_overflow 0
		.amdhsa_exception_fp_ieee_underflow 0
		.amdhsa_exception_fp_ieee_inexact 0
		.amdhsa_exception_int_div_zero 0
	.end_amdhsa_kernel
	.section	.text._ZN7rocprim17ROCPRIM_400000_NS6detail17trampoline_kernelINS0_14default_configENS1_20scan_config_selectorIN3c107complexIdEEEEZZNS1_9scan_implILNS1_25lookback_scan_determinismE0ELb0ELb0ES3_PKS7_PS7_S7_ZZZN2at6native31launch_logcumsumexp_cuda_kernelERKNSE_10TensorBaseESI_lENKUlvE_clEvENKUlvE1_clEvEUlS7_S7_E_S7_EEDaPvRmT3_T4_T5_mT6_P12ihipStream_tbENKUlT_T0_E_clISt17integral_constantIbLb0EESZ_EEDaSU_SV_EUlSU_E0_NS1_11comp_targetILNS1_3genE5ELNS1_11target_archE942ELNS1_3gpuE9ELNS1_3repE0EEENS1_30default_config_static_selectorELNS0_4arch9wavefront6targetE1EEEvT1_,"axG",@progbits,_ZN7rocprim17ROCPRIM_400000_NS6detail17trampoline_kernelINS0_14default_configENS1_20scan_config_selectorIN3c107complexIdEEEEZZNS1_9scan_implILNS1_25lookback_scan_determinismE0ELb0ELb0ES3_PKS7_PS7_S7_ZZZN2at6native31launch_logcumsumexp_cuda_kernelERKNSE_10TensorBaseESI_lENKUlvE_clEvENKUlvE1_clEvEUlS7_S7_E_S7_EEDaPvRmT3_T4_T5_mT6_P12ihipStream_tbENKUlT_T0_E_clISt17integral_constantIbLb0EESZ_EEDaSU_SV_EUlSU_E0_NS1_11comp_targetILNS1_3genE5ELNS1_11target_archE942ELNS1_3gpuE9ELNS1_3repE0EEENS1_30default_config_static_selectorELNS0_4arch9wavefront6targetE1EEEvT1_,comdat
.Lfunc_end202:
	.size	_ZN7rocprim17ROCPRIM_400000_NS6detail17trampoline_kernelINS0_14default_configENS1_20scan_config_selectorIN3c107complexIdEEEEZZNS1_9scan_implILNS1_25lookback_scan_determinismE0ELb0ELb0ES3_PKS7_PS7_S7_ZZZN2at6native31launch_logcumsumexp_cuda_kernelERKNSE_10TensorBaseESI_lENKUlvE_clEvENKUlvE1_clEvEUlS7_S7_E_S7_EEDaPvRmT3_T4_T5_mT6_P12ihipStream_tbENKUlT_T0_E_clISt17integral_constantIbLb0EESZ_EEDaSU_SV_EUlSU_E0_NS1_11comp_targetILNS1_3genE5ELNS1_11target_archE942ELNS1_3gpuE9ELNS1_3repE0EEENS1_30default_config_static_selectorELNS0_4arch9wavefront6targetE1EEEvT1_, .Lfunc_end202-_ZN7rocprim17ROCPRIM_400000_NS6detail17trampoline_kernelINS0_14default_configENS1_20scan_config_selectorIN3c107complexIdEEEEZZNS1_9scan_implILNS1_25lookback_scan_determinismE0ELb0ELb0ES3_PKS7_PS7_S7_ZZZN2at6native31launch_logcumsumexp_cuda_kernelERKNSE_10TensorBaseESI_lENKUlvE_clEvENKUlvE1_clEvEUlS7_S7_E_S7_EEDaPvRmT3_T4_T5_mT6_P12ihipStream_tbENKUlT_T0_E_clISt17integral_constantIbLb0EESZ_EEDaSU_SV_EUlSU_E0_NS1_11comp_targetILNS1_3genE5ELNS1_11target_archE942ELNS1_3gpuE9ELNS1_3repE0EEENS1_30default_config_static_selectorELNS0_4arch9wavefront6targetE1EEEvT1_
                                        ; -- End function
	.section	.AMDGPU.csdata,"",@progbits
; Kernel info:
; codeLenInByte = 4196
; NumSgprs: 74
; NumVgprs: 166
; NumAgprs: 0
; TotalNumVgprs: 166
; ScratchSize: 8
; MemoryBound: 1
; FloatMode: 240
; IeeeMode: 1
; LDSByteSize: 57344 bytes/workgroup (compile time only)
; SGPRBlocks: 9
; VGPRBlocks: 20
; NumSGPRsForWavesPerEU: 74
; NumVGPRsForWavesPerEU: 166
; AccumOffset: 168
; Occupancy: 1
; WaveLimiterHint : 0
; COMPUTE_PGM_RSRC2:SCRATCH_EN: 1
; COMPUTE_PGM_RSRC2:USER_SGPR: 2
; COMPUTE_PGM_RSRC2:TRAP_HANDLER: 0
; COMPUTE_PGM_RSRC2:TGID_X_EN: 1
; COMPUTE_PGM_RSRC2:TGID_Y_EN: 0
; COMPUTE_PGM_RSRC2:TGID_Z_EN: 0
; COMPUTE_PGM_RSRC2:TIDIG_COMP_CNT: 0
; COMPUTE_PGM_RSRC3_GFX90A:ACCUM_OFFSET: 41
; COMPUTE_PGM_RSRC3_GFX90A:TG_SPLIT: 0
	.section	.text._ZN7rocprim17ROCPRIM_400000_NS6detail17trampoline_kernelINS0_14default_configENS1_20scan_config_selectorIN3c107complexIdEEEEZZNS1_9scan_implILNS1_25lookback_scan_determinismE0ELb0ELb0ES3_PKS7_PS7_S7_ZZZN2at6native31launch_logcumsumexp_cuda_kernelERKNSE_10TensorBaseESI_lENKUlvE_clEvENKUlvE1_clEvEUlS7_S7_E_S7_EEDaPvRmT3_T4_T5_mT6_P12ihipStream_tbENKUlT_T0_E_clISt17integral_constantIbLb0EESZ_EEDaSU_SV_EUlSU_E0_NS1_11comp_targetILNS1_3genE4ELNS1_11target_archE910ELNS1_3gpuE8ELNS1_3repE0EEENS1_30default_config_static_selectorELNS0_4arch9wavefront6targetE1EEEvT1_,"axG",@progbits,_ZN7rocprim17ROCPRIM_400000_NS6detail17trampoline_kernelINS0_14default_configENS1_20scan_config_selectorIN3c107complexIdEEEEZZNS1_9scan_implILNS1_25lookback_scan_determinismE0ELb0ELb0ES3_PKS7_PS7_S7_ZZZN2at6native31launch_logcumsumexp_cuda_kernelERKNSE_10TensorBaseESI_lENKUlvE_clEvENKUlvE1_clEvEUlS7_S7_E_S7_EEDaPvRmT3_T4_T5_mT6_P12ihipStream_tbENKUlT_T0_E_clISt17integral_constantIbLb0EESZ_EEDaSU_SV_EUlSU_E0_NS1_11comp_targetILNS1_3genE4ELNS1_11target_archE910ELNS1_3gpuE8ELNS1_3repE0EEENS1_30default_config_static_selectorELNS0_4arch9wavefront6targetE1EEEvT1_,comdat
	.globl	_ZN7rocprim17ROCPRIM_400000_NS6detail17trampoline_kernelINS0_14default_configENS1_20scan_config_selectorIN3c107complexIdEEEEZZNS1_9scan_implILNS1_25lookback_scan_determinismE0ELb0ELb0ES3_PKS7_PS7_S7_ZZZN2at6native31launch_logcumsumexp_cuda_kernelERKNSE_10TensorBaseESI_lENKUlvE_clEvENKUlvE1_clEvEUlS7_S7_E_S7_EEDaPvRmT3_T4_T5_mT6_P12ihipStream_tbENKUlT_T0_E_clISt17integral_constantIbLb0EESZ_EEDaSU_SV_EUlSU_E0_NS1_11comp_targetILNS1_3genE4ELNS1_11target_archE910ELNS1_3gpuE8ELNS1_3repE0EEENS1_30default_config_static_selectorELNS0_4arch9wavefront6targetE1EEEvT1_ ; -- Begin function _ZN7rocprim17ROCPRIM_400000_NS6detail17trampoline_kernelINS0_14default_configENS1_20scan_config_selectorIN3c107complexIdEEEEZZNS1_9scan_implILNS1_25lookback_scan_determinismE0ELb0ELb0ES3_PKS7_PS7_S7_ZZZN2at6native31launch_logcumsumexp_cuda_kernelERKNSE_10TensorBaseESI_lENKUlvE_clEvENKUlvE1_clEvEUlS7_S7_E_S7_EEDaPvRmT3_T4_T5_mT6_P12ihipStream_tbENKUlT_T0_E_clISt17integral_constantIbLb0EESZ_EEDaSU_SV_EUlSU_E0_NS1_11comp_targetILNS1_3genE4ELNS1_11target_archE910ELNS1_3gpuE8ELNS1_3repE0EEENS1_30default_config_static_selectorELNS0_4arch9wavefront6targetE1EEEvT1_
	.p2align	8
	.type	_ZN7rocprim17ROCPRIM_400000_NS6detail17trampoline_kernelINS0_14default_configENS1_20scan_config_selectorIN3c107complexIdEEEEZZNS1_9scan_implILNS1_25lookback_scan_determinismE0ELb0ELb0ES3_PKS7_PS7_S7_ZZZN2at6native31launch_logcumsumexp_cuda_kernelERKNSE_10TensorBaseESI_lENKUlvE_clEvENKUlvE1_clEvEUlS7_S7_E_S7_EEDaPvRmT3_T4_T5_mT6_P12ihipStream_tbENKUlT_T0_E_clISt17integral_constantIbLb0EESZ_EEDaSU_SV_EUlSU_E0_NS1_11comp_targetILNS1_3genE4ELNS1_11target_archE910ELNS1_3gpuE8ELNS1_3repE0EEENS1_30default_config_static_selectorELNS0_4arch9wavefront6targetE1EEEvT1_,@function
_ZN7rocprim17ROCPRIM_400000_NS6detail17trampoline_kernelINS0_14default_configENS1_20scan_config_selectorIN3c107complexIdEEEEZZNS1_9scan_implILNS1_25lookback_scan_determinismE0ELb0ELb0ES3_PKS7_PS7_S7_ZZZN2at6native31launch_logcumsumexp_cuda_kernelERKNSE_10TensorBaseESI_lENKUlvE_clEvENKUlvE1_clEvEUlS7_S7_E_S7_EEDaPvRmT3_T4_T5_mT6_P12ihipStream_tbENKUlT_T0_E_clISt17integral_constantIbLb0EESZ_EEDaSU_SV_EUlSU_E0_NS1_11comp_targetILNS1_3genE4ELNS1_11target_archE910ELNS1_3gpuE8ELNS1_3repE0EEENS1_30default_config_static_selectorELNS0_4arch9wavefront6targetE1EEEvT1_: ; @_ZN7rocprim17ROCPRIM_400000_NS6detail17trampoline_kernelINS0_14default_configENS1_20scan_config_selectorIN3c107complexIdEEEEZZNS1_9scan_implILNS1_25lookback_scan_determinismE0ELb0ELb0ES3_PKS7_PS7_S7_ZZZN2at6native31launch_logcumsumexp_cuda_kernelERKNSE_10TensorBaseESI_lENKUlvE_clEvENKUlvE1_clEvEUlS7_S7_E_S7_EEDaPvRmT3_T4_T5_mT6_P12ihipStream_tbENKUlT_T0_E_clISt17integral_constantIbLb0EESZ_EEDaSU_SV_EUlSU_E0_NS1_11comp_targetILNS1_3genE4ELNS1_11target_archE910ELNS1_3gpuE8ELNS1_3repE0EEENS1_30default_config_static_selectorELNS0_4arch9wavefront6targetE1EEEvT1_
; %bb.0:
	.section	.rodata,"a",@progbits
	.p2align	6, 0x0
	.amdhsa_kernel _ZN7rocprim17ROCPRIM_400000_NS6detail17trampoline_kernelINS0_14default_configENS1_20scan_config_selectorIN3c107complexIdEEEEZZNS1_9scan_implILNS1_25lookback_scan_determinismE0ELb0ELb0ES3_PKS7_PS7_S7_ZZZN2at6native31launch_logcumsumexp_cuda_kernelERKNSE_10TensorBaseESI_lENKUlvE_clEvENKUlvE1_clEvEUlS7_S7_E_S7_EEDaPvRmT3_T4_T5_mT6_P12ihipStream_tbENKUlT_T0_E_clISt17integral_constantIbLb0EESZ_EEDaSU_SV_EUlSU_E0_NS1_11comp_targetILNS1_3genE4ELNS1_11target_archE910ELNS1_3gpuE8ELNS1_3repE0EEENS1_30default_config_static_selectorELNS0_4arch9wavefront6targetE1EEEvT1_
		.amdhsa_group_segment_fixed_size 0
		.amdhsa_private_segment_fixed_size 0
		.amdhsa_kernarg_size 48
		.amdhsa_user_sgpr_count 2
		.amdhsa_user_sgpr_dispatch_ptr 0
		.amdhsa_user_sgpr_queue_ptr 0
		.amdhsa_user_sgpr_kernarg_segment_ptr 1
		.amdhsa_user_sgpr_dispatch_id 0
		.amdhsa_user_sgpr_kernarg_preload_length 0
		.amdhsa_user_sgpr_kernarg_preload_offset 0
		.amdhsa_user_sgpr_private_segment_size 0
		.amdhsa_uses_dynamic_stack 0
		.amdhsa_enable_private_segment 0
		.amdhsa_system_sgpr_workgroup_id_x 1
		.amdhsa_system_sgpr_workgroup_id_y 0
		.amdhsa_system_sgpr_workgroup_id_z 0
		.amdhsa_system_sgpr_workgroup_info 0
		.amdhsa_system_vgpr_workitem_id 0
		.amdhsa_next_free_vgpr 1
		.amdhsa_next_free_sgpr 0
		.amdhsa_accum_offset 4
		.amdhsa_reserve_vcc 0
		.amdhsa_float_round_mode_32 0
		.amdhsa_float_round_mode_16_64 0
		.amdhsa_float_denorm_mode_32 3
		.amdhsa_float_denorm_mode_16_64 3
		.amdhsa_dx10_clamp 1
		.amdhsa_ieee_mode 1
		.amdhsa_fp16_overflow 0
		.amdhsa_tg_split 0
		.amdhsa_exception_fp_ieee_invalid_op 0
		.amdhsa_exception_fp_denorm_src 0
		.amdhsa_exception_fp_ieee_div_zero 0
		.amdhsa_exception_fp_ieee_overflow 0
		.amdhsa_exception_fp_ieee_underflow 0
		.amdhsa_exception_fp_ieee_inexact 0
		.amdhsa_exception_int_div_zero 0
	.end_amdhsa_kernel
	.section	.text._ZN7rocprim17ROCPRIM_400000_NS6detail17trampoline_kernelINS0_14default_configENS1_20scan_config_selectorIN3c107complexIdEEEEZZNS1_9scan_implILNS1_25lookback_scan_determinismE0ELb0ELb0ES3_PKS7_PS7_S7_ZZZN2at6native31launch_logcumsumexp_cuda_kernelERKNSE_10TensorBaseESI_lENKUlvE_clEvENKUlvE1_clEvEUlS7_S7_E_S7_EEDaPvRmT3_T4_T5_mT6_P12ihipStream_tbENKUlT_T0_E_clISt17integral_constantIbLb0EESZ_EEDaSU_SV_EUlSU_E0_NS1_11comp_targetILNS1_3genE4ELNS1_11target_archE910ELNS1_3gpuE8ELNS1_3repE0EEENS1_30default_config_static_selectorELNS0_4arch9wavefront6targetE1EEEvT1_,"axG",@progbits,_ZN7rocprim17ROCPRIM_400000_NS6detail17trampoline_kernelINS0_14default_configENS1_20scan_config_selectorIN3c107complexIdEEEEZZNS1_9scan_implILNS1_25lookback_scan_determinismE0ELb0ELb0ES3_PKS7_PS7_S7_ZZZN2at6native31launch_logcumsumexp_cuda_kernelERKNSE_10TensorBaseESI_lENKUlvE_clEvENKUlvE1_clEvEUlS7_S7_E_S7_EEDaPvRmT3_T4_T5_mT6_P12ihipStream_tbENKUlT_T0_E_clISt17integral_constantIbLb0EESZ_EEDaSU_SV_EUlSU_E0_NS1_11comp_targetILNS1_3genE4ELNS1_11target_archE910ELNS1_3gpuE8ELNS1_3repE0EEENS1_30default_config_static_selectorELNS0_4arch9wavefront6targetE1EEEvT1_,comdat
.Lfunc_end203:
	.size	_ZN7rocprim17ROCPRIM_400000_NS6detail17trampoline_kernelINS0_14default_configENS1_20scan_config_selectorIN3c107complexIdEEEEZZNS1_9scan_implILNS1_25lookback_scan_determinismE0ELb0ELb0ES3_PKS7_PS7_S7_ZZZN2at6native31launch_logcumsumexp_cuda_kernelERKNSE_10TensorBaseESI_lENKUlvE_clEvENKUlvE1_clEvEUlS7_S7_E_S7_EEDaPvRmT3_T4_T5_mT6_P12ihipStream_tbENKUlT_T0_E_clISt17integral_constantIbLb0EESZ_EEDaSU_SV_EUlSU_E0_NS1_11comp_targetILNS1_3genE4ELNS1_11target_archE910ELNS1_3gpuE8ELNS1_3repE0EEENS1_30default_config_static_selectorELNS0_4arch9wavefront6targetE1EEEvT1_, .Lfunc_end203-_ZN7rocprim17ROCPRIM_400000_NS6detail17trampoline_kernelINS0_14default_configENS1_20scan_config_selectorIN3c107complexIdEEEEZZNS1_9scan_implILNS1_25lookback_scan_determinismE0ELb0ELb0ES3_PKS7_PS7_S7_ZZZN2at6native31launch_logcumsumexp_cuda_kernelERKNSE_10TensorBaseESI_lENKUlvE_clEvENKUlvE1_clEvEUlS7_S7_E_S7_EEDaPvRmT3_T4_T5_mT6_P12ihipStream_tbENKUlT_T0_E_clISt17integral_constantIbLb0EESZ_EEDaSU_SV_EUlSU_E0_NS1_11comp_targetILNS1_3genE4ELNS1_11target_archE910ELNS1_3gpuE8ELNS1_3repE0EEENS1_30default_config_static_selectorELNS0_4arch9wavefront6targetE1EEEvT1_
                                        ; -- End function
	.section	.AMDGPU.csdata,"",@progbits
; Kernel info:
; codeLenInByte = 0
; NumSgprs: 6
; NumVgprs: 0
; NumAgprs: 0
; TotalNumVgprs: 0
; ScratchSize: 0
; MemoryBound: 0
; FloatMode: 240
; IeeeMode: 1
; LDSByteSize: 0 bytes/workgroup (compile time only)
; SGPRBlocks: 0
; VGPRBlocks: 0
; NumSGPRsForWavesPerEU: 6
; NumVGPRsForWavesPerEU: 1
; AccumOffset: 4
; Occupancy: 8
; WaveLimiterHint : 0
; COMPUTE_PGM_RSRC2:SCRATCH_EN: 0
; COMPUTE_PGM_RSRC2:USER_SGPR: 2
; COMPUTE_PGM_RSRC2:TRAP_HANDLER: 0
; COMPUTE_PGM_RSRC2:TGID_X_EN: 1
; COMPUTE_PGM_RSRC2:TGID_Y_EN: 0
; COMPUTE_PGM_RSRC2:TGID_Z_EN: 0
; COMPUTE_PGM_RSRC2:TIDIG_COMP_CNT: 0
; COMPUTE_PGM_RSRC3_GFX90A:ACCUM_OFFSET: 0
; COMPUTE_PGM_RSRC3_GFX90A:TG_SPLIT: 0
	.section	.text._ZN7rocprim17ROCPRIM_400000_NS6detail17trampoline_kernelINS0_14default_configENS1_20scan_config_selectorIN3c107complexIdEEEEZZNS1_9scan_implILNS1_25lookback_scan_determinismE0ELb0ELb0ES3_PKS7_PS7_S7_ZZZN2at6native31launch_logcumsumexp_cuda_kernelERKNSE_10TensorBaseESI_lENKUlvE_clEvENKUlvE1_clEvEUlS7_S7_E_S7_EEDaPvRmT3_T4_T5_mT6_P12ihipStream_tbENKUlT_T0_E_clISt17integral_constantIbLb0EESZ_EEDaSU_SV_EUlSU_E0_NS1_11comp_targetILNS1_3genE3ELNS1_11target_archE908ELNS1_3gpuE7ELNS1_3repE0EEENS1_30default_config_static_selectorELNS0_4arch9wavefront6targetE1EEEvT1_,"axG",@progbits,_ZN7rocprim17ROCPRIM_400000_NS6detail17trampoline_kernelINS0_14default_configENS1_20scan_config_selectorIN3c107complexIdEEEEZZNS1_9scan_implILNS1_25lookback_scan_determinismE0ELb0ELb0ES3_PKS7_PS7_S7_ZZZN2at6native31launch_logcumsumexp_cuda_kernelERKNSE_10TensorBaseESI_lENKUlvE_clEvENKUlvE1_clEvEUlS7_S7_E_S7_EEDaPvRmT3_T4_T5_mT6_P12ihipStream_tbENKUlT_T0_E_clISt17integral_constantIbLb0EESZ_EEDaSU_SV_EUlSU_E0_NS1_11comp_targetILNS1_3genE3ELNS1_11target_archE908ELNS1_3gpuE7ELNS1_3repE0EEENS1_30default_config_static_selectorELNS0_4arch9wavefront6targetE1EEEvT1_,comdat
	.globl	_ZN7rocprim17ROCPRIM_400000_NS6detail17trampoline_kernelINS0_14default_configENS1_20scan_config_selectorIN3c107complexIdEEEEZZNS1_9scan_implILNS1_25lookback_scan_determinismE0ELb0ELb0ES3_PKS7_PS7_S7_ZZZN2at6native31launch_logcumsumexp_cuda_kernelERKNSE_10TensorBaseESI_lENKUlvE_clEvENKUlvE1_clEvEUlS7_S7_E_S7_EEDaPvRmT3_T4_T5_mT6_P12ihipStream_tbENKUlT_T0_E_clISt17integral_constantIbLb0EESZ_EEDaSU_SV_EUlSU_E0_NS1_11comp_targetILNS1_3genE3ELNS1_11target_archE908ELNS1_3gpuE7ELNS1_3repE0EEENS1_30default_config_static_selectorELNS0_4arch9wavefront6targetE1EEEvT1_ ; -- Begin function _ZN7rocprim17ROCPRIM_400000_NS6detail17trampoline_kernelINS0_14default_configENS1_20scan_config_selectorIN3c107complexIdEEEEZZNS1_9scan_implILNS1_25lookback_scan_determinismE0ELb0ELb0ES3_PKS7_PS7_S7_ZZZN2at6native31launch_logcumsumexp_cuda_kernelERKNSE_10TensorBaseESI_lENKUlvE_clEvENKUlvE1_clEvEUlS7_S7_E_S7_EEDaPvRmT3_T4_T5_mT6_P12ihipStream_tbENKUlT_T0_E_clISt17integral_constantIbLb0EESZ_EEDaSU_SV_EUlSU_E0_NS1_11comp_targetILNS1_3genE3ELNS1_11target_archE908ELNS1_3gpuE7ELNS1_3repE0EEENS1_30default_config_static_selectorELNS0_4arch9wavefront6targetE1EEEvT1_
	.p2align	8
	.type	_ZN7rocprim17ROCPRIM_400000_NS6detail17trampoline_kernelINS0_14default_configENS1_20scan_config_selectorIN3c107complexIdEEEEZZNS1_9scan_implILNS1_25lookback_scan_determinismE0ELb0ELb0ES3_PKS7_PS7_S7_ZZZN2at6native31launch_logcumsumexp_cuda_kernelERKNSE_10TensorBaseESI_lENKUlvE_clEvENKUlvE1_clEvEUlS7_S7_E_S7_EEDaPvRmT3_T4_T5_mT6_P12ihipStream_tbENKUlT_T0_E_clISt17integral_constantIbLb0EESZ_EEDaSU_SV_EUlSU_E0_NS1_11comp_targetILNS1_3genE3ELNS1_11target_archE908ELNS1_3gpuE7ELNS1_3repE0EEENS1_30default_config_static_selectorELNS0_4arch9wavefront6targetE1EEEvT1_,@function
_ZN7rocprim17ROCPRIM_400000_NS6detail17trampoline_kernelINS0_14default_configENS1_20scan_config_selectorIN3c107complexIdEEEEZZNS1_9scan_implILNS1_25lookback_scan_determinismE0ELb0ELb0ES3_PKS7_PS7_S7_ZZZN2at6native31launch_logcumsumexp_cuda_kernelERKNSE_10TensorBaseESI_lENKUlvE_clEvENKUlvE1_clEvEUlS7_S7_E_S7_EEDaPvRmT3_T4_T5_mT6_P12ihipStream_tbENKUlT_T0_E_clISt17integral_constantIbLb0EESZ_EEDaSU_SV_EUlSU_E0_NS1_11comp_targetILNS1_3genE3ELNS1_11target_archE908ELNS1_3gpuE7ELNS1_3repE0EEENS1_30default_config_static_selectorELNS0_4arch9wavefront6targetE1EEEvT1_: ; @_ZN7rocprim17ROCPRIM_400000_NS6detail17trampoline_kernelINS0_14default_configENS1_20scan_config_selectorIN3c107complexIdEEEEZZNS1_9scan_implILNS1_25lookback_scan_determinismE0ELb0ELb0ES3_PKS7_PS7_S7_ZZZN2at6native31launch_logcumsumexp_cuda_kernelERKNSE_10TensorBaseESI_lENKUlvE_clEvENKUlvE1_clEvEUlS7_S7_E_S7_EEDaPvRmT3_T4_T5_mT6_P12ihipStream_tbENKUlT_T0_E_clISt17integral_constantIbLb0EESZ_EEDaSU_SV_EUlSU_E0_NS1_11comp_targetILNS1_3genE3ELNS1_11target_archE908ELNS1_3gpuE7ELNS1_3repE0EEENS1_30default_config_static_selectorELNS0_4arch9wavefront6targetE1EEEvT1_
; %bb.0:
	.section	.rodata,"a",@progbits
	.p2align	6, 0x0
	.amdhsa_kernel _ZN7rocprim17ROCPRIM_400000_NS6detail17trampoline_kernelINS0_14default_configENS1_20scan_config_selectorIN3c107complexIdEEEEZZNS1_9scan_implILNS1_25lookback_scan_determinismE0ELb0ELb0ES3_PKS7_PS7_S7_ZZZN2at6native31launch_logcumsumexp_cuda_kernelERKNSE_10TensorBaseESI_lENKUlvE_clEvENKUlvE1_clEvEUlS7_S7_E_S7_EEDaPvRmT3_T4_T5_mT6_P12ihipStream_tbENKUlT_T0_E_clISt17integral_constantIbLb0EESZ_EEDaSU_SV_EUlSU_E0_NS1_11comp_targetILNS1_3genE3ELNS1_11target_archE908ELNS1_3gpuE7ELNS1_3repE0EEENS1_30default_config_static_selectorELNS0_4arch9wavefront6targetE1EEEvT1_
		.amdhsa_group_segment_fixed_size 0
		.amdhsa_private_segment_fixed_size 0
		.amdhsa_kernarg_size 48
		.amdhsa_user_sgpr_count 2
		.amdhsa_user_sgpr_dispatch_ptr 0
		.amdhsa_user_sgpr_queue_ptr 0
		.amdhsa_user_sgpr_kernarg_segment_ptr 1
		.amdhsa_user_sgpr_dispatch_id 0
		.amdhsa_user_sgpr_kernarg_preload_length 0
		.amdhsa_user_sgpr_kernarg_preload_offset 0
		.amdhsa_user_sgpr_private_segment_size 0
		.amdhsa_uses_dynamic_stack 0
		.amdhsa_enable_private_segment 0
		.amdhsa_system_sgpr_workgroup_id_x 1
		.amdhsa_system_sgpr_workgroup_id_y 0
		.amdhsa_system_sgpr_workgroup_id_z 0
		.amdhsa_system_sgpr_workgroup_info 0
		.amdhsa_system_vgpr_workitem_id 0
		.amdhsa_next_free_vgpr 1
		.amdhsa_next_free_sgpr 0
		.amdhsa_accum_offset 4
		.amdhsa_reserve_vcc 0
		.amdhsa_float_round_mode_32 0
		.amdhsa_float_round_mode_16_64 0
		.amdhsa_float_denorm_mode_32 3
		.amdhsa_float_denorm_mode_16_64 3
		.amdhsa_dx10_clamp 1
		.amdhsa_ieee_mode 1
		.amdhsa_fp16_overflow 0
		.amdhsa_tg_split 0
		.amdhsa_exception_fp_ieee_invalid_op 0
		.amdhsa_exception_fp_denorm_src 0
		.amdhsa_exception_fp_ieee_div_zero 0
		.amdhsa_exception_fp_ieee_overflow 0
		.amdhsa_exception_fp_ieee_underflow 0
		.amdhsa_exception_fp_ieee_inexact 0
		.amdhsa_exception_int_div_zero 0
	.end_amdhsa_kernel
	.section	.text._ZN7rocprim17ROCPRIM_400000_NS6detail17trampoline_kernelINS0_14default_configENS1_20scan_config_selectorIN3c107complexIdEEEEZZNS1_9scan_implILNS1_25lookback_scan_determinismE0ELb0ELb0ES3_PKS7_PS7_S7_ZZZN2at6native31launch_logcumsumexp_cuda_kernelERKNSE_10TensorBaseESI_lENKUlvE_clEvENKUlvE1_clEvEUlS7_S7_E_S7_EEDaPvRmT3_T4_T5_mT6_P12ihipStream_tbENKUlT_T0_E_clISt17integral_constantIbLb0EESZ_EEDaSU_SV_EUlSU_E0_NS1_11comp_targetILNS1_3genE3ELNS1_11target_archE908ELNS1_3gpuE7ELNS1_3repE0EEENS1_30default_config_static_selectorELNS0_4arch9wavefront6targetE1EEEvT1_,"axG",@progbits,_ZN7rocprim17ROCPRIM_400000_NS6detail17trampoline_kernelINS0_14default_configENS1_20scan_config_selectorIN3c107complexIdEEEEZZNS1_9scan_implILNS1_25lookback_scan_determinismE0ELb0ELb0ES3_PKS7_PS7_S7_ZZZN2at6native31launch_logcumsumexp_cuda_kernelERKNSE_10TensorBaseESI_lENKUlvE_clEvENKUlvE1_clEvEUlS7_S7_E_S7_EEDaPvRmT3_T4_T5_mT6_P12ihipStream_tbENKUlT_T0_E_clISt17integral_constantIbLb0EESZ_EEDaSU_SV_EUlSU_E0_NS1_11comp_targetILNS1_3genE3ELNS1_11target_archE908ELNS1_3gpuE7ELNS1_3repE0EEENS1_30default_config_static_selectorELNS0_4arch9wavefront6targetE1EEEvT1_,comdat
.Lfunc_end204:
	.size	_ZN7rocprim17ROCPRIM_400000_NS6detail17trampoline_kernelINS0_14default_configENS1_20scan_config_selectorIN3c107complexIdEEEEZZNS1_9scan_implILNS1_25lookback_scan_determinismE0ELb0ELb0ES3_PKS7_PS7_S7_ZZZN2at6native31launch_logcumsumexp_cuda_kernelERKNSE_10TensorBaseESI_lENKUlvE_clEvENKUlvE1_clEvEUlS7_S7_E_S7_EEDaPvRmT3_T4_T5_mT6_P12ihipStream_tbENKUlT_T0_E_clISt17integral_constantIbLb0EESZ_EEDaSU_SV_EUlSU_E0_NS1_11comp_targetILNS1_3genE3ELNS1_11target_archE908ELNS1_3gpuE7ELNS1_3repE0EEENS1_30default_config_static_selectorELNS0_4arch9wavefront6targetE1EEEvT1_, .Lfunc_end204-_ZN7rocprim17ROCPRIM_400000_NS6detail17trampoline_kernelINS0_14default_configENS1_20scan_config_selectorIN3c107complexIdEEEEZZNS1_9scan_implILNS1_25lookback_scan_determinismE0ELb0ELb0ES3_PKS7_PS7_S7_ZZZN2at6native31launch_logcumsumexp_cuda_kernelERKNSE_10TensorBaseESI_lENKUlvE_clEvENKUlvE1_clEvEUlS7_S7_E_S7_EEDaPvRmT3_T4_T5_mT6_P12ihipStream_tbENKUlT_T0_E_clISt17integral_constantIbLb0EESZ_EEDaSU_SV_EUlSU_E0_NS1_11comp_targetILNS1_3genE3ELNS1_11target_archE908ELNS1_3gpuE7ELNS1_3repE0EEENS1_30default_config_static_selectorELNS0_4arch9wavefront6targetE1EEEvT1_
                                        ; -- End function
	.section	.AMDGPU.csdata,"",@progbits
; Kernel info:
; codeLenInByte = 0
; NumSgprs: 6
; NumVgprs: 0
; NumAgprs: 0
; TotalNumVgprs: 0
; ScratchSize: 0
; MemoryBound: 0
; FloatMode: 240
; IeeeMode: 1
; LDSByteSize: 0 bytes/workgroup (compile time only)
; SGPRBlocks: 0
; VGPRBlocks: 0
; NumSGPRsForWavesPerEU: 6
; NumVGPRsForWavesPerEU: 1
; AccumOffset: 4
; Occupancy: 8
; WaveLimiterHint : 0
; COMPUTE_PGM_RSRC2:SCRATCH_EN: 0
; COMPUTE_PGM_RSRC2:USER_SGPR: 2
; COMPUTE_PGM_RSRC2:TRAP_HANDLER: 0
; COMPUTE_PGM_RSRC2:TGID_X_EN: 1
; COMPUTE_PGM_RSRC2:TGID_Y_EN: 0
; COMPUTE_PGM_RSRC2:TGID_Z_EN: 0
; COMPUTE_PGM_RSRC2:TIDIG_COMP_CNT: 0
; COMPUTE_PGM_RSRC3_GFX90A:ACCUM_OFFSET: 0
; COMPUTE_PGM_RSRC3_GFX90A:TG_SPLIT: 0
	.section	.text._ZN7rocprim17ROCPRIM_400000_NS6detail17trampoline_kernelINS0_14default_configENS1_20scan_config_selectorIN3c107complexIdEEEEZZNS1_9scan_implILNS1_25lookback_scan_determinismE0ELb0ELb0ES3_PKS7_PS7_S7_ZZZN2at6native31launch_logcumsumexp_cuda_kernelERKNSE_10TensorBaseESI_lENKUlvE_clEvENKUlvE1_clEvEUlS7_S7_E_S7_EEDaPvRmT3_T4_T5_mT6_P12ihipStream_tbENKUlT_T0_E_clISt17integral_constantIbLb0EESZ_EEDaSU_SV_EUlSU_E0_NS1_11comp_targetILNS1_3genE2ELNS1_11target_archE906ELNS1_3gpuE6ELNS1_3repE0EEENS1_30default_config_static_selectorELNS0_4arch9wavefront6targetE1EEEvT1_,"axG",@progbits,_ZN7rocprim17ROCPRIM_400000_NS6detail17trampoline_kernelINS0_14default_configENS1_20scan_config_selectorIN3c107complexIdEEEEZZNS1_9scan_implILNS1_25lookback_scan_determinismE0ELb0ELb0ES3_PKS7_PS7_S7_ZZZN2at6native31launch_logcumsumexp_cuda_kernelERKNSE_10TensorBaseESI_lENKUlvE_clEvENKUlvE1_clEvEUlS7_S7_E_S7_EEDaPvRmT3_T4_T5_mT6_P12ihipStream_tbENKUlT_T0_E_clISt17integral_constantIbLb0EESZ_EEDaSU_SV_EUlSU_E0_NS1_11comp_targetILNS1_3genE2ELNS1_11target_archE906ELNS1_3gpuE6ELNS1_3repE0EEENS1_30default_config_static_selectorELNS0_4arch9wavefront6targetE1EEEvT1_,comdat
	.globl	_ZN7rocprim17ROCPRIM_400000_NS6detail17trampoline_kernelINS0_14default_configENS1_20scan_config_selectorIN3c107complexIdEEEEZZNS1_9scan_implILNS1_25lookback_scan_determinismE0ELb0ELb0ES3_PKS7_PS7_S7_ZZZN2at6native31launch_logcumsumexp_cuda_kernelERKNSE_10TensorBaseESI_lENKUlvE_clEvENKUlvE1_clEvEUlS7_S7_E_S7_EEDaPvRmT3_T4_T5_mT6_P12ihipStream_tbENKUlT_T0_E_clISt17integral_constantIbLb0EESZ_EEDaSU_SV_EUlSU_E0_NS1_11comp_targetILNS1_3genE2ELNS1_11target_archE906ELNS1_3gpuE6ELNS1_3repE0EEENS1_30default_config_static_selectorELNS0_4arch9wavefront6targetE1EEEvT1_ ; -- Begin function _ZN7rocprim17ROCPRIM_400000_NS6detail17trampoline_kernelINS0_14default_configENS1_20scan_config_selectorIN3c107complexIdEEEEZZNS1_9scan_implILNS1_25lookback_scan_determinismE0ELb0ELb0ES3_PKS7_PS7_S7_ZZZN2at6native31launch_logcumsumexp_cuda_kernelERKNSE_10TensorBaseESI_lENKUlvE_clEvENKUlvE1_clEvEUlS7_S7_E_S7_EEDaPvRmT3_T4_T5_mT6_P12ihipStream_tbENKUlT_T0_E_clISt17integral_constantIbLb0EESZ_EEDaSU_SV_EUlSU_E0_NS1_11comp_targetILNS1_3genE2ELNS1_11target_archE906ELNS1_3gpuE6ELNS1_3repE0EEENS1_30default_config_static_selectorELNS0_4arch9wavefront6targetE1EEEvT1_
	.p2align	8
	.type	_ZN7rocprim17ROCPRIM_400000_NS6detail17trampoline_kernelINS0_14default_configENS1_20scan_config_selectorIN3c107complexIdEEEEZZNS1_9scan_implILNS1_25lookback_scan_determinismE0ELb0ELb0ES3_PKS7_PS7_S7_ZZZN2at6native31launch_logcumsumexp_cuda_kernelERKNSE_10TensorBaseESI_lENKUlvE_clEvENKUlvE1_clEvEUlS7_S7_E_S7_EEDaPvRmT3_T4_T5_mT6_P12ihipStream_tbENKUlT_T0_E_clISt17integral_constantIbLb0EESZ_EEDaSU_SV_EUlSU_E0_NS1_11comp_targetILNS1_3genE2ELNS1_11target_archE906ELNS1_3gpuE6ELNS1_3repE0EEENS1_30default_config_static_selectorELNS0_4arch9wavefront6targetE1EEEvT1_,@function
_ZN7rocprim17ROCPRIM_400000_NS6detail17trampoline_kernelINS0_14default_configENS1_20scan_config_selectorIN3c107complexIdEEEEZZNS1_9scan_implILNS1_25lookback_scan_determinismE0ELb0ELb0ES3_PKS7_PS7_S7_ZZZN2at6native31launch_logcumsumexp_cuda_kernelERKNSE_10TensorBaseESI_lENKUlvE_clEvENKUlvE1_clEvEUlS7_S7_E_S7_EEDaPvRmT3_T4_T5_mT6_P12ihipStream_tbENKUlT_T0_E_clISt17integral_constantIbLb0EESZ_EEDaSU_SV_EUlSU_E0_NS1_11comp_targetILNS1_3genE2ELNS1_11target_archE906ELNS1_3gpuE6ELNS1_3repE0EEENS1_30default_config_static_selectorELNS0_4arch9wavefront6targetE1EEEvT1_: ; @_ZN7rocprim17ROCPRIM_400000_NS6detail17trampoline_kernelINS0_14default_configENS1_20scan_config_selectorIN3c107complexIdEEEEZZNS1_9scan_implILNS1_25lookback_scan_determinismE0ELb0ELb0ES3_PKS7_PS7_S7_ZZZN2at6native31launch_logcumsumexp_cuda_kernelERKNSE_10TensorBaseESI_lENKUlvE_clEvENKUlvE1_clEvEUlS7_S7_E_S7_EEDaPvRmT3_T4_T5_mT6_P12ihipStream_tbENKUlT_T0_E_clISt17integral_constantIbLb0EESZ_EEDaSU_SV_EUlSU_E0_NS1_11comp_targetILNS1_3genE2ELNS1_11target_archE906ELNS1_3gpuE6ELNS1_3repE0EEENS1_30default_config_static_selectorELNS0_4arch9wavefront6targetE1EEEvT1_
; %bb.0:
	.section	.rodata,"a",@progbits
	.p2align	6, 0x0
	.amdhsa_kernel _ZN7rocprim17ROCPRIM_400000_NS6detail17trampoline_kernelINS0_14default_configENS1_20scan_config_selectorIN3c107complexIdEEEEZZNS1_9scan_implILNS1_25lookback_scan_determinismE0ELb0ELb0ES3_PKS7_PS7_S7_ZZZN2at6native31launch_logcumsumexp_cuda_kernelERKNSE_10TensorBaseESI_lENKUlvE_clEvENKUlvE1_clEvEUlS7_S7_E_S7_EEDaPvRmT3_T4_T5_mT6_P12ihipStream_tbENKUlT_T0_E_clISt17integral_constantIbLb0EESZ_EEDaSU_SV_EUlSU_E0_NS1_11comp_targetILNS1_3genE2ELNS1_11target_archE906ELNS1_3gpuE6ELNS1_3repE0EEENS1_30default_config_static_selectorELNS0_4arch9wavefront6targetE1EEEvT1_
		.amdhsa_group_segment_fixed_size 0
		.amdhsa_private_segment_fixed_size 0
		.amdhsa_kernarg_size 48
		.amdhsa_user_sgpr_count 2
		.amdhsa_user_sgpr_dispatch_ptr 0
		.amdhsa_user_sgpr_queue_ptr 0
		.amdhsa_user_sgpr_kernarg_segment_ptr 1
		.amdhsa_user_sgpr_dispatch_id 0
		.amdhsa_user_sgpr_kernarg_preload_length 0
		.amdhsa_user_sgpr_kernarg_preload_offset 0
		.amdhsa_user_sgpr_private_segment_size 0
		.amdhsa_uses_dynamic_stack 0
		.amdhsa_enable_private_segment 0
		.amdhsa_system_sgpr_workgroup_id_x 1
		.amdhsa_system_sgpr_workgroup_id_y 0
		.amdhsa_system_sgpr_workgroup_id_z 0
		.amdhsa_system_sgpr_workgroup_info 0
		.amdhsa_system_vgpr_workitem_id 0
		.amdhsa_next_free_vgpr 1
		.amdhsa_next_free_sgpr 0
		.amdhsa_accum_offset 4
		.amdhsa_reserve_vcc 0
		.amdhsa_float_round_mode_32 0
		.amdhsa_float_round_mode_16_64 0
		.amdhsa_float_denorm_mode_32 3
		.amdhsa_float_denorm_mode_16_64 3
		.amdhsa_dx10_clamp 1
		.amdhsa_ieee_mode 1
		.amdhsa_fp16_overflow 0
		.amdhsa_tg_split 0
		.amdhsa_exception_fp_ieee_invalid_op 0
		.amdhsa_exception_fp_denorm_src 0
		.amdhsa_exception_fp_ieee_div_zero 0
		.amdhsa_exception_fp_ieee_overflow 0
		.amdhsa_exception_fp_ieee_underflow 0
		.amdhsa_exception_fp_ieee_inexact 0
		.amdhsa_exception_int_div_zero 0
	.end_amdhsa_kernel
	.section	.text._ZN7rocprim17ROCPRIM_400000_NS6detail17trampoline_kernelINS0_14default_configENS1_20scan_config_selectorIN3c107complexIdEEEEZZNS1_9scan_implILNS1_25lookback_scan_determinismE0ELb0ELb0ES3_PKS7_PS7_S7_ZZZN2at6native31launch_logcumsumexp_cuda_kernelERKNSE_10TensorBaseESI_lENKUlvE_clEvENKUlvE1_clEvEUlS7_S7_E_S7_EEDaPvRmT3_T4_T5_mT6_P12ihipStream_tbENKUlT_T0_E_clISt17integral_constantIbLb0EESZ_EEDaSU_SV_EUlSU_E0_NS1_11comp_targetILNS1_3genE2ELNS1_11target_archE906ELNS1_3gpuE6ELNS1_3repE0EEENS1_30default_config_static_selectorELNS0_4arch9wavefront6targetE1EEEvT1_,"axG",@progbits,_ZN7rocprim17ROCPRIM_400000_NS6detail17trampoline_kernelINS0_14default_configENS1_20scan_config_selectorIN3c107complexIdEEEEZZNS1_9scan_implILNS1_25lookback_scan_determinismE0ELb0ELb0ES3_PKS7_PS7_S7_ZZZN2at6native31launch_logcumsumexp_cuda_kernelERKNSE_10TensorBaseESI_lENKUlvE_clEvENKUlvE1_clEvEUlS7_S7_E_S7_EEDaPvRmT3_T4_T5_mT6_P12ihipStream_tbENKUlT_T0_E_clISt17integral_constantIbLb0EESZ_EEDaSU_SV_EUlSU_E0_NS1_11comp_targetILNS1_3genE2ELNS1_11target_archE906ELNS1_3gpuE6ELNS1_3repE0EEENS1_30default_config_static_selectorELNS0_4arch9wavefront6targetE1EEEvT1_,comdat
.Lfunc_end205:
	.size	_ZN7rocprim17ROCPRIM_400000_NS6detail17trampoline_kernelINS0_14default_configENS1_20scan_config_selectorIN3c107complexIdEEEEZZNS1_9scan_implILNS1_25lookback_scan_determinismE0ELb0ELb0ES3_PKS7_PS7_S7_ZZZN2at6native31launch_logcumsumexp_cuda_kernelERKNSE_10TensorBaseESI_lENKUlvE_clEvENKUlvE1_clEvEUlS7_S7_E_S7_EEDaPvRmT3_T4_T5_mT6_P12ihipStream_tbENKUlT_T0_E_clISt17integral_constantIbLb0EESZ_EEDaSU_SV_EUlSU_E0_NS1_11comp_targetILNS1_3genE2ELNS1_11target_archE906ELNS1_3gpuE6ELNS1_3repE0EEENS1_30default_config_static_selectorELNS0_4arch9wavefront6targetE1EEEvT1_, .Lfunc_end205-_ZN7rocprim17ROCPRIM_400000_NS6detail17trampoline_kernelINS0_14default_configENS1_20scan_config_selectorIN3c107complexIdEEEEZZNS1_9scan_implILNS1_25lookback_scan_determinismE0ELb0ELb0ES3_PKS7_PS7_S7_ZZZN2at6native31launch_logcumsumexp_cuda_kernelERKNSE_10TensorBaseESI_lENKUlvE_clEvENKUlvE1_clEvEUlS7_S7_E_S7_EEDaPvRmT3_T4_T5_mT6_P12ihipStream_tbENKUlT_T0_E_clISt17integral_constantIbLb0EESZ_EEDaSU_SV_EUlSU_E0_NS1_11comp_targetILNS1_3genE2ELNS1_11target_archE906ELNS1_3gpuE6ELNS1_3repE0EEENS1_30default_config_static_selectorELNS0_4arch9wavefront6targetE1EEEvT1_
                                        ; -- End function
	.section	.AMDGPU.csdata,"",@progbits
; Kernel info:
; codeLenInByte = 0
; NumSgprs: 6
; NumVgprs: 0
; NumAgprs: 0
; TotalNumVgprs: 0
; ScratchSize: 0
; MemoryBound: 0
; FloatMode: 240
; IeeeMode: 1
; LDSByteSize: 0 bytes/workgroup (compile time only)
; SGPRBlocks: 0
; VGPRBlocks: 0
; NumSGPRsForWavesPerEU: 6
; NumVGPRsForWavesPerEU: 1
; AccumOffset: 4
; Occupancy: 8
; WaveLimiterHint : 0
; COMPUTE_PGM_RSRC2:SCRATCH_EN: 0
; COMPUTE_PGM_RSRC2:USER_SGPR: 2
; COMPUTE_PGM_RSRC2:TRAP_HANDLER: 0
; COMPUTE_PGM_RSRC2:TGID_X_EN: 1
; COMPUTE_PGM_RSRC2:TGID_Y_EN: 0
; COMPUTE_PGM_RSRC2:TGID_Z_EN: 0
; COMPUTE_PGM_RSRC2:TIDIG_COMP_CNT: 0
; COMPUTE_PGM_RSRC3_GFX90A:ACCUM_OFFSET: 0
; COMPUTE_PGM_RSRC3_GFX90A:TG_SPLIT: 0
	.section	.text._ZN7rocprim17ROCPRIM_400000_NS6detail17trampoline_kernelINS0_14default_configENS1_20scan_config_selectorIN3c107complexIdEEEEZZNS1_9scan_implILNS1_25lookback_scan_determinismE0ELb0ELb0ES3_PKS7_PS7_S7_ZZZN2at6native31launch_logcumsumexp_cuda_kernelERKNSE_10TensorBaseESI_lENKUlvE_clEvENKUlvE1_clEvEUlS7_S7_E_S7_EEDaPvRmT3_T4_T5_mT6_P12ihipStream_tbENKUlT_T0_E_clISt17integral_constantIbLb0EESZ_EEDaSU_SV_EUlSU_E0_NS1_11comp_targetILNS1_3genE10ELNS1_11target_archE1201ELNS1_3gpuE5ELNS1_3repE0EEENS1_30default_config_static_selectorELNS0_4arch9wavefront6targetE1EEEvT1_,"axG",@progbits,_ZN7rocprim17ROCPRIM_400000_NS6detail17trampoline_kernelINS0_14default_configENS1_20scan_config_selectorIN3c107complexIdEEEEZZNS1_9scan_implILNS1_25lookback_scan_determinismE0ELb0ELb0ES3_PKS7_PS7_S7_ZZZN2at6native31launch_logcumsumexp_cuda_kernelERKNSE_10TensorBaseESI_lENKUlvE_clEvENKUlvE1_clEvEUlS7_S7_E_S7_EEDaPvRmT3_T4_T5_mT6_P12ihipStream_tbENKUlT_T0_E_clISt17integral_constantIbLb0EESZ_EEDaSU_SV_EUlSU_E0_NS1_11comp_targetILNS1_3genE10ELNS1_11target_archE1201ELNS1_3gpuE5ELNS1_3repE0EEENS1_30default_config_static_selectorELNS0_4arch9wavefront6targetE1EEEvT1_,comdat
	.globl	_ZN7rocprim17ROCPRIM_400000_NS6detail17trampoline_kernelINS0_14default_configENS1_20scan_config_selectorIN3c107complexIdEEEEZZNS1_9scan_implILNS1_25lookback_scan_determinismE0ELb0ELb0ES3_PKS7_PS7_S7_ZZZN2at6native31launch_logcumsumexp_cuda_kernelERKNSE_10TensorBaseESI_lENKUlvE_clEvENKUlvE1_clEvEUlS7_S7_E_S7_EEDaPvRmT3_T4_T5_mT6_P12ihipStream_tbENKUlT_T0_E_clISt17integral_constantIbLb0EESZ_EEDaSU_SV_EUlSU_E0_NS1_11comp_targetILNS1_3genE10ELNS1_11target_archE1201ELNS1_3gpuE5ELNS1_3repE0EEENS1_30default_config_static_selectorELNS0_4arch9wavefront6targetE1EEEvT1_ ; -- Begin function _ZN7rocprim17ROCPRIM_400000_NS6detail17trampoline_kernelINS0_14default_configENS1_20scan_config_selectorIN3c107complexIdEEEEZZNS1_9scan_implILNS1_25lookback_scan_determinismE0ELb0ELb0ES3_PKS7_PS7_S7_ZZZN2at6native31launch_logcumsumexp_cuda_kernelERKNSE_10TensorBaseESI_lENKUlvE_clEvENKUlvE1_clEvEUlS7_S7_E_S7_EEDaPvRmT3_T4_T5_mT6_P12ihipStream_tbENKUlT_T0_E_clISt17integral_constantIbLb0EESZ_EEDaSU_SV_EUlSU_E0_NS1_11comp_targetILNS1_3genE10ELNS1_11target_archE1201ELNS1_3gpuE5ELNS1_3repE0EEENS1_30default_config_static_selectorELNS0_4arch9wavefront6targetE1EEEvT1_
	.p2align	8
	.type	_ZN7rocprim17ROCPRIM_400000_NS6detail17trampoline_kernelINS0_14default_configENS1_20scan_config_selectorIN3c107complexIdEEEEZZNS1_9scan_implILNS1_25lookback_scan_determinismE0ELb0ELb0ES3_PKS7_PS7_S7_ZZZN2at6native31launch_logcumsumexp_cuda_kernelERKNSE_10TensorBaseESI_lENKUlvE_clEvENKUlvE1_clEvEUlS7_S7_E_S7_EEDaPvRmT3_T4_T5_mT6_P12ihipStream_tbENKUlT_T0_E_clISt17integral_constantIbLb0EESZ_EEDaSU_SV_EUlSU_E0_NS1_11comp_targetILNS1_3genE10ELNS1_11target_archE1201ELNS1_3gpuE5ELNS1_3repE0EEENS1_30default_config_static_selectorELNS0_4arch9wavefront6targetE1EEEvT1_,@function
_ZN7rocprim17ROCPRIM_400000_NS6detail17trampoline_kernelINS0_14default_configENS1_20scan_config_selectorIN3c107complexIdEEEEZZNS1_9scan_implILNS1_25lookback_scan_determinismE0ELb0ELb0ES3_PKS7_PS7_S7_ZZZN2at6native31launch_logcumsumexp_cuda_kernelERKNSE_10TensorBaseESI_lENKUlvE_clEvENKUlvE1_clEvEUlS7_S7_E_S7_EEDaPvRmT3_T4_T5_mT6_P12ihipStream_tbENKUlT_T0_E_clISt17integral_constantIbLb0EESZ_EEDaSU_SV_EUlSU_E0_NS1_11comp_targetILNS1_3genE10ELNS1_11target_archE1201ELNS1_3gpuE5ELNS1_3repE0EEENS1_30default_config_static_selectorELNS0_4arch9wavefront6targetE1EEEvT1_: ; @_ZN7rocprim17ROCPRIM_400000_NS6detail17trampoline_kernelINS0_14default_configENS1_20scan_config_selectorIN3c107complexIdEEEEZZNS1_9scan_implILNS1_25lookback_scan_determinismE0ELb0ELb0ES3_PKS7_PS7_S7_ZZZN2at6native31launch_logcumsumexp_cuda_kernelERKNSE_10TensorBaseESI_lENKUlvE_clEvENKUlvE1_clEvEUlS7_S7_E_S7_EEDaPvRmT3_T4_T5_mT6_P12ihipStream_tbENKUlT_T0_E_clISt17integral_constantIbLb0EESZ_EEDaSU_SV_EUlSU_E0_NS1_11comp_targetILNS1_3genE10ELNS1_11target_archE1201ELNS1_3gpuE5ELNS1_3repE0EEENS1_30default_config_static_selectorELNS0_4arch9wavefront6targetE1EEEvT1_
; %bb.0:
	.section	.rodata,"a",@progbits
	.p2align	6, 0x0
	.amdhsa_kernel _ZN7rocprim17ROCPRIM_400000_NS6detail17trampoline_kernelINS0_14default_configENS1_20scan_config_selectorIN3c107complexIdEEEEZZNS1_9scan_implILNS1_25lookback_scan_determinismE0ELb0ELb0ES3_PKS7_PS7_S7_ZZZN2at6native31launch_logcumsumexp_cuda_kernelERKNSE_10TensorBaseESI_lENKUlvE_clEvENKUlvE1_clEvEUlS7_S7_E_S7_EEDaPvRmT3_T4_T5_mT6_P12ihipStream_tbENKUlT_T0_E_clISt17integral_constantIbLb0EESZ_EEDaSU_SV_EUlSU_E0_NS1_11comp_targetILNS1_3genE10ELNS1_11target_archE1201ELNS1_3gpuE5ELNS1_3repE0EEENS1_30default_config_static_selectorELNS0_4arch9wavefront6targetE1EEEvT1_
		.amdhsa_group_segment_fixed_size 0
		.amdhsa_private_segment_fixed_size 0
		.amdhsa_kernarg_size 48
		.amdhsa_user_sgpr_count 2
		.amdhsa_user_sgpr_dispatch_ptr 0
		.amdhsa_user_sgpr_queue_ptr 0
		.amdhsa_user_sgpr_kernarg_segment_ptr 1
		.amdhsa_user_sgpr_dispatch_id 0
		.amdhsa_user_sgpr_kernarg_preload_length 0
		.amdhsa_user_sgpr_kernarg_preload_offset 0
		.amdhsa_user_sgpr_private_segment_size 0
		.amdhsa_uses_dynamic_stack 0
		.amdhsa_enable_private_segment 0
		.amdhsa_system_sgpr_workgroup_id_x 1
		.amdhsa_system_sgpr_workgroup_id_y 0
		.amdhsa_system_sgpr_workgroup_id_z 0
		.amdhsa_system_sgpr_workgroup_info 0
		.amdhsa_system_vgpr_workitem_id 0
		.amdhsa_next_free_vgpr 1
		.amdhsa_next_free_sgpr 0
		.amdhsa_accum_offset 4
		.amdhsa_reserve_vcc 0
		.amdhsa_float_round_mode_32 0
		.amdhsa_float_round_mode_16_64 0
		.amdhsa_float_denorm_mode_32 3
		.amdhsa_float_denorm_mode_16_64 3
		.amdhsa_dx10_clamp 1
		.amdhsa_ieee_mode 1
		.amdhsa_fp16_overflow 0
		.amdhsa_tg_split 0
		.amdhsa_exception_fp_ieee_invalid_op 0
		.amdhsa_exception_fp_denorm_src 0
		.amdhsa_exception_fp_ieee_div_zero 0
		.amdhsa_exception_fp_ieee_overflow 0
		.amdhsa_exception_fp_ieee_underflow 0
		.amdhsa_exception_fp_ieee_inexact 0
		.amdhsa_exception_int_div_zero 0
	.end_amdhsa_kernel
	.section	.text._ZN7rocprim17ROCPRIM_400000_NS6detail17trampoline_kernelINS0_14default_configENS1_20scan_config_selectorIN3c107complexIdEEEEZZNS1_9scan_implILNS1_25lookback_scan_determinismE0ELb0ELb0ES3_PKS7_PS7_S7_ZZZN2at6native31launch_logcumsumexp_cuda_kernelERKNSE_10TensorBaseESI_lENKUlvE_clEvENKUlvE1_clEvEUlS7_S7_E_S7_EEDaPvRmT3_T4_T5_mT6_P12ihipStream_tbENKUlT_T0_E_clISt17integral_constantIbLb0EESZ_EEDaSU_SV_EUlSU_E0_NS1_11comp_targetILNS1_3genE10ELNS1_11target_archE1201ELNS1_3gpuE5ELNS1_3repE0EEENS1_30default_config_static_selectorELNS0_4arch9wavefront6targetE1EEEvT1_,"axG",@progbits,_ZN7rocprim17ROCPRIM_400000_NS6detail17trampoline_kernelINS0_14default_configENS1_20scan_config_selectorIN3c107complexIdEEEEZZNS1_9scan_implILNS1_25lookback_scan_determinismE0ELb0ELb0ES3_PKS7_PS7_S7_ZZZN2at6native31launch_logcumsumexp_cuda_kernelERKNSE_10TensorBaseESI_lENKUlvE_clEvENKUlvE1_clEvEUlS7_S7_E_S7_EEDaPvRmT3_T4_T5_mT6_P12ihipStream_tbENKUlT_T0_E_clISt17integral_constantIbLb0EESZ_EEDaSU_SV_EUlSU_E0_NS1_11comp_targetILNS1_3genE10ELNS1_11target_archE1201ELNS1_3gpuE5ELNS1_3repE0EEENS1_30default_config_static_selectorELNS0_4arch9wavefront6targetE1EEEvT1_,comdat
.Lfunc_end206:
	.size	_ZN7rocprim17ROCPRIM_400000_NS6detail17trampoline_kernelINS0_14default_configENS1_20scan_config_selectorIN3c107complexIdEEEEZZNS1_9scan_implILNS1_25lookback_scan_determinismE0ELb0ELb0ES3_PKS7_PS7_S7_ZZZN2at6native31launch_logcumsumexp_cuda_kernelERKNSE_10TensorBaseESI_lENKUlvE_clEvENKUlvE1_clEvEUlS7_S7_E_S7_EEDaPvRmT3_T4_T5_mT6_P12ihipStream_tbENKUlT_T0_E_clISt17integral_constantIbLb0EESZ_EEDaSU_SV_EUlSU_E0_NS1_11comp_targetILNS1_3genE10ELNS1_11target_archE1201ELNS1_3gpuE5ELNS1_3repE0EEENS1_30default_config_static_selectorELNS0_4arch9wavefront6targetE1EEEvT1_, .Lfunc_end206-_ZN7rocprim17ROCPRIM_400000_NS6detail17trampoline_kernelINS0_14default_configENS1_20scan_config_selectorIN3c107complexIdEEEEZZNS1_9scan_implILNS1_25lookback_scan_determinismE0ELb0ELb0ES3_PKS7_PS7_S7_ZZZN2at6native31launch_logcumsumexp_cuda_kernelERKNSE_10TensorBaseESI_lENKUlvE_clEvENKUlvE1_clEvEUlS7_S7_E_S7_EEDaPvRmT3_T4_T5_mT6_P12ihipStream_tbENKUlT_T0_E_clISt17integral_constantIbLb0EESZ_EEDaSU_SV_EUlSU_E0_NS1_11comp_targetILNS1_3genE10ELNS1_11target_archE1201ELNS1_3gpuE5ELNS1_3repE0EEENS1_30default_config_static_selectorELNS0_4arch9wavefront6targetE1EEEvT1_
                                        ; -- End function
	.section	.AMDGPU.csdata,"",@progbits
; Kernel info:
; codeLenInByte = 0
; NumSgprs: 6
; NumVgprs: 0
; NumAgprs: 0
; TotalNumVgprs: 0
; ScratchSize: 0
; MemoryBound: 0
; FloatMode: 240
; IeeeMode: 1
; LDSByteSize: 0 bytes/workgroup (compile time only)
; SGPRBlocks: 0
; VGPRBlocks: 0
; NumSGPRsForWavesPerEU: 6
; NumVGPRsForWavesPerEU: 1
; AccumOffset: 4
; Occupancy: 8
; WaveLimiterHint : 0
; COMPUTE_PGM_RSRC2:SCRATCH_EN: 0
; COMPUTE_PGM_RSRC2:USER_SGPR: 2
; COMPUTE_PGM_RSRC2:TRAP_HANDLER: 0
; COMPUTE_PGM_RSRC2:TGID_X_EN: 1
; COMPUTE_PGM_RSRC2:TGID_Y_EN: 0
; COMPUTE_PGM_RSRC2:TGID_Z_EN: 0
; COMPUTE_PGM_RSRC2:TIDIG_COMP_CNT: 0
; COMPUTE_PGM_RSRC3_GFX90A:ACCUM_OFFSET: 0
; COMPUTE_PGM_RSRC3_GFX90A:TG_SPLIT: 0
	.section	.text._ZN7rocprim17ROCPRIM_400000_NS6detail17trampoline_kernelINS0_14default_configENS1_20scan_config_selectorIN3c107complexIdEEEEZZNS1_9scan_implILNS1_25lookback_scan_determinismE0ELb0ELb0ES3_PKS7_PS7_S7_ZZZN2at6native31launch_logcumsumexp_cuda_kernelERKNSE_10TensorBaseESI_lENKUlvE_clEvENKUlvE1_clEvEUlS7_S7_E_S7_EEDaPvRmT3_T4_T5_mT6_P12ihipStream_tbENKUlT_T0_E_clISt17integral_constantIbLb0EESZ_EEDaSU_SV_EUlSU_E0_NS1_11comp_targetILNS1_3genE10ELNS1_11target_archE1200ELNS1_3gpuE4ELNS1_3repE0EEENS1_30default_config_static_selectorELNS0_4arch9wavefront6targetE1EEEvT1_,"axG",@progbits,_ZN7rocprim17ROCPRIM_400000_NS6detail17trampoline_kernelINS0_14default_configENS1_20scan_config_selectorIN3c107complexIdEEEEZZNS1_9scan_implILNS1_25lookback_scan_determinismE0ELb0ELb0ES3_PKS7_PS7_S7_ZZZN2at6native31launch_logcumsumexp_cuda_kernelERKNSE_10TensorBaseESI_lENKUlvE_clEvENKUlvE1_clEvEUlS7_S7_E_S7_EEDaPvRmT3_T4_T5_mT6_P12ihipStream_tbENKUlT_T0_E_clISt17integral_constantIbLb0EESZ_EEDaSU_SV_EUlSU_E0_NS1_11comp_targetILNS1_3genE10ELNS1_11target_archE1200ELNS1_3gpuE4ELNS1_3repE0EEENS1_30default_config_static_selectorELNS0_4arch9wavefront6targetE1EEEvT1_,comdat
	.globl	_ZN7rocprim17ROCPRIM_400000_NS6detail17trampoline_kernelINS0_14default_configENS1_20scan_config_selectorIN3c107complexIdEEEEZZNS1_9scan_implILNS1_25lookback_scan_determinismE0ELb0ELb0ES3_PKS7_PS7_S7_ZZZN2at6native31launch_logcumsumexp_cuda_kernelERKNSE_10TensorBaseESI_lENKUlvE_clEvENKUlvE1_clEvEUlS7_S7_E_S7_EEDaPvRmT3_T4_T5_mT6_P12ihipStream_tbENKUlT_T0_E_clISt17integral_constantIbLb0EESZ_EEDaSU_SV_EUlSU_E0_NS1_11comp_targetILNS1_3genE10ELNS1_11target_archE1200ELNS1_3gpuE4ELNS1_3repE0EEENS1_30default_config_static_selectorELNS0_4arch9wavefront6targetE1EEEvT1_ ; -- Begin function _ZN7rocprim17ROCPRIM_400000_NS6detail17trampoline_kernelINS0_14default_configENS1_20scan_config_selectorIN3c107complexIdEEEEZZNS1_9scan_implILNS1_25lookback_scan_determinismE0ELb0ELb0ES3_PKS7_PS7_S7_ZZZN2at6native31launch_logcumsumexp_cuda_kernelERKNSE_10TensorBaseESI_lENKUlvE_clEvENKUlvE1_clEvEUlS7_S7_E_S7_EEDaPvRmT3_T4_T5_mT6_P12ihipStream_tbENKUlT_T0_E_clISt17integral_constantIbLb0EESZ_EEDaSU_SV_EUlSU_E0_NS1_11comp_targetILNS1_3genE10ELNS1_11target_archE1200ELNS1_3gpuE4ELNS1_3repE0EEENS1_30default_config_static_selectorELNS0_4arch9wavefront6targetE1EEEvT1_
	.p2align	8
	.type	_ZN7rocprim17ROCPRIM_400000_NS6detail17trampoline_kernelINS0_14default_configENS1_20scan_config_selectorIN3c107complexIdEEEEZZNS1_9scan_implILNS1_25lookback_scan_determinismE0ELb0ELb0ES3_PKS7_PS7_S7_ZZZN2at6native31launch_logcumsumexp_cuda_kernelERKNSE_10TensorBaseESI_lENKUlvE_clEvENKUlvE1_clEvEUlS7_S7_E_S7_EEDaPvRmT3_T4_T5_mT6_P12ihipStream_tbENKUlT_T0_E_clISt17integral_constantIbLb0EESZ_EEDaSU_SV_EUlSU_E0_NS1_11comp_targetILNS1_3genE10ELNS1_11target_archE1200ELNS1_3gpuE4ELNS1_3repE0EEENS1_30default_config_static_selectorELNS0_4arch9wavefront6targetE1EEEvT1_,@function
_ZN7rocprim17ROCPRIM_400000_NS6detail17trampoline_kernelINS0_14default_configENS1_20scan_config_selectorIN3c107complexIdEEEEZZNS1_9scan_implILNS1_25lookback_scan_determinismE0ELb0ELb0ES3_PKS7_PS7_S7_ZZZN2at6native31launch_logcumsumexp_cuda_kernelERKNSE_10TensorBaseESI_lENKUlvE_clEvENKUlvE1_clEvEUlS7_S7_E_S7_EEDaPvRmT3_T4_T5_mT6_P12ihipStream_tbENKUlT_T0_E_clISt17integral_constantIbLb0EESZ_EEDaSU_SV_EUlSU_E0_NS1_11comp_targetILNS1_3genE10ELNS1_11target_archE1200ELNS1_3gpuE4ELNS1_3repE0EEENS1_30default_config_static_selectorELNS0_4arch9wavefront6targetE1EEEvT1_: ; @_ZN7rocprim17ROCPRIM_400000_NS6detail17trampoline_kernelINS0_14default_configENS1_20scan_config_selectorIN3c107complexIdEEEEZZNS1_9scan_implILNS1_25lookback_scan_determinismE0ELb0ELb0ES3_PKS7_PS7_S7_ZZZN2at6native31launch_logcumsumexp_cuda_kernelERKNSE_10TensorBaseESI_lENKUlvE_clEvENKUlvE1_clEvEUlS7_S7_E_S7_EEDaPvRmT3_T4_T5_mT6_P12ihipStream_tbENKUlT_T0_E_clISt17integral_constantIbLb0EESZ_EEDaSU_SV_EUlSU_E0_NS1_11comp_targetILNS1_3genE10ELNS1_11target_archE1200ELNS1_3gpuE4ELNS1_3repE0EEENS1_30default_config_static_selectorELNS0_4arch9wavefront6targetE1EEEvT1_
; %bb.0:
	.section	.rodata,"a",@progbits
	.p2align	6, 0x0
	.amdhsa_kernel _ZN7rocprim17ROCPRIM_400000_NS6detail17trampoline_kernelINS0_14default_configENS1_20scan_config_selectorIN3c107complexIdEEEEZZNS1_9scan_implILNS1_25lookback_scan_determinismE0ELb0ELb0ES3_PKS7_PS7_S7_ZZZN2at6native31launch_logcumsumexp_cuda_kernelERKNSE_10TensorBaseESI_lENKUlvE_clEvENKUlvE1_clEvEUlS7_S7_E_S7_EEDaPvRmT3_T4_T5_mT6_P12ihipStream_tbENKUlT_T0_E_clISt17integral_constantIbLb0EESZ_EEDaSU_SV_EUlSU_E0_NS1_11comp_targetILNS1_3genE10ELNS1_11target_archE1200ELNS1_3gpuE4ELNS1_3repE0EEENS1_30default_config_static_selectorELNS0_4arch9wavefront6targetE1EEEvT1_
		.amdhsa_group_segment_fixed_size 0
		.amdhsa_private_segment_fixed_size 0
		.amdhsa_kernarg_size 48
		.amdhsa_user_sgpr_count 2
		.amdhsa_user_sgpr_dispatch_ptr 0
		.amdhsa_user_sgpr_queue_ptr 0
		.amdhsa_user_sgpr_kernarg_segment_ptr 1
		.amdhsa_user_sgpr_dispatch_id 0
		.amdhsa_user_sgpr_kernarg_preload_length 0
		.amdhsa_user_sgpr_kernarg_preload_offset 0
		.amdhsa_user_sgpr_private_segment_size 0
		.amdhsa_uses_dynamic_stack 0
		.amdhsa_enable_private_segment 0
		.amdhsa_system_sgpr_workgroup_id_x 1
		.amdhsa_system_sgpr_workgroup_id_y 0
		.amdhsa_system_sgpr_workgroup_id_z 0
		.amdhsa_system_sgpr_workgroup_info 0
		.amdhsa_system_vgpr_workitem_id 0
		.amdhsa_next_free_vgpr 1
		.amdhsa_next_free_sgpr 0
		.amdhsa_accum_offset 4
		.amdhsa_reserve_vcc 0
		.amdhsa_float_round_mode_32 0
		.amdhsa_float_round_mode_16_64 0
		.amdhsa_float_denorm_mode_32 3
		.amdhsa_float_denorm_mode_16_64 3
		.amdhsa_dx10_clamp 1
		.amdhsa_ieee_mode 1
		.amdhsa_fp16_overflow 0
		.amdhsa_tg_split 0
		.amdhsa_exception_fp_ieee_invalid_op 0
		.amdhsa_exception_fp_denorm_src 0
		.amdhsa_exception_fp_ieee_div_zero 0
		.amdhsa_exception_fp_ieee_overflow 0
		.amdhsa_exception_fp_ieee_underflow 0
		.amdhsa_exception_fp_ieee_inexact 0
		.amdhsa_exception_int_div_zero 0
	.end_amdhsa_kernel
	.section	.text._ZN7rocprim17ROCPRIM_400000_NS6detail17trampoline_kernelINS0_14default_configENS1_20scan_config_selectorIN3c107complexIdEEEEZZNS1_9scan_implILNS1_25lookback_scan_determinismE0ELb0ELb0ES3_PKS7_PS7_S7_ZZZN2at6native31launch_logcumsumexp_cuda_kernelERKNSE_10TensorBaseESI_lENKUlvE_clEvENKUlvE1_clEvEUlS7_S7_E_S7_EEDaPvRmT3_T4_T5_mT6_P12ihipStream_tbENKUlT_T0_E_clISt17integral_constantIbLb0EESZ_EEDaSU_SV_EUlSU_E0_NS1_11comp_targetILNS1_3genE10ELNS1_11target_archE1200ELNS1_3gpuE4ELNS1_3repE0EEENS1_30default_config_static_selectorELNS0_4arch9wavefront6targetE1EEEvT1_,"axG",@progbits,_ZN7rocprim17ROCPRIM_400000_NS6detail17trampoline_kernelINS0_14default_configENS1_20scan_config_selectorIN3c107complexIdEEEEZZNS1_9scan_implILNS1_25lookback_scan_determinismE0ELb0ELb0ES3_PKS7_PS7_S7_ZZZN2at6native31launch_logcumsumexp_cuda_kernelERKNSE_10TensorBaseESI_lENKUlvE_clEvENKUlvE1_clEvEUlS7_S7_E_S7_EEDaPvRmT3_T4_T5_mT6_P12ihipStream_tbENKUlT_T0_E_clISt17integral_constantIbLb0EESZ_EEDaSU_SV_EUlSU_E0_NS1_11comp_targetILNS1_3genE10ELNS1_11target_archE1200ELNS1_3gpuE4ELNS1_3repE0EEENS1_30default_config_static_selectorELNS0_4arch9wavefront6targetE1EEEvT1_,comdat
.Lfunc_end207:
	.size	_ZN7rocprim17ROCPRIM_400000_NS6detail17trampoline_kernelINS0_14default_configENS1_20scan_config_selectorIN3c107complexIdEEEEZZNS1_9scan_implILNS1_25lookback_scan_determinismE0ELb0ELb0ES3_PKS7_PS7_S7_ZZZN2at6native31launch_logcumsumexp_cuda_kernelERKNSE_10TensorBaseESI_lENKUlvE_clEvENKUlvE1_clEvEUlS7_S7_E_S7_EEDaPvRmT3_T4_T5_mT6_P12ihipStream_tbENKUlT_T0_E_clISt17integral_constantIbLb0EESZ_EEDaSU_SV_EUlSU_E0_NS1_11comp_targetILNS1_3genE10ELNS1_11target_archE1200ELNS1_3gpuE4ELNS1_3repE0EEENS1_30default_config_static_selectorELNS0_4arch9wavefront6targetE1EEEvT1_, .Lfunc_end207-_ZN7rocprim17ROCPRIM_400000_NS6detail17trampoline_kernelINS0_14default_configENS1_20scan_config_selectorIN3c107complexIdEEEEZZNS1_9scan_implILNS1_25lookback_scan_determinismE0ELb0ELb0ES3_PKS7_PS7_S7_ZZZN2at6native31launch_logcumsumexp_cuda_kernelERKNSE_10TensorBaseESI_lENKUlvE_clEvENKUlvE1_clEvEUlS7_S7_E_S7_EEDaPvRmT3_T4_T5_mT6_P12ihipStream_tbENKUlT_T0_E_clISt17integral_constantIbLb0EESZ_EEDaSU_SV_EUlSU_E0_NS1_11comp_targetILNS1_3genE10ELNS1_11target_archE1200ELNS1_3gpuE4ELNS1_3repE0EEENS1_30default_config_static_selectorELNS0_4arch9wavefront6targetE1EEEvT1_
                                        ; -- End function
	.section	.AMDGPU.csdata,"",@progbits
; Kernel info:
; codeLenInByte = 0
; NumSgprs: 6
; NumVgprs: 0
; NumAgprs: 0
; TotalNumVgprs: 0
; ScratchSize: 0
; MemoryBound: 0
; FloatMode: 240
; IeeeMode: 1
; LDSByteSize: 0 bytes/workgroup (compile time only)
; SGPRBlocks: 0
; VGPRBlocks: 0
; NumSGPRsForWavesPerEU: 6
; NumVGPRsForWavesPerEU: 1
; AccumOffset: 4
; Occupancy: 8
; WaveLimiterHint : 0
; COMPUTE_PGM_RSRC2:SCRATCH_EN: 0
; COMPUTE_PGM_RSRC2:USER_SGPR: 2
; COMPUTE_PGM_RSRC2:TRAP_HANDLER: 0
; COMPUTE_PGM_RSRC2:TGID_X_EN: 1
; COMPUTE_PGM_RSRC2:TGID_Y_EN: 0
; COMPUTE_PGM_RSRC2:TGID_Z_EN: 0
; COMPUTE_PGM_RSRC2:TIDIG_COMP_CNT: 0
; COMPUTE_PGM_RSRC3_GFX90A:ACCUM_OFFSET: 0
; COMPUTE_PGM_RSRC3_GFX90A:TG_SPLIT: 0
	.section	.text._ZN7rocprim17ROCPRIM_400000_NS6detail17trampoline_kernelINS0_14default_configENS1_20scan_config_selectorIN3c107complexIdEEEEZZNS1_9scan_implILNS1_25lookback_scan_determinismE0ELb0ELb0ES3_PKS7_PS7_S7_ZZZN2at6native31launch_logcumsumexp_cuda_kernelERKNSE_10TensorBaseESI_lENKUlvE_clEvENKUlvE1_clEvEUlS7_S7_E_S7_EEDaPvRmT3_T4_T5_mT6_P12ihipStream_tbENKUlT_T0_E_clISt17integral_constantIbLb0EESZ_EEDaSU_SV_EUlSU_E0_NS1_11comp_targetILNS1_3genE9ELNS1_11target_archE1100ELNS1_3gpuE3ELNS1_3repE0EEENS1_30default_config_static_selectorELNS0_4arch9wavefront6targetE1EEEvT1_,"axG",@progbits,_ZN7rocprim17ROCPRIM_400000_NS6detail17trampoline_kernelINS0_14default_configENS1_20scan_config_selectorIN3c107complexIdEEEEZZNS1_9scan_implILNS1_25lookback_scan_determinismE0ELb0ELb0ES3_PKS7_PS7_S7_ZZZN2at6native31launch_logcumsumexp_cuda_kernelERKNSE_10TensorBaseESI_lENKUlvE_clEvENKUlvE1_clEvEUlS7_S7_E_S7_EEDaPvRmT3_T4_T5_mT6_P12ihipStream_tbENKUlT_T0_E_clISt17integral_constantIbLb0EESZ_EEDaSU_SV_EUlSU_E0_NS1_11comp_targetILNS1_3genE9ELNS1_11target_archE1100ELNS1_3gpuE3ELNS1_3repE0EEENS1_30default_config_static_selectorELNS0_4arch9wavefront6targetE1EEEvT1_,comdat
	.globl	_ZN7rocprim17ROCPRIM_400000_NS6detail17trampoline_kernelINS0_14default_configENS1_20scan_config_selectorIN3c107complexIdEEEEZZNS1_9scan_implILNS1_25lookback_scan_determinismE0ELb0ELb0ES3_PKS7_PS7_S7_ZZZN2at6native31launch_logcumsumexp_cuda_kernelERKNSE_10TensorBaseESI_lENKUlvE_clEvENKUlvE1_clEvEUlS7_S7_E_S7_EEDaPvRmT3_T4_T5_mT6_P12ihipStream_tbENKUlT_T0_E_clISt17integral_constantIbLb0EESZ_EEDaSU_SV_EUlSU_E0_NS1_11comp_targetILNS1_3genE9ELNS1_11target_archE1100ELNS1_3gpuE3ELNS1_3repE0EEENS1_30default_config_static_selectorELNS0_4arch9wavefront6targetE1EEEvT1_ ; -- Begin function _ZN7rocprim17ROCPRIM_400000_NS6detail17trampoline_kernelINS0_14default_configENS1_20scan_config_selectorIN3c107complexIdEEEEZZNS1_9scan_implILNS1_25lookback_scan_determinismE0ELb0ELb0ES3_PKS7_PS7_S7_ZZZN2at6native31launch_logcumsumexp_cuda_kernelERKNSE_10TensorBaseESI_lENKUlvE_clEvENKUlvE1_clEvEUlS7_S7_E_S7_EEDaPvRmT3_T4_T5_mT6_P12ihipStream_tbENKUlT_T0_E_clISt17integral_constantIbLb0EESZ_EEDaSU_SV_EUlSU_E0_NS1_11comp_targetILNS1_3genE9ELNS1_11target_archE1100ELNS1_3gpuE3ELNS1_3repE0EEENS1_30default_config_static_selectorELNS0_4arch9wavefront6targetE1EEEvT1_
	.p2align	8
	.type	_ZN7rocprim17ROCPRIM_400000_NS6detail17trampoline_kernelINS0_14default_configENS1_20scan_config_selectorIN3c107complexIdEEEEZZNS1_9scan_implILNS1_25lookback_scan_determinismE0ELb0ELb0ES3_PKS7_PS7_S7_ZZZN2at6native31launch_logcumsumexp_cuda_kernelERKNSE_10TensorBaseESI_lENKUlvE_clEvENKUlvE1_clEvEUlS7_S7_E_S7_EEDaPvRmT3_T4_T5_mT6_P12ihipStream_tbENKUlT_T0_E_clISt17integral_constantIbLb0EESZ_EEDaSU_SV_EUlSU_E0_NS1_11comp_targetILNS1_3genE9ELNS1_11target_archE1100ELNS1_3gpuE3ELNS1_3repE0EEENS1_30default_config_static_selectorELNS0_4arch9wavefront6targetE1EEEvT1_,@function
_ZN7rocprim17ROCPRIM_400000_NS6detail17trampoline_kernelINS0_14default_configENS1_20scan_config_selectorIN3c107complexIdEEEEZZNS1_9scan_implILNS1_25lookback_scan_determinismE0ELb0ELb0ES3_PKS7_PS7_S7_ZZZN2at6native31launch_logcumsumexp_cuda_kernelERKNSE_10TensorBaseESI_lENKUlvE_clEvENKUlvE1_clEvEUlS7_S7_E_S7_EEDaPvRmT3_T4_T5_mT6_P12ihipStream_tbENKUlT_T0_E_clISt17integral_constantIbLb0EESZ_EEDaSU_SV_EUlSU_E0_NS1_11comp_targetILNS1_3genE9ELNS1_11target_archE1100ELNS1_3gpuE3ELNS1_3repE0EEENS1_30default_config_static_selectorELNS0_4arch9wavefront6targetE1EEEvT1_: ; @_ZN7rocprim17ROCPRIM_400000_NS6detail17trampoline_kernelINS0_14default_configENS1_20scan_config_selectorIN3c107complexIdEEEEZZNS1_9scan_implILNS1_25lookback_scan_determinismE0ELb0ELb0ES3_PKS7_PS7_S7_ZZZN2at6native31launch_logcumsumexp_cuda_kernelERKNSE_10TensorBaseESI_lENKUlvE_clEvENKUlvE1_clEvEUlS7_S7_E_S7_EEDaPvRmT3_T4_T5_mT6_P12ihipStream_tbENKUlT_T0_E_clISt17integral_constantIbLb0EESZ_EEDaSU_SV_EUlSU_E0_NS1_11comp_targetILNS1_3genE9ELNS1_11target_archE1100ELNS1_3gpuE3ELNS1_3repE0EEENS1_30default_config_static_selectorELNS0_4arch9wavefront6targetE1EEEvT1_
; %bb.0:
	.section	.rodata,"a",@progbits
	.p2align	6, 0x0
	.amdhsa_kernel _ZN7rocprim17ROCPRIM_400000_NS6detail17trampoline_kernelINS0_14default_configENS1_20scan_config_selectorIN3c107complexIdEEEEZZNS1_9scan_implILNS1_25lookback_scan_determinismE0ELb0ELb0ES3_PKS7_PS7_S7_ZZZN2at6native31launch_logcumsumexp_cuda_kernelERKNSE_10TensorBaseESI_lENKUlvE_clEvENKUlvE1_clEvEUlS7_S7_E_S7_EEDaPvRmT3_T4_T5_mT6_P12ihipStream_tbENKUlT_T0_E_clISt17integral_constantIbLb0EESZ_EEDaSU_SV_EUlSU_E0_NS1_11comp_targetILNS1_3genE9ELNS1_11target_archE1100ELNS1_3gpuE3ELNS1_3repE0EEENS1_30default_config_static_selectorELNS0_4arch9wavefront6targetE1EEEvT1_
		.amdhsa_group_segment_fixed_size 0
		.amdhsa_private_segment_fixed_size 0
		.amdhsa_kernarg_size 48
		.amdhsa_user_sgpr_count 2
		.amdhsa_user_sgpr_dispatch_ptr 0
		.amdhsa_user_sgpr_queue_ptr 0
		.amdhsa_user_sgpr_kernarg_segment_ptr 1
		.amdhsa_user_sgpr_dispatch_id 0
		.amdhsa_user_sgpr_kernarg_preload_length 0
		.amdhsa_user_sgpr_kernarg_preload_offset 0
		.amdhsa_user_sgpr_private_segment_size 0
		.amdhsa_uses_dynamic_stack 0
		.amdhsa_enable_private_segment 0
		.amdhsa_system_sgpr_workgroup_id_x 1
		.amdhsa_system_sgpr_workgroup_id_y 0
		.amdhsa_system_sgpr_workgroup_id_z 0
		.amdhsa_system_sgpr_workgroup_info 0
		.amdhsa_system_vgpr_workitem_id 0
		.amdhsa_next_free_vgpr 1
		.amdhsa_next_free_sgpr 0
		.amdhsa_accum_offset 4
		.amdhsa_reserve_vcc 0
		.amdhsa_float_round_mode_32 0
		.amdhsa_float_round_mode_16_64 0
		.amdhsa_float_denorm_mode_32 3
		.amdhsa_float_denorm_mode_16_64 3
		.amdhsa_dx10_clamp 1
		.amdhsa_ieee_mode 1
		.amdhsa_fp16_overflow 0
		.amdhsa_tg_split 0
		.amdhsa_exception_fp_ieee_invalid_op 0
		.amdhsa_exception_fp_denorm_src 0
		.amdhsa_exception_fp_ieee_div_zero 0
		.amdhsa_exception_fp_ieee_overflow 0
		.amdhsa_exception_fp_ieee_underflow 0
		.amdhsa_exception_fp_ieee_inexact 0
		.amdhsa_exception_int_div_zero 0
	.end_amdhsa_kernel
	.section	.text._ZN7rocprim17ROCPRIM_400000_NS6detail17trampoline_kernelINS0_14default_configENS1_20scan_config_selectorIN3c107complexIdEEEEZZNS1_9scan_implILNS1_25lookback_scan_determinismE0ELb0ELb0ES3_PKS7_PS7_S7_ZZZN2at6native31launch_logcumsumexp_cuda_kernelERKNSE_10TensorBaseESI_lENKUlvE_clEvENKUlvE1_clEvEUlS7_S7_E_S7_EEDaPvRmT3_T4_T5_mT6_P12ihipStream_tbENKUlT_T0_E_clISt17integral_constantIbLb0EESZ_EEDaSU_SV_EUlSU_E0_NS1_11comp_targetILNS1_3genE9ELNS1_11target_archE1100ELNS1_3gpuE3ELNS1_3repE0EEENS1_30default_config_static_selectorELNS0_4arch9wavefront6targetE1EEEvT1_,"axG",@progbits,_ZN7rocprim17ROCPRIM_400000_NS6detail17trampoline_kernelINS0_14default_configENS1_20scan_config_selectorIN3c107complexIdEEEEZZNS1_9scan_implILNS1_25lookback_scan_determinismE0ELb0ELb0ES3_PKS7_PS7_S7_ZZZN2at6native31launch_logcumsumexp_cuda_kernelERKNSE_10TensorBaseESI_lENKUlvE_clEvENKUlvE1_clEvEUlS7_S7_E_S7_EEDaPvRmT3_T4_T5_mT6_P12ihipStream_tbENKUlT_T0_E_clISt17integral_constantIbLb0EESZ_EEDaSU_SV_EUlSU_E0_NS1_11comp_targetILNS1_3genE9ELNS1_11target_archE1100ELNS1_3gpuE3ELNS1_3repE0EEENS1_30default_config_static_selectorELNS0_4arch9wavefront6targetE1EEEvT1_,comdat
.Lfunc_end208:
	.size	_ZN7rocprim17ROCPRIM_400000_NS6detail17trampoline_kernelINS0_14default_configENS1_20scan_config_selectorIN3c107complexIdEEEEZZNS1_9scan_implILNS1_25lookback_scan_determinismE0ELb0ELb0ES3_PKS7_PS7_S7_ZZZN2at6native31launch_logcumsumexp_cuda_kernelERKNSE_10TensorBaseESI_lENKUlvE_clEvENKUlvE1_clEvEUlS7_S7_E_S7_EEDaPvRmT3_T4_T5_mT6_P12ihipStream_tbENKUlT_T0_E_clISt17integral_constantIbLb0EESZ_EEDaSU_SV_EUlSU_E0_NS1_11comp_targetILNS1_3genE9ELNS1_11target_archE1100ELNS1_3gpuE3ELNS1_3repE0EEENS1_30default_config_static_selectorELNS0_4arch9wavefront6targetE1EEEvT1_, .Lfunc_end208-_ZN7rocprim17ROCPRIM_400000_NS6detail17trampoline_kernelINS0_14default_configENS1_20scan_config_selectorIN3c107complexIdEEEEZZNS1_9scan_implILNS1_25lookback_scan_determinismE0ELb0ELb0ES3_PKS7_PS7_S7_ZZZN2at6native31launch_logcumsumexp_cuda_kernelERKNSE_10TensorBaseESI_lENKUlvE_clEvENKUlvE1_clEvEUlS7_S7_E_S7_EEDaPvRmT3_T4_T5_mT6_P12ihipStream_tbENKUlT_T0_E_clISt17integral_constantIbLb0EESZ_EEDaSU_SV_EUlSU_E0_NS1_11comp_targetILNS1_3genE9ELNS1_11target_archE1100ELNS1_3gpuE3ELNS1_3repE0EEENS1_30default_config_static_selectorELNS0_4arch9wavefront6targetE1EEEvT1_
                                        ; -- End function
	.section	.AMDGPU.csdata,"",@progbits
; Kernel info:
; codeLenInByte = 0
; NumSgprs: 6
; NumVgprs: 0
; NumAgprs: 0
; TotalNumVgprs: 0
; ScratchSize: 0
; MemoryBound: 0
; FloatMode: 240
; IeeeMode: 1
; LDSByteSize: 0 bytes/workgroup (compile time only)
; SGPRBlocks: 0
; VGPRBlocks: 0
; NumSGPRsForWavesPerEU: 6
; NumVGPRsForWavesPerEU: 1
; AccumOffset: 4
; Occupancy: 8
; WaveLimiterHint : 0
; COMPUTE_PGM_RSRC2:SCRATCH_EN: 0
; COMPUTE_PGM_RSRC2:USER_SGPR: 2
; COMPUTE_PGM_RSRC2:TRAP_HANDLER: 0
; COMPUTE_PGM_RSRC2:TGID_X_EN: 1
; COMPUTE_PGM_RSRC2:TGID_Y_EN: 0
; COMPUTE_PGM_RSRC2:TGID_Z_EN: 0
; COMPUTE_PGM_RSRC2:TIDIG_COMP_CNT: 0
; COMPUTE_PGM_RSRC3_GFX90A:ACCUM_OFFSET: 0
; COMPUTE_PGM_RSRC3_GFX90A:TG_SPLIT: 0
	.section	.text._ZN7rocprim17ROCPRIM_400000_NS6detail17trampoline_kernelINS0_14default_configENS1_20scan_config_selectorIN3c107complexIdEEEEZZNS1_9scan_implILNS1_25lookback_scan_determinismE0ELb0ELb0ES3_PKS7_PS7_S7_ZZZN2at6native31launch_logcumsumexp_cuda_kernelERKNSE_10TensorBaseESI_lENKUlvE_clEvENKUlvE1_clEvEUlS7_S7_E_S7_EEDaPvRmT3_T4_T5_mT6_P12ihipStream_tbENKUlT_T0_E_clISt17integral_constantIbLb0EESZ_EEDaSU_SV_EUlSU_E0_NS1_11comp_targetILNS1_3genE8ELNS1_11target_archE1030ELNS1_3gpuE2ELNS1_3repE0EEENS1_30default_config_static_selectorELNS0_4arch9wavefront6targetE1EEEvT1_,"axG",@progbits,_ZN7rocprim17ROCPRIM_400000_NS6detail17trampoline_kernelINS0_14default_configENS1_20scan_config_selectorIN3c107complexIdEEEEZZNS1_9scan_implILNS1_25lookback_scan_determinismE0ELb0ELb0ES3_PKS7_PS7_S7_ZZZN2at6native31launch_logcumsumexp_cuda_kernelERKNSE_10TensorBaseESI_lENKUlvE_clEvENKUlvE1_clEvEUlS7_S7_E_S7_EEDaPvRmT3_T4_T5_mT6_P12ihipStream_tbENKUlT_T0_E_clISt17integral_constantIbLb0EESZ_EEDaSU_SV_EUlSU_E0_NS1_11comp_targetILNS1_3genE8ELNS1_11target_archE1030ELNS1_3gpuE2ELNS1_3repE0EEENS1_30default_config_static_selectorELNS0_4arch9wavefront6targetE1EEEvT1_,comdat
	.globl	_ZN7rocprim17ROCPRIM_400000_NS6detail17trampoline_kernelINS0_14default_configENS1_20scan_config_selectorIN3c107complexIdEEEEZZNS1_9scan_implILNS1_25lookback_scan_determinismE0ELb0ELb0ES3_PKS7_PS7_S7_ZZZN2at6native31launch_logcumsumexp_cuda_kernelERKNSE_10TensorBaseESI_lENKUlvE_clEvENKUlvE1_clEvEUlS7_S7_E_S7_EEDaPvRmT3_T4_T5_mT6_P12ihipStream_tbENKUlT_T0_E_clISt17integral_constantIbLb0EESZ_EEDaSU_SV_EUlSU_E0_NS1_11comp_targetILNS1_3genE8ELNS1_11target_archE1030ELNS1_3gpuE2ELNS1_3repE0EEENS1_30default_config_static_selectorELNS0_4arch9wavefront6targetE1EEEvT1_ ; -- Begin function _ZN7rocprim17ROCPRIM_400000_NS6detail17trampoline_kernelINS0_14default_configENS1_20scan_config_selectorIN3c107complexIdEEEEZZNS1_9scan_implILNS1_25lookback_scan_determinismE0ELb0ELb0ES3_PKS7_PS7_S7_ZZZN2at6native31launch_logcumsumexp_cuda_kernelERKNSE_10TensorBaseESI_lENKUlvE_clEvENKUlvE1_clEvEUlS7_S7_E_S7_EEDaPvRmT3_T4_T5_mT6_P12ihipStream_tbENKUlT_T0_E_clISt17integral_constantIbLb0EESZ_EEDaSU_SV_EUlSU_E0_NS1_11comp_targetILNS1_3genE8ELNS1_11target_archE1030ELNS1_3gpuE2ELNS1_3repE0EEENS1_30default_config_static_selectorELNS0_4arch9wavefront6targetE1EEEvT1_
	.p2align	8
	.type	_ZN7rocprim17ROCPRIM_400000_NS6detail17trampoline_kernelINS0_14default_configENS1_20scan_config_selectorIN3c107complexIdEEEEZZNS1_9scan_implILNS1_25lookback_scan_determinismE0ELb0ELb0ES3_PKS7_PS7_S7_ZZZN2at6native31launch_logcumsumexp_cuda_kernelERKNSE_10TensorBaseESI_lENKUlvE_clEvENKUlvE1_clEvEUlS7_S7_E_S7_EEDaPvRmT3_T4_T5_mT6_P12ihipStream_tbENKUlT_T0_E_clISt17integral_constantIbLb0EESZ_EEDaSU_SV_EUlSU_E0_NS1_11comp_targetILNS1_3genE8ELNS1_11target_archE1030ELNS1_3gpuE2ELNS1_3repE0EEENS1_30default_config_static_selectorELNS0_4arch9wavefront6targetE1EEEvT1_,@function
_ZN7rocprim17ROCPRIM_400000_NS6detail17trampoline_kernelINS0_14default_configENS1_20scan_config_selectorIN3c107complexIdEEEEZZNS1_9scan_implILNS1_25lookback_scan_determinismE0ELb0ELb0ES3_PKS7_PS7_S7_ZZZN2at6native31launch_logcumsumexp_cuda_kernelERKNSE_10TensorBaseESI_lENKUlvE_clEvENKUlvE1_clEvEUlS7_S7_E_S7_EEDaPvRmT3_T4_T5_mT6_P12ihipStream_tbENKUlT_T0_E_clISt17integral_constantIbLb0EESZ_EEDaSU_SV_EUlSU_E0_NS1_11comp_targetILNS1_3genE8ELNS1_11target_archE1030ELNS1_3gpuE2ELNS1_3repE0EEENS1_30default_config_static_selectorELNS0_4arch9wavefront6targetE1EEEvT1_: ; @_ZN7rocprim17ROCPRIM_400000_NS6detail17trampoline_kernelINS0_14default_configENS1_20scan_config_selectorIN3c107complexIdEEEEZZNS1_9scan_implILNS1_25lookback_scan_determinismE0ELb0ELb0ES3_PKS7_PS7_S7_ZZZN2at6native31launch_logcumsumexp_cuda_kernelERKNSE_10TensorBaseESI_lENKUlvE_clEvENKUlvE1_clEvEUlS7_S7_E_S7_EEDaPvRmT3_T4_T5_mT6_P12ihipStream_tbENKUlT_T0_E_clISt17integral_constantIbLb0EESZ_EEDaSU_SV_EUlSU_E0_NS1_11comp_targetILNS1_3genE8ELNS1_11target_archE1030ELNS1_3gpuE2ELNS1_3repE0EEENS1_30default_config_static_selectorELNS0_4arch9wavefront6targetE1EEEvT1_
; %bb.0:
	.section	.rodata,"a",@progbits
	.p2align	6, 0x0
	.amdhsa_kernel _ZN7rocprim17ROCPRIM_400000_NS6detail17trampoline_kernelINS0_14default_configENS1_20scan_config_selectorIN3c107complexIdEEEEZZNS1_9scan_implILNS1_25lookback_scan_determinismE0ELb0ELb0ES3_PKS7_PS7_S7_ZZZN2at6native31launch_logcumsumexp_cuda_kernelERKNSE_10TensorBaseESI_lENKUlvE_clEvENKUlvE1_clEvEUlS7_S7_E_S7_EEDaPvRmT3_T4_T5_mT6_P12ihipStream_tbENKUlT_T0_E_clISt17integral_constantIbLb0EESZ_EEDaSU_SV_EUlSU_E0_NS1_11comp_targetILNS1_3genE8ELNS1_11target_archE1030ELNS1_3gpuE2ELNS1_3repE0EEENS1_30default_config_static_selectorELNS0_4arch9wavefront6targetE1EEEvT1_
		.amdhsa_group_segment_fixed_size 0
		.amdhsa_private_segment_fixed_size 0
		.amdhsa_kernarg_size 48
		.amdhsa_user_sgpr_count 2
		.amdhsa_user_sgpr_dispatch_ptr 0
		.amdhsa_user_sgpr_queue_ptr 0
		.amdhsa_user_sgpr_kernarg_segment_ptr 1
		.amdhsa_user_sgpr_dispatch_id 0
		.amdhsa_user_sgpr_kernarg_preload_length 0
		.amdhsa_user_sgpr_kernarg_preload_offset 0
		.amdhsa_user_sgpr_private_segment_size 0
		.amdhsa_uses_dynamic_stack 0
		.amdhsa_enable_private_segment 0
		.amdhsa_system_sgpr_workgroup_id_x 1
		.amdhsa_system_sgpr_workgroup_id_y 0
		.amdhsa_system_sgpr_workgroup_id_z 0
		.amdhsa_system_sgpr_workgroup_info 0
		.amdhsa_system_vgpr_workitem_id 0
		.amdhsa_next_free_vgpr 1
		.amdhsa_next_free_sgpr 0
		.amdhsa_accum_offset 4
		.amdhsa_reserve_vcc 0
		.amdhsa_float_round_mode_32 0
		.amdhsa_float_round_mode_16_64 0
		.amdhsa_float_denorm_mode_32 3
		.amdhsa_float_denorm_mode_16_64 3
		.amdhsa_dx10_clamp 1
		.amdhsa_ieee_mode 1
		.amdhsa_fp16_overflow 0
		.amdhsa_tg_split 0
		.amdhsa_exception_fp_ieee_invalid_op 0
		.amdhsa_exception_fp_denorm_src 0
		.amdhsa_exception_fp_ieee_div_zero 0
		.amdhsa_exception_fp_ieee_overflow 0
		.amdhsa_exception_fp_ieee_underflow 0
		.amdhsa_exception_fp_ieee_inexact 0
		.amdhsa_exception_int_div_zero 0
	.end_amdhsa_kernel
	.section	.text._ZN7rocprim17ROCPRIM_400000_NS6detail17trampoline_kernelINS0_14default_configENS1_20scan_config_selectorIN3c107complexIdEEEEZZNS1_9scan_implILNS1_25lookback_scan_determinismE0ELb0ELb0ES3_PKS7_PS7_S7_ZZZN2at6native31launch_logcumsumexp_cuda_kernelERKNSE_10TensorBaseESI_lENKUlvE_clEvENKUlvE1_clEvEUlS7_S7_E_S7_EEDaPvRmT3_T4_T5_mT6_P12ihipStream_tbENKUlT_T0_E_clISt17integral_constantIbLb0EESZ_EEDaSU_SV_EUlSU_E0_NS1_11comp_targetILNS1_3genE8ELNS1_11target_archE1030ELNS1_3gpuE2ELNS1_3repE0EEENS1_30default_config_static_selectorELNS0_4arch9wavefront6targetE1EEEvT1_,"axG",@progbits,_ZN7rocprim17ROCPRIM_400000_NS6detail17trampoline_kernelINS0_14default_configENS1_20scan_config_selectorIN3c107complexIdEEEEZZNS1_9scan_implILNS1_25lookback_scan_determinismE0ELb0ELb0ES3_PKS7_PS7_S7_ZZZN2at6native31launch_logcumsumexp_cuda_kernelERKNSE_10TensorBaseESI_lENKUlvE_clEvENKUlvE1_clEvEUlS7_S7_E_S7_EEDaPvRmT3_T4_T5_mT6_P12ihipStream_tbENKUlT_T0_E_clISt17integral_constantIbLb0EESZ_EEDaSU_SV_EUlSU_E0_NS1_11comp_targetILNS1_3genE8ELNS1_11target_archE1030ELNS1_3gpuE2ELNS1_3repE0EEENS1_30default_config_static_selectorELNS0_4arch9wavefront6targetE1EEEvT1_,comdat
.Lfunc_end209:
	.size	_ZN7rocprim17ROCPRIM_400000_NS6detail17trampoline_kernelINS0_14default_configENS1_20scan_config_selectorIN3c107complexIdEEEEZZNS1_9scan_implILNS1_25lookback_scan_determinismE0ELb0ELb0ES3_PKS7_PS7_S7_ZZZN2at6native31launch_logcumsumexp_cuda_kernelERKNSE_10TensorBaseESI_lENKUlvE_clEvENKUlvE1_clEvEUlS7_S7_E_S7_EEDaPvRmT3_T4_T5_mT6_P12ihipStream_tbENKUlT_T0_E_clISt17integral_constantIbLb0EESZ_EEDaSU_SV_EUlSU_E0_NS1_11comp_targetILNS1_3genE8ELNS1_11target_archE1030ELNS1_3gpuE2ELNS1_3repE0EEENS1_30default_config_static_selectorELNS0_4arch9wavefront6targetE1EEEvT1_, .Lfunc_end209-_ZN7rocprim17ROCPRIM_400000_NS6detail17trampoline_kernelINS0_14default_configENS1_20scan_config_selectorIN3c107complexIdEEEEZZNS1_9scan_implILNS1_25lookback_scan_determinismE0ELb0ELb0ES3_PKS7_PS7_S7_ZZZN2at6native31launch_logcumsumexp_cuda_kernelERKNSE_10TensorBaseESI_lENKUlvE_clEvENKUlvE1_clEvEUlS7_S7_E_S7_EEDaPvRmT3_T4_T5_mT6_P12ihipStream_tbENKUlT_T0_E_clISt17integral_constantIbLb0EESZ_EEDaSU_SV_EUlSU_E0_NS1_11comp_targetILNS1_3genE8ELNS1_11target_archE1030ELNS1_3gpuE2ELNS1_3repE0EEENS1_30default_config_static_selectorELNS0_4arch9wavefront6targetE1EEEvT1_
                                        ; -- End function
	.section	.AMDGPU.csdata,"",@progbits
; Kernel info:
; codeLenInByte = 0
; NumSgprs: 6
; NumVgprs: 0
; NumAgprs: 0
; TotalNumVgprs: 0
; ScratchSize: 0
; MemoryBound: 0
; FloatMode: 240
; IeeeMode: 1
; LDSByteSize: 0 bytes/workgroup (compile time only)
; SGPRBlocks: 0
; VGPRBlocks: 0
; NumSGPRsForWavesPerEU: 6
; NumVGPRsForWavesPerEU: 1
; AccumOffset: 4
; Occupancy: 8
; WaveLimiterHint : 0
; COMPUTE_PGM_RSRC2:SCRATCH_EN: 0
; COMPUTE_PGM_RSRC2:USER_SGPR: 2
; COMPUTE_PGM_RSRC2:TRAP_HANDLER: 0
; COMPUTE_PGM_RSRC2:TGID_X_EN: 1
; COMPUTE_PGM_RSRC2:TGID_Y_EN: 0
; COMPUTE_PGM_RSRC2:TGID_Z_EN: 0
; COMPUTE_PGM_RSRC2:TIDIG_COMP_CNT: 0
; COMPUTE_PGM_RSRC3_GFX90A:ACCUM_OFFSET: 0
; COMPUTE_PGM_RSRC3_GFX90A:TG_SPLIT: 0
	.section	.text._ZN7rocprim17ROCPRIM_400000_NS6detail31init_lookback_scan_state_kernelINS1_19lookback_scan_stateIN3c107complexIdEELb1ELb0EEENS1_16block_id_wrapperIjLb1EEEEEvT_jT0_jPNSA_10value_typeE,"axG",@progbits,_ZN7rocprim17ROCPRIM_400000_NS6detail31init_lookback_scan_state_kernelINS1_19lookback_scan_stateIN3c107complexIdEELb1ELb0EEENS1_16block_id_wrapperIjLb1EEEEEvT_jT0_jPNSA_10value_typeE,comdat
	.protected	_ZN7rocprim17ROCPRIM_400000_NS6detail31init_lookback_scan_state_kernelINS1_19lookback_scan_stateIN3c107complexIdEELb1ELb0EEENS1_16block_id_wrapperIjLb1EEEEEvT_jT0_jPNSA_10value_typeE ; -- Begin function _ZN7rocprim17ROCPRIM_400000_NS6detail31init_lookback_scan_state_kernelINS1_19lookback_scan_stateIN3c107complexIdEELb1ELb0EEENS1_16block_id_wrapperIjLb1EEEEEvT_jT0_jPNSA_10value_typeE
	.globl	_ZN7rocprim17ROCPRIM_400000_NS6detail31init_lookback_scan_state_kernelINS1_19lookback_scan_stateIN3c107complexIdEELb1ELb0EEENS1_16block_id_wrapperIjLb1EEEEEvT_jT0_jPNSA_10value_typeE
	.p2align	8
	.type	_ZN7rocprim17ROCPRIM_400000_NS6detail31init_lookback_scan_state_kernelINS1_19lookback_scan_stateIN3c107complexIdEELb1ELb0EEENS1_16block_id_wrapperIjLb1EEEEEvT_jT0_jPNSA_10value_typeE,@function
_ZN7rocprim17ROCPRIM_400000_NS6detail31init_lookback_scan_state_kernelINS1_19lookback_scan_stateIN3c107complexIdEELb1ELb0EEENS1_16block_id_wrapperIjLb1EEEEEvT_jT0_jPNSA_10value_typeE: ; @_ZN7rocprim17ROCPRIM_400000_NS6detail31init_lookback_scan_state_kernelINS1_19lookback_scan_stateIN3c107complexIdEELb1ELb0EEENS1_16block_id_wrapperIjLb1EEEEEvT_jT0_jPNSA_10value_typeE
; %bb.0:
	s_load_dword s3, s[0:1], 0x44
	s_load_dwordx2 s[10:11], s[0:1], 0x30
	s_load_dwordx2 s[8:9], s[0:1], 0x10
	s_load_dword s16, s[0:1], 0x18
	s_waitcnt lgkmcnt(0)
	s_and_b32 s3, s3, 0xffff
	s_mul_i32 s2, s2, s3
	s_cmp_eq_u64 s[10:11], 0
	v_add_u32_e32 v0, s2, v0
	s_cbranch_scc1 .LBB210_11
; %bb.1:
	s_load_dword s4, s[0:1], 0x28
	s_mov_b32 s13, 0
	s_waitcnt lgkmcnt(0)
	s_cmp_lt_u32 s4, s16
	s_cselect_b32 s2, s4, 0
	v_cmp_eq_u32_e32 vcc, s2, v0
	s_and_saveexec_b64 s[2:3], vcc
	s_cbranch_execz .LBB210_10
; %bb.2:
	s_add_i32 s12, s4, 64
	v_mov_b32_e32 v1, s12
	global_load_ubyte v1, v1, s[8:9] sc1
	s_load_dwordx4 s[4:7], s[0:1], 0x0
	s_add_u32 s14, s8, s12
	s_addc_u32 s15, s9, 0
	s_waitcnt vmcnt(0)
	v_cmp_ne_u16_e32 vcc, 0, v1
	v_readfirstlane_b32 s17, v1
	s_cbranch_vccz .LBB210_4
; %bb.3:
	s_and_b32 s14, 0xffff, s17
	s_branch .LBB210_9
.LBB210_4:
	s_mov_b32 s17, 1
	v_mov_b32_e32 v1, 0
.LBB210_5:                              ; =>This Loop Header: Depth=1
                                        ;     Child Loop BB210_6 Depth 2
	s_max_u32 s18, s17, 1
.LBB210_6:                              ;   Parent Loop BB210_5 Depth=1
                                        ; =>  This Inner Loop Header: Depth=2
	s_add_i32 s18, s18, -1
	s_cmp_eq_u32 s18, 0
	s_sleep 1
	s_cbranch_scc0 .LBB210_6
; %bb.7:                                ;   in Loop: Header=BB210_5 Depth=1
	global_load_ubyte v2, v1, s[14:15] sc1
	s_cmp_lt_u32 s17, 32
	s_cselect_b64 s[18:19], -1, 0
	s_cmp_lg_u64 s[18:19], 0
	s_addc_u32 s17, s17, 0
	s_waitcnt vmcnt(0)
	v_cmp_ne_u16_e32 vcc, 0, v2
	v_readfirstlane_b32 s18, v2
	s_cbranch_vccz .LBB210_5
; %bb.8:
	s_and_b32 s14, 0xffff, s18
.LBB210_9:
	s_cmp_eq_u32 s14, 1
	s_waitcnt lgkmcnt(0)
	s_cselect_b32 s7, s5, s7
	s_cselect_b32 s6, s4, s6
	s_lshl_b64 s[4:5], s[12:13], 4
	s_add_u32 s4, s6, s4
	s_addc_u32 s5, s7, s5
	v_mov_b32_e32 v1, 0
	s_waitcnt vmcnt(0)
	global_load_dword v2, v1, s[4:5] sc1
	global_load_dword v3, v1, s[4:5] offset:4 sc1
	global_load_dword v4, v1, s[4:5] offset:8 sc1
	;; [unrolled: 1-line block ×3, first 2 shown]
	s_waitcnt vmcnt(0)
	global_store_dwordx4 v1, v[2:5], s[10:11]
.LBB210_10:
	s_or_b64 exec, exec, s[2:3]
.LBB210_11:
	v_cmp_eq_u32_e32 vcc, 0, v0
	s_and_saveexec_b64 s[2:3], vcc
	s_cbranch_execnz .LBB210_15
; %bb.12:
	s_or_b64 exec, exec, s[2:3]
	v_cmp_gt_u32_e32 vcc, s16, v0
	s_and_saveexec_b64 s[0:1], vcc
	s_cbranch_execnz .LBB210_16
.LBB210_13:
	s_or_b64 exec, exec, s[0:1]
	v_cmp_gt_u32_e32 vcc, 64, v0
	s_and_saveexec_b64 s[0:1], vcc
	s_cbranch_execnz .LBB210_17
.LBB210_14:
	s_endpgm
.LBB210_15:
	s_load_dwordx2 s[0:1], s[0:1], 0x20
	v_mov_b32_e32 v1, 0
	s_waitcnt lgkmcnt(0)
	global_store_dword v1, v1, s[0:1]
	s_or_b64 exec, exec, s[2:3]
	v_cmp_gt_u32_e32 vcc, s16, v0
	s_and_saveexec_b64 s[0:1], vcc
	s_cbranch_execz .LBB210_13
.LBB210_16:
	v_add_u32_e32 v1, 64, v0
	v_mov_b32_e32 v2, 0
	global_store_byte v1, v2, s[8:9]
	s_or_b64 exec, exec, s[0:1]
	v_cmp_gt_u32_e32 vcc, 64, v0
	s_and_saveexec_b64 s[0:1], vcc
	s_cbranch_execz .LBB210_14
.LBB210_17:
	v_mov_b32_e32 v1, 0xff
	global_store_byte v0, v1, s[8:9]
	s_endpgm
	.section	.rodata,"a",@progbits
	.p2align	6, 0x0
	.amdhsa_kernel _ZN7rocprim17ROCPRIM_400000_NS6detail31init_lookback_scan_state_kernelINS1_19lookback_scan_stateIN3c107complexIdEELb1ELb0EEENS1_16block_id_wrapperIjLb1EEEEEvT_jT0_jPNSA_10value_typeE
		.amdhsa_group_segment_fixed_size 0
		.amdhsa_private_segment_fixed_size 0
		.amdhsa_kernarg_size 312
		.amdhsa_user_sgpr_count 2
		.amdhsa_user_sgpr_dispatch_ptr 0
		.amdhsa_user_sgpr_queue_ptr 0
		.amdhsa_user_sgpr_kernarg_segment_ptr 1
		.amdhsa_user_sgpr_dispatch_id 0
		.amdhsa_user_sgpr_kernarg_preload_length 0
		.amdhsa_user_sgpr_kernarg_preload_offset 0
		.amdhsa_user_sgpr_private_segment_size 0
		.amdhsa_uses_dynamic_stack 0
		.amdhsa_enable_private_segment 0
		.amdhsa_system_sgpr_workgroup_id_x 1
		.amdhsa_system_sgpr_workgroup_id_y 0
		.amdhsa_system_sgpr_workgroup_id_z 0
		.amdhsa_system_sgpr_workgroup_info 0
		.amdhsa_system_vgpr_workitem_id 0
		.amdhsa_next_free_vgpr 6
		.amdhsa_next_free_sgpr 20
		.amdhsa_accum_offset 8
		.amdhsa_reserve_vcc 1
		.amdhsa_float_round_mode_32 0
		.amdhsa_float_round_mode_16_64 0
		.amdhsa_float_denorm_mode_32 3
		.amdhsa_float_denorm_mode_16_64 3
		.amdhsa_dx10_clamp 1
		.amdhsa_ieee_mode 1
		.amdhsa_fp16_overflow 0
		.amdhsa_tg_split 0
		.amdhsa_exception_fp_ieee_invalid_op 0
		.amdhsa_exception_fp_denorm_src 0
		.amdhsa_exception_fp_ieee_div_zero 0
		.amdhsa_exception_fp_ieee_overflow 0
		.amdhsa_exception_fp_ieee_underflow 0
		.amdhsa_exception_fp_ieee_inexact 0
		.amdhsa_exception_int_div_zero 0
	.end_amdhsa_kernel
	.section	.text._ZN7rocprim17ROCPRIM_400000_NS6detail31init_lookback_scan_state_kernelINS1_19lookback_scan_stateIN3c107complexIdEELb1ELb0EEENS1_16block_id_wrapperIjLb1EEEEEvT_jT0_jPNSA_10value_typeE,"axG",@progbits,_ZN7rocprim17ROCPRIM_400000_NS6detail31init_lookback_scan_state_kernelINS1_19lookback_scan_stateIN3c107complexIdEELb1ELb0EEENS1_16block_id_wrapperIjLb1EEEEEvT_jT0_jPNSA_10value_typeE,comdat
.Lfunc_end210:
	.size	_ZN7rocprim17ROCPRIM_400000_NS6detail31init_lookback_scan_state_kernelINS1_19lookback_scan_stateIN3c107complexIdEELb1ELb0EEENS1_16block_id_wrapperIjLb1EEEEEvT_jT0_jPNSA_10value_typeE, .Lfunc_end210-_ZN7rocprim17ROCPRIM_400000_NS6detail31init_lookback_scan_state_kernelINS1_19lookback_scan_stateIN3c107complexIdEELb1ELb0EEENS1_16block_id_wrapperIjLb1EEEEEvT_jT0_jPNSA_10value_typeE
                                        ; -- End function
	.section	.AMDGPU.csdata,"",@progbits
; Kernel info:
; codeLenInByte = 456
; NumSgprs: 26
; NumVgprs: 6
; NumAgprs: 0
; TotalNumVgprs: 6
; ScratchSize: 0
; MemoryBound: 0
; FloatMode: 240
; IeeeMode: 1
; LDSByteSize: 0 bytes/workgroup (compile time only)
; SGPRBlocks: 3
; VGPRBlocks: 0
; NumSGPRsForWavesPerEU: 26
; NumVGPRsForWavesPerEU: 6
; AccumOffset: 8
; Occupancy: 8
; WaveLimiterHint : 0
; COMPUTE_PGM_RSRC2:SCRATCH_EN: 0
; COMPUTE_PGM_RSRC2:USER_SGPR: 2
; COMPUTE_PGM_RSRC2:TRAP_HANDLER: 0
; COMPUTE_PGM_RSRC2:TGID_X_EN: 1
; COMPUTE_PGM_RSRC2:TGID_Y_EN: 0
; COMPUTE_PGM_RSRC2:TGID_Z_EN: 0
; COMPUTE_PGM_RSRC2:TIDIG_COMP_CNT: 0
; COMPUTE_PGM_RSRC3_GFX90A:ACCUM_OFFSET: 1
; COMPUTE_PGM_RSRC3_GFX90A:TG_SPLIT: 0
	.section	.text._ZN7rocprim17ROCPRIM_400000_NS6detail17trampoline_kernelINS0_14default_configENS1_20scan_config_selectorIN3c107complexIdEEEEZZNS1_9scan_implILNS1_25lookback_scan_determinismE0ELb0ELb0ES3_PKS7_PS7_S7_ZZZN2at6native31launch_logcumsumexp_cuda_kernelERKNSE_10TensorBaseESI_lENKUlvE_clEvENKUlvE1_clEvEUlS7_S7_E_S7_EEDaPvRmT3_T4_T5_mT6_P12ihipStream_tbENKUlT_T0_E_clISt17integral_constantIbLb1EESZ_EEDaSU_SV_EUlSU_E_NS1_11comp_targetILNS1_3genE0ELNS1_11target_archE4294967295ELNS1_3gpuE0ELNS1_3repE0EEENS1_30default_config_static_selectorELNS0_4arch9wavefront6targetE1EEEvT1_,"axG",@progbits,_ZN7rocprim17ROCPRIM_400000_NS6detail17trampoline_kernelINS0_14default_configENS1_20scan_config_selectorIN3c107complexIdEEEEZZNS1_9scan_implILNS1_25lookback_scan_determinismE0ELb0ELb0ES3_PKS7_PS7_S7_ZZZN2at6native31launch_logcumsumexp_cuda_kernelERKNSE_10TensorBaseESI_lENKUlvE_clEvENKUlvE1_clEvEUlS7_S7_E_S7_EEDaPvRmT3_T4_T5_mT6_P12ihipStream_tbENKUlT_T0_E_clISt17integral_constantIbLb1EESZ_EEDaSU_SV_EUlSU_E_NS1_11comp_targetILNS1_3genE0ELNS1_11target_archE4294967295ELNS1_3gpuE0ELNS1_3repE0EEENS1_30default_config_static_selectorELNS0_4arch9wavefront6targetE1EEEvT1_,comdat
	.globl	_ZN7rocprim17ROCPRIM_400000_NS6detail17trampoline_kernelINS0_14default_configENS1_20scan_config_selectorIN3c107complexIdEEEEZZNS1_9scan_implILNS1_25lookback_scan_determinismE0ELb0ELb0ES3_PKS7_PS7_S7_ZZZN2at6native31launch_logcumsumexp_cuda_kernelERKNSE_10TensorBaseESI_lENKUlvE_clEvENKUlvE1_clEvEUlS7_S7_E_S7_EEDaPvRmT3_T4_T5_mT6_P12ihipStream_tbENKUlT_T0_E_clISt17integral_constantIbLb1EESZ_EEDaSU_SV_EUlSU_E_NS1_11comp_targetILNS1_3genE0ELNS1_11target_archE4294967295ELNS1_3gpuE0ELNS1_3repE0EEENS1_30default_config_static_selectorELNS0_4arch9wavefront6targetE1EEEvT1_ ; -- Begin function _ZN7rocprim17ROCPRIM_400000_NS6detail17trampoline_kernelINS0_14default_configENS1_20scan_config_selectorIN3c107complexIdEEEEZZNS1_9scan_implILNS1_25lookback_scan_determinismE0ELb0ELb0ES3_PKS7_PS7_S7_ZZZN2at6native31launch_logcumsumexp_cuda_kernelERKNSE_10TensorBaseESI_lENKUlvE_clEvENKUlvE1_clEvEUlS7_S7_E_S7_EEDaPvRmT3_T4_T5_mT6_P12ihipStream_tbENKUlT_T0_E_clISt17integral_constantIbLb1EESZ_EEDaSU_SV_EUlSU_E_NS1_11comp_targetILNS1_3genE0ELNS1_11target_archE4294967295ELNS1_3gpuE0ELNS1_3repE0EEENS1_30default_config_static_selectorELNS0_4arch9wavefront6targetE1EEEvT1_
	.p2align	8
	.type	_ZN7rocprim17ROCPRIM_400000_NS6detail17trampoline_kernelINS0_14default_configENS1_20scan_config_selectorIN3c107complexIdEEEEZZNS1_9scan_implILNS1_25lookback_scan_determinismE0ELb0ELb0ES3_PKS7_PS7_S7_ZZZN2at6native31launch_logcumsumexp_cuda_kernelERKNSE_10TensorBaseESI_lENKUlvE_clEvENKUlvE1_clEvEUlS7_S7_E_S7_EEDaPvRmT3_T4_T5_mT6_P12ihipStream_tbENKUlT_T0_E_clISt17integral_constantIbLb1EESZ_EEDaSU_SV_EUlSU_E_NS1_11comp_targetILNS1_3genE0ELNS1_11target_archE4294967295ELNS1_3gpuE0ELNS1_3repE0EEENS1_30default_config_static_selectorELNS0_4arch9wavefront6targetE1EEEvT1_,@function
_ZN7rocprim17ROCPRIM_400000_NS6detail17trampoline_kernelINS0_14default_configENS1_20scan_config_selectorIN3c107complexIdEEEEZZNS1_9scan_implILNS1_25lookback_scan_determinismE0ELb0ELb0ES3_PKS7_PS7_S7_ZZZN2at6native31launch_logcumsumexp_cuda_kernelERKNSE_10TensorBaseESI_lENKUlvE_clEvENKUlvE1_clEvEUlS7_S7_E_S7_EEDaPvRmT3_T4_T5_mT6_P12ihipStream_tbENKUlT_T0_E_clISt17integral_constantIbLb1EESZ_EEDaSU_SV_EUlSU_E_NS1_11comp_targetILNS1_3genE0ELNS1_11target_archE4294967295ELNS1_3gpuE0ELNS1_3repE0EEENS1_30default_config_static_selectorELNS0_4arch9wavefront6targetE1EEEvT1_: ; @_ZN7rocprim17ROCPRIM_400000_NS6detail17trampoline_kernelINS0_14default_configENS1_20scan_config_selectorIN3c107complexIdEEEEZZNS1_9scan_implILNS1_25lookback_scan_determinismE0ELb0ELb0ES3_PKS7_PS7_S7_ZZZN2at6native31launch_logcumsumexp_cuda_kernelERKNSE_10TensorBaseESI_lENKUlvE_clEvENKUlvE1_clEvEUlS7_S7_E_S7_EEDaPvRmT3_T4_T5_mT6_P12ihipStream_tbENKUlT_T0_E_clISt17integral_constantIbLb1EESZ_EEDaSU_SV_EUlSU_E_NS1_11comp_targetILNS1_3genE0ELNS1_11target_archE4294967295ELNS1_3gpuE0ELNS1_3repE0EEENS1_30default_config_static_selectorELNS0_4arch9wavefront6targetE1EEEvT1_
; %bb.0:
	.section	.rodata,"a",@progbits
	.p2align	6, 0x0
	.amdhsa_kernel _ZN7rocprim17ROCPRIM_400000_NS6detail17trampoline_kernelINS0_14default_configENS1_20scan_config_selectorIN3c107complexIdEEEEZZNS1_9scan_implILNS1_25lookback_scan_determinismE0ELb0ELb0ES3_PKS7_PS7_S7_ZZZN2at6native31launch_logcumsumexp_cuda_kernelERKNSE_10TensorBaseESI_lENKUlvE_clEvENKUlvE1_clEvEUlS7_S7_E_S7_EEDaPvRmT3_T4_T5_mT6_P12ihipStream_tbENKUlT_T0_E_clISt17integral_constantIbLb1EESZ_EEDaSU_SV_EUlSU_E_NS1_11comp_targetILNS1_3genE0ELNS1_11target_archE4294967295ELNS1_3gpuE0ELNS1_3repE0EEENS1_30default_config_static_selectorELNS0_4arch9wavefront6targetE1EEEvT1_
		.amdhsa_group_segment_fixed_size 0
		.amdhsa_private_segment_fixed_size 0
		.amdhsa_kernarg_size 128
		.amdhsa_user_sgpr_count 2
		.amdhsa_user_sgpr_dispatch_ptr 0
		.amdhsa_user_sgpr_queue_ptr 0
		.amdhsa_user_sgpr_kernarg_segment_ptr 1
		.amdhsa_user_sgpr_dispatch_id 0
		.amdhsa_user_sgpr_kernarg_preload_length 0
		.amdhsa_user_sgpr_kernarg_preload_offset 0
		.amdhsa_user_sgpr_private_segment_size 0
		.amdhsa_uses_dynamic_stack 0
		.amdhsa_enable_private_segment 0
		.amdhsa_system_sgpr_workgroup_id_x 1
		.amdhsa_system_sgpr_workgroup_id_y 0
		.amdhsa_system_sgpr_workgroup_id_z 0
		.amdhsa_system_sgpr_workgroup_info 0
		.amdhsa_system_vgpr_workitem_id 0
		.amdhsa_next_free_vgpr 1
		.amdhsa_next_free_sgpr 0
		.amdhsa_accum_offset 4
		.amdhsa_reserve_vcc 0
		.amdhsa_float_round_mode_32 0
		.amdhsa_float_round_mode_16_64 0
		.amdhsa_float_denorm_mode_32 3
		.amdhsa_float_denorm_mode_16_64 3
		.amdhsa_dx10_clamp 1
		.amdhsa_ieee_mode 1
		.amdhsa_fp16_overflow 0
		.amdhsa_tg_split 0
		.amdhsa_exception_fp_ieee_invalid_op 0
		.amdhsa_exception_fp_denorm_src 0
		.amdhsa_exception_fp_ieee_div_zero 0
		.amdhsa_exception_fp_ieee_overflow 0
		.amdhsa_exception_fp_ieee_underflow 0
		.amdhsa_exception_fp_ieee_inexact 0
		.amdhsa_exception_int_div_zero 0
	.end_amdhsa_kernel
	.section	.text._ZN7rocprim17ROCPRIM_400000_NS6detail17trampoline_kernelINS0_14default_configENS1_20scan_config_selectorIN3c107complexIdEEEEZZNS1_9scan_implILNS1_25lookback_scan_determinismE0ELb0ELb0ES3_PKS7_PS7_S7_ZZZN2at6native31launch_logcumsumexp_cuda_kernelERKNSE_10TensorBaseESI_lENKUlvE_clEvENKUlvE1_clEvEUlS7_S7_E_S7_EEDaPvRmT3_T4_T5_mT6_P12ihipStream_tbENKUlT_T0_E_clISt17integral_constantIbLb1EESZ_EEDaSU_SV_EUlSU_E_NS1_11comp_targetILNS1_3genE0ELNS1_11target_archE4294967295ELNS1_3gpuE0ELNS1_3repE0EEENS1_30default_config_static_selectorELNS0_4arch9wavefront6targetE1EEEvT1_,"axG",@progbits,_ZN7rocprim17ROCPRIM_400000_NS6detail17trampoline_kernelINS0_14default_configENS1_20scan_config_selectorIN3c107complexIdEEEEZZNS1_9scan_implILNS1_25lookback_scan_determinismE0ELb0ELb0ES3_PKS7_PS7_S7_ZZZN2at6native31launch_logcumsumexp_cuda_kernelERKNSE_10TensorBaseESI_lENKUlvE_clEvENKUlvE1_clEvEUlS7_S7_E_S7_EEDaPvRmT3_T4_T5_mT6_P12ihipStream_tbENKUlT_T0_E_clISt17integral_constantIbLb1EESZ_EEDaSU_SV_EUlSU_E_NS1_11comp_targetILNS1_3genE0ELNS1_11target_archE4294967295ELNS1_3gpuE0ELNS1_3repE0EEENS1_30default_config_static_selectorELNS0_4arch9wavefront6targetE1EEEvT1_,comdat
.Lfunc_end211:
	.size	_ZN7rocprim17ROCPRIM_400000_NS6detail17trampoline_kernelINS0_14default_configENS1_20scan_config_selectorIN3c107complexIdEEEEZZNS1_9scan_implILNS1_25lookback_scan_determinismE0ELb0ELb0ES3_PKS7_PS7_S7_ZZZN2at6native31launch_logcumsumexp_cuda_kernelERKNSE_10TensorBaseESI_lENKUlvE_clEvENKUlvE1_clEvEUlS7_S7_E_S7_EEDaPvRmT3_T4_T5_mT6_P12ihipStream_tbENKUlT_T0_E_clISt17integral_constantIbLb1EESZ_EEDaSU_SV_EUlSU_E_NS1_11comp_targetILNS1_3genE0ELNS1_11target_archE4294967295ELNS1_3gpuE0ELNS1_3repE0EEENS1_30default_config_static_selectorELNS0_4arch9wavefront6targetE1EEEvT1_, .Lfunc_end211-_ZN7rocprim17ROCPRIM_400000_NS6detail17trampoline_kernelINS0_14default_configENS1_20scan_config_selectorIN3c107complexIdEEEEZZNS1_9scan_implILNS1_25lookback_scan_determinismE0ELb0ELb0ES3_PKS7_PS7_S7_ZZZN2at6native31launch_logcumsumexp_cuda_kernelERKNSE_10TensorBaseESI_lENKUlvE_clEvENKUlvE1_clEvEUlS7_S7_E_S7_EEDaPvRmT3_T4_T5_mT6_P12ihipStream_tbENKUlT_T0_E_clISt17integral_constantIbLb1EESZ_EEDaSU_SV_EUlSU_E_NS1_11comp_targetILNS1_3genE0ELNS1_11target_archE4294967295ELNS1_3gpuE0ELNS1_3repE0EEENS1_30default_config_static_selectorELNS0_4arch9wavefront6targetE1EEEvT1_
                                        ; -- End function
	.section	.AMDGPU.csdata,"",@progbits
; Kernel info:
; codeLenInByte = 0
; NumSgprs: 6
; NumVgprs: 0
; NumAgprs: 0
; TotalNumVgprs: 0
; ScratchSize: 0
; MemoryBound: 0
; FloatMode: 240
; IeeeMode: 1
; LDSByteSize: 0 bytes/workgroup (compile time only)
; SGPRBlocks: 0
; VGPRBlocks: 0
; NumSGPRsForWavesPerEU: 6
; NumVGPRsForWavesPerEU: 1
; AccumOffset: 4
; Occupancy: 8
; WaveLimiterHint : 0
; COMPUTE_PGM_RSRC2:SCRATCH_EN: 0
; COMPUTE_PGM_RSRC2:USER_SGPR: 2
; COMPUTE_PGM_RSRC2:TRAP_HANDLER: 0
; COMPUTE_PGM_RSRC2:TGID_X_EN: 1
; COMPUTE_PGM_RSRC2:TGID_Y_EN: 0
; COMPUTE_PGM_RSRC2:TGID_Z_EN: 0
; COMPUTE_PGM_RSRC2:TIDIG_COMP_CNT: 0
; COMPUTE_PGM_RSRC3_GFX90A:ACCUM_OFFSET: 0
; COMPUTE_PGM_RSRC3_GFX90A:TG_SPLIT: 0
	.section	.text._ZN7rocprim17ROCPRIM_400000_NS6detail17trampoline_kernelINS0_14default_configENS1_20scan_config_selectorIN3c107complexIdEEEEZZNS1_9scan_implILNS1_25lookback_scan_determinismE0ELb0ELb0ES3_PKS7_PS7_S7_ZZZN2at6native31launch_logcumsumexp_cuda_kernelERKNSE_10TensorBaseESI_lENKUlvE_clEvENKUlvE1_clEvEUlS7_S7_E_S7_EEDaPvRmT3_T4_T5_mT6_P12ihipStream_tbENKUlT_T0_E_clISt17integral_constantIbLb1EESZ_EEDaSU_SV_EUlSU_E_NS1_11comp_targetILNS1_3genE5ELNS1_11target_archE942ELNS1_3gpuE9ELNS1_3repE0EEENS1_30default_config_static_selectorELNS0_4arch9wavefront6targetE1EEEvT1_,"axG",@progbits,_ZN7rocprim17ROCPRIM_400000_NS6detail17trampoline_kernelINS0_14default_configENS1_20scan_config_selectorIN3c107complexIdEEEEZZNS1_9scan_implILNS1_25lookback_scan_determinismE0ELb0ELb0ES3_PKS7_PS7_S7_ZZZN2at6native31launch_logcumsumexp_cuda_kernelERKNSE_10TensorBaseESI_lENKUlvE_clEvENKUlvE1_clEvEUlS7_S7_E_S7_EEDaPvRmT3_T4_T5_mT6_P12ihipStream_tbENKUlT_T0_E_clISt17integral_constantIbLb1EESZ_EEDaSU_SV_EUlSU_E_NS1_11comp_targetILNS1_3genE5ELNS1_11target_archE942ELNS1_3gpuE9ELNS1_3repE0EEENS1_30default_config_static_selectorELNS0_4arch9wavefront6targetE1EEEvT1_,comdat
	.globl	_ZN7rocprim17ROCPRIM_400000_NS6detail17trampoline_kernelINS0_14default_configENS1_20scan_config_selectorIN3c107complexIdEEEEZZNS1_9scan_implILNS1_25lookback_scan_determinismE0ELb0ELb0ES3_PKS7_PS7_S7_ZZZN2at6native31launch_logcumsumexp_cuda_kernelERKNSE_10TensorBaseESI_lENKUlvE_clEvENKUlvE1_clEvEUlS7_S7_E_S7_EEDaPvRmT3_T4_T5_mT6_P12ihipStream_tbENKUlT_T0_E_clISt17integral_constantIbLb1EESZ_EEDaSU_SV_EUlSU_E_NS1_11comp_targetILNS1_3genE5ELNS1_11target_archE942ELNS1_3gpuE9ELNS1_3repE0EEENS1_30default_config_static_selectorELNS0_4arch9wavefront6targetE1EEEvT1_ ; -- Begin function _ZN7rocprim17ROCPRIM_400000_NS6detail17trampoline_kernelINS0_14default_configENS1_20scan_config_selectorIN3c107complexIdEEEEZZNS1_9scan_implILNS1_25lookback_scan_determinismE0ELb0ELb0ES3_PKS7_PS7_S7_ZZZN2at6native31launch_logcumsumexp_cuda_kernelERKNSE_10TensorBaseESI_lENKUlvE_clEvENKUlvE1_clEvEUlS7_S7_E_S7_EEDaPvRmT3_T4_T5_mT6_P12ihipStream_tbENKUlT_T0_E_clISt17integral_constantIbLb1EESZ_EEDaSU_SV_EUlSU_E_NS1_11comp_targetILNS1_3genE5ELNS1_11target_archE942ELNS1_3gpuE9ELNS1_3repE0EEENS1_30default_config_static_selectorELNS0_4arch9wavefront6targetE1EEEvT1_
	.p2align	8
	.type	_ZN7rocprim17ROCPRIM_400000_NS6detail17trampoline_kernelINS0_14default_configENS1_20scan_config_selectorIN3c107complexIdEEEEZZNS1_9scan_implILNS1_25lookback_scan_determinismE0ELb0ELb0ES3_PKS7_PS7_S7_ZZZN2at6native31launch_logcumsumexp_cuda_kernelERKNSE_10TensorBaseESI_lENKUlvE_clEvENKUlvE1_clEvEUlS7_S7_E_S7_EEDaPvRmT3_T4_T5_mT6_P12ihipStream_tbENKUlT_T0_E_clISt17integral_constantIbLb1EESZ_EEDaSU_SV_EUlSU_E_NS1_11comp_targetILNS1_3genE5ELNS1_11target_archE942ELNS1_3gpuE9ELNS1_3repE0EEENS1_30default_config_static_selectorELNS0_4arch9wavefront6targetE1EEEvT1_,@function
_ZN7rocprim17ROCPRIM_400000_NS6detail17trampoline_kernelINS0_14default_configENS1_20scan_config_selectorIN3c107complexIdEEEEZZNS1_9scan_implILNS1_25lookback_scan_determinismE0ELb0ELb0ES3_PKS7_PS7_S7_ZZZN2at6native31launch_logcumsumexp_cuda_kernelERKNSE_10TensorBaseESI_lENKUlvE_clEvENKUlvE1_clEvEUlS7_S7_E_S7_EEDaPvRmT3_T4_T5_mT6_P12ihipStream_tbENKUlT_T0_E_clISt17integral_constantIbLb1EESZ_EEDaSU_SV_EUlSU_E_NS1_11comp_targetILNS1_3genE5ELNS1_11target_archE942ELNS1_3gpuE9ELNS1_3repE0EEENS1_30default_config_static_selectorELNS0_4arch9wavefront6targetE1EEEvT1_: ; @_ZN7rocprim17ROCPRIM_400000_NS6detail17trampoline_kernelINS0_14default_configENS1_20scan_config_selectorIN3c107complexIdEEEEZZNS1_9scan_implILNS1_25lookback_scan_determinismE0ELb0ELb0ES3_PKS7_PS7_S7_ZZZN2at6native31launch_logcumsumexp_cuda_kernelERKNSE_10TensorBaseESI_lENKUlvE_clEvENKUlvE1_clEvEUlS7_S7_E_S7_EEDaPvRmT3_T4_T5_mT6_P12ihipStream_tbENKUlT_T0_E_clISt17integral_constantIbLb1EESZ_EEDaSU_SV_EUlSU_E_NS1_11comp_targetILNS1_3genE5ELNS1_11target_archE942ELNS1_3gpuE9ELNS1_3repE0EEENS1_30default_config_static_selectorELNS0_4arch9wavefront6targetE1EEEvT1_
; %bb.0:
	s_load_dwordx4 s[60:63], s[0:1], 0x38
	s_load_dwordx2 s[64:65], s[0:1], 0x48
	v_mov_b32_e32 v46, v0
	v_cmp_ne_u32_e64 s[34:35], 0, v46
	v_cmp_eq_u32_e64 s[36:37], 0, v46
	s_mov_b32 s32, 0
	s_and_saveexec_b64 s[2:3], s[36:37]
	s_cbranch_execz .LBB212_4
; %bb.1:
	s_mov_b64 s[6:7], exec
	v_mbcnt_lo_u32_b32 v0, s6, 0
	v_mbcnt_hi_u32_b32 v0, s7, v0
	v_cmp_eq_u32_e32 vcc, 0, v0
                                        ; implicit-def: $vgpr1
	s_and_saveexec_b64 s[4:5], vcc
	s_cbranch_execz .LBB212_3
; %bb.2:
	s_load_dwordx2 s[8:9], s[0:1], 0x78
	s_bcnt1_i32_b64 s6, s[6:7]
	v_mov_b32_e32 v1, 0
	v_mov_b32_e32 v2, s6
	s_waitcnt lgkmcnt(0)
	global_atomic_add v1, v1, v2, s[8:9] sc0
.LBB212_3:
	s_or_b64 exec, exec, s[4:5]
	s_waitcnt vmcnt(0)
	v_readfirstlane_b32 s4, v1
	v_mov_b32_e32 v1, 0
	s_nop 0
	v_add_u32_e32 v0, s4, v0
	ds_write_b32 v1, v0
.LBB212_4:
	s_or_b64 exec, exec, s[2:3]
	s_load_dwordx8 s[52:59], s[0:1], 0x0
	s_load_dword s2, s[0:1], 0x50
	s_load_dwordx8 s[44:51], s[0:1], 0x58
	v_mov_b32_e32 v165, 0
	s_waitcnt lgkmcnt(0)
	s_barrier
	ds_read_b32 v0, v165
	s_lshl_b64 s[42:43], s[54:55], 4
	s_add_u32 s3, s52, s42
	s_addc_u32 s4, s53, s43
	s_add_i32 s2, s2, -1
	s_mul_i32 s5, s2, 0xe00
	s_sub_u32 s33, s58, s5
	s_waitcnt lgkmcnt(0)
	v_readfirstlane_b32 s67, v0
	s_subb_u32 s66, s59, 0
	s_mov_b32 s1, 0
	s_mul_i32 s0, s67, 0xe00
	s_cmp_lg_u32 s67, s2
	s_cselect_b64 s[52:53], -1, 0
	s_lshl_b64 s[54:55], s[0:1], 4
	s_add_u32 s2, s3, s54
	s_addc_u32 s3, s4, s55
	s_mov_b64 s[0:1], -1
	s_and_b64 vcc, exec, s[52:53]
	v_lshlrev_b32_e32 v164, 4, v46
	s_barrier
	s_cbranch_vccz .LBB212_6
; %bb.5:
	v_lshl_add_u64 v[44:45], s[2:3], 0, v[164:165]
	v_add_co_u32_e32 v12, vcc, 0x1000, v44
	global_load_dwordx4 v[0:3], v164, s[2:3]
	s_nop 0
	v_addc_co_u32_e32 v13, vcc, 0, v45, vcc
	v_add_co_u32_e32 v14, vcc, 0x2000, v44
	s_mov_b64 s[0:1], 0
	s_nop 0
	v_addc_co_u32_e32 v15, vcc, 0, v45, vcc
	v_add_co_u32_e32 v20, vcc, 0x3000, v44
	global_load_dwordx4 v[4:7], v[12:13], off
	global_load_dwordx4 v[8:11], v[14:15], off
	v_addc_co_u32_e32 v21, vcc, 0, v45, vcc
	v_add_co_u32_e32 v22, vcc, 0x4000, v44
	s_nop 1
	v_addc_co_u32_e32 v23, vcc, 0, v45, vcc
	v_add_co_u32_e32 v28, vcc, 0x5000, v44
	global_load_dwordx4 v[12:15], v[20:21], off
	global_load_dwordx4 v[16:19], v[22:23], off
	v_addc_co_u32_e32 v29, vcc, 0, v45, vcc
	v_add_co_u32_e32 v30, vcc, 0x6000, v44
	;; [unrolled: 7-line block ×5, first 2 shown]
	s_nop 1
	v_addc_co_u32_e32 v59, vcc, 0, v45, vcc
	global_load_dwordx4 v[48:51], v[56:57], off
	global_load_dwordx4 v[52:55], v[58:59], off
	v_add_co_u32_e32 v44, vcc, 0xd000, v44
	s_nop 1
	v_addc_co_u32_e32 v45, vcc, 0, v45, vcc
	global_load_dwordx4 v[56:59], v[44:45], off
	s_waitcnt vmcnt(13)
	ds_write_b128 v164, v[0:3]
	s_waitcnt vmcnt(12)
	ds_write_b128 v164, v[4:7] offset:4096
	s_waitcnt vmcnt(11)
	ds_write_b128 v164, v[8:11] offset:8192
	;; [unrolled: 2-line block ×13, first 2 shown]
	s_waitcnt lgkmcnt(0)
	s_barrier
.LBB212_6:
	s_andn2_b64 vcc, exec, s[0:1]
	v_cmp_gt_u32_e64 s[0:1], s33, v46
	s_cbranch_vccnz .LBB212_36
; %bb.7:
	v_mov_b32_e32 v0, 0
	global_load_dwordx4 v[0:3], v0, s[2:3]
	s_waitcnt vmcnt(0)
	v_mov_b64_e32 v[6:7], v[2:3]
	v_mov_b64_e32 v[4:5], v[0:1]
	s_and_saveexec_b64 s[4:5], s[0:1]
	s_cbranch_execz .LBB212_9
; %bb.8:
	global_load_dwordx4 v[4:7], v164, s[2:3]
.LBB212_9:
	s_or_b64 exec, exec, s[4:5]
	v_or_b32_e32 v12, 0x100, v46
	v_cmp_gt_u32_e32 vcc, s33, v12
	v_mov_b64_e32 v[10:11], v[2:3]
	v_mov_b64_e32 v[8:9], v[0:1]
	s_and_saveexec_b64 s[0:1], vcc
	s_cbranch_execz .LBB212_11
; %bb.10:
	v_lshlrev_b32_e32 v8, 4, v12
	global_load_dwordx4 v[8:11], v8, s[2:3]
.LBB212_11:
	s_or_b64 exec, exec, s[0:1]
	v_or_b32_e32 v16, 0x200, v46
	v_cmp_gt_u32_e32 vcc, s33, v16
	v_mov_b64_e32 v[14:15], v[2:3]
	v_mov_b64_e32 v[12:13], v[0:1]
	s_and_saveexec_b64 s[0:1], vcc
	s_cbranch_execz .LBB212_13
; %bb.12:
	v_lshlrev_b32_e32 v12, 4, v16
	global_load_dwordx4 v[12:15], v12, s[2:3]
.LBB212_13:
	;; [unrolled: 11-line block ×12, first 2 shown]
	s_or_b64 exec, exec, s[0:1]
	v_or_b32_e32 v44, 0xd00, v46
	v_cmp_gt_u32_e32 vcc, s33, v44
	s_and_saveexec_b64 s[0:1], vcc
	s_cbranch_execz .LBB212_35
; %bb.34:
	v_lshlrev_b32_e32 v0, 4, v44
	global_load_dwordx4 v[0:3], v0, s[2:3]
.LBB212_35:
	s_or_b64 exec, exec, s[0:1]
	s_waitcnt vmcnt(0)
	ds_write_b128 v164, v[4:7]
	ds_write_b128 v164, v[8:11] offset:4096
	ds_write_b128 v164, v[12:15] offset:8192
	;; [unrolled: 1-line block ×13, first 2 shown]
	s_waitcnt lgkmcnt(0)
	s_barrier
.LBB212_36:
	v_mul_u32_u24_e32 v166, 14, v46
	v_lshlrev_b32_e32 v41, 4, v166
	ds_read_b128 v[42:45], v41
	ds_read_b128 v[100:103], v41 offset:16
	ds_read_b128 v[96:99], v41 offset:32
	;; [unrolled: 1-line block ×13, first 2 shown]
	s_cmp_lg_u32 s67, 0
	s_waitcnt lgkmcnt(0)
	s_barrier
	s_cbranch_scc0 .LBB212_109
; %bb.37:
	v_mov_b32_e32 v0, v42
	v_mov_b32_e32 v1, v43
	v_mov_b32_e32 v2, v44
	v_mov_b32_e32 v3, v45
	v_mov_b32_e32 v4, v100
	v_mov_b32_e32 v5, v101
	v_mov_b32_e32 v6, v102
	v_mov_b32_e32 v7, v103
	s_getpc_b64 s[38:39]
	s_add_u32 s38, s38, _ZZZZN2at6native31launch_logcumsumexp_cuda_kernelERKNS_10TensorBaseES3_lENKUlvE_clEvENKUlvE1_clEvENKUlN3c107complexIdEES8_E_clES8_S8_@rel32@lo+4
	s_addc_u32 s39, s39, _ZZZZN2at6native31launch_logcumsumexp_cuda_kernelERKNS_10TensorBaseES3_lENKUlvE_clEvENKUlvE1_clEvENKUlN3c107complexIdEES8_E_clES8_S8_@rel32@hi+12
	s_swappc_b64 s[30:31], s[38:39]
	v_mov_b32_e32 v4, v96
	v_mov_b32_e32 v5, v97
	v_mov_b32_e32 v6, v98
	v_mov_b32_e32 v7, v99
	s_swappc_b64 s[30:31], s[38:39]
	v_mov_b32_e32 v4, v92
	v_mov_b32_e32 v5, v93
	v_mov_b32_e32 v6, v94
	v_mov_b32_e32 v7, v95
	;; [unrolled: 5-line block ×12, first 2 shown]
	s_swappc_b64 s[30:31], s[38:39]
	v_mov_b32_e32 v108, v0
	v_mbcnt_lo_u32_b32 v0, -1, 0
	v_mbcnt_hi_u32_b32 v112, -1, v0
	v_mov_b32_e32 v109, v1
	v_mov_b32_e32 v110, v2
	;; [unrolled: 1-line block ×3, first 2 shown]
	v_and_b32_e32 v47, 15, v112
	v_mov_b32_dpp v0, v108 row_shr:1 row_mask:0xf bank_mask:0xf
	v_mov_b32_dpp v1, v109 row_shr:1 row_mask:0xf bank_mask:0xf
	;; [unrolled: 1-line block ×4, first 2 shown]
	v_cmp_ne_u32_e32 vcc, 0, v47
	s_and_saveexec_b64 s[40:41], vcc
	s_cbranch_execz .LBB212_39
; %bb.38:
	v_mov_b32_e32 v4, v108
	v_mov_b32_e32 v5, v109
	;; [unrolled: 1-line block ×4, first 2 shown]
	s_swappc_b64 s[30:31], s[38:39]
	v_mov_b32_e32 v108, v0
	v_mov_b32_e32 v109, v1
	;; [unrolled: 1-line block ×4, first 2 shown]
.LBB212_39:
	s_or_b64 exec, exec, s[40:41]
	v_mov_b32_dpp v0, v108 row_shr:2 row_mask:0xf bank_mask:0xf
	v_mov_b32_dpp v1, v109 row_shr:2 row_mask:0xf bank_mask:0xf
	v_mov_b32_dpp v2, v110 row_shr:2 row_mask:0xf bank_mask:0xf
	v_mov_b32_dpp v3, v111 row_shr:2 row_mask:0xf bank_mask:0xf
	v_cmp_lt_u32_e32 vcc, 1, v47
	s_and_saveexec_b64 s[38:39], vcc
	s_cbranch_execz .LBB212_41
; %bb.40:
	v_mov_b32_e32 v4, v108
	v_mov_b32_e32 v5, v109
	v_mov_b32_e32 v6, v110
	v_mov_b32_e32 v7, v111
	s_getpc_b64 s[0:1]
	s_add_u32 s0, s0, _ZZZZN2at6native31launch_logcumsumexp_cuda_kernelERKNS_10TensorBaseES3_lENKUlvE_clEvENKUlvE1_clEvENKUlN3c107complexIdEES8_E_clES8_S8_@rel32@lo+4
	s_addc_u32 s1, s1, _ZZZZN2at6native31launch_logcumsumexp_cuda_kernelERKNS_10TensorBaseES3_lENKUlvE_clEvENKUlvE1_clEvENKUlN3c107complexIdEES8_E_clES8_S8_@rel32@hi+12
	s_swappc_b64 s[30:31], s[0:1]
	v_mov_b32_e32 v108, v0
	v_mov_b32_e32 v109, v1
	v_mov_b32_e32 v110, v2
	v_mov_b32_e32 v111, v3
.LBB212_41:
	s_or_b64 exec, exec, s[38:39]
	v_mov_b32_dpp v0, v108 row_shr:4 row_mask:0xf bank_mask:0xf
	v_mov_b32_dpp v1, v109 row_shr:4 row_mask:0xf bank_mask:0xf
	v_mov_b32_dpp v2, v110 row_shr:4 row_mask:0xf bank_mask:0xf
	v_mov_b32_dpp v3, v111 row_shr:4 row_mask:0xf bank_mask:0xf
	v_cmp_lt_u32_e32 vcc, 3, v47
	s_and_saveexec_b64 s[38:39], vcc
	s_cbranch_execz .LBB212_43
; %bb.42:
	v_mov_b32_e32 v4, v108
	v_mov_b32_e32 v5, v109
	v_mov_b32_e32 v6, v110
	v_mov_b32_e32 v7, v111
	s_getpc_b64 s[0:1]
	s_add_u32 s0, s0, _ZZZZN2at6native31launch_logcumsumexp_cuda_kernelERKNS_10TensorBaseES3_lENKUlvE_clEvENKUlvE1_clEvENKUlN3c107complexIdEES8_E_clES8_S8_@rel32@lo+4
	s_addc_u32 s1, s1, _ZZZZN2at6native31launch_logcumsumexp_cuda_kernelERKNS_10TensorBaseES3_lENKUlvE_clEvENKUlvE1_clEvENKUlN3c107complexIdEES8_E_clES8_S8_@rel32@hi+12
	s_swappc_b64 s[30:31], s[0:1]
	v_mov_b32_e32 v108, v0
	v_mov_b32_e32 v109, v1
	v_mov_b32_e32 v110, v2
	v_mov_b32_e32 v111, v3
.LBB212_43:
	;; [unrolled: 22-line block ×3, first 2 shown]
	s_or_b64 exec, exec, s[38:39]
	v_and_b32_e32 v4, 16, v112
	v_mov_b32_dpp v0, v108 row_bcast:15 row_mask:0xf bank_mask:0xf
	v_mov_b32_dpp v1, v109 row_bcast:15 row_mask:0xf bank_mask:0xf
	;; [unrolled: 1-line block ×4, first 2 shown]
	v_cmp_ne_u32_e32 vcc, 0, v4
	s_and_saveexec_b64 s[38:39], vcc
	s_cbranch_execz .LBB212_47
; %bb.46:
	v_mov_b32_e32 v4, v108
	v_mov_b32_e32 v5, v109
	;; [unrolled: 1-line block ×4, first 2 shown]
	s_getpc_b64 s[0:1]
	s_add_u32 s0, s0, _ZZZZN2at6native31launch_logcumsumexp_cuda_kernelERKNS_10TensorBaseES3_lENKUlvE_clEvENKUlvE1_clEvENKUlN3c107complexIdEES8_E_clES8_S8_@rel32@lo+4
	s_addc_u32 s1, s1, _ZZZZN2at6native31launch_logcumsumexp_cuda_kernelERKNS_10TensorBaseES3_lENKUlvE_clEvENKUlvE1_clEvENKUlN3c107complexIdEES8_E_clES8_S8_@rel32@hi+12
	s_swappc_b64 s[30:31], s[0:1]
	v_mov_b32_e32 v108, v0
	v_mov_b32_e32 v109, v1
	;; [unrolled: 1-line block ×4, first 2 shown]
.LBB212_47:
	s_or_b64 exec, exec, s[38:39]
	v_mov_b32_dpp v0, v108 row_bcast:31 row_mask:0xf bank_mask:0xf
	v_mov_b32_dpp v1, v109 row_bcast:31 row_mask:0xf bank_mask:0xf
	;; [unrolled: 1-line block ×4, first 2 shown]
	v_cmp_lt_u32_e32 vcc, 31, v112
	s_and_saveexec_b64 s[38:39], vcc
	s_cbranch_execz .LBB212_49
; %bb.48:
	v_mov_b32_e32 v4, v108
	v_mov_b32_e32 v5, v109
	;; [unrolled: 1-line block ×4, first 2 shown]
	s_getpc_b64 s[0:1]
	s_add_u32 s0, s0, _ZZZZN2at6native31launch_logcumsumexp_cuda_kernelERKNS_10TensorBaseES3_lENKUlvE_clEvENKUlvE1_clEvENKUlN3c107complexIdEES8_E_clES8_S8_@rel32@lo+4
	s_addc_u32 s1, s1, _ZZZZN2at6native31launch_logcumsumexp_cuda_kernelERKNS_10TensorBaseES3_lENKUlvE_clEvENKUlvE1_clEvENKUlN3c107complexIdEES8_E_clES8_S8_@rel32@hi+12
	s_swappc_b64 s[30:31], s[0:1]
	v_mov_b32_e32 v108, v0
	v_mov_b32_e32 v109, v1
	v_mov_b32_e32 v110, v2
	v_mov_b32_e32 v111, v3
.LBB212_49:
	s_or_b64 exec, exec, s[38:39]
	v_or_b32_e32 v0, 63, v46
	v_lshrrev_b32_e32 v47, 6, v46
	v_cmp_eq_u32_e32 vcc, v0, v46
	s_and_saveexec_b64 s[0:1], vcc
	s_cbranch_execz .LBB212_51
; %bb.50:
	v_lshlrev_b32_e32 v0, 4, v47
	ds_write_b128 v0, v[108:111]
.LBB212_51:
	s_or_b64 exec, exec, s[0:1]
	v_cmp_gt_u32_e32 vcc, 4, v46
	s_waitcnt lgkmcnt(0)
	s_barrier
	s_and_saveexec_b64 s[38:39], vcc
	s_cbranch_execz .LBB212_57
; %bb.52:
	ds_read_b128 v[4:7], v164
	v_and_b32_e32 v104, 3, v112
	v_cmp_ne_u32_e32 vcc, 0, v104
	s_waitcnt lgkmcnt(0)
	v_mov_b32_dpp v0, v4 row_shr:1 row_mask:0xf bank_mask:0xf
	v_mov_b32_dpp v1, v5 row_shr:1 row_mask:0xf bank_mask:0xf
	;; [unrolled: 1-line block ×4, first 2 shown]
	s_and_saveexec_b64 s[40:41], vcc
	s_cbranch_execz .LBB212_54
; %bb.53:
	s_getpc_b64 s[0:1]
	s_add_u32 s0, s0, _ZZZZN2at6native31launch_logcumsumexp_cuda_kernelERKNS_10TensorBaseES3_lENKUlvE_clEvENKUlvE1_clEvENKUlN3c107complexIdEES8_E_clES8_S8_@rel32@lo+4
	s_addc_u32 s1, s1, _ZZZZN2at6native31launch_logcumsumexp_cuda_kernelERKNS_10TensorBaseES3_lENKUlvE_clEvENKUlvE1_clEvENKUlN3c107complexIdEES8_E_clES8_S8_@rel32@hi+12
	s_swappc_b64 s[30:31], s[0:1]
	v_mov_b32_e32 v4, v0
	v_mov_b32_e32 v5, v1
	;; [unrolled: 1-line block ×4, first 2 shown]
.LBB212_54:
	s_or_b64 exec, exec, s[40:41]
	v_mov_b32_dpp v0, v4 row_shr:2 row_mask:0xf bank_mask:0xf
	v_mov_b32_dpp v1, v5 row_shr:2 row_mask:0xf bank_mask:0xf
	;; [unrolled: 1-line block ×4, first 2 shown]
	v_cmp_lt_u32_e32 vcc, 1, v104
	s_and_saveexec_b64 s[40:41], vcc
	s_cbranch_execz .LBB212_56
; %bb.55:
	s_getpc_b64 s[0:1]
	s_add_u32 s0, s0, _ZZZZN2at6native31launch_logcumsumexp_cuda_kernelERKNS_10TensorBaseES3_lENKUlvE_clEvENKUlvE1_clEvENKUlN3c107complexIdEES8_E_clES8_S8_@rel32@lo+4
	s_addc_u32 s1, s1, _ZZZZN2at6native31launch_logcumsumexp_cuda_kernelERKNS_10TensorBaseES3_lENKUlvE_clEvENKUlvE1_clEvENKUlN3c107complexIdEES8_E_clES8_S8_@rel32@hi+12
	s_swappc_b64 s[30:31], s[0:1]
	v_mov_b32_e32 v4, v0
	v_mov_b32_e32 v5, v1
	;; [unrolled: 1-line block ×4, first 2 shown]
.LBB212_56:
	s_or_b64 exec, exec, s[40:41]
	ds_write_b128 v164, v[4:7]
.LBB212_57:
	s_or_b64 exec, exec, s[38:39]
	v_mov_b64_e32 v[106:107], 0
	v_cmp_gt_u32_e64 s[40:41], 64, v46
	v_cmp_lt_u32_e32 vcc, 63, v46
	v_mov_b64_e32 v[104:105], v[106:107]
	s_waitcnt lgkmcnt(0)
	s_barrier
	s_and_saveexec_b64 s[38:39], vcc
	s_cbranch_execz .LBB212_59
; %bb.58:
	v_lshl_add_u32 v0, v47, 4, -16
	ds_read_b128 v[104:107], v0
	v_mov_b32_e32 v4, v108
	v_mov_b32_e32 v5, v109
	;; [unrolled: 1-line block ×4, first 2 shown]
	s_waitcnt lgkmcnt(0)
	v_mov_b32_e32 v0, v104
	v_mov_b32_e32 v1, v105
	;; [unrolled: 1-line block ×4, first 2 shown]
	s_getpc_b64 s[0:1]
	s_add_u32 s0, s0, _ZZZZN2at6native31launch_logcumsumexp_cuda_kernelERKNS_10TensorBaseES3_lENKUlvE_clEvENKUlvE1_clEvENKUlN3c107complexIdEES8_E_clES8_S8_@rel32@lo+4
	s_addc_u32 s1, s1, _ZZZZN2at6native31launch_logcumsumexp_cuda_kernelERKNS_10TensorBaseES3_lENKUlvE_clEvENKUlvE1_clEvENKUlN3c107complexIdEES8_E_clES8_S8_@rel32@hi+12
	s_swappc_b64 s[30:31], s[0:1]
	v_mov_b32_e32 v108, v0
	v_mov_b32_e32 v109, v1
	;; [unrolled: 1-line block ×4, first 2 shown]
.LBB212_59:
	s_or_b64 exec, exec, s[38:39]
	v_add_u32_e32 v0, -1, v112
	v_and_b32_e32 v1, 64, v112
	v_cmp_lt_i32_e32 vcc, v0, v1
	v_cmp_eq_u32_e64 s[38:39], 0, v112
	s_nop 0
	v_cndmask_b32_e32 v0, v0, v112, vcc
	v_lshlrev_b32_e32 v0, 2, v0
	ds_bpermute_b32 v47, v0, v108
	ds_bpermute_b32 v120, v0, v109
	;; [unrolled: 1-line block ×4, first 2 shown]
	s_and_saveexec_b64 s[58:59], s[40:41]
	s_cbranch_execz .LBB212_106
; %bb.60:
	v_mov_b32_e32 v1, 0
	ds_read_b128 v[108:111], v1 offset:48
	s_and_saveexec_b64 s[0:1], s[38:39]
	s_cbranch_execz .LBB212_62
; %bb.61:
	s_add_i32 s2, s67, 64
	s_mov_b32 s3, 0
	s_lshl_b64 s[4:5], s[2:3], 4
	s_add_u32 s4, s60, s4
	s_addc_u32 s5, s61, s5
	v_mov_b32_e32 v0, s2
	v_mov_b32_e32 v2, 1
	s_waitcnt lgkmcnt(0)
	global_store_dword v1, v108, s[4:5] sc1
	global_store_dword v1, v109, s[4:5] offset:4 sc1
	global_store_dword v1, v110, s[4:5] offset:8 sc1
	;; [unrolled: 1-line block ×3, first 2 shown]
	s_waitcnt vmcnt(0)
	global_store_byte v0, v2, s[64:65] sc1
.LBB212_62:
	s_or_b64 exec, exec, s[0:1]
	v_xad_u32 v116, v112, -1, s67
	v_add_u32_e32 v0, 64, v116
	global_load_ubyte v123, v0, s[64:65] sc1
	s_waitcnt vmcnt(0)
	v_cmp_eq_u16_e32 vcc, 0, v123
	s_and_saveexec_b64 s[0:1], vcc
	s_cbranch_execz .LBB212_68
; %bb.63:
	v_lshl_add_u64 v[2:3], s[64:65], 0, v[0:1]
	s_mov_b32 s4, 1
	s_mov_b64 s[2:3], 0
.LBB212_64:                             ; =>This Loop Header: Depth=1
                                        ;     Child Loop BB212_65 Depth 2
	s_max_u32 s5, s4, 1
.LBB212_65:                             ;   Parent Loop BB212_64 Depth=1
                                        ; =>  This Inner Loop Header: Depth=2
	s_add_i32 s5, s5, -1
	s_cmp_eq_u32 s5, 0
	s_sleep 1
	s_cbranch_scc0 .LBB212_65
; %bb.66:                               ;   in Loop: Header=BB212_64 Depth=1
	global_load_ubyte v123, v[2:3], off sc1
	s_cmp_lt_u32 s4, 32
	s_cselect_b64 s[6:7], -1, 0
	s_cmp_lg_u64 s[6:7], 0
	s_addc_u32 s4, s4, 0
	s_waitcnt vmcnt(0)
	v_cmp_ne_u16_e32 vcc, 0, v123
	s_or_b64 s[2:3], vcc, s[2:3]
	s_andn2_b64 exec, exec, s[2:3]
	s_cbranch_execnz .LBB212_64
; %bb.67:
	s_or_b64 exec, exec, s[2:3]
.LBB212_68:
	s_or_b64 exec, exec, s[0:1]
	v_mov_b32_e32 v2, s63
	v_mov_b32_e32 v3, s61
	v_cmp_eq_u16_e32 vcc, 1, v123
	v_mov_b32_e32 v4, s60
	s_waitcnt vmcnt(0)
	v_cndmask_b32_e32 v3, v2, v3, vcc
	v_mov_b32_e32 v2, s62
	v_cndmask_b32_e32 v2, v2, v4, vcc
	v_lshl_add_u64 v[0:1], v[0:1], 4, v[2:3]
	s_waitcnt lgkmcnt(0)
	global_load_dword v4, v[0:1], off sc1
	global_load_dword v5, v[0:1], off offset:4 sc1
	global_load_dword v6, v[0:1], off offset:8 sc1
	;; [unrolled: 1-line block ×3, first 2 shown]
	v_cmp_eq_u16_e32 vcc, 2, v123
	v_lshlrev_b64 v[118:119], v112, -1
	v_and_b32_e32 v124, 63, v112
	v_and_b32_e32 v0, vcc_hi, v119
	v_and_b32_e32 v8, vcc_lo, v118
	v_cmp_ne_u32_e32 vcc, 63, v124
	v_or_b32_e32 v0, 0x80000000, v0
	v_ffbl_b32_e32 v9, v0
	v_addc_co_u32_e32 v1, vcc, 0, v112, vcc
	v_lshlrev_b32_e32 v125, 2, v1
	v_add_u32_e32 v9, 32, v9
	v_ffbl_b32_e32 v8, v8
	v_min_u32_e32 v113, v8, v9
	v_cmp_lt_u32_e32 vcc, v124, v113
	s_waitcnt vmcnt(3)
	ds_bpermute_b32 v0, v125, v4
	s_waitcnt vmcnt(2)
	ds_bpermute_b32 v1, v125, v5
	;; [unrolled: 2-line block ×4, first 2 shown]
	s_and_saveexec_b64 s[40:41], vcc
	s_cbranch_execz .LBB212_70
; %bb.69:
	s_getpc_b64 s[0:1]
	s_add_u32 s0, s0, _ZZZZN2at6native31launch_logcumsumexp_cuda_kernelERKNS_10TensorBaseES3_lENKUlvE_clEvENKUlvE1_clEvENKUlN3c107complexIdEES8_E_clES8_S8_@rel32@lo+4
	s_addc_u32 s1, s1, _ZZZZN2at6native31launch_logcumsumexp_cuda_kernelERKNS_10TensorBaseES3_lENKUlvE_clEvENKUlvE1_clEvENKUlN3c107complexIdEES8_E_clES8_S8_@rel32@hi+12
	s_swappc_b64 s[30:31], s[0:1]
	v_mov_b32_e32 v4, v0
	v_mov_b32_e32 v5, v1
	v_mov_b32_e32 v6, v2
	v_mov_b32_e32 v7, v3
.LBB212_70:
	s_or_b64 exec, exec, s[40:41]
	v_cmp_gt_u32_e32 vcc, 62, v124
	v_add_u32_e32 v127, 2, v124
	s_waitcnt lgkmcnt(3)
	v_cndmask_b32_e64 v0, 0, 1, vcc
	v_lshlrev_b32_e32 v0, 1, v0
	v_add_lshl_u32 v126, v0, v112, 2
	ds_bpermute_b32 v0, v126, v4
	s_waitcnt lgkmcnt(3)
	ds_bpermute_b32 v1, v126, v5
	s_waitcnt lgkmcnt(3)
	ds_bpermute_b32 v2, v126, v6
	s_waitcnt lgkmcnt(3)
	ds_bpermute_b32 v3, v126, v7
	v_cmp_le_u32_e32 vcc, v127, v113
	s_and_saveexec_b64 s[40:41], vcc
	s_cbranch_execz .LBB212_72
; %bb.71:
	s_getpc_b64 s[0:1]
	s_add_u32 s0, s0, _ZZZZN2at6native31launch_logcumsumexp_cuda_kernelERKNS_10TensorBaseES3_lENKUlvE_clEvENKUlvE1_clEvENKUlN3c107complexIdEES8_E_clES8_S8_@rel32@lo+4
	s_addc_u32 s1, s1, _ZZZZN2at6native31launch_logcumsumexp_cuda_kernelERKNS_10TensorBaseES3_lENKUlvE_clEvENKUlvE1_clEvENKUlN3c107complexIdEES8_E_clES8_S8_@rel32@hi+12
	s_swappc_b64 s[30:31], s[0:1]
	v_mov_b32_e32 v4, v0
	v_mov_b32_e32 v5, v1
	v_mov_b32_e32 v6, v2
	v_mov_b32_e32 v7, v3
.LBB212_72:
	s_or_b64 exec, exec, s[40:41]
	v_cmp_gt_u32_e32 vcc, 60, v124
	v_add_u32_e32 v129, 4, v124
	s_waitcnt lgkmcnt(3)
	v_cndmask_b32_e64 v0, 0, 1, vcc
	v_lshlrev_b32_e32 v0, 2, v0
	v_add_lshl_u32 v128, v0, v112, 2
	ds_bpermute_b32 v0, v128, v4
	s_waitcnt lgkmcnt(3)
	ds_bpermute_b32 v1, v128, v5
	s_waitcnt lgkmcnt(3)
	ds_bpermute_b32 v2, v128, v6
	s_waitcnt lgkmcnt(3)
	ds_bpermute_b32 v3, v128, v7
	v_cmp_le_u32_e32 vcc, v129, v113
	;; [unrolled: 27-line block ×5, first 2 shown]
	s_and_saveexec_b64 s[40:41], vcc
	s_cbranch_execz .LBB212_80
; %bb.79:
	s_getpc_b64 s[0:1]
	s_add_u32 s0, s0, _ZZZZN2at6native31launch_logcumsumexp_cuda_kernelERKNS_10TensorBaseES3_lENKUlvE_clEvENKUlvE1_clEvENKUlN3c107complexIdEES8_E_clES8_S8_@rel32@lo+4
	s_addc_u32 s1, s1, _ZZZZN2at6native31launch_logcumsumexp_cuda_kernelERKNS_10TensorBaseES3_lENKUlvE_clEvENKUlvE1_clEvENKUlN3c107complexIdEES8_E_clES8_S8_@rel32@hi+12
	s_swappc_b64 s[30:31], s[0:1]
	v_mov_b32_e32 v4, v0
	v_mov_b32_e32 v5, v1
	;; [unrolled: 1-line block ×4, first 2 shown]
.LBB212_80:
	s_or_b64 exec, exec, s[40:41]
	v_mov_b32_e32 v117, 0
	v_mov_b32_e32 v136, 2
	s_branch .LBB212_82
.LBB212_81:                             ;   in Loop: Header=BB212_82 Depth=1
	s_or_b64 exec, exec, s[40:41]
	s_waitcnt lgkmcnt(3)
	v_mov_b32_e32 v0, v4
	s_waitcnt lgkmcnt(2)
	v_mov_b32_e32 v1, v5
	;; [unrolled: 2-line block ×4, first 2 shown]
	v_mov_b32_e32 v4, v112
	v_mov_b32_e32 v5, v113
	;; [unrolled: 1-line block ×4, first 2 shown]
	v_subrev_u32_e32 v116, 64, v116
	s_getpc_b64 s[0:1]
	s_add_u32 s0, s0, _ZZZZN2at6native31launch_logcumsumexp_cuda_kernelERKNS_10TensorBaseES3_lENKUlvE_clEvENKUlvE1_clEvENKUlN3c107complexIdEES8_E_clES8_S8_@rel32@lo+4
	s_addc_u32 s1, s1, _ZZZZN2at6native31launch_logcumsumexp_cuda_kernelERKNS_10TensorBaseES3_lENKUlvE_clEvENKUlvE1_clEvENKUlN3c107complexIdEES8_E_clES8_S8_@rel32@hi+12
	s_swappc_b64 s[30:31], s[0:1]
	v_mov_b32_e32 v4, v0
	v_mov_b32_e32 v5, v1
	;; [unrolled: 1-line block ×4, first 2 shown]
.LBB212_82:                             ; =>This Loop Header: Depth=1
                                        ;     Child Loop BB212_85 Depth 2
                                        ;       Child Loop BB212_86 Depth 3
	v_cmp_ne_u16_sdwa s[0:1], v123, v136 src0_sel:BYTE_0 src1_sel:DWORD
	v_mov_b64_e32 v[114:115], v[6:7]
	v_mov_b64_e32 v[112:113], v[4:5]
	s_waitcnt lgkmcnt(3)
	v_cndmask_b32_e64 v0, 0, 1, s[0:1]
	;;#ASMSTART
	;;#ASMEND
	s_nop 0
	v_cmp_ne_u32_e32 vcc, 0, v0
	s_cmp_lg_u64 vcc, exec
	s_cbranch_scc1 .LBB212_101
; %bb.83:                               ;   in Loop: Header=BB212_82 Depth=1
	global_load_ubyte v123, v116, s[64:65] sc1
	s_waitcnt vmcnt(0)
	v_cmp_eq_u16_e32 vcc, 0, v123
	s_and_saveexec_b64 s[0:1], vcc
	s_cbranch_execz .LBB212_89
; %bb.84:                               ;   in Loop: Header=BB212_82 Depth=1
	s_waitcnt lgkmcnt(2)
	v_lshl_add_u64 v[0:1], s[64:65], 0, v[116:117]
	s_mov_b32 s4, 1
	s_mov_b64 s[2:3], 0
.LBB212_85:                             ;   Parent Loop BB212_82 Depth=1
                                        ; =>  This Loop Header: Depth=2
                                        ;       Child Loop BB212_86 Depth 3
	s_max_u32 s5, s4, 1
.LBB212_86:                             ;   Parent Loop BB212_82 Depth=1
                                        ;     Parent Loop BB212_85 Depth=2
                                        ; =>    This Inner Loop Header: Depth=3
	s_add_i32 s5, s5, -1
	s_cmp_eq_u32 s5, 0
	s_sleep 1
	s_cbranch_scc0 .LBB212_86
; %bb.87:                               ;   in Loop: Header=BB212_85 Depth=2
	global_load_ubyte v123, v[0:1], off sc1
	s_cmp_lt_u32 s4, 32
	s_cselect_b64 s[6:7], -1, 0
	s_cmp_lg_u64 s[6:7], 0
	s_addc_u32 s4, s4, 0
	s_waitcnt vmcnt(0)
	v_cmp_ne_u16_e32 vcc, 0, v123
	s_or_b64 s[2:3], vcc, s[2:3]
	s_andn2_b64 exec, exec, s[2:3]
	s_cbranch_execnz .LBB212_85
; %bb.88:                               ;   in Loop: Header=BB212_82 Depth=1
	s_or_b64 exec, exec, s[2:3]
.LBB212_89:                             ;   in Loop: Header=BB212_82 Depth=1
	s_or_b64 exec, exec, s[0:1]
	v_mov_b32_e32 v0, s63
	s_waitcnt lgkmcnt(2)
	v_mov_b32_e32 v1, s61
	v_cmp_eq_u16_e32 vcc, 1, v123
	s_waitcnt lgkmcnt(1)
	v_mov_b32_e32 v2, s60
	s_waitcnt vmcnt(0)
	v_cndmask_b32_e32 v1, v0, v1, vcc
	v_mov_b32_e32 v0, s62
	v_cndmask_b32_e32 v0, v0, v2, vcc
	v_lshl_add_u64 v[0:1], v[116:117], 4, v[0:1]
	s_waitcnt lgkmcnt(0)
	global_load_dword v4, v[0:1], off sc1
	global_load_dword v5, v[0:1], off offset:4 sc1
	global_load_dword v6, v[0:1], off offset:8 sc1
	;; [unrolled: 1-line block ×3, first 2 shown]
	v_cmp_eq_u16_e32 vcc, 2, v123
	s_waitcnt vmcnt(2)
	ds_bpermute_b32 v1, v125, v5
	v_and_b32_e32 v0, vcc_hi, v119
	v_or_b32_e32 v0, 0x80000000, v0
	v_ffbl_b32_e32 v9, v0
	ds_bpermute_b32 v0, v125, v4
	s_waitcnt vmcnt(1)
	ds_bpermute_b32 v2, v125, v6
	s_waitcnt vmcnt(0)
	ds_bpermute_b32 v3, v125, v7
	v_and_b32_e32 v8, vcc_lo, v118
	v_add_u32_e32 v9, 32, v9
	v_ffbl_b32_e32 v8, v8
	v_min_u32_e32 v137, v8, v9
	v_cmp_lt_u32_e32 vcc, v124, v137
	s_and_saveexec_b64 s[40:41], vcc
	s_cbranch_execz .LBB212_91
; %bb.90:                               ;   in Loop: Header=BB212_82 Depth=1
	s_getpc_b64 s[0:1]
	s_add_u32 s0, s0, _ZZZZN2at6native31launch_logcumsumexp_cuda_kernelERKNS_10TensorBaseES3_lENKUlvE_clEvENKUlvE1_clEvENKUlN3c107complexIdEES8_E_clES8_S8_@rel32@lo+4
	s_addc_u32 s1, s1, _ZZZZN2at6native31launch_logcumsumexp_cuda_kernelERKNS_10TensorBaseES3_lENKUlvE_clEvENKUlvE1_clEvENKUlN3c107complexIdEES8_E_clES8_S8_@rel32@hi+12
	s_swappc_b64 s[30:31], s[0:1]
	v_mov_b32_e32 v4, v0
	v_mov_b32_e32 v5, v1
	;; [unrolled: 1-line block ×4, first 2 shown]
.LBB212_91:                             ;   in Loop: Header=BB212_82 Depth=1
	s_or_b64 exec, exec, s[40:41]
	s_waitcnt lgkmcnt(2)
	ds_bpermute_b32 v0, v126, v4
	ds_bpermute_b32 v1, v126, v5
	s_waitcnt lgkmcnt(3)
	ds_bpermute_b32 v2, v126, v6
	s_waitcnt lgkmcnt(3)
	ds_bpermute_b32 v3, v126, v7
	v_cmp_le_u32_e32 vcc, v127, v137
	s_and_saveexec_b64 s[40:41], vcc
	s_cbranch_execz .LBB212_93
; %bb.92:                               ;   in Loop: Header=BB212_82 Depth=1
	s_getpc_b64 s[0:1]
	s_add_u32 s0, s0, _ZZZZN2at6native31launch_logcumsumexp_cuda_kernelERKNS_10TensorBaseES3_lENKUlvE_clEvENKUlvE1_clEvENKUlN3c107complexIdEES8_E_clES8_S8_@rel32@lo+4
	s_addc_u32 s1, s1, _ZZZZN2at6native31launch_logcumsumexp_cuda_kernelERKNS_10TensorBaseES3_lENKUlvE_clEvENKUlvE1_clEvENKUlN3c107complexIdEES8_E_clES8_S8_@rel32@hi+12
	s_swappc_b64 s[30:31], s[0:1]
	v_mov_b32_e32 v4, v0
	v_mov_b32_e32 v5, v1
	v_mov_b32_e32 v6, v2
	v_mov_b32_e32 v7, v3
.LBB212_93:                             ;   in Loop: Header=BB212_82 Depth=1
	s_or_b64 exec, exec, s[40:41]
	s_waitcnt lgkmcnt(3)
	ds_bpermute_b32 v0, v128, v4
	s_waitcnt lgkmcnt(3)
	ds_bpermute_b32 v1, v128, v5
	s_waitcnt lgkmcnt(3)
	ds_bpermute_b32 v2, v128, v6
	s_waitcnt lgkmcnt(3)
	ds_bpermute_b32 v3, v128, v7
	v_cmp_le_u32_e32 vcc, v129, v137
	s_and_saveexec_b64 s[40:41], vcc
	s_cbranch_execz .LBB212_95
; %bb.94:                               ;   in Loop: Header=BB212_82 Depth=1
	s_getpc_b64 s[0:1]
	s_add_u32 s0, s0, _ZZZZN2at6native31launch_logcumsumexp_cuda_kernelERKNS_10TensorBaseES3_lENKUlvE_clEvENKUlvE1_clEvENKUlN3c107complexIdEES8_E_clES8_S8_@rel32@lo+4
	s_addc_u32 s1, s1, _ZZZZN2at6native31launch_logcumsumexp_cuda_kernelERKNS_10TensorBaseES3_lENKUlvE_clEvENKUlvE1_clEvENKUlN3c107complexIdEES8_E_clES8_S8_@rel32@hi+12
	s_swappc_b64 s[30:31], s[0:1]
	v_mov_b32_e32 v4, v0
	v_mov_b32_e32 v5, v1
	v_mov_b32_e32 v6, v2
	v_mov_b32_e32 v7, v3
.LBB212_95:                             ;   in Loop: Header=BB212_82 Depth=1
	s_or_b64 exec, exec, s[40:41]
	s_waitcnt lgkmcnt(3)
	ds_bpermute_b32 v0, v130, v4
	s_waitcnt lgkmcnt(3)
	;; [unrolled: 22-line block ×4, first 2 shown]
	ds_bpermute_b32 v1, v134, v5
	s_waitcnt lgkmcnt(3)
	ds_bpermute_b32 v2, v134, v6
	s_waitcnt lgkmcnt(3)
	ds_bpermute_b32 v3, v134, v7
	v_cmp_le_u32_e32 vcc, v135, v137
	s_and_saveexec_b64 s[40:41], vcc
	s_cbranch_execz .LBB212_81
; %bb.100:                              ;   in Loop: Header=BB212_82 Depth=1
	s_getpc_b64 s[0:1]
	s_add_u32 s0, s0, _ZZZZN2at6native31launch_logcumsumexp_cuda_kernelERKNS_10TensorBaseES3_lENKUlvE_clEvENKUlvE1_clEvENKUlN3c107complexIdEES8_E_clES8_S8_@rel32@lo+4
	s_addc_u32 s1, s1, _ZZZZN2at6native31launch_logcumsumexp_cuda_kernelERKNS_10TensorBaseES3_lENKUlvE_clEvENKUlvE1_clEvENKUlN3c107complexIdEES8_E_clES8_S8_@rel32@hi+12
	s_swappc_b64 s[30:31], s[0:1]
	v_mov_b32_e32 v4, v0
	v_mov_b32_e32 v5, v1
	;; [unrolled: 1-line block ×4, first 2 shown]
	s_branch .LBB212_81
.LBB212_101:                            ;   in Loop: Header=BB212_82 Depth=1
                                        ; implicit-def: $vgpr6_vgpr7
                                        ; implicit-def: $vgpr4_vgpr5
                                        ; implicit-def: $vgpr123
	s_cbranch_execz .LBB212_82
; %bb.102:
	s_and_saveexec_b64 s[40:41], s[38:39]
	s_cbranch_execz .LBB212_104
; %bb.103:
	v_mov_b32_e32 v0, v112
	s_waitcnt lgkmcnt(2)
	v_mov_b32_e32 v1, v113
	s_waitcnt lgkmcnt(1)
	v_mov_b32_e32 v2, v114
	s_waitcnt lgkmcnt(0)
	v_mov_b32_e32 v3, v115
	v_mov_b32_e32 v4, v108
	;; [unrolled: 1-line block ×5, first 2 shown]
	s_getpc_b64 s[0:1]
	s_add_u32 s0, s0, _ZZZZN2at6native31launch_logcumsumexp_cuda_kernelERKNS_10TensorBaseES3_lENKUlvE_clEvENKUlvE1_clEvENKUlN3c107complexIdEES8_E_clES8_S8_@rel32@lo+4
	s_addc_u32 s1, s1, _ZZZZN2at6native31launch_logcumsumexp_cuda_kernelERKNS_10TensorBaseES3_lENKUlvE_clEvENKUlvE1_clEvENKUlN3c107complexIdEES8_E_clES8_S8_@rel32@hi+12
	s_swappc_b64 s[30:31], s[0:1]
	s_add_i32 s0, s67, 64
	s_mov_b32 s1, 0
	s_lshl_b64 s[2:3], s[0:1], 4
	s_add_u32 s2, s62, s2
	s_addc_u32 s3, s63, s3
	v_mov_b32_e32 v4, 0
	global_store_dword v4, v0, s[2:3] sc1
	global_store_dword v4, v1, s[2:3] offset:4 sc1
	global_store_dword v4, v2, s[2:3] offset:8 sc1
	;; [unrolled: 1-line block ×3, first 2 shown]
	v_mov_b32_e32 v0, s0
	v_mov_b32_e32 v1, 2
	s_waitcnt vmcnt(0)
	global_store_byte v0, v1, s[64:65] sc1
.LBB212_104:
	s_or_b64 exec, exec, s[40:41]
	s_and_b64 exec, exec, s[36:37]
	s_cbranch_execz .LBB212_106
; %bb.105:
	v_mov_b32_e32 v0, 0
	ds_write_b128 v0, v[112:115] offset:48
.LBB212_106:
	s_or_b64 exec, exec, s[58:59]
	v_mov_b32_e32 v0, 0
	s_waitcnt lgkmcnt(0)
	s_barrier
	ds_read_b128 v[108:111], v0 offset:48
	v_mov_b64_e32 v[6:7], v[44:45]
	v_mov_b64_e32 v[4:5], v[42:43]
	s_and_saveexec_b64 s[40:41], s[34:35]
	s_cbranch_execz .LBB212_108
; %bb.107:
	v_cndmask_b32_e64 v2, v121, v106, s[38:39]
	v_cndmask_b32_e64 v3, v122, v107, s[38:39]
	;; [unrolled: 1-line block ×4, first 2 shown]
	v_mov_b32_e32 v4, v42
	v_mov_b32_e32 v5, v43
	;; [unrolled: 1-line block ×4, first 2 shown]
	s_getpc_b64 s[0:1]
	s_add_u32 s0, s0, _ZZZZN2at6native31launch_logcumsumexp_cuda_kernelERKNS_10TensorBaseES3_lENKUlvE_clEvENKUlvE1_clEvENKUlN3c107complexIdEES8_E_clES8_S8_@rel32@lo+4
	s_addc_u32 s1, s1, _ZZZZN2at6native31launch_logcumsumexp_cuda_kernelERKNS_10TensorBaseES3_lENKUlvE_clEvENKUlvE1_clEvENKUlN3c107complexIdEES8_E_clES8_S8_@rel32@hi+12
	s_swappc_b64 s[30:31], s[0:1]
	v_mov_b32_e32 v4, v0
	v_mov_b32_e32 v5, v1
	;; [unrolled: 1-line block ×4, first 2 shown]
.LBB212_108:
	s_or_b64 exec, exec, s[40:41]
	s_waitcnt lgkmcnt(0)
	v_mov_b32_e32 v0, v108
	v_mov_b32_e32 v1, v109
	;; [unrolled: 1-line block ×4, first 2 shown]
	s_getpc_b64 s[38:39]
	s_add_u32 s38, s38, _ZZZZN2at6native31launch_logcumsumexp_cuda_kernelERKNS_10TensorBaseES3_lENKUlvE_clEvENKUlvE1_clEvENKUlN3c107complexIdEES8_E_clES8_S8_@rel32@lo+4
	s_addc_u32 s39, s39, _ZZZZN2at6native31launch_logcumsumexp_cuda_kernelERKNS_10TensorBaseES3_lENKUlvE_clEvENKUlvE1_clEvENKUlN3c107complexIdEES8_E_clES8_S8_@rel32@hi+12
	s_swappc_b64 s[30:31], s[38:39]
	v_mov_b32_e32 v4, v100
	v_mov_b32_e32 v5, v101
	v_mov_b32_e32 v6, v102
	v_mov_b32_e32 v7, v103
	v_mov_b32_e32 v156, v0
	v_mov_b32_e32 v157, v1
	v_mov_b32_e32 v158, v2
	v_mov_b32_e32 v159, v3
	s_swappc_b64 s[30:31], s[38:39]
	v_mov_b32_e32 v4, v96
	v_mov_b32_e32 v5, v97
	v_mov_b32_e32 v6, v98
	v_mov_b32_e32 v7, v99
	v_mov_b32_e32 v104, v0
	v_mov_b32_e32 v105, v1
	v_mov_b32_e32 v106, v2
	v_mov_b32_e32 v107, v3
	;; [unrolled: 9-line block ×13, first 2 shown]
	s_swappc_b64 s[30:31], s[38:39]
	v_mov_b32_e32 v152, v0
	v_mov_b32_e32 v153, v1
	;; [unrolled: 1-line block ×4, first 2 shown]
	s_branch .LBB212_139
.LBB212_109:
                                        ; implicit-def: $vgpr156_vgpr157
                                        ; implicit-def: $vgpr104_vgpr105
                                        ; implicit-def: $vgpr108_vgpr109
                                        ; implicit-def: $vgpr112_vgpr113
                                        ; implicit-def: $vgpr116_vgpr117
                                        ; implicit-def: $vgpr120_vgpr121
                                        ; implicit-def: $vgpr124_vgpr125
                                        ; implicit-def: $vgpr128_vgpr129
                                        ; implicit-def: $vgpr132_vgpr133
                                        ; implicit-def: $vgpr136_vgpr137
                                        ; implicit-def: $vgpr140_vgpr141
                                        ; implicit-def: $vgpr144_vgpr145
                                        ; implicit-def: $vgpr148_vgpr149
                                        ; implicit-def: $vgpr152_vgpr153
	s_cbranch_execz .LBB212_139
; %bb.110:
	s_cmp_lg_u64 s[48:49], 0
	s_cselect_b64 s[0:1], -1, 0
	s_and_b64 s[0:1], s[36:37], s[0:1]
	s_and_saveexec_b64 s[36:37], s[0:1]
	s_cbranch_execz .LBB212_112
; %bb.111:
	v_mov_b32_e32 v0, 0
	global_load_dwordx4 v[0:3], v0, s[44:45]
	v_mov_b32_e32 v4, v42
	v_mov_b32_e32 v5, v43
	;; [unrolled: 1-line block ×4, first 2 shown]
	s_getpc_b64 s[0:1]
	s_add_u32 s0, s0, _ZZZZN2at6native31launch_logcumsumexp_cuda_kernelERKNS_10TensorBaseES3_lENKUlvE_clEvENKUlvE1_clEvENKUlN3c107complexIdEES8_E_clES8_S8_@rel32@lo+4
	s_addc_u32 s1, s1, _ZZZZN2at6native31launch_logcumsumexp_cuda_kernelERKNS_10TensorBaseES3_lENKUlvE_clEvENKUlvE1_clEvENKUlN3c107complexIdEES8_E_clES8_S8_@rel32@hi+12
	s_swappc_b64 s[30:31], s[0:1]
	v_mov_b32_e32 v42, v0
	v_mov_b32_e32 v43, v1
	;; [unrolled: 1-line block ×4, first 2 shown]
.LBB212_112:
	s_or_b64 exec, exec, s[36:37]
	v_mov_b32_e32 v0, v42
	v_mov_b32_e32 v1, v43
	;; [unrolled: 1-line block ×8, first 2 shown]
	s_getpc_b64 s[36:37]
	s_add_u32 s36, s36, _ZZZZN2at6native31launch_logcumsumexp_cuda_kernelERKNS_10TensorBaseES3_lENKUlvE_clEvENKUlvE1_clEvENKUlN3c107complexIdEES8_E_clES8_S8_@rel32@lo+4
	s_addc_u32 s37, s37, _ZZZZN2at6native31launch_logcumsumexp_cuda_kernelERKNS_10TensorBaseES3_lENKUlvE_clEvENKUlvE1_clEvENKUlN3c107complexIdEES8_E_clES8_S8_@rel32@hi+12
	s_swappc_b64 s[30:31], s[36:37]
	v_mov_b32_e32 v4, v96
	v_mov_b32_e32 v5, v97
	v_mov_b32_e32 v6, v98
	v_mov_b32_e32 v7, v99
	v_mov_b32_e32 v104, v0
	v_mov_b32_e32 v105, v1
	v_mov_b32_e32 v106, v2
	v_mov_b32_e32 v107, v3
	s_swappc_b64 s[30:31], s[36:37]
	v_mov_b32_e32 v4, v92
	v_mov_b32_e32 v5, v93
	v_mov_b32_e32 v6, v94
	v_mov_b32_e32 v7, v95
	v_mov_b32_e32 v108, v0
	v_mov_b32_e32 v109, v1
	v_mov_b32_e32 v110, v2
	v_mov_b32_e32 v111, v3
	s_swappc_b64 s[30:31], s[36:37]
	v_mov_b32_e32 v4, v88
	v_mov_b32_e32 v5, v89
	v_mov_b32_e32 v6, v90
	v_mov_b32_e32 v7, v91
	v_mov_b32_e32 v112, v0
	v_mov_b32_e32 v113, v1
	v_mov_b32_e32 v114, v2
	v_mov_b32_e32 v115, v3
	s_swappc_b64 s[30:31], s[36:37]
	v_mov_b32_e32 v4, v84
	v_mov_b32_e32 v5, v85
	v_mov_b32_e32 v6, v86
	v_mov_b32_e32 v7, v87
	v_mov_b32_e32 v116, v0
	v_mov_b32_e32 v117, v1
	v_mov_b32_e32 v118, v2
	v_mov_b32_e32 v119, v3
	s_swappc_b64 s[30:31], s[36:37]
	v_mov_b32_e32 v4, v80
	v_mov_b32_e32 v5, v81
	v_mov_b32_e32 v6, v82
	v_mov_b32_e32 v7, v83
	v_mov_b32_e32 v120, v0
	v_mov_b32_e32 v121, v1
	v_mov_b32_e32 v122, v2
	v_mov_b32_e32 v123, v3
	s_swappc_b64 s[30:31], s[36:37]
	v_mov_b32_e32 v4, v76
	v_mov_b32_e32 v5, v77
	v_mov_b32_e32 v6, v78
	v_mov_b32_e32 v7, v79
	v_mov_b32_e32 v124, v0
	v_mov_b32_e32 v125, v1
	v_mov_b32_e32 v126, v2
	v_mov_b32_e32 v127, v3
	s_swappc_b64 s[30:31], s[36:37]
	v_mov_b32_e32 v4, v72
	v_mov_b32_e32 v5, v73
	v_mov_b32_e32 v6, v74
	v_mov_b32_e32 v7, v75
	v_mov_b32_e32 v128, v0
	v_mov_b32_e32 v129, v1
	v_mov_b32_e32 v130, v2
	v_mov_b32_e32 v131, v3
	s_swappc_b64 s[30:31], s[36:37]
	v_mov_b32_e32 v4, v68
	v_mov_b32_e32 v5, v69
	v_mov_b32_e32 v6, v70
	v_mov_b32_e32 v7, v71
	v_mov_b32_e32 v132, v0
	v_mov_b32_e32 v133, v1
	v_mov_b32_e32 v134, v2
	v_mov_b32_e32 v135, v3
	s_swappc_b64 s[30:31], s[36:37]
	v_mov_b32_e32 v4, v64
	v_mov_b32_e32 v5, v65
	v_mov_b32_e32 v6, v66
	v_mov_b32_e32 v7, v67
	v_mov_b32_e32 v136, v0
	v_mov_b32_e32 v137, v1
	v_mov_b32_e32 v138, v2
	v_mov_b32_e32 v139, v3
	s_swappc_b64 s[30:31], s[36:37]
	v_mov_b32_e32 v4, v60
	v_mov_b32_e32 v5, v61
	v_mov_b32_e32 v6, v62
	v_mov_b32_e32 v7, v63
	v_mov_b32_e32 v140, v0
	v_mov_b32_e32 v141, v1
	v_mov_b32_e32 v142, v2
	v_mov_b32_e32 v143, v3
	s_swappc_b64 s[30:31], s[36:37]
	v_mov_b32_e32 v4, v56
	v_mov_b32_e32 v5, v57
	v_mov_b32_e32 v6, v58
	v_mov_b32_e32 v7, v59
	v_mov_b32_e32 v144, v0
	v_mov_b32_e32 v145, v1
	v_mov_b32_e32 v146, v2
	v_mov_b32_e32 v147, v3
	s_swappc_b64 s[30:31], s[36:37]
	v_mov_b32_e32 v4, v52
	v_mov_b32_e32 v5, v53
	v_mov_b32_e32 v6, v54
	v_mov_b32_e32 v7, v55
	v_mov_b32_e32 v148, v0
	v_mov_b32_e32 v149, v1
	v_mov_b32_e32 v150, v2
	v_mov_b32_e32 v151, v3
	s_swappc_b64 s[30:31], s[36:37]
	v_mov_b32_e32 v152, v0
	v_mbcnt_lo_u32_b32 v0, -1, 0
	v_mbcnt_hi_u32_b32 v47, -1, v0
	v_mov_b32_e32 v153, v1
	v_mov_b32_e32 v154, v2
	;; [unrolled: 1-line block ×3, first 2 shown]
	v_and_b32_e32 v160, 15, v47
	v_mov_b32_dpp v4, v152 row_shr:1 row_mask:0xf bank_mask:0xf
	v_mov_b32_dpp v5, v153 row_shr:1 row_mask:0xf bank_mask:0xf
	v_mov_b32_dpp v6, v154 row_shr:1 row_mask:0xf bank_mask:0xf
	v_mov_b32_dpp v7, v155 row_shr:1 row_mask:0xf bank_mask:0xf
	v_cmp_ne_u32_e32 vcc, 0, v160
	v_mov_b64_e32 v[158:159], v[154:155]
	v_mov_b64_e32 v[156:157], v[152:153]
	v_mov_b32_e32 v0, v152
	s_and_saveexec_b64 s[38:39], vcc
	s_cbranch_execz .LBB212_114
; %bb.113:
	v_mov_b32_e32 v0, v4
	v_mov_b32_e32 v1, v5
	;; [unrolled: 1-line block ×8, first 2 shown]
	s_swappc_b64 s[30:31], s[36:37]
	v_mov_b32_e32 v156, v0
	v_mov_b32_e32 v157, v1
	;; [unrolled: 1-line block ×4, first 2 shown]
.LBB212_114:
	s_or_b64 exec, exec, s[38:39]
	v_mov_b32_dpp v4, v0 row_shr:2 row_mask:0xf bank_mask:0xf
	v_mov_b32_dpp v5, v1 row_shr:2 row_mask:0xf bank_mask:0xf
	v_mov_b32_dpp v6, v2 row_shr:2 row_mask:0xf bank_mask:0xf
	v_mov_b32_dpp v7, v3 row_shr:2 row_mask:0xf bank_mask:0xf
	v_cmp_lt_u32_e32 vcc, 1, v160
	s_and_saveexec_b64 s[36:37], vcc
	s_cbranch_execz .LBB212_116
; %bb.115:
	v_mov_b32_e32 v0, v4
	v_mov_b32_e32 v1, v5
	v_mov_b32_e32 v2, v6
	v_mov_b32_e32 v3, v7
	v_mov_b32_e32 v4, v156
	v_mov_b32_e32 v5, v157
	v_mov_b32_e32 v6, v158
	v_mov_b32_e32 v7, v159
	s_getpc_b64 s[0:1]
	s_add_u32 s0, s0, _ZZZZN2at6native31launch_logcumsumexp_cuda_kernelERKNS_10TensorBaseES3_lENKUlvE_clEvENKUlvE1_clEvENKUlN3c107complexIdEES8_E_clES8_S8_@rel32@lo+4
	s_addc_u32 s1, s1, _ZZZZN2at6native31launch_logcumsumexp_cuda_kernelERKNS_10TensorBaseES3_lENKUlvE_clEvENKUlvE1_clEvENKUlN3c107complexIdEES8_E_clES8_S8_@rel32@hi+12
	s_swappc_b64 s[30:31], s[0:1]
	v_mov_b64_e32 v[158:159], v[2:3]
	v_mov_b64_e32 v[156:157], v[0:1]
.LBB212_116:
	s_or_b64 exec, exec, s[36:37]
	v_mov_b32_dpp v4, v0 row_shr:4 row_mask:0xf bank_mask:0xf
	v_mov_b32_dpp v5, v1 row_shr:4 row_mask:0xf bank_mask:0xf
	v_mov_b32_dpp v6, v2 row_shr:4 row_mask:0xf bank_mask:0xf
	v_mov_b32_dpp v7, v3 row_shr:4 row_mask:0xf bank_mask:0xf
	v_cmp_lt_u32_e32 vcc, 3, v160
	s_and_saveexec_b64 s[36:37], vcc
	s_cbranch_execz .LBB212_118
; %bb.117:
	v_mov_b32_e32 v0, v4
	v_mov_b32_e32 v1, v5
	v_mov_b32_e32 v2, v6
	v_mov_b32_e32 v3, v7
	v_mov_b32_e32 v4, v156
	v_mov_b32_e32 v5, v157
	v_mov_b32_e32 v6, v158
	v_mov_b32_e32 v7, v159
	s_getpc_b64 s[0:1]
	s_add_u32 s0, s0, _ZZZZN2at6native31launch_logcumsumexp_cuda_kernelERKNS_10TensorBaseES3_lENKUlvE_clEvENKUlvE1_clEvENKUlN3c107complexIdEES8_E_clES8_S8_@rel32@lo+4
	s_addc_u32 s1, s1, _ZZZZN2at6native31launch_logcumsumexp_cuda_kernelERKNS_10TensorBaseES3_lENKUlvE_clEvENKUlvE1_clEvENKUlN3c107complexIdEES8_E_clES8_S8_@rel32@hi+12
	s_swappc_b64 s[30:31], s[0:1]
	v_mov_b64_e32 v[158:159], v[2:3]
	v_mov_b64_e32 v[156:157], v[0:1]
.LBB212_118:
	;; [unrolled: 24-line block ×3, first 2 shown]
	s_or_b64 exec, exec, s[36:37]
	v_and_b32_e32 v8, 16, v47
	v_mov_b32_dpp v4, v0 row_bcast:15 row_mask:0xf bank_mask:0xf
	v_mov_b32_dpp v5, v1 row_bcast:15 row_mask:0xf bank_mask:0xf
	;; [unrolled: 1-line block ×4, first 2 shown]
	v_cmp_ne_u32_e32 vcc, 0, v8
	s_and_saveexec_b64 s[36:37], vcc
	s_cbranch_execz .LBB212_122
; %bb.121:
	v_mov_b32_e32 v0, v4
	v_mov_b32_e32 v1, v5
	;; [unrolled: 1-line block ×8, first 2 shown]
	s_getpc_b64 s[0:1]
	s_add_u32 s0, s0, _ZZZZN2at6native31launch_logcumsumexp_cuda_kernelERKNS_10TensorBaseES3_lENKUlvE_clEvENKUlvE1_clEvENKUlN3c107complexIdEES8_E_clES8_S8_@rel32@lo+4
	s_addc_u32 s1, s1, _ZZZZN2at6native31launch_logcumsumexp_cuda_kernelERKNS_10TensorBaseES3_lENKUlvE_clEvENKUlvE1_clEvENKUlN3c107complexIdEES8_E_clES8_S8_@rel32@hi+12
	s_swappc_b64 s[30:31], s[0:1]
	v_mov_b32_e32 v156, v0
	v_mov_b32_e32 v157, v1
	;; [unrolled: 1-line block ×4, first 2 shown]
.LBB212_122:
	s_or_b64 exec, exec, s[36:37]
	v_mov_b32_dpp v0, v0 row_bcast:31 row_mask:0xf bank_mask:0xf
	v_mov_b32_dpp v1, v1 row_bcast:31 row_mask:0xf bank_mask:0xf
	;; [unrolled: 1-line block ×4, first 2 shown]
	v_cmp_lt_u32_e32 vcc, 31, v47
	s_and_saveexec_b64 s[36:37], vcc
	s_cbranch_execz .LBB212_124
; %bb.123:
	v_mov_b32_e32 v4, v156
	v_mov_b32_e32 v5, v157
	;; [unrolled: 1-line block ×4, first 2 shown]
	s_getpc_b64 s[0:1]
	s_add_u32 s0, s0, _ZZZZN2at6native31launch_logcumsumexp_cuda_kernelERKNS_10TensorBaseES3_lENKUlvE_clEvENKUlvE1_clEvENKUlN3c107complexIdEES8_E_clES8_S8_@rel32@lo+4
	s_addc_u32 s1, s1, _ZZZZN2at6native31launch_logcumsumexp_cuda_kernelERKNS_10TensorBaseES3_lENKUlvE_clEvENKUlvE1_clEvENKUlN3c107complexIdEES8_E_clES8_S8_@rel32@hi+12
	s_swappc_b64 s[30:31], s[0:1]
	v_mov_b32_e32 v156, v0
	v_mov_b32_e32 v157, v1
	;; [unrolled: 1-line block ×4, first 2 shown]
.LBB212_124:
	s_or_b64 exec, exec, s[36:37]
	v_or_b32_e32 v0, 63, v46
	v_lshrrev_b32_e32 v165, 6, v46
	v_cmp_eq_u32_e32 vcc, v0, v46
	s_and_saveexec_b64 s[0:1], vcc
	s_cbranch_execz .LBB212_126
; %bb.125:
	v_lshlrev_b32_e32 v0, 4, v165
	ds_write_b128 v0, v[156:159]
.LBB212_126:
	s_or_b64 exec, exec, s[0:1]
	v_cmp_gt_u32_e32 vcc, 4, v46
	s_waitcnt lgkmcnt(0)
	s_barrier
	s_and_saveexec_b64 s[36:37], vcc
	s_cbranch_execz .LBB212_132
; %bb.127:
	s_movk_i32 s0, 0xff30
	v_mad_i32_i24 v0, v46, s0, v41
	ds_read_b128 v[4:7], v0
	v_and_b32_e32 v160, 3, v47
	v_cmp_ne_u32_e32 vcc, 0, v160
	s_waitcnt lgkmcnt(0)
	v_mov_b32_dpp v0, v4 row_shr:1 row_mask:0xf bank_mask:0xf
	v_mov_b32_dpp v1, v5 row_shr:1 row_mask:0xf bank_mask:0xf
	;; [unrolled: 1-line block ×4, first 2 shown]
	s_and_saveexec_b64 s[38:39], vcc
	s_cbranch_execz .LBB212_129
; %bb.128:
	s_getpc_b64 s[0:1]
	s_add_u32 s0, s0, _ZZZZN2at6native31launch_logcumsumexp_cuda_kernelERKNS_10TensorBaseES3_lENKUlvE_clEvENKUlvE1_clEvENKUlN3c107complexIdEES8_E_clES8_S8_@rel32@lo+4
	s_addc_u32 s1, s1, _ZZZZN2at6native31launch_logcumsumexp_cuda_kernelERKNS_10TensorBaseES3_lENKUlvE_clEvENKUlvE1_clEvENKUlN3c107complexIdEES8_E_clES8_S8_@rel32@hi+12
	s_swappc_b64 s[30:31], s[0:1]
	v_mov_b32_e32 v4, v0
	v_mov_b32_e32 v5, v1
	;; [unrolled: 1-line block ×4, first 2 shown]
.LBB212_129:
	s_or_b64 exec, exec, s[38:39]
	v_mul_i32_i24_e32 v161, 0xffffff30, v46
	v_mov_b32_dpp v0, v4 row_shr:2 row_mask:0xf bank_mask:0xf
	v_mov_b32_dpp v1, v5 row_shr:2 row_mask:0xf bank_mask:0xf
	;; [unrolled: 1-line block ×4, first 2 shown]
	v_cmp_lt_u32_e32 vcc, 1, v160
	s_and_saveexec_b64 s[38:39], vcc
	s_cbranch_execz .LBB212_131
; %bb.130:
	s_getpc_b64 s[0:1]
	s_add_u32 s0, s0, _ZZZZN2at6native31launch_logcumsumexp_cuda_kernelERKNS_10TensorBaseES3_lENKUlvE_clEvENKUlvE1_clEvENKUlN3c107complexIdEES8_E_clES8_S8_@rel32@lo+4
	s_addc_u32 s1, s1, _ZZZZN2at6native31launch_logcumsumexp_cuda_kernelERKNS_10TensorBaseES3_lENKUlvE_clEvENKUlvE1_clEvENKUlN3c107complexIdEES8_E_clES8_S8_@rel32@hi+12
	s_swappc_b64 s[30:31], s[0:1]
	v_mov_b32_e32 v4, v0
	v_mov_b32_e32 v5, v1
	;; [unrolled: 1-line block ×4, first 2 shown]
.LBB212_131:
	s_or_b64 exec, exec, s[38:39]
	v_add_u32_e32 v0, v41, v161
	ds_write_b128 v0, v[4:7]
.LBB212_132:
	s_or_b64 exec, exec, s[36:37]
	v_mov_b64_e32 v[162:163], 0
	v_cmp_lt_u32_e32 vcc, 63, v46
	v_mov_b64_e32 v[160:161], v[162:163]
	s_waitcnt lgkmcnt(0)
	s_barrier
	s_and_saveexec_b64 s[36:37], vcc
	s_cbranch_execz .LBB212_134
; %bb.133:
	v_lshl_add_u32 v0, v165, 4, -16
	ds_read_b128 v[160:163], v0
	v_mov_b32_e32 v4, v156
	v_mov_b32_e32 v5, v157
	;; [unrolled: 1-line block ×4, first 2 shown]
	s_waitcnt lgkmcnt(0)
	v_mov_b32_e32 v0, v160
	v_mov_b32_e32 v1, v161
	;; [unrolled: 1-line block ×4, first 2 shown]
	s_getpc_b64 s[0:1]
	s_add_u32 s0, s0, _ZZZZN2at6native31launch_logcumsumexp_cuda_kernelERKNS_10TensorBaseES3_lENKUlvE_clEvENKUlvE1_clEvENKUlN3c107complexIdEES8_E_clES8_S8_@rel32@lo+4
	s_addc_u32 s1, s1, _ZZZZN2at6native31launch_logcumsumexp_cuda_kernelERKNS_10TensorBaseES3_lENKUlvE_clEvENKUlvE1_clEvENKUlN3c107complexIdEES8_E_clES8_S8_@rel32@hi+12
	s_swappc_b64 s[30:31], s[0:1]
	v_mov_b32_e32 v156, v0
	v_mov_b32_e32 v157, v1
	;; [unrolled: 1-line block ×4, first 2 shown]
.LBB212_134:
	s_or_b64 exec, exec, s[36:37]
	v_add_u32_e32 v0, -1, v47
	v_and_b32_e32 v1, 64, v47
	v_cmp_lt_i32_e32 vcc, v0, v1
	s_nop 1
	v_cndmask_b32_e32 v0, v0, v47, vcc
	v_lshlrev_b32_e32 v3, 2, v0
	ds_bpermute_b32 v0, v3, v156
	ds_bpermute_b32 v1, v3, v157
	;; [unrolled: 1-line block ×4, first 2 shown]
	s_and_saveexec_b64 s[36:37], s[34:35]
	s_cbranch_execz .LBB212_136
; %bb.135:
	v_cmp_eq_u32_e32 vcc, 0, v47
	v_mov_b32_e32 v4, v42
	v_mov_b32_e32 v5, v43
	s_waitcnt lgkmcnt(3)
	v_cndmask_b32_e32 v0, v0, v160, vcc
	s_waitcnt lgkmcnt(2)
	v_cndmask_b32_e32 v1, v1, v161, vcc
	;; [unrolled: 2-line block ×4, first 2 shown]
	v_mov_b32_e32 v6, v44
	v_mov_b32_e32 v7, v45
	s_getpc_b64 s[34:35]
	s_add_u32 s34, s34, _ZZZZN2at6native31launch_logcumsumexp_cuda_kernelERKNS_10TensorBaseES3_lENKUlvE_clEvENKUlvE1_clEvENKUlN3c107complexIdEES8_E_clES8_S8_@rel32@lo+4
	s_addc_u32 s35, s35, _ZZZZN2at6native31launch_logcumsumexp_cuda_kernelERKNS_10TensorBaseES3_lENKUlvE_clEvENKUlvE1_clEvENKUlN3c107complexIdEES8_E_clES8_S8_@rel32@hi+12
	s_swappc_b64 s[30:31], s[34:35]
	v_mov_b32_e32 v4, v100
	v_mov_b32_e32 v5, v101
	;; [unrolled: 1-line block ×8, first 2 shown]
	;;#ASMSTART
	;;#ASMEND
	s_swappc_b64 s[30:31], s[34:35]
	v_mov_b32_e32 v4, v96
	v_mov_b32_e32 v5, v97
	v_mov_b32_e32 v6, v98
	v_mov_b32_e32 v7, v99
	v_mov_b32_e32 v104, v0
	v_mov_b32_e32 v105, v1
	v_mov_b32_e32 v106, v2
	v_mov_b32_e32 v107, v3
	s_swappc_b64 s[30:31], s[34:35]
	v_mov_b32_e32 v4, v92
	v_mov_b32_e32 v5, v93
	v_mov_b32_e32 v6, v94
	v_mov_b32_e32 v7, v95
	v_mov_b32_e32 v108, v0
	v_mov_b32_e32 v109, v1
	v_mov_b32_e32 v110, v2
	v_mov_b32_e32 v111, v3
	;; [unrolled: 9-line block ×12, first 2 shown]
	s_swappc_b64 s[30:31], s[34:35]
	v_mov_b32_e32 v152, v0
	v_mov_b32_e32 v153, v1
	v_mov_b32_e32 v154, v2
	v_mov_b32_e32 v155, v3
.LBB212_136:
	s_or_b64 exec, exec, s[36:37]
	s_movk_i32 s0, 0xff
	v_cmp_eq_u32_e32 vcc, s0, v46
	s_and_saveexec_b64 s[0:1], vcc
	s_cbranch_execz .LBB212_138
; %bb.137:
	s_waitcnt lgkmcnt(3)
	v_mov_b32_e32 v0, 0
	s_waitcnt lgkmcnt(2)
	v_mov_b32_e32 v1, 2
	global_store_dword v0, v152, s[62:63] offset:1024 sc1
	global_store_dword v0, v153, s[62:63] offset:1028 sc1
	;; [unrolled: 1-line block ×4, first 2 shown]
	s_waitcnt vmcnt(0) lgkmcnt(0)
	global_store_byte v0, v1, s[64:65] offset:64 sc1
.LBB212_138:
	s_or_b64 exec, exec, s[0:1]
	v_mov_b64_e32 v[156:157], v[42:43]
	v_mov_b64_e32 v[158:159], v[44:45]
.LBB212_139:
	s_add_u32 s0, s56, s42
	s_addc_u32 s1, s57, s43
	s_add_u32 s0, s0, s54
	s_addc_u32 s1, s1, s55
	s_mov_b64 s[2:3], -1
	s_and_b64 vcc, exec, s[52:53]
	s_waitcnt lgkmcnt(0)
	s_barrier
	s_cbranch_vccz .LBB212_141
; %bb.140:
	v_mov_b32_e32 v165, 0
	ds_write_b128 v41, v[156:159]
	ds_write_b128 v41, v[104:107] offset:16
	ds_write_b128 v41, v[108:111] offset:32
	;; [unrolled: 1-line block ×13, first 2 shown]
	s_waitcnt lgkmcnt(0)
	s_barrier
	ds_read_b128 v[0:3], v164
	ds_read_b128 v[4:7], v164 offset:4096
	ds_read_b128 v[8:11], v164 offset:8192
	;; [unrolled: 1-line block ×13, first 2 shown]
	v_lshl_add_u64 v[60:61], s[0:1], 0, v[164:165]
	s_movk_i32 s2, 0x2000
	s_waitcnt lgkmcnt(13)
	global_store_dwordx4 v164, v[0:3], s[0:1]
	s_nop 1
	v_add_co_u32_e32 v0, vcc, s2, v60
	s_movk_i32 s2, 0x4000
	s_nop 0
	v_addc_co_u32_e32 v1, vcc, 0, v61, vcc
	s_waitcnt lgkmcnt(12)
	global_store_dwordx4 v[0:1], v[4:7], off offset:-4096
	s_waitcnt lgkmcnt(11)
	global_store_dwordx4 v[0:1], v[8:11], off
	v_add_co_u32_e32 v0, vcc, s2, v60
	s_movk_i32 s2, 0x6000
	s_nop 0
	v_addc_co_u32_e32 v1, vcc, 0, v61, vcc
	s_waitcnt lgkmcnt(10)
	global_store_dwordx4 v[0:1], v[12:15], off offset:-4096
	s_waitcnt lgkmcnt(9)
	global_store_dwordx4 v[0:1], v[16:19], off
	v_add_co_u32_e32 v0, vcc, s2, v60
	s_mov_b32 s2, 0x8000
	s_nop 0
	v_addc_co_u32_e32 v1, vcc, 0, v61, vcc
	s_waitcnt lgkmcnt(8)
	global_store_dwordx4 v[0:1], v[20:23], off offset:-4096
	s_waitcnt lgkmcnt(7)
	global_store_dwordx4 v[0:1], v[24:27], off
	v_add_co_u32_e32 v0, vcc, s2, v60
	s_mov_b32 s2, 0xa000
	s_nop 0
	v_addc_co_u32_e32 v1, vcc, 0, v61, vcc
	s_waitcnt lgkmcnt(6)
	global_store_dwordx4 v[0:1], v[28:31], off offset:-4096
	s_waitcnt lgkmcnt(5)
	global_store_dwordx4 v[0:1], v[32:35], off
	v_add_co_u32_e32 v0, vcc, s2, v60
	s_mov_b64 s[2:3], 0
	s_nop 0
	v_addc_co_u32_e32 v1, vcc, 0, v61, vcc
	s_waitcnt lgkmcnt(4)
	global_store_dwordx4 v[0:1], v[36:39], off offset:-4096
	s_waitcnt lgkmcnt(3)
	global_store_dwordx4 v[0:1], v[42:45], off
	v_add_co_u32_e32 v0, vcc, 0xb000, v60
	s_nop 1
	v_addc_co_u32_e32 v1, vcc, 0, v61, vcc
	s_waitcnt lgkmcnt(2)
	global_store_dwordx4 v[0:1], v[48:51], off
	v_add_co_u32_e32 v0, vcc, 0xc000, v60
	s_nop 1
	v_addc_co_u32_e32 v1, vcc, 0, v61, vcc
	;; [unrolled: 5-line block ×3, first 2 shown]
	s_waitcnt lgkmcnt(0)
	global_store_dwordx4 v[0:1], v[56:59], off
.LBB212_141:
	s_andn2_b64 vcc, exec, s[2:3]
	s_cbranch_vccnz .LBB212_221
; %bb.142:
	ds_write_b128 v41, v[156:159]
	ds_write_b128 v41, v[104:107] offset:16
	ds_write_b128 v41, v[108:111] offset:32
	;; [unrolled: 1-line block ×13, first 2 shown]
	s_waitcnt lgkmcnt(0)
	s_barrier
	ds_read_b128 v[4:7], v164
	ds_read_b128 v[0:3], v164 offset:4096
	ds_read_b128 v[8:11], v164 offset:8192
	;; [unrolled: 1-line block ×13, first 2 shown]
	v_mov_b32_e32 v165, 0
	v_lshl_add_u64 v[44:45], s[0:1], 0, v[164:165]
	v_cmp_gt_u32_e32 vcc, s33, v46
	s_and_saveexec_b64 s[0:1], vcc
	s_cbranch_execz .LBB212_144
; %bb.143:
	s_waitcnt lgkmcnt(13)
	global_store_dwordx4 v[44:45], v[4:7], off
.LBB212_144:
	s_or_b64 exec, exec, s[0:1]
	v_or_b32_e32 v47, 0x100, v46
	v_cmp_gt_u32_e32 vcc, s33, v47
	s_and_saveexec_b64 s[0:1], vcc
	s_cbranch_execz .LBB212_146
; %bb.145:
	v_add_co_u32_e32 v60, vcc, 0x1000, v44
	s_nop 1
	v_addc_co_u32_e32 v61, vcc, 0, v45, vcc
	s_waitcnt lgkmcnt(12)
	global_store_dwordx4 v[60:61], v[0:3], off
.LBB212_146:
	s_or_b64 exec, exec, s[0:1]
	v_or_b32_e32 v47, 0x200, v46
	v_cmp_gt_u32_e32 vcc, s33, v47
	s_and_saveexec_b64 s[0:1], vcc
	s_cbranch_execz .LBB212_148
; %bb.147:
	v_add_co_u32_e32 v60, vcc, 0x2000, v44
	s_nop 1
	v_addc_co_u32_e32 v61, vcc, 0, v45, vcc
	s_waitcnt lgkmcnt(11)
	global_store_dwordx4 v[60:61], v[8:11], off
.LBB212_148:
	;; [unrolled: 12-line block ×13, first 2 shown]
	s_or_b64 exec, exec, s[0:1]
	v_cmp_lt_u64_e64 s[0:1], s[50:51], 2
	s_and_b64 vcc, exec, s[0:1]
	s_cbranch_vccnz .LBB212_221
; %bb.171:
	s_add_u32 s0, s33, -1
	s_addc_u32 s1, s66, -1
	s_add_u32 s2, 0, 0x49240800
	s_addc_u32 s3, 0, 50
	s_add_i32 s3, s3, 0x12492460
	s_mul_hi_u32 s7, s2, -14
	s_sub_i32 s7, s7, s2
	s_mul_i32 s8, s3, -14
	s_mul_i32 s4, s2, -14
	s_add_i32 s7, s7, s8
	s_mul_hi_u32 s5, s3, s4
	s_mul_i32 s6, s3, s4
	s_mul_i32 s9, s2, s7
	s_mul_hi_u32 s4, s2, s4
	s_mul_hi_u32 s8, s2, s7
	s_add_u32 s4, s4, s9
	s_addc_u32 s8, 0, s8
	s_add_u32 s4, s4, s6
	s_mul_hi_u32 s9, s3, s7
	s_addc_u32 s4, s8, s5
	s_addc_u32 s5, s9, 0
	s_mul_i32 s6, s3, s7
	s_add_u32 s4, s4, s6
	v_mov_b32_e32 v44, s4
	s_addc_u32 s5, 0, s5
	v_add_co_u32_e32 v44, vcc, s2, v44
	s_cmp_lg_u64 vcc, 0
	s_addc_u32 s2, s3, s5
	v_readfirstlane_b32 s5, v44
	s_mul_i32 s4, s0, s2
	s_mul_hi_u32 s6, s0, s5
	s_mul_hi_u32 s3, s0, s2
	s_add_u32 s4, s6, s4
	s_addc_u32 s3, 0, s3
	s_mul_hi_u32 s7, s1, s5
	s_mul_i32 s5, s1, s5
	s_add_u32 s4, s4, s5
	s_mul_hi_u32 s6, s1, s2
	s_addc_u32 s3, s3, s7
	s_addc_u32 s4, s6, 0
	s_mul_i32 s2, s1, s2
	s_add_u32 s2, s3, s2
	s_addc_u32 s3, 0, s4
	s_add_u32 s4, s2, 1
	s_addc_u32 s5, s3, 0
	s_add_u32 s6, s2, 2
	s_mul_i32 s8, s3, 14
	s_mul_hi_u32 s9, s2, 14
	s_addc_u32 s7, s3, 0
	s_add_i32 s9, s9, s8
	s_mul_i32 s8, s2, 14
	v_mov_b32_e32 v44, s8
	v_sub_co_u32_e32 v44, vcc, s0, v44
	s_cmp_lg_u64 vcc, 0
	s_subb_u32 s8, s1, s9
	v_subrev_co_u32_e32 v45, vcc, 14, v44
	s_cmp_lg_u64 vcc, 0
	s_subb_u32 s9, s8, 0
	v_readfirstlane_b32 s10, v45
	s_cmp_gt_u32 s10, 13
	s_cselect_b32 s10, -1, 0
	s_cmp_eq_u32 s9, 0
	s_cselect_b32 s9, s10, -1
	s_cmp_lg_u32 s9, 0
	s_cselect_b32 s4, s6, s4
	v_readfirstlane_b32 s6, v44
	s_cselect_b32 s5, s7, s5
	s_cmp_gt_u32 s6, 13
	s_cselect_b32 s6, -1, 0
	s_cmp_eq_u32 s8, 0
	s_cselect_b32 s6, s6, -1
	s_cmp_lg_u32 s6, 0
	v_mov_b32_e32 v47, v165
	s_cselect_b32 s3, s5, s3
	s_cselect_b32 s2, s4, s2
	v_cmp_eq_u64_e32 vcc, s[2:3], v[46:47]
	s_and_saveexec_b64 s[2:3], vcc
	s_cbranch_execz .LBB212_221
; %bb.172:
	v_mul_hi_u32_u24_e32 v45, 14, v46
	v_mov_b32_e32 v46, s1
	v_sub_co_u32_e32 v44, vcc, s0, v166
	s_nop 1
	v_subb_co_u32_e32 v45, vcc, v46, v45, vcc
	v_cmp_lt_i64_e32 vcc, 6, v[44:45]
	s_and_saveexec_b64 s[0:1], vcc
	s_xor_b64 s[0:1], exec, s[0:1]
	s_cbranch_execz .LBB212_198
; %bb.173:
	v_cmp_lt_i64_e32 vcc, 9, v[44:45]
	s_and_saveexec_b64 s[2:3], vcc
	s_xor_b64 s[2:3], exec, s[2:3]
	s_cbranch_execz .LBB212_187
; %bb.174:
	;; [unrolled: 5-line block ×4, first 2 shown]
	s_waitcnt lgkmcnt(12)
	v_mov_b32_e32 v0, 0
	s_waitcnt lgkmcnt(0)
	global_store_dwordx4 v0, v[56:59], s[46:47]
                                        ; implicit-def: $vgpr52_vgpr53_vgpr54_vgpr55
.LBB212_177:
	s_andn2_saveexec_b64 s[6:7], s[6:7]
	s_cbranch_execz .LBB212_179
; %bb.178:
	s_waitcnt lgkmcnt(12)
	v_mov_b32_e32 v0, 0
	s_waitcnt lgkmcnt(1)
	global_store_dwordx4 v0, v[52:55], s[46:47]
.LBB212_179:
	s_or_b64 exec, exec, s[6:7]
                                        ; implicit-def: $vgpr24_vgpr25_vgpr26_vgpr27
                                        ; implicit-def: $vgpr44_vgpr45
                                        ; implicit-def: $vgpr48_vgpr49_vgpr50_vgpr51
.LBB212_180:
	s_andn2_saveexec_b64 s[4:5], s[4:5]
	s_cbranch_execz .LBB212_186
; %bb.181:
	v_cmp_lt_i64_e32 vcc, 10, v[44:45]
	s_and_saveexec_b64 s[6:7], vcc
	s_xor_b64 s[6:7], exec, s[6:7]
	s_cbranch_execz .LBB212_183
; %bb.182:
	s_waitcnt lgkmcnt(12)
	v_mov_b32_e32 v0, 0
	s_waitcnt lgkmcnt(2)
	global_store_dwordx4 v0, v[48:51], s[46:47]
                                        ; implicit-def: $vgpr24_vgpr25_vgpr26_vgpr27
.LBB212_183:
	s_andn2_saveexec_b64 s[6:7], s[6:7]
	s_cbranch_execz .LBB212_185
; %bb.184:
	s_waitcnt lgkmcnt(12)
	v_mov_b32_e32 v0, 0
	s_waitcnt lgkmcnt(3)
	global_store_dwordx4 v0, v[24:27], s[46:47]
.LBB212_185:
	s_or_b64 exec, exec, s[6:7]
.LBB212_186:
	s_or_b64 exec, exec, s[4:5]
                                        ; implicit-def: $vgpr36_vgpr37_vgpr38_vgpr39
                                        ; implicit-def: $vgpr44_vgpr45
                                        ; implicit-def: $vgpr28_vgpr29_vgpr30_vgpr31
                                        ; implicit-def: $vgpr40_vgpr41_vgpr42_vgpr43
.LBB212_187:
	s_andn2_saveexec_b64 s[2:3], s[2:3]
	s_cbranch_execz .LBB212_197
; %bb.188:
	v_cmp_lt_i64_e32 vcc, 7, v[44:45]
	s_and_saveexec_b64 s[4:5], vcc
	s_xor_b64 s[4:5], exec, s[4:5]
	s_cbranch_execz .LBB212_194
; %bb.189:
	v_cmp_lt_i64_e32 vcc, 8, v[44:45]
	s_and_saveexec_b64 s[6:7], vcc
	s_xor_b64 s[6:7], exec, s[6:7]
	s_cbranch_execz .LBB212_191
; %bb.190:
	s_waitcnt lgkmcnt(12)
	v_mov_b32_e32 v0, 0
	s_waitcnt lgkmcnt(4)
	global_store_dwordx4 v0, v[40:43], s[46:47]
                                        ; implicit-def: $vgpr28_vgpr29_vgpr30_vgpr31
.LBB212_191:
	s_andn2_saveexec_b64 s[6:7], s[6:7]
	s_cbranch_execz .LBB212_193
; %bb.192:
	s_waitcnt lgkmcnt(12)
	v_mov_b32_e32 v0, 0
	s_waitcnt lgkmcnt(5)
	global_store_dwordx4 v0, v[28:31], s[46:47]
.LBB212_193:
	s_or_b64 exec, exec, s[6:7]
                                        ; implicit-def: $vgpr36_vgpr37_vgpr38_vgpr39
.LBB212_194:
	s_andn2_saveexec_b64 s[4:5], s[4:5]
	s_cbranch_execz .LBB212_196
; %bb.195:
	s_waitcnt lgkmcnt(12)
	v_mov_b32_e32 v0, 0
	s_waitcnt lgkmcnt(6)
	global_store_dwordx4 v0, v[36:39], s[46:47]
.LBB212_196:
	s_or_b64 exec, exec, s[4:5]
.LBB212_197:
	s_or_b64 exec, exec, s[2:3]
                                        ; implicit-def: $vgpr44_vgpr45
                                        ; implicit-def: $vgpr20_vgpr21_vgpr22_vgpr23
                                        ; implicit-def: $vgpr0_vgpr1_vgpr2_vgpr3
                                        ; implicit-def: $vgpr8_vgpr9_vgpr10_vgpr11
                                        ; implicit-def: $vgpr4_vgpr5_vgpr6_vgpr7
                                        ; implicit-def: $vgpr16_vgpr17_vgpr18_vgpr19
                                        ; implicit-def: $vgpr12_vgpr13_vgpr14_vgpr15
                                        ; implicit-def: $vgpr32_vgpr33_vgpr34_vgpr35
.LBB212_198:
	s_andn2_saveexec_b64 s[0:1], s[0:1]
	s_cbranch_execz .LBB212_221
; %bb.199:
	v_cmp_lt_i64_e32 vcc, 3, v[44:45]
	s_and_saveexec_b64 s[0:1], vcc
	s_xor_b64 s[0:1], exec, s[0:1]
	s_cbranch_execz .LBB212_209
; %bb.200:
	v_cmp_lt_i64_e32 vcc, 4, v[44:45]
	s_and_saveexec_b64 s[2:3], vcc
	s_xor_b64 s[2:3], exec, s[2:3]
	;; [unrolled: 5-line block ×3, first 2 shown]
	s_cbranch_execz .LBB212_203
; %bb.202:
	s_waitcnt lgkmcnt(12)
	v_mov_b32_e32 v0, 0
	s_waitcnt lgkmcnt(7)
	global_store_dwordx4 v0, v[32:35], s[46:47]
                                        ; implicit-def: $vgpr16_vgpr17_vgpr18_vgpr19
.LBB212_203:
	s_andn2_saveexec_b64 s[4:5], s[4:5]
	s_cbranch_execz .LBB212_205
; %bb.204:
	s_waitcnt lgkmcnt(12)
	v_mov_b32_e32 v0, 0
	s_waitcnt lgkmcnt(8)
	global_store_dwordx4 v0, v[16:19], s[46:47]
.LBB212_205:
	s_or_b64 exec, exec, s[4:5]
                                        ; implicit-def: $vgpr20_vgpr21_vgpr22_vgpr23
.LBB212_206:
	s_andn2_saveexec_b64 s[2:3], s[2:3]
	s_cbranch_execz .LBB212_208
; %bb.207:
	s_waitcnt lgkmcnt(12)
	v_mov_b32_e32 v0, 0
	s_waitcnt lgkmcnt(9)
	global_store_dwordx4 v0, v[20:23], s[46:47]
.LBB212_208:
	s_or_b64 exec, exec, s[2:3]
                                        ; implicit-def: $vgpr44_vgpr45
                                        ; implicit-def: $vgpr0_vgpr1_vgpr2_vgpr3
                                        ; implicit-def: $vgpr8_vgpr9_vgpr10_vgpr11
                                        ; implicit-def: $vgpr4_vgpr5_vgpr6_vgpr7
                                        ; implicit-def: $vgpr12_vgpr13_vgpr14_vgpr15
.LBB212_209:
	s_andn2_saveexec_b64 s[0:1], s[0:1]
	s_cbranch_execz .LBB212_221
; %bb.210:
	v_cmp_lt_i64_e32 vcc, 1, v[44:45]
	s_and_saveexec_b64 s[0:1], vcc
	s_xor_b64 s[0:1], exec, s[0:1]
	s_cbranch_execz .LBB212_216
; %bb.211:
	v_cmp_lt_i64_e32 vcc, 2, v[44:45]
	s_and_saveexec_b64 s[2:3], vcc
	s_xor_b64 s[2:3], exec, s[2:3]
	s_cbranch_execz .LBB212_213
; %bb.212:
	s_waitcnt lgkmcnt(12)
	v_mov_b32_e32 v0, 0
	s_waitcnt lgkmcnt(10)
	global_store_dwordx4 v0, v[12:15], s[46:47]
                                        ; implicit-def: $vgpr8_vgpr9_vgpr10_vgpr11
.LBB212_213:
	s_andn2_saveexec_b64 s[2:3], s[2:3]
	s_cbranch_execz .LBB212_215
; %bb.214:
	s_waitcnt lgkmcnt(12)
	v_mov_b32_e32 v0, 0
	s_waitcnt lgkmcnt(11)
	global_store_dwordx4 v0, v[8:11], s[46:47]
.LBB212_215:
	s_or_b64 exec, exec, s[2:3]
                                        ; implicit-def: $vgpr0_vgpr1_vgpr2_vgpr3
                                        ; implicit-def: $vgpr44_vgpr45
                                        ; implicit-def: $vgpr4_vgpr5_vgpr6_vgpr7
.LBB212_216:
	s_andn2_saveexec_b64 s[0:1], s[0:1]
	s_cbranch_execz .LBB212_221
; %bb.217:
	v_cmp_ne_u64_e32 vcc, 1, v[44:45]
	s_and_saveexec_b64 s[0:1], vcc
	s_xor_b64 s[0:1], exec, s[0:1]
	s_cbranch_execz .LBB212_219
; %bb.218:
	s_waitcnt lgkmcnt(12)
	v_mov_b32_e32 v0, 0
	global_store_dwordx4 v0, v[4:7], s[46:47]
                                        ; implicit-def: $vgpr0_vgpr1_vgpr2_vgpr3
.LBB212_219:
	s_andn2_saveexec_b64 s[0:1], s[0:1]
	s_cbranch_execz .LBB212_221
; %bb.220:
	s_waitcnt lgkmcnt(13)
	v_mov_b32_e32 v4, 0
	s_waitcnt lgkmcnt(12)
	global_store_dwordx4 v4, v[0:3], s[46:47]
.LBB212_221:
	s_endpgm
	.section	.rodata,"a",@progbits
	.p2align	6, 0x0
	.amdhsa_kernel _ZN7rocprim17ROCPRIM_400000_NS6detail17trampoline_kernelINS0_14default_configENS1_20scan_config_selectorIN3c107complexIdEEEEZZNS1_9scan_implILNS1_25lookback_scan_determinismE0ELb0ELb0ES3_PKS7_PS7_S7_ZZZN2at6native31launch_logcumsumexp_cuda_kernelERKNSE_10TensorBaseESI_lENKUlvE_clEvENKUlvE1_clEvEUlS7_S7_E_S7_EEDaPvRmT3_T4_T5_mT6_P12ihipStream_tbENKUlT_T0_E_clISt17integral_constantIbLb1EESZ_EEDaSU_SV_EUlSU_E_NS1_11comp_targetILNS1_3genE5ELNS1_11target_archE942ELNS1_3gpuE9ELNS1_3repE0EEENS1_30default_config_static_selectorELNS0_4arch9wavefront6targetE1EEEvT1_
		.amdhsa_group_segment_fixed_size 57344
		.amdhsa_private_segment_fixed_size 8
		.amdhsa_kernarg_size 128
		.amdhsa_user_sgpr_count 2
		.amdhsa_user_sgpr_dispatch_ptr 0
		.amdhsa_user_sgpr_queue_ptr 0
		.amdhsa_user_sgpr_kernarg_segment_ptr 1
		.amdhsa_user_sgpr_dispatch_id 0
		.amdhsa_user_sgpr_kernarg_preload_length 0
		.amdhsa_user_sgpr_kernarg_preload_offset 0
		.amdhsa_user_sgpr_private_segment_size 0
		.amdhsa_uses_dynamic_stack 0
		.amdhsa_enable_private_segment 1
		.amdhsa_system_sgpr_workgroup_id_x 1
		.amdhsa_system_sgpr_workgroup_id_y 0
		.amdhsa_system_sgpr_workgroup_id_z 0
		.amdhsa_system_sgpr_workgroup_info 0
		.amdhsa_system_vgpr_workitem_id 0
		.amdhsa_next_free_vgpr 167
		.amdhsa_next_free_sgpr 68
		.amdhsa_accum_offset 168
		.amdhsa_reserve_vcc 1
		.amdhsa_float_round_mode_32 0
		.amdhsa_float_round_mode_16_64 0
		.amdhsa_float_denorm_mode_32 3
		.amdhsa_float_denorm_mode_16_64 3
		.amdhsa_dx10_clamp 1
		.amdhsa_ieee_mode 1
		.amdhsa_fp16_overflow 0
		.amdhsa_tg_split 0
		.amdhsa_exception_fp_ieee_invalid_op 0
		.amdhsa_exception_fp_denorm_src 0
		.amdhsa_exception_fp_ieee_div_zero 0
		.amdhsa_exception_fp_ieee_overflow 0
		.amdhsa_exception_fp_ieee_underflow 0
		.amdhsa_exception_fp_ieee_inexact 0
		.amdhsa_exception_int_div_zero 0
	.end_amdhsa_kernel
	.section	.text._ZN7rocprim17ROCPRIM_400000_NS6detail17trampoline_kernelINS0_14default_configENS1_20scan_config_selectorIN3c107complexIdEEEEZZNS1_9scan_implILNS1_25lookback_scan_determinismE0ELb0ELb0ES3_PKS7_PS7_S7_ZZZN2at6native31launch_logcumsumexp_cuda_kernelERKNSE_10TensorBaseESI_lENKUlvE_clEvENKUlvE1_clEvEUlS7_S7_E_S7_EEDaPvRmT3_T4_T5_mT6_P12ihipStream_tbENKUlT_T0_E_clISt17integral_constantIbLb1EESZ_EEDaSU_SV_EUlSU_E_NS1_11comp_targetILNS1_3genE5ELNS1_11target_archE942ELNS1_3gpuE9ELNS1_3repE0EEENS1_30default_config_static_selectorELNS0_4arch9wavefront6targetE1EEEvT1_,"axG",@progbits,_ZN7rocprim17ROCPRIM_400000_NS6detail17trampoline_kernelINS0_14default_configENS1_20scan_config_selectorIN3c107complexIdEEEEZZNS1_9scan_implILNS1_25lookback_scan_determinismE0ELb0ELb0ES3_PKS7_PS7_S7_ZZZN2at6native31launch_logcumsumexp_cuda_kernelERKNSE_10TensorBaseESI_lENKUlvE_clEvENKUlvE1_clEvEUlS7_S7_E_S7_EEDaPvRmT3_T4_T5_mT6_P12ihipStream_tbENKUlT_T0_E_clISt17integral_constantIbLb1EESZ_EEDaSU_SV_EUlSU_E_NS1_11comp_targetILNS1_3genE5ELNS1_11target_archE942ELNS1_3gpuE9ELNS1_3repE0EEENS1_30default_config_static_selectorELNS0_4arch9wavefront6targetE1EEEvT1_,comdat
.Lfunc_end212:
	.size	_ZN7rocprim17ROCPRIM_400000_NS6detail17trampoline_kernelINS0_14default_configENS1_20scan_config_selectorIN3c107complexIdEEEEZZNS1_9scan_implILNS1_25lookback_scan_determinismE0ELb0ELb0ES3_PKS7_PS7_S7_ZZZN2at6native31launch_logcumsumexp_cuda_kernelERKNSE_10TensorBaseESI_lENKUlvE_clEvENKUlvE1_clEvEUlS7_S7_E_S7_EEDaPvRmT3_T4_T5_mT6_P12ihipStream_tbENKUlT_T0_E_clISt17integral_constantIbLb1EESZ_EEDaSU_SV_EUlSU_E_NS1_11comp_targetILNS1_3genE5ELNS1_11target_archE942ELNS1_3gpuE9ELNS1_3repE0EEENS1_30default_config_static_selectorELNS0_4arch9wavefront6targetE1EEEvT1_, .Lfunc_end212-_ZN7rocprim17ROCPRIM_400000_NS6detail17trampoline_kernelINS0_14default_configENS1_20scan_config_selectorIN3c107complexIdEEEEZZNS1_9scan_implILNS1_25lookback_scan_determinismE0ELb0ELb0ES3_PKS7_PS7_S7_ZZZN2at6native31launch_logcumsumexp_cuda_kernelERKNSE_10TensorBaseESI_lENKUlvE_clEvENKUlvE1_clEvEUlS7_S7_E_S7_EEDaPvRmT3_T4_T5_mT6_P12ihipStream_tbENKUlT_T0_E_clISt17integral_constantIbLb1EESZ_EEDaSU_SV_EUlSU_E_NS1_11comp_targetILNS1_3genE5ELNS1_11target_archE942ELNS1_3gpuE9ELNS1_3repE0EEENS1_30default_config_static_selectorELNS0_4arch9wavefront6targetE1EEEvT1_
                                        ; -- End function
	.section	.AMDGPU.csdata,"",@progbits
; Kernel info:
; codeLenInByte = 10984
; NumSgprs: 74
; NumVgprs: 167
; NumAgprs: 0
; TotalNumVgprs: 167
; ScratchSize: 8
; MemoryBound: 1
; FloatMode: 240
; IeeeMode: 1
; LDSByteSize: 57344 bytes/workgroup (compile time only)
; SGPRBlocks: 9
; VGPRBlocks: 20
; NumSGPRsForWavesPerEU: 74
; NumVGPRsForWavesPerEU: 167
; AccumOffset: 168
; Occupancy: 1
; WaveLimiterHint : 1
; COMPUTE_PGM_RSRC2:SCRATCH_EN: 1
; COMPUTE_PGM_RSRC2:USER_SGPR: 2
; COMPUTE_PGM_RSRC2:TRAP_HANDLER: 0
; COMPUTE_PGM_RSRC2:TGID_X_EN: 1
; COMPUTE_PGM_RSRC2:TGID_Y_EN: 0
; COMPUTE_PGM_RSRC2:TGID_Z_EN: 0
; COMPUTE_PGM_RSRC2:TIDIG_COMP_CNT: 0
; COMPUTE_PGM_RSRC3_GFX90A:ACCUM_OFFSET: 41
; COMPUTE_PGM_RSRC3_GFX90A:TG_SPLIT: 0
	.section	.text._ZN7rocprim17ROCPRIM_400000_NS6detail17trampoline_kernelINS0_14default_configENS1_20scan_config_selectorIN3c107complexIdEEEEZZNS1_9scan_implILNS1_25lookback_scan_determinismE0ELb0ELb0ES3_PKS7_PS7_S7_ZZZN2at6native31launch_logcumsumexp_cuda_kernelERKNSE_10TensorBaseESI_lENKUlvE_clEvENKUlvE1_clEvEUlS7_S7_E_S7_EEDaPvRmT3_T4_T5_mT6_P12ihipStream_tbENKUlT_T0_E_clISt17integral_constantIbLb1EESZ_EEDaSU_SV_EUlSU_E_NS1_11comp_targetILNS1_3genE4ELNS1_11target_archE910ELNS1_3gpuE8ELNS1_3repE0EEENS1_30default_config_static_selectorELNS0_4arch9wavefront6targetE1EEEvT1_,"axG",@progbits,_ZN7rocprim17ROCPRIM_400000_NS6detail17trampoline_kernelINS0_14default_configENS1_20scan_config_selectorIN3c107complexIdEEEEZZNS1_9scan_implILNS1_25lookback_scan_determinismE0ELb0ELb0ES3_PKS7_PS7_S7_ZZZN2at6native31launch_logcumsumexp_cuda_kernelERKNSE_10TensorBaseESI_lENKUlvE_clEvENKUlvE1_clEvEUlS7_S7_E_S7_EEDaPvRmT3_T4_T5_mT6_P12ihipStream_tbENKUlT_T0_E_clISt17integral_constantIbLb1EESZ_EEDaSU_SV_EUlSU_E_NS1_11comp_targetILNS1_3genE4ELNS1_11target_archE910ELNS1_3gpuE8ELNS1_3repE0EEENS1_30default_config_static_selectorELNS0_4arch9wavefront6targetE1EEEvT1_,comdat
	.globl	_ZN7rocprim17ROCPRIM_400000_NS6detail17trampoline_kernelINS0_14default_configENS1_20scan_config_selectorIN3c107complexIdEEEEZZNS1_9scan_implILNS1_25lookback_scan_determinismE0ELb0ELb0ES3_PKS7_PS7_S7_ZZZN2at6native31launch_logcumsumexp_cuda_kernelERKNSE_10TensorBaseESI_lENKUlvE_clEvENKUlvE1_clEvEUlS7_S7_E_S7_EEDaPvRmT3_T4_T5_mT6_P12ihipStream_tbENKUlT_T0_E_clISt17integral_constantIbLb1EESZ_EEDaSU_SV_EUlSU_E_NS1_11comp_targetILNS1_3genE4ELNS1_11target_archE910ELNS1_3gpuE8ELNS1_3repE0EEENS1_30default_config_static_selectorELNS0_4arch9wavefront6targetE1EEEvT1_ ; -- Begin function _ZN7rocprim17ROCPRIM_400000_NS6detail17trampoline_kernelINS0_14default_configENS1_20scan_config_selectorIN3c107complexIdEEEEZZNS1_9scan_implILNS1_25lookback_scan_determinismE0ELb0ELb0ES3_PKS7_PS7_S7_ZZZN2at6native31launch_logcumsumexp_cuda_kernelERKNSE_10TensorBaseESI_lENKUlvE_clEvENKUlvE1_clEvEUlS7_S7_E_S7_EEDaPvRmT3_T4_T5_mT6_P12ihipStream_tbENKUlT_T0_E_clISt17integral_constantIbLb1EESZ_EEDaSU_SV_EUlSU_E_NS1_11comp_targetILNS1_3genE4ELNS1_11target_archE910ELNS1_3gpuE8ELNS1_3repE0EEENS1_30default_config_static_selectorELNS0_4arch9wavefront6targetE1EEEvT1_
	.p2align	8
	.type	_ZN7rocprim17ROCPRIM_400000_NS6detail17trampoline_kernelINS0_14default_configENS1_20scan_config_selectorIN3c107complexIdEEEEZZNS1_9scan_implILNS1_25lookback_scan_determinismE0ELb0ELb0ES3_PKS7_PS7_S7_ZZZN2at6native31launch_logcumsumexp_cuda_kernelERKNSE_10TensorBaseESI_lENKUlvE_clEvENKUlvE1_clEvEUlS7_S7_E_S7_EEDaPvRmT3_T4_T5_mT6_P12ihipStream_tbENKUlT_T0_E_clISt17integral_constantIbLb1EESZ_EEDaSU_SV_EUlSU_E_NS1_11comp_targetILNS1_3genE4ELNS1_11target_archE910ELNS1_3gpuE8ELNS1_3repE0EEENS1_30default_config_static_selectorELNS0_4arch9wavefront6targetE1EEEvT1_,@function
_ZN7rocprim17ROCPRIM_400000_NS6detail17trampoline_kernelINS0_14default_configENS1_20scan_config_selectorIN3c107complexIdEEEEZZNS1_9scan_implILNS1_25lookback_scan_determinismE0ELb0ELb0ES3_PKS7_PS7_S7_ZZZN2at6native31launch_logcumsumexp_cuda_kernelERKNSE_10TensorBaseESI_lENKUlvE_clEvENKUlvE1_clEvEUlS7_S7_E_S7_EEDaPvRmT3_T4_T5_mT6_P12ihipStream_tbENKUlT_T0_E_clISt17integral_constantIbLb1EESZ_EEDaSU_SV_EUlSU_E_NS1_11comp_targetILNS1_3genE4ELNS1_11target_archE910ELNS1_3gpuE8ELNS1_3repE0EEENS1_30default_config_static_selectorELNS0_4arch9wavefront6targetE1EEEvT1_: ; @_ZN7rocprim17ROCPRIM_400000_NS6detail17trampoline_kernelINS0_14default_configENS1_20scan_config_selectorIN3c107complexIdEEEEZZNS1_9scan_implILNS1_25lookback_scan_determinismE0ELb0ELb0ES3_PKS7_PS7_S7_ZZZN2at6native31launch_logcumsumexp_cuda_kernelERKNSE_10TensorBaseESI_lENKUlvE_clEvENKUlvE1_clEvEUlS7_S7_E_S7_EEDaPvRmT3_T4_T5_mT6_P12ihipStream_tbENKUlT_T0_E_clISt17integral_constantIbLb1EESZ_EEDaSU_SV_EUlSU_E_NS1_11comp_targetILNS1_3genE4ELNS1_11target_archE910ELNS1_3gpuE8ELNS1_3repE0EEENS1_30default_config_static_selectorELNS0_4arch9wavefront6targetE1EEEvT1_
; %bb.0:
	.section	.rodata,"a",@progbits
	.p2align	6, 0x0
	.amdhsa_kernel _ZN7rocprim17ROCPRIM_400000_NS6detail17trampoline_kernelINS0_14default_configENS1_20scan_config_selectorIN3c107complexIdEEEEZZNS1_9scan_implILNS1_25lookback_scan_determinismE0ELb0ELb0ES3_PKS7_PS7_S7_ZZZN2at6native31launch_logcumsumexp_cuda_kernelERKNSE_10TensorBaseESI_lENKUlvE_clEvENKUlvE1_clEvEUlS7_S7_E_S7_EEDaPvRmT3_T4_T5_mT6_P12ihipStream_tbENKUlT_T0_E_clISt17integral_constantIbLb1EESZ_EEDaSU_SV_EUlSU_E_NS1_11comp_targetILNS1_3genE4ELNS1_11target_archE910ELNS1_3gpuE8ELNS1_3repE0EEENS1_30default_config_static_selectorELNS0_4arch9wavefront6targetE1EEEvT1_
		.amdhsa_group_segment_fixed_size 0
		.amdhsa_private_segment_fixed_size 0
		.amdhsa_kernarg_size 128
		.amdhsa_user_sgpr_count 2
		.amdhsa_user_sgpr_dispatch_ptr 0
		.amdhsa_user_sgpr_queue_ptr 0
		.amdhsa_user_sgpr_kernarg_segment_ptr 1
		.amdhsa_user_sgpr_dispatch_id 0
		.amdhsa_user_sgpr_kernarg_preload_length 0
		.amdhsa_user_sgpr_kernarg_preload_offset 0
		.amdhsa_user_sgpr_private_segment_size 0
		.amdhsa_uses_dynamic_stack 0
		.amdhsa_enable_private_segment 0
		.amdhsa_system_sgpr_workgroup_id_x 1
		.amdhsa_system_sgpr_workgroup_id_y 0
		.amdhsa_system_sgpr_workgroup_id_z 0
		.amdhsa_system_sgpr_workgroup_info 0
		.amdhsa_system_vgpr_workitem_id 0
		.amdhsa_next_free_vgpr 1
		.amdhsa_next_free_sgpr 0
		.amdhsa_accum_offset 4
		.amdhsa_reserve_vcc 0
		.amdhsa_float_round_mode_32 0
		.amdhsa_float_round_mode_16_64 0
		.amdhsa_float_denorm_mode_32 3
		.amdhsa_float_denorm_mode_16_64 3
		.amdhsa_dx10_clamp 1
		.amdhsa_ieee_mode 1
		.amdhsa_fp16_overflow 0
		.amdhsa_tg_split 0
		.amdhsa_exception_fp_ieee_invalid_op 0
		.amdhsa_exception_fp_denorm_src 0
		.amdhsa_exception_fp_ieee_div_zero 0
		.amdhsa_exception_fp_ieee_overflow 0
		.amdhsa_exception_fp_ieee_underflow 0
		.amdhsa_exception_fp_ieee_inexact 0
		.amdhsa_exception_int_div_zero 0
	.end_amdhsa_kernel
	.section	.text._ZN7rocprim17ROCPRIM_400000_NS6detail17trampoline_kernelINS0_14default_configENS1_20scan_config_selectorIN3c107complexIdEEEEZZNS1_9scan_implILNS1_25lookback_scan_determinismE0ELb0ELb0ES3_PKS7_PS7_S7_ZZZN2at6native31launch_logcumsumexp_cuda_kernelERKNSE_10TensorBaseESI_lENKUlvE_clEvENKUlvE1_clEvEUlS7_S7_E_S7_EEDaPvRmT3_T4_T5_mT6_P12ihipStream_tbENKUlT_T0_E_clISt17integral_constantIbLb1EESZ_EEDaSU_SV_EUlSU_E_NS1_11comp_targetILNS1_3genE4ELNS1_11target_archE910ELNS1_3gpuE8ELNS1_3repE0EEENS1_30default_config_static_selectorELNS0_4arch9wavefront6targetE1EEEvT1_,"axG",@progbits,_ZN7rocprim17ROCPRIM_400000_NS6detail17trampoline_kernelINS0_14default_configENS1_20scan_config_selectorIN3c107complexIdEEEEZZNS1_9scan_implILNS1_25lookback_scan_determinismE0ELb0ELb0ES3_PKS7_PS7_S7_ZZZN2at6native31launch_logcumsumexp_cuda_kernelERKNSE_10TensorBaseESI_lENKUlvE_clEvENKUlvE1_clEvEUlS7_S7_E_S7_EEDaPvRmT3_T4_T5_mT6_P12ihipStream_tbENKUlT_T0_E_clISt17integral_constantIbLb1EESZ_EEDaSU_SV_EUlSU_E_NS1_11comp_targetILNS1_3genE4ELNS1_11target_archE910ELNS1_3gpuE8ELNS1_3repE0EEENS1_30default_config_static_selectorELNS0_4arch9wavefront6targetE1EEEvT1_,comdat
.Lfunc_end213:
	.size	_ZN7rocprim17ROCPRIM_400000_NS6detail17trampoline_kernelINS0_14default_configENS1_20scan_config_selectorIN3c107complexIdEEEEZZNS1_9scan_implILNS1_25lookback_scan_determinismE0ELb0ELb0ES3_PKS7_PS7_S7_ZZZN2at6native31launch_logcumsumexp_cuda_kernelERKNSE_10TensorBaseESI_lENKUlvE_clEvENKUlvE1_clEvEUlS7_S7_E_S7_EEDaPvRmT3_T4_T5_mT6_P12ihipStream_tbENKUlT_T0_E_clISt17integral_constantIbLb1EESZ_EEDaSU_SV_EUlSU_E_NS1_11comp_targetILNS1_3genE4ELNS1_11target_archE910ELNS1_3gpuE8ELNS1_3repE0EEENS1_30default_config_static_selectorELNS0_4arch9wavefront6targetE1EEEvT1_, .Lfunc_end213-_ZN7rocprim17ROCPRIM_400000_NS6detail17trampoline_kernelINS0_14default_configENS1_20scan_config_selectorIN3c107complexIdEEEEZZNS1_9scan_implILNS1_25lookback_scan_determinismE0ELb0ELb0ES3_PKS7_PS7_S7_ZZZN2at6native31launch_logcumsumexp_cuda_kernelERKNSE_10TensorBaseESI_lENKUlvE_clEvENKUlvE1_clEvEUlS7_S7_E_S7_EEDaPvRmT3_T4_T5_mT6_P12ihipStream_tbENKUlT_T0_E_clISt17integral_constantIbLb1EESZ_EEDaSU_SV_EUlSU_E_NS1_11comp_targetILNS1_3genE4ELNS1_11target_archE910ELNS1_3gpuE8ELNS1_3repE0EEENS1_30default_config_static_selectorELNS0_4arch9wavefront6targetE1EEEvT1_
                                        ; -- End function
	.section	.AMDGPU.csdata,"",@progbits
; Kernel info:
; codeLenInByte = 0
; NumSgprs: 6
; NumVgprs: 0
; NumAgprs: 0
; TotalNumVgprs: 0
; ScratchSize: 0
; MemoryBound: 0
; FloatMode: 240
; IeeeMode: 1
; LDSByteSize: 0 bytes/workgroup (compile time only)
; SGPRBlocks: 0
; VGPRBlocks: 0
; NumSGPRsForWavesPerEU: 6
; NumVGPRsForWavesPerEU: 1
; AccumOffset: 4
; Occupancy: 8
; WaveLimiterHint : 0
; COMPUTE_PGM_RSRC2:SCRATCH_EN: 0
; COMPUTE_PGM_RSRC2:USER_SGPR: 2
; COMPUTE_PGM_RSRC2:TRAP_HANDLER: 0
; COMPUTE_PGM_RSRC2:TGID_X_EN: 1
; COMPUTE_PGM_RSRC2:TGID_Y_EN: 0
; COMPUTE_PGM_RSRC2:TGID_Z_EN: 0
; COMPUTE_PGM_RSRC2:TIDIG_COMP_CNT: 0
; COMPUTE_PGM_RSRC3_GFX90A:ACCUM_OFFSET: 0
; COMPUTE_PGM_RSRC3_GFX90A:TG_SPLIT: 0
	.section	.text._ZN7rocprim17ROCPRIM_400000_NS6detail17trampoline_kernelINS0_14default_configENS1_20scan_config_selectorIN3c107complexIdEEEEZZNS1_9scan_implILNS1_25lookback_scan_determinismE0ELb0ELb0ES3_PKS7_PS7_S7_ZZZN2at6native31launch_logcumsumexp_cuda_kernelERKNSE_10TensorBaseESI_lENKUlvE_clEvENKUlvE1_clEvEUlS7_S7_E_S7_EEDaPvRmT3_T4_T5_mT6_P12ihipStream_tbENKUlT_T0_E_clISt17integral_constantIbLb1EESZ_EEDaSU_SV_EUlSU_E_NS1_11comp_targetILNS1_3genE3ELNS1_11target_archE908ELNS1_3gpuE7ELNS1_3repE0EEENS1_30default_config_static_selectorELNS0_4arch9wavefront6targetE1EEEvT1_,"axG",@progbits,_ZN7rocprim17ROCPRIM_400000_NS6detail17trampoline_kernelINS0_14default_configENS1_20scan_config_selectorIN3c107complexIdEEEEZZNS1_9scan_implILNS1_25lookback_scan_determinismE0ELb0ELb0ES3_PKS7_PS7_S7_ZZZN2at6native31launch_logcumsumexp_cuda_kernelERKNSE_10TensorBaseESI_lENKUlvE_clEvENKUlvE1_clEvEUlS7_S7_E_S7_EEDaPvRmT3_T4_T5_mT6_P12ihipStream_tbENKUlT_T0_E_clISt17integral_constantIbLb1EESZ_EEDaSU_SV_EUlSU_E_NS1_11comp_targetILNS1_3genE3ELNS1_11target_archE908ELNS1_3gpuE7ELNS1_3repE0EEENS1_30default_config_static_selectorELNS0_4arch9wavefront6targetE1EEEvT1_,comdat
	.globl	_ZN7rocprim17ROCPRIM_400000_NS6detail17trampoline_kernelINS0_14default_configENS1_20scan_config_selectorIN3c107complexIdEEEEZZNS1_9scan_implILNS1_25lookback_scan_determinismE0ELb0ELb0ES3_PKS7_PS7_S7_ZZZN2at6native31launch_logcumsumexp_cuda_kernelERKNSE_10TensorBaseESI_lENKUlvE_clEvENKUlvE1_clEvEUlS7_S7_E_S7_EEDaPvRmT3_T4_T5_mT6_P12ihipStream_tbENKUlT_T0_E_clISt17integral_constantIbLb1EESZ_EEDaSU_SV_EUlSU_E_NS1_11comp_targetILNS1_3genE3ELNS1_11target_archE908ELNS1_3gpuE7ELNS1_3repE0EEENS1_30default_config_static_selectorELNS0_4arch9wavefront6targetE1EEEvT1_ ; -- Begin function _ZN7rocprim17ROCPRIM_400000_NS6detail17trampoline_kernelINS0_14default_configENS1_20scan_config_selectorIN3c107complexIdEEEEZZNS1_9scan_implILNS1_25lookback_scan_determinismE0ELb0ELb0ES3_PKS7_PS7_S7_ZZZN2at6native31launch_logcumsumexp_cuda_kernelERKNSE_10TensorBaseESI_lENKUlvE_clEvENKUlvE1_clEvEUlS7_S7_E_S7_EEDaPvRmT3_T4_T5_mT6_P12ihipStream_tbENKUlT_T0_E_clISt17integral_constantIbLb1EESZ_EEDaSU_SV_EUlSU_E_NS1_11comp_targetILNS1_3genE3ELNS1_11target_archE908ELNS1_3gpuE7ELNS1_3repE0EEENS1_30default_config_static_selectorELNS0_4arch9wavefront6targetE1EEEvT1_
	.p2align	8
	.type	_ZN7rocprim17ROCPRIM_400000_NS6detail17trampoline_kernelINS0_14default_configENS1_20scan_config_selectorIN3c107complexIdEEEEZZNS1_9scan_implILNS1_25lookback_scan_determinismE0ELb0ELb0ES3_PKS7_PS7_S7_ZZZN2at6native31launch_logcumsumexp_cuda_kernelERKNSE_10TensorBaseESI_lENKUlvE_clEvENKUlvE1_clEvEUlS7_S7_E_S7_EEDaPvRmT3_T4_T5_mT6_P12ihipStream_tbENKUlT_T0_E_clISt17integral_constantIbLb1EESZ_EEDaSU_SV_EUlSU_E_NS1_11comp_targetILNS1_3genE3ELNS1_11target_archE908ELNS1_3gpuE7ELNS1_3repE0EEENS1_30default_config_static_selectorELNS0_4arch9wavefront6targetE1EEEvT1_,@function
_ZN7rocprim17ROCPRIM_400000_NS6detail17trampoline_kernelINS0_14default_configENS1_20scan_config_selectorIN3c107complexIdEEEEZZNS1_9scan_implILNS1_25lookback_scan_determinismE0ELb0ELb0ES3_PKS7_PS7_S7_ZZZN2at6native31launch_logcumsumexp_cuda_kernelERKNSE_10TensorBaseESI_lENKUlvE_clEvENKUlvE1_clEvEUlS7_S7_E_S7_EEDaPvRmT3_T4_T5_mT6_P12ihipStream_tbENKUlT_T0_E_clISt17integral_constantIbLb1EESZ_EEDaSU_SV_EUlSU_E_NS1_11comp_targetILNS1_3genE3ELNS1_11target_archE908ELNS1_3gpuE7ELNS1_3repE0EEENS1_30default_config_static_selectorELNS0_4arch9wavefront6targetE1EEEvT1_: ; @_ZN7rocprim17ROCPRIM_400000_NS6detail17trampoline_kernelINS0_14default_configENS1_20scan_config_selectorIN3c107complexIdEEEEZZNS1_9scan_implILNS1_25lookback_scan_determinismE0ELb0ELb0ES3_PKS7_PS7_S7_ZZZN2at6native31launch_logcumsumexp_cuda_kernelERKNSE_10TensorBaseESI_lENKUlvE_clEvENKUlvE1_clEvEUlS7_S7_E_S7_EEDaPvRmT3_T4_T5_mT6_P12ihipStream_tbENKUlT_T0_E_clISt17integral_constantIbLb1EESZ_EEDaSU_SV_EUlSU_E_NS1_11comp_targetILNS1_3genE3ELNS1_11target_archE908ELNS1_3gpuE7ELNS1_3repE0EEENS1_30default_config_static_selectorELNS0_4arch9wavefront6targetE1EEEvT1_
; %bb.0:
	.section	.rodata,"a",@progbits
	.p2align	6, 0x0
	.amdhsa_kernel _ZN7rocprim17ROCPRIM_400000_NS6detail17trampoline_kernelINS0_14default_configENS1_20scan_config_selectorIN3c107complexIdEEEEZZNS1_9scan_implILNS1_25lookback_scan_determinismE0ELb0ELb0ES3_PKS7_PS7_S7_ZZZN2at6native31launch_logcumsumexp_cuda_kernelERKNSE_10TensorBaseESI_lENKUlvE_clEvENKUlvE1_clEvEUlS7_S7_E_S7_EEDaPvRmT3_T4_T5_mT6_P12ihipStream_tbENKUlT_T0_E_clISt17integral_constantIbLb1EESZ_EEDaSU_SV_EUlSU_E_NS1_11comp_targetILNS1_3genE3ELNS1_11target_archE908ELNS1_3gpuE7ELNS1_3repE0EEENS1_30default_config_static_selectorELNS0_4arch9wavefront6targetE1EEEvT1_
		.amdhsa_group_segment_fixed_size 0
		.amdhsa_private_segment_fixed_size 0
		.amdhsa_kernarg_size 128
		.amdhsa_user_sgpr_count 2
		.amdhsa_user_sgpr_dispatch_ptr 0
		.amdhsa_user_sgpr_queue_ptr 0
		.amdhsa_user_sgpr_kernarg_segment_ptr 1
		.amdhsa_user_sgpr_dispatch_id 0
		.amdhsa_user_sgpr_kernarg_preload_length 0
		.amdhsa_user_sgpr_kernarg_preload_offset 0
		.amdhsa_user_sgpr_private_segment_size 0
		.amdhsa_uses_dynamic_stack 0
		.amdhsa_enable_private_segment 0
		.amdhsa_system_sgpr_workgroup_id_x 1
		.amdhsa_system_sgpr_workgroup_id_y 0
		.amdhsa_system_sgpr_workgroup_id_z 0
		.amdhsa_system_sgpr_workgroup_info 0
		.amdhsa_system_vgpr_workitem_id 0
		.amdhsa_next_free_vgpr 1
		.amdhsa_next_free_sgpr 0
		.amdhsa_accum_offset 4
		.amdhsa_reserve_vcc 0
		.amdhsa_float_round_mode_32 0
		.amdhsa_float_round_mode_16_64 0
		.amdhsa_float_denorm_mode_32 3
		.amdhsa_float_denorm_mode_16_64 3
		.amdhsa_dx10_clamp 1
		.amdhsa_ieee_mode 1
		.amdhsa_fp16_overflow 0
		.amdhsa_tg_split 0
		.amdhsa_exception_fp_ieee_invalid_op 0
		.amdhsa_exception_fp_denorm_src 0
		.amdhsa_exception_fp_ieee_div_zero 0
		.amdhsa_exception_fp_ieee_overflow 0
		.amdhsa_exception_fp_ieee_underflow 0
		.amdhsa_exception_fp_ieee_inexact 0
		.amdhsa_exception_int_div_zero 0
	.end_amdhsa_kernel
	.section	.text._ZN7rocprim17ROCPRIM_400000_NS6detail17trampoline_kernelINS0_14default_configENS1_20scan_config_selectorIN3c107complexIdEEEEZZNS1_9scan_implILNS1_25lookback_scan_determinismE0ELb0ELb0ES3_PKS7_PS7_S7_ZZZN2at6native31launch_logcumsumexp_cuda_kernelERKNSE_10TensorBaseESI_lENKUlvE_clEvENKUlvE1_clEvEUlS7_S7_E_S7_EEDaPvRmT3_T4_T5_mT6_P12ihipStream_tbENKUlT_T0_E_clISt17integral_constantIbLb1EESZ_EEDaSU_SV_EUlSU_E_NS1_11comp_targetILNS1_3genE3ELNS1_11target_archE908ELNS1_3gpuE7ELNS1_3repE0EEENS1_30default_config_static_selectorELNS0_4arch9wavefront6targetE1EEEvT1_,"axG",@progbits,_ZN7rocprim17ROCPRIM_400000_NS6detail17trampoline_kernelINS0_14default_configENS1_20scan_config_selectorIN3c107complexIdEEEEZZNS1_9scan_implILNS1_25lookback_scan_determinismE0ELb0ELb0ES3_PKS7_PS7_S7_ZZZN2at6native31launch_logcumsumexp_cuda_kernelERKNSE_10TensorBaseESI_lENKUlvE_clEvENKUlvE1_clEvEUlS7_S7_E_S7_EEDaPvRmT3_T4_T5_mT6_P12ihipStream_tbENKUlT_T0_E_clISt17integral_constantIbLb1EESZ_EEDaSU_SV_EUlSU_E_NS1_11comp_targetILNS1_3genE3ELNS1_11target_archE908ELNS1_3gpuE7ELNS1_3repE0EEENS1_30default_config_static_selectorELNS0_4arch9wavefront6targetE1EEEvT1_,comdat
.Lfunc_end214:
	.size	_ZN7rocprim17ROCPRIM_400000_NS6detail17trampoline_kernelINS0_14default_configENS1_20scan_config_selectorIN3c107complexIdEEEEZZNS1_9scan_implILNS1_25lookback_scan_determinismE0ELb0ELb0ES3_PKS7_PS7_S7_ZZZN2at6native31launch_logcumsumexp_cuda_kernelERKNSE_10TensorBaseESI_lENKUlvE_clEvENKUlvE1_clEvEUlS7_S7_E_S7_EEDaPvRmT3_T4_T5_mT6_P12ihipStream_tbENKUlT_T0_E_clISt17integral_constantIbLb1EESZ_EEDaSU_SV_EUlSU_E_NS1_11comp_targetILNS1_3genE3ELNS1_11target_archE908ELNS1_3gpuE7ELNS1_3repE0EEENS1_30default_config_static_selectorELNS0_4arch9wavefront6targetE1EEEvT1_, .Lfunc_end214-_ZN7rocprim17ROCPRIM_400000_NS6detail17trampoline_kernelINS0_14default_configENS1_20scan_config_selectorIN3c107complexIdEEEEZZNS1_9scan_implILNS1_25lookback_scan_determinismE0ELb0ELb0ES3_PKS7_PS7_S7_ZZZN2at6native31launch_logcumsumexp_cuda_kernelERKNSE_10TensorBaseESI_lENKUlvE_clEvENKUlvE1_clEvEUlS7_S7_E_S7_EEDaPvRmT3_T4_T5_mT6_P12ihipStream_tbENKUlT_T0_E_clISt17integral_constantIbLb1EESZ_EEDaSU_SV_EUlSU_E_NS1_11comp_targetILNS1_3genE3ELNS1_11target_archE908ELNS1_3gpuE7ELNS1_3repE0EEENS1_30default_config_static_selectorELNS0_4arch9wavefront6targetE1EEEvT1_
                                        ; -- End function
	.section	.AMDGPU.csdata,"",@progbits
; Kernel info:
; codeLenInByte = 0
; NumSgprs: 6
; NumVgprs: 0
; NumAgprs: 0
; TotalNumVgprs: 0
; ScratchSize: 0
; MemoryBound: 0
; FloatMode: 240
; IeeeMode: 1
; LDSByteSize: 0 bytes/workgroup (compile time only)
; SGPRBlocks: 0
; VGPRBlocks: 0
; NumSGPRsForWavesPerEU: 6
; NumVGPRsForWavesPerEU: 1
; AccumOffset: 4
; Occupancy: 8
; WaveLimiterHint : 0
; COMPUTE_PGM_RSRC2:SCRATCH_EN: 0
; COMPUTE_PGM_RSRC2:USER_SGPR: 2
; COMPUTE_PGM_RSRC2:TRAP_HANDLER: 0
; COMPUTE_PGM_RSRC2:TGID_X_EN: 1
; COMPUTE_PGM_RSRC2:TGID_Y_EN: 0
; COMPUTE_PGM_RSRC2:TGID_Z_EN: 0
; COMPUTE_PGM_RSRC2:TIDIG_COMP_CNT: 0
; COMPUTE_PGM_RSRC3_GFX90A:ACCUM_OFFSET: 0
; COMPUTE_PGM_RSRC3_GFX90A:TG_SPLIT: 0
	.section	.text._ZN7rocprim17ROCPRIM_400000_NS6detail17trampoline_kernelINS0_14default_configENS1_20scan_config_selectorIN3c107complexIdEEEEZZNS1_9scan_implILNS1_25lookback_scan_determinismE0ELb0ELb0ES3_PKS7_PS7_S7_ZZZN2at6native31launch_logcumsumexp_cuda_kernelERKNSE_10TensorBaseESI_lENKUlvE_clEvENKUlvE1_clEvEUlS7_S7_E_S7_EEDaPvRmT3_T4_T5_mT6_P12ihipStream_tbENKUlT_T0_E_clISt17integral_constantIbLb1EESZ_EEDaSU_SV_EUlSU_E_NS1_11comp_targetILNS1_3genE2ELNS1_11target_archE906ELNS1_3gpuE6ELNS1_3repE0EEENS1_30default_config_static_selectorELNS0_4arch9wavefront6targetE1EEEvT1_,"axG",@progbits,_ZN7rocprim17ROCPRIM_400000_NS6detail17trampoline_kernelINS0_14default_configENS1_20scan_config_selectorIN3c107complexIdEEEEZZNS1_9scan_implILNS1_25lookback_scan_determinismE0ELb0ELb0ES3_PKS7_PS7_S7_ZZZN2at6native31launch_logcumsumexp_cuda_kernelERKNSE_10TensorBaseESI_lENKUlvE_clEvENKUlvE1_clEvEUlS7_S7_E_S7_EEDaPvRmT3_T4_T5_mT6_P12ihipStream_tbENKUlT_T0_E_clISt17integral_constantIbLb1EESZ_EEDaSU_SV_EUlSU_E_NS1_11comp_targetILNS1_3genE2ELNS1_11target_archE906ELNS1_3gpuE6ELNS1_3repE0EEENS1_30default_config_static_selectorELNS0_4arch9wavefront6targetE1EEEvT1_,comdat
	.globl	_ZN7rocprim17ROCPRIM_400000_NS6detail17trampoline_kernelINS0_14default_configENS1_20scan_config_selectorIN3c107complexIdEEEEZZNS1_9scan_implILNS1_25lookback_scan_determinismE0ELb0ELb0ES3_PKS7_PS7_S7_ZZZN2at6native31launch_logcumsumexp_cuda_kernelERKNSE_10TensorBaseESI_lENKUlvE_clEvENKUlvE1_clEvEUlS7_S7_E_S7_EEDaPvRmT3_T4_T5_mT6_P12ihipStream_tbENKUlT_T0_E_clISt17integral_constantIbLb1EESZ_EEDaSU_SV_EUlSU_E_NS1_11comp_targetILNS1_3genE2ELNS1_11target_archE906ELNS1_3gpuE6ELNS1_3repE0EEENS1_30default_config_static_selectorELNS0_4arch9wavefront6targetE1EEEvT1_ ; -- Begin function _ZN7rocprim17ROCPRIM_400000_NS6detail17trampoline_kernelINS0_14default_configENS1_20scan_config_selectorIN3c107complexIdEEEEZZNS1_9scan_implILNS1_25lookback_scan_determinismE0ELb0ELb0ES3_PKS7_PS7_S7_ZZZN2at6native31launch_logcumsumexp_cuda_kernelERKNSE_10TensorBaseESI_lENKUlvE_clEvENKUlvE1_clEvEUlS7_S7_E_S7_EEDaPvRmT3_T4_T5_mT6_P12ihipStream_tbENKUlT_T0_E_clISt17integral_constantIbLb1EESZ_EEDaSU_SV_EUlSU_E_NS1_11comp_targetILNS1_3genE2ELNS1_11target_archE906ELNS1_3gpuE6ELNS1_3repE0EEENS1_30default_config_static_selectorELNS0_4arch9wavefront6targetE1EEEvT1_
	.p2align	8
	.type	_ZN7rocprim17ROCPRIM_400000_NS6detail17trampoline_kernelINS0_14default_configENS1_20scan_config_selectorIN3c107complexIdEEEEZZNS1_9scan_implILNS1_25lookback_scan_determinismE0ELb0ELb0ES3_PKS7_PS7_S7_ZZZN2at6native31launch_logcumsumexp_cuda_kernelERKNSE_10TensorBaseESI_lENKUlvE_clEvENKUlvE1_clEvEUlS7_S7_E_S7_EEDaPvRmT3_T4_T5_mT6_P12ihipStream_tbENKUlT_T0_E_clISt17integral_constantIbLb1EESZ_EEDaSU_SV_EUlSU_E_NS1_11comp_targetILNS1_3genE2ELNS1_11target_archE906ELNS1_3gpuE6ELNS1_3repE0EEENS1_30default_config_static_selectorELNS0_4arch9wavefront6targetE1EEEvT1_,@function
_ZN7rocprim17ROCPRIM_400000_NS6detail17trampoline_kernelINS0_14default_configENS1_20scan_config_selectorIN3c107complexIdEEEEZZNS1_9scan_implILNS1_25lookback_scan_determinismE0ELb0ELb0ES3_PKS7_PS7_S7_ZZZN2at6native31launch_logcumsumexp_cuda_kernelERKNSE_10TensorBaseESI_lENKUlvE_clEvENKUlvE1_clEvEUlS7_S7_E_S7_EEDaPvRmT3_T4_T5_mT6_P12ihipStream_tbENKUlT_T0_E_clISt17integral_constantIbLb1EESZ_EEDaSU_SV_EUlSU_E_NS1_11comp_targetILNS1_3genE2ELNS1_11target_archE906ELNS1_3gpuE6ELNS1_3repE0EEENS1_30default_config_static_selectorELNS0_4arch9wavefront6targetE1EEEvT1_: ; @_ZN7rocprim17ROCPRIM_400000_NS6detail17trampoline_kernelINS0_14default_configENS1_20scan_config_selectorIN3c107complexIdEEEEZZNS1_9scan_implILNS1_25lookback_scan_determinismE0ELb0ELb0ES3_PKS7_PS7_S7_ZZZN2at6native31launch_logcumsumexp_cuda_kernelERKNSE_10TensorBaseESI_lENKUlvE_clEvENKUlvE1_clEvEUlS7_S7_E_S7_EEDaPvRmT3_T4_T5_mT6_P12ihipStream_tbENKUlT_T0_E_clISt17integral_constantIbLb1EESZ_EEDaSU_SV_EUlSU_E_NS1_11comp_targetILNS1_3genE2ELNS1_11target_archE906ELNS1_3gpuE6ELNS1_3repE0EEENS1_30default_config_static_selectorELNS0_4arch9wavefront6targetE1EEEvT1_
; %bb.0:
	.section	.rodata,"a",@progbits
	.p2align	6, 0x0
	.amdhsa_kernel _ZN7rocprim17ROCPRIM_400000_NS6detail17trampoline_kernelINS0_14default_configENS1_20scan_config_selectorIN3c107complexIdEEEEZZNS1_9scan_implILNS1_25lookback_scan_determinismE0ELb0ELb0ES3_PKS7_PS7_S7_ZZZN2at6native31launch_logcumsumexp_cuda_kernelERKNSE_10TensorBaseESI_lENKUlvE_clEvENKUlvE1_clEvEUlS7_S7_E_S7_EEDaPvRmT3_T4_T5_mT6_P12ihipStream_tbENKUlT_T0_E_clISt17integral_constantIbLb1EESZ_EEDaSU_SV_EUlSU_E_NS1_11comp_targetILNS1_3genE2ELNS1_11target_archE906ELNS1_3gpuE6ELNS1_3repE0EEENS1_30default_config_static_selectorELNS0_4arch9wavefront6targetE1EEEvT1_
		.amdhsa_group_segment_fixed_size 0
		.amdhsa_private_segment_fixed_size 0
		.amdhsa_kernarg_size 128
		.amdhsa_user_sgpr_count 2
		.amdhsa_user_sgpr_dispatch_ptr 0
		.amdhsa_user_sgpr_queue_ptr 0
		.amdhsa_user_sgpr_kernarg_segment_ptr 1
		.amdhsa_user_sgpr_dispatch_id 0
		.amdhsa_user_sgpr_kernarg_preload_length 0
		.amdhsa_user_sgpr_kernarg_preload_offset 0
		.amdhsa_user_sgpr_private_segment_size 0
		.amdhsa_uses_dynamic_stack 0
		.amdhsa_enable_private_segment 0
		.amdhsa_system_sgpr_workgroup_id_x 1
		.amdhsa_system_sgpr_workgroup_id_y 0
		.amdhsa_system_sgpr_workgroup_id_z 0
		.amdhsa_system_sgpr_workgroup_info 0
		.amdhsa_system_vgpr_workitem_id 0
		.amdhsa_next_free_vgpr 1
		.amdhsa_next_free_sgpr 0
		.amdhsa_accum_offset 4
		.amdhsa_reserve_vcc 0
		.amdhsa_float_round_mode_32 0
		.amdhsa_float_round_mode_16_64 0
		.amdhsa_float_denorm_mode_32 3
		.amdhsa_float_denorm_mode_16_64 3
		.amdhsa_dx10_clamp 1
		.amdhsa_ieee_mode 1
		.amdhsa_fp16_overflow 0
		.amdhsa_tg_split 0
		.amdhsa_exception_fp_ieee_invalid_op 0
		.amdhsa_exception_fp_denorm_src 0
		.amdhsa_exception_fp_ieee_div_zero 0
		.amdhsa_exception_fp_ieee_overflow 0
		.amdhsa_exception_fp_ieee_underflow 0
		.amdhsa_exception_fp_ieee_inexact 0
		.amdhsa_exception_int_div_zero 0
	.end_amdhsa_kernel
	.section	.text._ZN7rocprim17ROCPRIM_400000_NS6detail17trampoline_kernelINS0_14default_configENS1_20scan_config_selectorIN3c107complexIdEEEEZZNS1_9scan_implILNS1_25lookback_scan_determinismE0ELb0ELb0ES3_PKS7_PS7_S7_ZZZN2at6native31launch_logcumsumexp_cuda_kernelERKNSE_10TensorBaseESI_lENKUlvE_clEvENKUlvE1_clEvEUlS7_S7_E_S7_EEDaPvRmT3_T4_T5_mT6_P12ihipStream_tbENKUlT_T0_E_clISt17integral_constantIbLb1EESZ_EEDaSU_SV_EUlSU_E_NS1_11comp_targetILNS1_3genE2ELNS1_11target_archE906ELNS1_3gpuE6ELNS1_3repE0EEENS1_30default_config_static_selectorELNS0_4arch9wavefront6targetE1EEEvT1_,"axG",@progbits,_ZN7rocprim17ROCPRIM_400000_NS6detail17trampoline_kernelINS0_14default_configENS1_20scan_config_selectorIN3c107complexIdEEEEZZNS1_9scan_implILNS1_25lookback_scan_determinismE0ELb0ELb0ES3_PKS7_PS7_S7_ZZZN2at6native31launch_logcumsumexp_cuda_kernelERKNSE_10TensorBaseESI_lENKUlvE_clEvENKUlvE1_clEvEUlS7_S7_E_S7_EEDaPvRmT3_T4_T5_mT6_P12ihipStream_tbENKUlT_T0_E_clISt17integral_constantIbLb1EESZ_EEDaSU_SV_EUlSU_E_NS1_11comp_targetILNS1_3genE2ELNS1_11target_archE906ELNS1_3gpuE6ELNS1_3repE0EEENS1_30default_config_static_selectorELNS0_4arch9wavefront6targetE1EEEvT1_,comdat
.Lfunc_end215:
	.size	_ZN7rocprim17ROCPRIM_400000_NS6detail17trampoline_kernelINS0_14default_configENS1_20scan_config_selectorIN3c107complexIdEEEEZZNS1_9scan_implILNS1_25lookback_scan_determinismE0ELb0ELb0ES3_PKS7_PS7_S7_ZZZN2at6native31launch_logcumsumexp_cuda_kernelERKNSE_10TensorBaseESI_lENKUlvE_clEvENKUlvE1_clEvEUlS7_S7_E_S7_EEDaPvRmT3_T4_T5_mT6_P12ihipStream_tbENKUlT_T0_E_clISt17integral_constantIbLb1EESZ_EEDaSU_SV_EUlSU_E_NS1_11comp_targetILNS1_3genE2ELNS1_11target_archE906ELNS1_3gpuE6ELNS1_3repE0EEENS1_30default_config_static_selectorELNS0_4arch9wavefront6targetE1EEEvT1_, .Lfunc_end215-_ZN7rocprim17ROCPRIM_400000_NS6detail17trampoline_kernelINS0_14default_configENS1_20scan_config_selectorIN3c107complexIdEEEEZZNS1_9scan_implILNS1_25lookback_scan_determinismE0ELb0ELb0ES3_PKS7_PS7_S7_ZZZN2at6native31launch_logcumsumexp_cuda_kernelERKNSE_10TensorBaseESI_lENKUlvE_clEvENKUlvE1_clEvEUlS7_S7_E_S7_EEDaPvRmT3_T4_T5_mT6_P12ihipStream_tbENKUlT_T0_E_clISt17integral_constantIbLb1EESZ_EEDaSU_SV_EUlSU_E_NS1_11comp_targetILNS1_3genE2ELNS1_11target_archE906ELNS1_3gpuE6ELNS1_3repE0EEENS1_30default_config_static_selectorELNS0_4arch9wavefront6targetE1EEEvT1_
                                        ; -- End function
	.section	.AMDGPU.csdata,"",@progbits
; Kernel info:
; codeLenInByte = 0
; NumSgprs: 6
; NumVgprs: 0
; NumAgprs: 0
; TotalNumVgprs: 0
; ScratchSize: 0
; MemoryBound: 0
; FloatMode: 240
; IeeeMode: 1
; LDSByteSize: 0 bytes/workgroup (compile time only)
; SGPRBlocks: 0
; VGPRBlocks: 0
; NumSGPRsForWavesPerEU: 6
; NumVGPRsForWavesPerEU: 1
; AccumOffset: 4
; Occupancy: 8
; WaveLimiterHint : 0
; COMPUTE_PGM_RSRC2:SCRATCH_EN: 0
; COMPUTE_PGM_RSRC2:USER_SGPR: 2
; COMPUTE_PGM_RSRC2:TRAP_HANDLER: 0
; COMPUTE_PGM_RSRC2:TGID_X_EN: 1
; COMPUTE_PGM_RSRC2:TGID_Y_EN: 0
; COMPUTE_PGM_RSRC2:TGID_Z_EN: 0
; COMPUTE_PGM_RSRC2:TIDIG_COMP_CNT: 0
; COMPUTE_PGM_RSRC3_GFX90A:ACCUM_OFFSET: 0
; COMPUTE_PGM_RSRC3_GFX90A:TG_SPLIT: 0
	.section	.text._ZN7rocprim17ROCPRIM_400000_NS6detail17trampoline_kernelINS0_14default_configENS1_20scan_config_selectorIN3c107complexIdEEEEZZNS1_9scan_implILNS1_25lookback_scan_determinismE0ELb0ELb0ES3_PKS7_PS7_S7_ZZZN2at6native31launch_logcumsumexp_cuda_kernelERKNSE_10TensorBaseESI_lENKUlvE_clEvENKUlvE1_clEvEUlS7_S7_E_S7_EEDaPvRmT3_T4_T5_mT6_P12ihipStream_tbENKUlT_T0_E_clISt17integral_constantIbLb1EESZ_EEDaSU_SV_EUlSU_E_NS1_11comp_targetILNS1_3genE10ELNS1_11target_archE1201ELNS1_3gpuE5ELNS1_3repE0EEENS1_30default_config_static_selectorELNS0_4arch9wavefront6targetE1EEEvT1_,"axG",@progbits,_ZN7rocprim17ROCPRIM_400000_NS6detail17trampoline_kernelINS0_14default_configENS1_20scan_config_selectorIN3c107complexIdEEEEZZNS1_9scan_implILNS1_25lookback_scan_determinismE0ELb0ELb0ES3_PKS7_PS7_S7_ZZZN2at6native31launch_logcumsumexp_cuda_kernelERKNSE_10TensorBaseESI_lENKUlvE_clEvENKUlvE1_clEvEUlS7_S7_E_S7_EEDaPvRmT3_T4_T5_mT6_P12ihipStream_tbENKUlT_T0_E_clISt17integral_constantIbLb1EESZ_EEDaSU_SV_EUlSU_E_NS1_11comp_targetILNS1_3genE10ELNS1_11target_archE1201ELNS1_3gpuE5ELNS1_3repE0EEENS1_30default_config_static_selectorELNS0_4arch9wavefront6targetE1EEEvT1_,comdat
	.globl	_ZN7rocprim17ROCPRIM_400000_NS6detail17trampoline_kernelINS0_14default_configENS1_20scan_config_selectorIN3c107complexIdEEEEZZNS1_9scan_implILNS1_25lookback_scan_determinismE0ELb0ELb0ES3_PKS7_PS7_S7_ZZZN2at6native31launch_logcumsumexp_cuda_kernelERKNSE_10TensorBaseESI_lENKUlvE_clEvENKUlvE1_clEvEUlS7_S7_E_S7_EEDaPvRmT3_T4_T5_mT6_P12ihipStream_tbENKUlT_T0_E_clISt17integral_constantIbLb1EESZ_EEDaSU_SV_EUlSU_E_NS1_11comp_targetILNS1_3genE10ELNS1_11target_archE1201ELNS1_3gpuE5ELNS1_3repE0EEENS1_30default_config_static_selectorELNS0_4arch9wavefront6targetE1EEEvT1_ ; -- Begin function _ZN7rocprim17ROCPRIM_400000_NS6detail17trampoline_kernelINS0_14default_configENS1_20scan_config_selectorIN3c107complexIdEEEEZZNS1_9scan_implILNS1_25lookback_scan_determinismE0ELb0ELb0ES3_PKS7_PS7_S7_ZZZN2at6native31launch_logcumsumexp_cuda_kernelERKNSE_10TensorBaseESI_lENKUlvE_clEvENKUlvE1_clEvEUlS7_S7_E_S7_EEDaPvRmT3_T4_T5_mT6_P12ihipStream_tbENKUlT_T0_E_clISt17integral_constantIbLb1EESZ_EEDaSU_SV_EUlSU_E_NS1_11comp_targetILNS1_3genE10ELNS1_11target_archE1201ELNS1_3gpuE5ELNS1_3repE0EEENS1_30default_config_static_selectorELNS0_4arch9wavefront6targetE1EEEvT1_
	.p2align	8
	.type	_ZN7rocprim17ROCPRIM_400000_NS6detail17trampoline_kernelINS0_14default_configENS1_20scan_config_selectorIN3c107complexIdEEEEZZNS1_9scan_implILNS1_25lookback_scan_determinismE0ELb0ELb0ES3_PKS7_PS7_S7_ZZZN2at6native31launch_logcumsumexp_cuda_kernelERKNSE_10TensorBaseESI_lENKUlvE_clEvENKUlvE1_clEvEUlS7_S7_E_S7_EEDaPvRmT3_T4_T5_mT6_P12ihipStream_tbENKUlT_T0_E_clISt17integral_constantIbLb1EESZ_EEDaSU_SV_EUlSU_E_NS1_11comp_targetILNS1_3genE10ELNS1_11target_archE1201ELNS1_3gpuE5ELNS1_3repE0EEENS1_30default_config_static_selectorELNS0_4arch9wavefront6targetE1EEEvT1_,@function
_ZN7rocprim17ROCPRIM_400000_NS6detail17trampoline_kernelINS0_14default_configENS1_20scan_config_selectorIN3c107complexIdEEEEZZNS1_9scan_implILNS1_25lookback_scan_determinismE0ELb0ELb0ES3_PKS7_PS7_S7_ZZZN2at6native31launch_logcumsumexp_cuda_kernelERKNSE_10TensorBaseESI_lENKUlvE_clEvENKUlvE1_clEvEUlS7_S7_E_S7_EEDaPvRmT3_T4_T5_mT6_P12ihipStream_tbENKUlT_T0_E_clISt17integral_constantIbLb1EESZ_EEDaSU_SV_EUlSU_E_NS1_11comp_targetILNS1_3genE10ELNS1_11target_archE1201ELNS1_3gpuE5ELNS1_3repE0EEENS1_30default_config_static_selectorELNS0_4arch9wavefront6targetE1EEEvT1_: ; @_ZN7rocprim17ROCPRIM_400000_NS6detail17trampoline_kernelINS0_14default_configENS1_20scan_config_selectorIN3c107complexIdEEEEZZNS1_9scan_implILNS1_25lookback_scan_determinismE0ELb0ELb0ES3_PKS7_PS7_S7_ZZZN2at6native31launch_logcumsumexp_cuda_kernelERKNSE_10TensorBaseESI_lENKUlvE_clEvENKUlvE1_clEvEUlS7_S7_E_S7_EEDaPvRmT3_T4_T5_mT6_P12ihipStream_tbENKUlT_T0_E_clISt17integral_constantIbLb1EESZ_EEDaSU_SV_EUlSU_E_NS1_11comp_targetILNS1_3genE10ELNS1_11target_archE1201ELNS1_3gpuE5ELNS1_3repE0EEENS1_30default_config_static_selectorELNS0_4arch9wavefront6targetE1EEEvT1_
; %bb.0:
	.section	.rodata,"a",@progbits
	.p2align	6, 0x0
	.amdhsa_kernel _ZN7rocprim17ROCPRIM_400000_NS6detail17trampoline_kernelINS0_14default_configENS1_20scan_config_selectorIN3c107complexIdEEEEZZNS1_9scan_implILNS1_25lookback_scan_determinismE0ELb0ELb0ES3_PKS7_PS7_S7_ZZZN2at6native31launch_logcumsumexp_cuda_kernelERKNSE_10TensorBaseESI_lENKUlvE_clEvENKUlvE1_clEvEUlS7_S7_E_S7_EEDaPvRmT3_T4_T5_mT6_P12ihipStream_tbENKUlT_T0_E_clISt17integral_constantIbLb1EESZ_EEDaSU_SV_EUlSU_E_NS1_11comp_targetILNS1_3genE10ELNS1_11target_archE1201ELNS1_3gpuE5ELNS1_3repE0EEENS1_30default_config_static_selectorELNS0_4arch9wavefront6targetE1EEEvT1_
		.amdhsa_group_segment_fixed_size 0
		.amdhsa_private_segment_fixed_size 0
		.amdhsa_kernarg_size 128
		.amdhsa_user_sgpr_count 2
		.amdhsa_user_sgpr_dispatch_ptr 0
		.amdhsa_user_sgpr_queue_ptr 0
		.amdhsa_user_sgpr_kernarg_segment_ptr 1
		.amdhsa_user_sgpr_dispatch_id 0
		.amdhsa_user_sgpr_kernarg_preload_length 0
		.amdhsa_user_sgpr_kernarg_preload_offset 0
		.amdhsa_user_sgpr_private_segment_size 0
		.amdhsa_uses_dynamic_stack 0
		.amdhsa_enable_private_segment 0
		.amdhsa_system_sgpr_workgroup_id_x 1
		.amdhsa_system_sgpr_workgroup_id_y 0
		.amdhsa_system_sgpr_workgroup_id_z 0
		.amdhsa_system_sgpr_workgroup_info 0
		.amdhsa_system_vgpr_workitem_id 0
		.amdhsa_next_free_vgpr 1
		.amdhsa_next_free_sgpr 0
		.amdhsa_accum_offset 4
		.amdhsa_reserve_vcc 0
		.amdhsa_float_round_mode_32 0
		.amdhsa_float_round_mode_16_64 0
		.amdhsa_float_denorm_mode_32 3
		.amdhsa_float_denorm_mode_16_64 3
		.amdhsa_dx10_clamp 1
		.amdhsa_ieee_mode 1
		.amdhsa_fp16_overflow 0
		.amdhsa_tg_split 0
		.amdhsa_exception_fp_ieee_invalid_op 0
		.amdhsa_exception_fp_denorm_src 0
		.amdhsa_exception_fp_ieee_div_zero 0
		.amdhsa_exception_fp_ieee_overflow 0
		.amdhsa_exception_fp_ieee_underflow 0
		.amdhsa_exception_fp_ieee_inexact 0
		.amdhsa_exception_int_div_zero 0
	.end_amdhsa_kernel
	.section	.text._ZN7rocprim17ROCPRIM_400000_NS6detail17trampoline_kernelINS0_14default_configENS1_20scan_config_selectorIN3c107complexIdEEEEZZNS1_9scan_implILNS1_25lookback_scan_determinismE0ELb0ELb0ES3_PKS7_PS7_S7_ZZZN2at6native31launch_logcumsumexp_cuda_kernelERKNSE_10TensorBaseESI_lENKUlvE_clEvENKUlvE1_clEvEUlS7_S7_E_S7_EEDaPvRmT3_T4_T5_mT6_P12ihipStream_tbENKUlT_T0_E_clISt17integral_constantIbLb1EESZ_EEDaSU_SV_EUlSU_E_NS1_11comp_targetILNS1_3genE10ELNS1_11target_archE1201ELNS1_3gpuE5ELNS1_3repE0EEENS1_30default_config_static_selectorELNS0_4arch9wavefront6targetE1EEEvT1_,"axG",@progbits,_ZN7rocprim17ROCPRIM_400000_NS6detail17trampoline_kernelINS0_14default_configENS1_20scan_config_selectorIN3c107complexIdEEEEZZNS1_9scan_implILNS1_25lookback_scan_determinismE0ELb0ELb0ES3_PKS7_PS7_S7_ZZZN2at6native31launch_logcumsumexp_cuda_kernelERKNSE_10TensorBaseESI_lENKUlvE_clEvENKUlvE1_clEvEUlS7_S7_E_S7_EEDaPvRmT3_T4_T5_mT6_P12ihipStream_tbENKUlT_T0_E_clISt17integral_constantIbLb1EESZ_EEDaSU_SV_EUlSU_E_NS1_11comp_targetILNS1_3genE10ELNS1_11target_archE1201ELNS1_3gpuE5ELNS1_3repE0EEENS1_30default_config_static_selectorELNS0_4arch9wavefront6targetE1EEEvT1_,comdat
.Lfunc_end216:
	.size	_ZN7rocprim17ROCPRIM_400000_NS6detail17trampoline_kernelINS0_14default_configENS1_20scan_config_selectorIN3c107complexIdEEEEZZNS1_9scan_implILNS1_25lookback_scan_determinismE0ELb0ELb0ES3_PKS7_PS7_S7_ZZZN2at6native31launch_logcumsumexp_cuda_kernelERKNSE_10TensorBaseESI_lENKUlvE_clEvENKUlvE1_clEvEUlS7_S7_E_S7_EEDaPvRmT3_T4_T5_mT6_P12ihipStream_tbENKUlT_T0_E_clISt17integral_constantIbLb1EESZ_EEDaSU_SV_EUlSU_E_NS1_11comp_targetILNS1_3genE10ELNS1_11target_archE1201ELNS1_3gpuE5ELNS1_3repE0EEENS1_30default_config_static_selectorELNS0_4arch9wavefront6targetE1EEEvT1_, .Lfunc_end216-_ZN7rocprim17ROCPRIM_400000_NS6detail17trampoline_kernelINS0_14default_configENS1_20scan_config_selectorIN3c107complexIdEEEEZZNS1_9scan_implILNS1_25lookback_scan_determinismE0ELb0ELb0ES3_PKS7_PS7_S7_ZZZN2at6native31launch_logcumsumexp_cuda_kernelERKNSE_10TensorBaseESI_lENKUlvE_clEvENKUlvE1_clEvEUlS7_S7_E_S7_EEDaPvRmT3_T4_T5_mT6_P12ihipStream_tbENKUlT_T0_E_clISt17integral_constantIbLb1EESZ_EEDaSU_SV_EUlSU_E_NS1_11comp_targetILNS1_3genE10ELNS1_11target_archE1201ELNS1_3gpuE5ELNS1_3repE0EEENS1_30default_config_static_selectorELNS0_4arch9wavefront6targetE1EEEvT1_
                                        ; -- End function
	.section	.AMDGPU.csdata,"",@progbits
; Kernel info:
; codeLenInByte = 0
; NumSgprs: 6
; NumVgprs: 0
; NumAgprs: 0
; TotalNumVgprs: 0
; ScratchSize: 0
; MemoryBound: 0
; FloatMode: 240
; IeeeMode: 1
; LDSByteSize: 0 bytes/workgroup (compile time only)
; SGPRBlocks: 0
; VGPRBlocks: 0
; NumSGPRsForWavesPerEU: 6
; NumVGPRsForWavesPerEU: 1
; AccumOffset: 4
; Occupancy: 8
; WaveLimiterHint : 0
; COMPUTE_PGM_RSRC2:SCRATCH_EN: 0
; COMPUTE_PGM_RSRC2:USER_SGPR: 2
; COMPUTE_PGM_RSRC2:TRAP_HANDLER: 0
; COMPUTE_PGM_RSRC2:TGID_X_EN: 1
; COMPUTE_PGM_RSRC2:TGID_Y_EN: 0
; COMPUTE_PGM_RSRC2:TGID_Z_EN: 0
; COMPUTE_PGM_RSRC2:TIDIG_COMP_CNT: 0
; COMPUTE_PGM_RSRC3_GFX90A:ACCUM_OFFSET: 0
; COMPUTE_PGM_RSRC3_GFX90A:TG_SPLIT: 0
	.section	.text._ZN7rocprim17ROCPRIM_400000_NS6detail17trampoline_kernelINS0_14default_configENS1_20scan_config_selectorIN3c107complexIdEEEEZZNS1_9scan_implILNS1_25lookback_scan_determinismE0ELb0ELb0ES3_PKS7_PS7_S7_ZZZN2at6native31launch_logcumsumexp_cuda_kernelERKNSE_10TensorBaseESI_lENKUlvE_clEvENKUlvE1_clEvEUlS7_S7_E_S7_EEDaPvRmT3_T4_T5_mT6_P12ihipStream_tbENKUlT_T0_E_clISt17integral_constantIbLb1EESZ_EEDaSU_SV_EUlSU_E_NS1_11comp_targetILNS1_3genE10ELNS1_11target_archE1200ELNS1_3gpuE4ELNS1_3repE0EEENS1_30default_config_static_selectorELNS0_4arch9wavefront6targetE1EEEvT1_,"axG",@progbits,_ZN7rocprim17ROCPRIM_400000_NS6detail17trampoline_kernelINS0_14default_configENS1_20scan_config_selectorIN3c107complexIdEEEEZZNS1_9scan_implILNS1_25lookback_scan_determinismE0ELb0ELb0ES3_PKS7_PS7_S7_ZZZN2at6native31launch_logcumsumexp_cuda_kernelERKNSE_10TensorBaseESI_lENKUlvE_clEvENKUlvE1_clEvEUlS7_S7_E_S7_EEDaPvRmT3_T4_T5_mT6_P12ihipStream_tbENKUlT_T0_E_clISt17integral_constantIbLb1EESZ_EEDaSU_SV_EUlSU_E_NS1_11comp_targetILNS1_3genE10ELNS1_11target_archE1200ELNS1_3gpuE4ELNS1_3repE0EEENS1_30default_config_static_selectorELNS0_4arch9wavefront6targetE1EEEvT1_,comdat
	.globl	_ZN7rocprim17ROCPRIM_400000_NS6detail17trampoline_kernelINS0_14default_configENS1_20scan_config_selectorIN3c107complexIdEEEEZZNS1_9scan_implILNS1_25lookback_scan_determinismE0ELb0ELb0ES3_PKS7_PS7_S7_ZZZN2at6native31launch_logcumsumexp_cuda_kernelERKNSE_10TensorBaseESI_lENKUlvE_clEvENKUlvE1_clEvEUlS7_S7_E_S7_EEDaPvRmT3_T4_T5_mT6_P12ihipStream_tbENKUlT_T0_E_clISt17integral_constantIbLb1EESZ_EEDaSU_SV_EUlSU_E_NS1_11comp_targetILNS1_3genE10ELNS1_11target_archE1200ELNS1_3gpuE4ELNS1_3repE0EEENS1_30default_config_static_selectorELNS0_4arch9wavefront6targetE1EEEvT1_ ; -- Begin function _ZN7rocprim17ROCPRIM_400000_NS6detail17trampoline_kernelINS0_14default_configENS1_20scan_config_selectorIN3c107complexIdEEEEZZNS1_9scan_implILNS1_25lookback_scan_determinismE0ELb0ELb0ES3_PKS7_PS7_S7_ZZZN2at6native31launch_logcumsumexp_cuda_kernelERKNSE_10TensorBaseESI_lENKUlvE_clEvENKUlvE1_clEvEUlS7_S7_E_S7_EEDaPvRmT3_T4_T5_mT6_P12ihipStream_tbENKUlT_T0_E_clISt17integral_constantIbLb1EESZ_EEDaSU_SV_EUlSU_E_NS1_11comp_targetILNS1_3genE10ELNS1_11target_archE1200ELNS1_3gpuE4ELNS1_3repE0EEENS1_30default_config_static_selectorELNS0_4arch9wavefront6targetE1EEEvT1_
	.p2align	8
	.type	_ZN7rocprim17ROCPRIM_400000_NS6detail17trampoline_kernelINS0_14default_configENS1_20scan_config_selectorIN3c107complexIdEEEEZZNS1_9scan_implILNS1_25lookback_scan_determinismE0ELb0ELb0ES3_PKS7_PS7_S7_ZZZN2at6native31launch_logcumsumexp_cuda_kernelERKNSE_10TensorBaseESI_lENKUlvE_clEvENKUlvE1_clEvEUlS7_S7_E_S7_EEDaPvRmT3_T4_T5_mT6_P12ihipStream_tbENKUlT_T0_E_clISt17integral_constantIbLb1EESZ_EEDaSU_SV_EUlSU_E_NS1_11comp_targetILNS1_3genE10ELNS1_11target_archE1200ELNS1_3gpuE4ELNS1_3repE0EEENS1_30default_config_static_selectorELNS0_4arch9wavefront6targetE1EEEvT1_,@function
_ZN7rocprim17ROCPRIM_400000_NS6detail17trampoline_kernelINS0_14default_configENS1_20scan_config_selectorIN3c107complexIdEEEEZZNS1_9scan_implILNS1_25lookback_scan_determinismE0ELb0ELb0ES3_PKS7_PS7_S7_ZZZN2at6native31launch_logcumsumexp_cuda_kernelERKNSE_10TensorBaseESI_lENKUlvE_clEvENKUlvE1_clEvEUlS7_S7_E_S7_EEDaPvRmT3_T4_T5_mT6_P12ihipStream_tbENKUlT_T0_E_clISt17integral_constantIbLb1EESZ_EEDaSU_SV_EUlSU_E_NS1_11comp_targetILNS1_3genE10ELNS1_11target_archE1200ELNS1_3gpuE4ELNS1_3repE0EEENS1_30default_config_static_selectorELNS0_4arch9wavefront6targetE1EEEvT1_: ; @_ZN7rocprim17ROCPRIM_400000_NS6detail17trampoline_kernelINS0_14default_configENS1_20scan_config_selectorIN3c107complexIdEEEEZZNS1_9scan_implILNS1_25lookback_scan_determinismE0ELb0ELb0ES3_PKS7_PS7_S7_ZZZN2at6native31launch_logcumsumexp_cuda_kernelERKNSE_10TensorBaseESI_lENKUlvE_clEvENKUlvE1_clEvEUlS7_S7_E_S7_EEDaPvRmT3_T4_T5_mT6_P12ihipStream_tbENKUlT_T0_E_clISt17integral_constantIbLb1EESZ_EEDaSU_SV_EUlSU_E_NS1_11comp_targetILNS1_3genE10ELNS1_11target_archE1200ELNS1_3gpuE4ELNS1_3repE0EEENS1_30default_config_static_selectorELNS0_4arch9wavefront6targetE1EEEvT1_
; %bb.0:
	.section	.rodata,"a",@progbits
	.p2align	6, 0x0
	.amdhsa_kernel _ZN7rocprim17ROCPRIM_400000_NS6detail17trampoline_kernelINS0_14default_configENS1_20scan_config_selectorIN3c107complexIdEEEEZZNS1_9scan_implILNS1_25lookback_scan_determinismE0ELb0ELb0ES3_PKS7_PS7_S7_ZZZN2at6native31launch_logcumsumexp_cuda_kernelERKNSE_10TensorBaseESI_lENKUlvE_clEvENKUlvE1_clEvEUlS7_S7_E_S7_EEDaPvRmT3_T4_T5_mT6_P12ihipStream_tbENKUlT_T0_E_clISt17integral_constantIbLb1EESZ_EEDaSU_SV_EUlSU_E_NS1_11comp_targetILNS1_3genE10ELNS1_11target_archE1200ELNS1_3gpuE4ELNS1_3repE0EEENS1_30default_config_static_selectorELNS0_4arch9wavefront6targetE1EEEvT1_
		.amdhsa_group_segment_fixed_size 0
		.amdhsa_private_segment_fixed_size 0
		.amdhsa_kernarg_size 128
		.amdhsa_user_sgpr_count 2
		.amdhsa_user_sgpr_dispatch_ptr 0
		.amdhsa_user_sgpr_queue_ptr 0
		.amdhsa_user_sgpr_kernarg_segment_ptr 1
		.amdhsa_user_sgpr_dispatch_id 0
		.amdhsa_user_sgpr_kernarg_preload_length 0
		.amdhsa_user_sgpr_kernarg_preload_offset 0
		.amdhsa_user_sgpr_private_segment_size 0
		.amdhsa_uses_dynamic_stack 0
		.amdhsa_enable_private_segment 0
		.amdhsa_system_sgpr_workgroup_id_x 1
		.amdhsa_system_sgpr_workgroup_id_y 0
		.amdhsa_system_sgpr_workgroup_id_z 0
		.amdhsa_system_sgpr_workgroup_info 0
		.amdhsa_system_vgpr_workitem_id 0
		.amdhsa_next_free_vgpr 1
		.amdhsa_next_free_sgpr 0
		.amdhsa_accum_offset 4
		.amdhsa_reserve_vcc 0
		.amdhsa_float_round_mode_32 0
		.amdhsa_float_round_mode_16_64 0
		.amdhsa_float_denorm_mode_32 3
		.amdhsa_float_denorm_mode_16_64 3
		.amdhsa_dx10_clamp 1
		.amdhsa_ieee_mode 1
		.amdhsa_fp16_overflow 0
		.amdhsa_tg_split 0
		.amdhsa_exception_fp_ieee_invalid_op 0
		.amdhsa_exception_fp_denorm_src 0
		.amdhsa_exception_fp_ieee_div_zero 0
		.amdhsa_exception_fp_ieee_overflow 0
		.amdhsa_exception_fp_ieee_underflow 0
		.amdhsa_exception_fp_ieee_inexact 0
		.amdhsa_exception_int_div_zero 0
	.end_amdhsa_kernel
	.section	.text._ZN7rocprim17ROCPRIM_400000_NS6detail17trampoline_kernelINS0_14default_configENS1_20scan_config_selectorIN3c107complexIdEEEEZZNS1_9scan_implILNS1_25lookback_scan_determinismE0ELb0ELb0ES3_PKS7_PS7_S7_ZZZN2at6native31launch_logcumsumexp_cuda_kernelERKNSE_10TensorBaseESI_lENKUlvE_clEvENKUlvE1_clEvEUlS7_S7_E_S7_EEDaPvRmT3_T4_T5_mT6_P12ihipStream_tbENKUlT_T0_E_clISt17integral_constantIbLb1EESZ_EEDaSU_SV_EUlSU_E_NS1_11comp_targetILNS1_3genE10ELNS1_11target_archE1200ELNS1_3gpuE4ELNS1_3repE0EEENS1_30default_config_static_selectorELNS0_4arch9wavefront6targetE1EEEvT1_,"axG",@progbits,_ZN7rocprim17ROCPRIM_400000_NS6detail17trampoline_kernelINS0_14default_configENS1_20scan_config_selectorIN3c107complexIdEEEEZZNS1_9scan_implILNS1_25lookback_scan_determinismE0ELb0ELb0ES3_PKS7_PS7_S7_ZZZN2at6native31launch_logcumsumexp_cuda_kernelERKNSE_10TensorBaseESI_lENKUlvE_clEvENKUlvE1_clEvEUlS7_S7_E_S7_EEDaPvRmT3_T4_T5_mT6_P12ihipStream_tbENKUlT_T0_E_clISt17integral_constantIbLb1EESZ_EEDaSU_SV_EUlSU_E_NS1_11comp_targetILNS1_3genE10ELNS1_11target_archE1200ELNS1_3gpuE4ELNS1_3repE0EEENS1_30default_config_static_selectorELNS0_4arch9wavefront6targetE1EEEvT1_,comdat
.Lfunc_end217:
	.size	_ZN7rocprim17ROCPRIM_400000_NS6detail17trampoline_kernelINS0_14default_configENS1_20scan_config_selectorIN3c107complexIdEEEEZZNS1_9scan_implILNS1_25lookback_scan_determinismE0ELb0ELb0ES3_PKS7_PS7_S7_ZZZN2at6native31launch_logcumsumexp_cuda_kernelERKNSE_10TensorBaseESI_lENKUlvE_clEvENKUlvE1_clEvEUlS7_S7_E_S7_EEDaPvRmT3_T4_T5_mT6_P12ihipStream_tbENKUlT_T0_E_clISt17integral_constantIbLb1EESZ_EEDaSU_SV_EUlSU_E_NS1_11comp_targetILNS1_3genE10ELNS1_11target_archE1200ELNS1_3gpuE4ELNS1_3repE0EEENS1_30default_config_static_selectorELNS0_4arch9wavefront6targetE1EEEvT1_, .Lfunc_end217-_ZN7rocprim17ROCPRIM_400000_NS6detail17trampoline_kernelINS0_14default_configENS1_20scan_config_selectorIN3c107complexIdEEEEZZNS1_9scan_implILNS1_25lookback_scan_determinismE0ELb0ELb0ES3_PKS7_PS7_S7_ZZZN2at6native31launch_logcumsumexp_cuda_kernelERKNSE_10TensorBaseESI_lENKUlvE_clEvENKUlvE1_clEvEUlS7_S7_E_S7_EEDaPvRmT3_T4_T5_mT6_P12ihipStream_tbENKUlT_T0_E_clISt17integral_constantIbLb1EESZ_EEDaSU_SV_EUlSU_E_NS1_11comp_targetILNS1_3genE10ELNS1_11target_archE1200ELNS1_3gpuE4ELNS1_3repE0EEENS1_30default_config_static_selectorELNS0_4arch9wavefront6targetE1EEEvT1_
                                        ; -- End function
	.section	.AMDGPU.csdata,"",@progbits
; Kernel info:
; codeLenInByte = 0
; NumSgprs: 6
; NumVgprs: 0
; NumAgprs: 0
; TotalNumVgprs: 0
; ScratchSize: 0
; MemoryBound: 0
; FloatMode: 240
; IeeeMode: 1
; LDSByteSize: 0 bytes/workgroup (compile time only)
; SGPRBlocks: 0
; VGPRBlocks: 0
; NumSGPRsForWavesPerEU: 6
; NumVGPRsForWavesPerEU: 1
; AccumOffset: 4
; Occupancy: 8
; WaveLimiterHint : 0
; COMPUTE_PGM_RSRC2:SCRATCH_EN: 0
; COMPUTE_PGM_RSRC2:USER_SGPR: 2
; COMPUTE_PGM_RSRC2:TRAP_HANDLER: 0
; COMPUTE_PGM_RSRC2:TGID_X_EN: 1
; COMPUTE_PGM_RSRC2:TGID_Y_EN: 0
; COMPUTE_PGM_RSRC2:TGID_Z_EN: 0
; COMPUTE_PGM_RSRC2:TIDIG_COMP_CNT: 0
; COMPUTE_PGM_RSRC3_GFX90A:ACCUM_OFFSET: 0
; COMPUTE_PGM_RSRC3_GFX90A:TG_SPLIT: 0
	.section	.text._ZN7rocprim17ROCPRIM_400000_NS6detail17trampoline_kernelINS0_14default_configENS1_20scan_config_selectorIN3c107complexIdEEEEZZNS1_9scan_implILNS1_25lookback_scan_determinismE0ELb0ELb0ES3_PKS7_PS7_S7_ZZZN2at6native31launch_logcumsumexp_cuda_kernelERKNSE_10TensorBaseESI_lENKUlvE_clEvENKUlvE1_clEvEUlS7_S7_E_S7_EEDaPvRmT3_T4_T5_mT6_P12ihipStream_tbENKUlT_T0_E_clISt17integral_constantIbLb1EESZ_EEDaSU_SV_EUlSU_E_NS1_11comp_targetILNS1_3genE9ELNS1_11target_archE1100ELNS1_3gpuE3ELNS1_3repE0EEENS1_30default_config_static_selectorELNS0_4arch9wavefront6targetE1EEEvT1_,"axG",@progbits,_ZN7rocprim17ROCPRIM_400000_NS6detail17trampoline_kernelINS0_14default_configENS1_20scan_config_selectorIN3c107complexIdEEEEZZNS1_9scan_implILNS1_25lookback_scan_determinismE0ELb0ELb0ES3_PKS7_PS7_S7_ZZZN2at6native31launch_logcumsumexp_cuda_kernelERKNSE_10TensorBaseESI_lENKUlvE_clEvENKUlvE1_clEvEUlS7_S7_E_S7_EEDaPvRmT3_T4_T5_mT6_P12ihipStream_tbENKUlT_T0_E_clISt17integral_constantIbLb1EESZ_EEDaSU_SV_EUlSU_E_NS1_11comp_targetILNS1_3genE9ELNS1_11target_archE1100ELNS1_3gpuE3ELNS1_3repE0EEENS1_30default_config_static_selectorELNS0_4arch9wavefront6targetE1EEEvT1_,comdat
	.globl	_ZN7rocprim17ROCPRIM_400000_NS6detail17trampoline_kernelINS0_14default_configENS1_20scan_config_selectorIN3c107complexIdEEEEZZNS1_9scan_implILNS1_25lookback_scan_determinismE0ELb0ELb0ES3_PKS7_PS7_S7_ZZZN2at6native31launch_logcumsumexp_cuda_kernelERKNSE_10TensorBaseESI_lENKUlvE_clEvENKUlvE1_clEvEUlS7_S7_E_S7_EEDaPvRmT3_T4_T5_mT6_P12ihipStream_tbENKUlT_T0_E_clISt17integral_constantIbLb1EESZ_EEDaSU_SV_EUlSU_E_NS1_11comp_targetILNS1_3genE9ELNS1_11target_archE1100ELNS1_3gpuE3ELNS1_3repE0EEENS1_30default_config_static_selectorELNS0_4arch9wavefront6targetE1EEEvT1_ ; -- Begin function _ZN7rocprim17ROCPRIM_400000_NS6detail17trampoline_kernelINS0_14default_configENS1_20scan_config_selectorIN3c107complexIdEEEEZZNS1_9scan_implILNS1_25lookback_scan_determinismE0ELb0ELb0ES3_PKS7_PS7_S7_ZZZN2at6native31launch_logcumsumexp_cuda_kernelERKNSE_10TensorBaseESI_lENKUlvE_clEvENKUlvE1_clEvEUlS7_S7_E_S7_EEDaPvRmT3_T4_T5_mT6_P12ihipStream_tbENKUlT_T0_E_clISt17integral_constantIbLb1EESZ_EEDaSU_SV_EUlSU_E_NS1_11comp_targetILNS1_3genE9ELNS1_11target_archE1100ELNS1_3gpuE3ELNS1_3repE0EEENS1_30default_config_static_selectorELNS0_4arch9wavefront6targetE1EEEvT1_
	.p2align	8
	.type	_ZN7rocprim17ROCPRIM_400000_NS6detail17trampoline_kernelINS0_14default_configENS1_20scan_config_selectorIN3c107complexIdEEEEZZNS1_9scan_implILNS1_25lookback_scan_determinismE0ELb0ELb0ES3_PKS7_PS7_S7_ZZZN2at6native31launch_logcumsumexp_cuda_kernelERKNSE_10TensorBaseESI_lENKUlvE_clEvENKUlvE1_clEvEUlS7_S7_E_S7_EEDaPvRmT3_T4_T5_mT6_P12ihipStream_tbENKUlT_T0_E_clISt17integral_constantIbLb1EESZ_EEDaSU_SV_EUlSU_E_NS1_11comp_targetILNS1_3genE9ELNS1_11target_archE1100ELNS1_3gpuE3ELNS1_3repE0EEENS1_30default_config_static_selectorELNS0_4arch9wavefront6targetE1EEEvT1_,@function
_ZN7rocprim17ROCPRIM_400000_NS6detail17trampoline_kernelINS0_14default_configENS1_20scan_config_selectorIN3c107complexIdEEEEZZNS1_9scan_implILNS1_25lookback_scan_determinismE0ELb0ELb0ES3_PKS7_PS7_S7_ZZZN2at6native31launch_logcumsumexp_cuda_kernelERKNSE_10TensorBaseESI_lENKUlvE_clEvENKUlvE1_clEvEUlS7_S7_E_S7_EEDaPvRmT3_T4_T5_mT6_P12ihipStream_tbENKUlT_T0_E_clISt17integral_constantIbLb1EESZ_EEDaSU_SV_EUlSU_E_NS1_11comp_targetILNS1_3genE9ELNS1_11target_archE1100ELNS1_3gpuE3ELNS1_3repE0EEENS1_30default_config_static_selectorELNS0_4arch9wavefront6targetE1EEEvT1_: ; @_ZN7rocprim17ROCPRIM_400000_NS6detail17trampoline_kernelINS0_14default_configENS1_20scan_config_selectorIN3c107complexIdEEEEZZNS1_9scan_implILNS1_25lookback_scan_determinismE0ELb0ELb0ES3_PKS7_PS7_S7_ZZZN2at6native31launch_logcumsumexp_cuda_kernelERKNSE_10TensorBaseESI_lENKUlvE_clEvENKUlvE1_clEvEUlS7_S7_E_S7_EEDaPvRmT3_T4_T5_mT6_P12ihipStream_tbENKUlT_T0_E_clISt17integral_constantIbLb1EESZ_EEDaSU_SV_EUlSU_E_NS1_11comp_targetILNS1_3genE9ELNS1_11target_archE1100ELNS1_3gpuE3ELNS1_3repE0EEENS1_30default_config_static_selectorELNS0_4arch9wavefront6targetE1EEEvT1_
; %bb.0:
	.section	.rodata,"a",@progbits
	.p2align	6, 0x0
	.amdhsa_kernel _ZN7rocprim17ROCPRIM_400000_NS6detail17trampoline_kernelINS0_14default_configENS1_20scan_config_selectorIN3c107complexIdEEEEZZNS1_9scan_implILNS1_25lookback_scan_determinismE0ELb0ELb0ES3_PKS7_PS7_S7_ZZZN2at6native31launch_logcumsumexp_cuda_kernelERKNSE_10TensorBaseESI_lENKUlvE_clEvENKUlvE1_clEvEUlS7_S7_E_S7_EEDaPvRmT3_T4_T5_mT6_P12ihipStream_tbENKUlT_T0_E_clISt17integral_constantIbLb1EESZ_EEDaSU_SV_EUlSU_E_NS1_11comp_targetILNS1_3genE9ELNS1_11target_archE1100ELNS1_3gpuE3ELNS1_3repE0EEENS1_30default_config_static_selectorELNS0_4arch9wavefront6targetE1EEEvT1_
		.amdhsa_group_segment_fixed_size 0
		.amdhsa_private_segment_fixed_size 0
		.amdhsa_kernarg_size 128
		.amdhsa_user_sgpr_count 2
		.amdhsa_user_sgpr_dispatch_ptr 0
		.amdhsa_user_sgpr_queue_ptr 0
		.amdhsa_user_sgpr_kernarg_segment_ptr 1
		.amdhsa_user_sgpr_dispatch_id 0
		.amdhsa_user_sgpr_kernarg_preload_length 0
		.amdhsa_user_sgpr_kernarg_preload_offset 0
		.amdhsa_user_sgpr_private_segment_size 0
		.amdhsa_uses_dynamic_stack 0
		.amdhsa_enable_private_segment 0
		.amdhsa_system_sgpr_workgroup_id_x 1
		.amdhsa_system_sgpr_workgroup_id_y 0
		.amdhsa_system_sgpr_workgroup_id_z 0
		.amdhsa_system_sgpr_workgroup_info 0
		.amdhsa_system_vgpr_workitem_id 0
		.amdhsa_next_free_vgpr 1
		.amdhsa_next_free_sgpr 0
		.amdhsa_accum_offset 4
		.amdhsa_reserve_vcc 0
		.amdhsa_float_round_mode_32 0
		.amdhsa_float_round_mode_16_64 0
		.amdhsa_float_denorm_mode_32 3
		.amdhsa_float_denorm_mode_16_64 3
		.amdhsa_dx10_clamp 1
		.amdhsa_ieee_mode 1
		.amdhsa_fp16_overflow 0
		.amdhsa_tg_split 0
		.amdhsa_exception_fp_ieee_invalid_op 0
		.amdhsa_exception_fp_denorm_src 0
		.amdhsa_exception_fp_ieee_div_zero 0
		.amdhsa_exception_fp_ieee_overflow 0
		.amdhsa_exception_fp_ieee_underflow 0
		.amdhsa_exception_fp_ieee_inexact 0
		.amdhsa_exception_int_div_zero 0
	.end_amdhsa_kernel
	.section	.text._ZN7rocprim17ROCPRIM_400000_NS6detail17trampoline_kernelINS0_14default_configENS1_20scan_config_selectorIN3c107complexIdEEEEZZNS1_9scan_implILNS1_25lookback_scan_determinismE0ELb0ELb0ES3_PKS7_PS7_S7_ZZZN2at6native31launch_logcumsumexp_cuda_kernelERKNSE_10TensorBaseESI_lENKUlvE_clEvENKUlvE1_clEvEUlS7_S7_E_S7_EEDaPvRmT3_T4_T5_mT6_P12ihipStream_tbENKUlT_T0_E_clISt17integral_constantIbLb1EESZ_EEDaSU_SV_EUlSU_E_NS1_11comp_targetILNS1_3genE9ELNS1_11target_archE1100ELNS1_3gpuE3ELNS1_3repE0EEENS1_30default_config_static_selectorELNS0_4arch9wavefront6targetE1EEEvT1_,"axG",@progbits,_ZN7rocprim17ROCPRIM_400000_NS6detail17trampoline_kernelINS0_14default_configENS1_20scan_config_selectorIN3c107complexIdEEEEZZNS1_9scan_implILNS1_25lookback_scan_determinismE0ELb0ELb0ES3_PKS7_PS7_S7_ZZZN2at6native31launch_logcumsumexp_cuda_kernelERKNSE_10TensorBaseESI_lENKUlvE_clEvENKUlvE1_clEvEUlS7_S7_E_S7_EEDaPvRmT3_T4_T5_mT6_P12ihipStream_tbENKUlT_T0_E_clISt17integral_constantIbLb1EESZ_EEDaSU_SV_EUlSU_E_NS1_11comp_targetILNS1_3genE9ELNS1_11target_archE1100ELNS1_3gpuE3ELNS1_3repE0EEENS1_30default_config_static_selectorELNS0_4arch9wavefront6targetE1EEEvT1_,comdat
.Lfunc_end218:
	.size	_ZN7rocprim17ROCPRIM_400000_NS6detail17trampoline_kernelINS0_14default_configENS1_20scan_config_selectorIN3c107complexIdEEEEZZNS1_9scan_implILNS1_25lookback_scan_determinismE0ELb0ELb0ES3_PKS7_PS7_S7_ZZZN2at6native31launch_logcumsumexp_cuda_kernelERKNSE_10TensorBaseESI_lENKUlvE_clEvENKUlvE1_clEvEUlS7_S7_E_S7_EEDaPvRmT3_T4_T5_mT6_P12ihipStream_tbENKUlT_T0_E_clISt17integral_constantIbLb1EESZ_EEDaSU_SV_EUlSU_E_NS1_11comp_targetILNS1_3genE9ELNS1_11target_archE1100ELNS1_3gpuE3ELNS1_3repE0EEENS1_30default_config_static_selectorELNS0_4arch9wavefront6targetE1EEEvT1_, .Lfunc_end218-_ZN7rocprim17ROCPRIM_400000_NS6detail17trampoline_kernelINS0_14default_configENS1_20scan_config_selectorIN3c107complexIdEEEEZZNS1_9scan_implILNS1_25lookback_scan_determinismE0ELb0ELb0ES3_PKS7_PS7_S7_ZZZN2at6native31launch_logcumsumexp_cuda_kernelERKNSE_10TensorBaseESI_lENKUlvE_clEvENKUlvE1_clEvEUlS7_S7_E_S7_EEDaPvRmT3_T4_T5_mT6_P12ihipStream_tbENKUlT_T0_E_clISt17integral_constantIbLb1EESZ_EEDaSU_SV_EUlSU_E_NS1_11comp_targetILNS1_3genE9ELNS1_11target_archE1100ELNS1_3gpuE3ELNS1_3repE0EEENS1_30default_config_static_selectorELNS0_4arch9wavefront6targetE1EEEvT1_
                                        ; -- End function
	.section	.AMDGPU.csdata,"",@progbits
; Kernel info:
; codeLenInByte = 0
; NumSgprs: 6
; NumVgprs: 0
; NumAgprs: 0
; TotalNumVgprs: 0
; ScratchSize: 0
; MemoryBound: 0
; FloatMode: 240
; IeeeMode: 1
; LDSByteSize: 0 bytes/workgroup (compile time only)
; SGPRBlocks: 0
; VGPRBlocks: 0
; NumSGPRsForWavesPerEU: 6
; NumVGPRsForWavesPerEU: 1
; AccumOffset: 4
; Occupancy: 8
; WaveLimiterHint : 0
; COMPUTE_PGM_RSRC2:SCRATCH_EN: 0
; COMPUTE_PGM_RSRC2:USER_SGPR: 2
; COMPUTE_PGM_RSRC2:TRAP_HANDLER: 0
; COMPUTE_PGM_RSRC2:TGID_X_EN: 1
; COMPUTE_PGM_RSRC2:TGID_Y_EN: 0
; COMPUTE_PGM_RSRC2:TGID_Z_EN: 0
; COMPUTE_PGM_RSRC2:TIDIG_COMP_CNT: 0
; COMPUTE_PGM_RSRC3_GFX90A:ACCUM_OFFSET: 0
; COMPUTE_PGM_RSRC3_GFX90A:TG_SPLIT: 0
	.section	.text._ZN7rocprim17ROCPRIM_400000_NS6detail17trampoline_kernelINS0_14default_configENS1_20scan_config_selectorIN3c107complexIdEEEEZZNS1_9scan_implILNS1_25lookback_scan_determinismE0ELb0ELb0ES3_PKS7_PS7_S7_ZZZN2at6native31launch_logcumsumexp_cuda_kernelERKNSE_10TensorBaseESI_lENKUlvE_clEvENKUlvE1_clEvEUlS7_S7_E_S7_EEDaPvRmT3_T4_T5_mT6_P12ihipStream_tbENKUlT_T0_E_clISt17integral_constantIbLb1EESZ_EEDaSU_SV_EUlSU_E_NS1_11comp_targetILNS1_3genE8ELNS1_11target_archE1030ELNS1_3gpuE2ELNS1_3repE0EEENS1_30default_config_static_selectorELNS0_4arch9wavefront6targetE1EEEvT1_,"axG",@progbits,_ZN7rocprim17ROCPRIM_400000_NS6detail17trampoline_kernelINS0_14default_configENS1_20scan_config_selectorIN3c107complexIdEEEEZZNS1_9scan_implILNS1_25lookback_scan_determinismE0ELb0ELb0ES3_PKS7_PS7_S7_ZZZN2at6native31launch_logcumsumexp_cuda_kernelERKNSE_10TensorBaseESI_lENKUlvE_clEvENKUlvE1_clEvEUlS7_S7_E_S7_EEDaPvRmT3_T4_T5_mT6_P12ihipStream_tbENKUlT_T0_E_clISt17integral_constantIbLb1EESZ_EEDaSU_SV_EUlSU_E_NS1_11comp_targetILNS1_3genE8ELNS1_11target_archE1030ELNS1_3gpuE2ELNS1_3repE0EEENS1_30default_config_static_selectorELNS0_4arch9wavefront6targetE1EEEvT1_,comdat
	.globl	_ZN7rocprim17ROCPRIM_400000_NS6detail17trampoline_kernelINS0_14default_configENS1_20scan_config_selectorIN3c107complexIdEEEEZZNS1_9scan_implILNS1_25lookback_scan_determinismE0ELb0ELb0ES3_PKS7_PS7_S7_ZZZN2at6native31launch_logcumsumexp_cuda_kernelERKNSE_10TensorBaseESI_lENKUlvE_clEvENKUlvE1_clEvEUlS7_S7_E_S7_EEDaPvRmT3_T4_T5_mT6_P12ihipStream_tbENKUlT_T0_E_clISt17integral_constantIbLb1EESZ_EEDaSU_SV_EUlSU_E_NS1_11comp_targetILNS1_3genE8ELNS1_11target_archE1030ELNS1_3gpuE2ELNS1_3repE0EEENS1_30default_config_static_selectorELNS0_4arch9wavefront6targetE1EEEvT1_ ; -- Begin function _ZN7rocprim17ROCPRIM_400000_NS6detail17trampoline_kernelINS0_14default_configENS1_20scan_config_selectorIN3c107complexIdEEEEZZNS1_9scan_implILNS1_25lookback_scan_determinismE0ELb0ELb0ES3_PKS7_PS7_S7_ZZZN2at6native31launch_logcumsumexp_cuda_kernelERKNSE_10TensorBaseESI_lENKUlvE_clEvENKUlvE1_clEvEUlS7_S7_E_S7_EEDaPvRmT3_T4_T5_mT6_P12ihipStream_tbENKUlT_T0_E_clISt17integral_constantIbLb1EESZ_EEDaSU_SV_EUlSU_E_NS1_11comp_targetILNS1_3genE8ELNS1_11target_archE1030ELNS1_3gpuE2ELNS1_3repE0EEENS1_30default_config_static_selectorELNS0_4arch9wavefront6targetE1EEEvT1_
	.p2align	8
	.type	_ZN7rocprim17ROCPRIM_400000_NS6detail17trampoline_kernelINS0_14default_configENS1_20scan_config_selectorIN3c107complexIdEEEEZZNS1_9scan_implILNS1_25lookback_scan_determinismE0ELb0ELb0ES3_PKS7_PS7_S7_ZZZN2at6native31launch_logcumsumexp_cuda_kernelERKNSE_10TensorBaseESI_lENKUlvE_clEvENKUlvE1_clEvEUlS7_S7_E_S7_EEDaPvRmT3_T4_T5_mT6_P12ihipStream_tbENKUlT_T0_E_clISt17integral_constantIbLb1EESZ_EEDaSU_SV_EUlSU_E_NS1_11comp_targetILNS1_3genE8ELNS1_11target_archE1030ELNS1_3gpuE2ELNS1_3repE0EEENS1_30default_config_static_selectorELNS0_4arch9wavefront6targetE1EEEvT1_,@function
_ZN7rocprim17ROCPRIM_400000_NS6detail17trampoline_kernelINS0_14default_configENS1_20scan_config_selectorIN3c107complexIdEEEEZZNS1_9scan_implILNS1_25lookback_scan_determinismE0ELb0ELb0ES3_PKS7_PS7_S7_ZZZN2at6native31launch_logcumsumexp_cuda_kernelERKNSE_10TensorBaseESI_lENKUlvE_clEvENKUlvE1_clEvEUlS7_S7_E_S7_EEDaPvRmT3_T4_T5_mT6_P12ihipStream_tbENKUlT_T0_E_clISt17integral_constantIbLb1EESZ_EEDaSU_SV_EUlSU_E_NS1_11comp_targetILNS1_3genE8ELNS1_11target_archE1030ELNS1_3gpuE2ELNS1_3repE0EEENS1_30default_config_static_selectorELNS0_4arch9wavefront6targetE1EEEvT1_: ; @_ZN7rocprim17ROCPRIM_400000_NS6detail17trampoline_kernelINS0_14default_configENS1_20scan_config_selectorIN3c107complexIdEEEEZZNS1_9scan_implILNS1_25lookback_scan_determinismE0ELb0ELb0ES3_PKS7_PS7_S7_ZZZN2at6native31launch_logcumsumexp_cuda_kernelERKNSE_10TensorBaseESI_lENKUlvE_clEvENKUlvE1_clEvEUlS7_S7_E_S7_EEDaPvRmT3_T4_T5_mT6_P12ihipStream_tbENKUlT_T0_E_clISt17integral_constantIbLb1EESZ_EEDaSU_SV_EUlSU_E_NS1_11comp_targetILNS1_3genE8ELNS1_11target_archE1030ELNS1_3gpuE2ELNS1_3repE0EEENS1_30default_config_static_selectorELNS0_4arch9wavefront6targetE1EEEvT1_
; %bb.0:
	.section	.rodata,"a",@progbits
	.p2align	6, 0x0
	.amdhsa_kernel _ZN7rocprim17ROCPRIM_400000_NS6detail17trampoline_kernelINS0_14default_configENS1_20scan_config_selectorIN3c107complexIdEEEEZZNS1_9scan_implILNS1_25lookback_scan_determinismE0ELb0ELb0ES3_PKS7_PS7_S7_ZZZN2at6native31launch_logcumsumexp_cuda_kernelERKNSE_10TensorBaseESI_lENKUlvE_clEvENKUlvE1_clEvEUlS7_S7_E_S7_EEDaPvRmT3_T4_T5_mT6_P12ihipStream_tbENKUlT_T0_E_clISt17integral_constantIbLb1EESZ_EEDaSU_SV_EUlSU_E_NS1_11comp_targetILNS1_3genE8ELNS1_11target_archE1030ELNS1_3gpuE2ELNS1_3repE0EEENS1_30default_config_static_selectorELNS0_4arch9wavefront6targetE1EEEvT1_
		.amdhsa_group_segment_fixed_size 0
		.amdhsa_private_segment_fixed_size 0
		.amdhsa_kernarg_size 128
		.amdhsa_user_sgpr_count 2
		.amdhsa_user_sgpr_dispatch_ptr 0
		.amdhsa_user_sgpr_queue_ptr 0
		.amdhsa_user_sgpr_kernarg_segment_ptr 1
		.amdhsa_user_sgpr_dispatch_id 0
		.amdhsa_user_sgpr_kernarg_preload_length 0
		.amdhsa_user_sgpr_kernarg_preload_offset 0
		.amdhsa_user_sgpr_private_segment_size 0
		.amdhsa_uses_dynamic_stack 0
		.amdhsa_enable_private_segment 0
		.amdhsa_system_sgpr_workgroup_id_x 1
		.amdhsa_system_sgpr_workgroup_id_y 0
		.amdhsa_system_sgpr_workgroup_id_z 0
		.amdhsa_system_sgpr_workgroup_info 0
		.amdhsa_system_vgpr_workitem_id 0
		.amdhsa_next_free_vgpr 1
		.amdhsa_next_free_sgpr 0
		.amdhsa_accum_offset 4
		.amdhsa_reserve_vcc 0
		.amdhsa_float_round_mode_32 0
		.amdhsa_float_round_mode_16_64 0
		.amdhsa_float_denorm_mode_32 3
		.amdhsa_float_denorm_mode_16_64 3
		.amdhsa_dx10_clamp 1
		.amdhsa_ieee_mode 1
		.amdhsa_fp16_overflow 0
		.amdhsa_tg_split 0
		.amdhsa_exception_fp_ieee_invalid_op 0
		.amdhsa_exception_fp_denorm_src 0
		.amdhsa_exception_fp_ieee_div_zero 0
		.amdhsa_exception_fp_ieee_overflow 0
		.amdhsa_exception_fp_ieee_underflow 0
		.amdhsa_exception_fp_ieee_inexact 0
		.amdhsa_exception_int_div_zero 0
	.end_amdhsa_kernel
	.section	.text._ZN7rocprim17ROCPRIM_400000_NS6detail17trampoline_kernelINS0_14default_configENS1_20scan_config_selectorIN3c107complexIdEEEEZZNS1_9scan_implILNS1_25lookback_scan_determinismE0ELb0ELb0ES3_PKS7_PS7_S7_ZZZN2at6native31launch_logcumsumexp_cuda_kernelERKNSE_10TensorBaseESI_lENKUlvE_clEvENKUlvE1_clEvEUlS7_S7_E_S7_EEDaPvRmT3_T4_T5_mT6_P12ihipStream_tbENKUlT_T0_E_clISt17integral_constantIbLb1EESZ_EEDaSU_SV_EUlSU_E_NS1_11comp_targetILNS1_3genE8ELNS1_11target_archE1030ELNS1_3gpuE2ELNS1_3repE0EEENS1_30default_config_static_selectorELNS0_4arch9wavefront6targetE1EEEvT1_,"axG",@progbits,_ZN7rocprim17ROCPRIM_400000_NS6detail17trampoline_kernelINS0_14default_configENS1_20scan_config_selectorIN3c107complexIdEEEEZZNS1_9scan_implILNS1_25lookback_scan_determinismE0ELb0ELb0ES3_PKS7_PS7_S7_ZZZN2at6native31launch_logcumsumexp_cuda_kernelERKNSE_10TensorBaseESI_lENKUlvE_clEvENKUlvE1_clEvEUlS7_S7_E_S7_EEDaPvRmT3_T4_T5_mT6_P12ihipStream_tbENKUlT_T0_E_clISt17integral_constantIbLb1EESZ_EEDaSU_SV_EUlSU_E_NS1_11comp_targetILNS1_3genE8ELNS1_11target_archE1030ELNS1_3gpuE2ELNS1_3repE0EEENS1_30default_config_static_selectorELNS0_4arch9wavefront6targetE1EEEvT1_,comdat
.Lfunc_end219:
	.size	_ZN7rocprim17ROCPRIM_400000_NS6detail17trampoline_kernelINS0_14default_configENS1_20scan_config_selectorIN3c107complexIdEEEEZZNS1_9scan_implILNS1_25lookback_scan_determinismE0ELb0ELb0ES3_PKS7_PS7_S7_ZZZN2at6native31launch_logcumsumexp_cuda_kernelERKNSE_10TensorBaseESI_lENKUlvE_clEvENKUlvE1_clEvEUlS7_S7_E_S7_EEDaPvRmT3_T4_T5_mT6_P12ihipStream_tbENKUlT_T0_E_clISt17integral_constantIbLb1EESZ_EEDaSU_SV_EUlSU_E_NS1_11comp_targetILNS1_3genE8ELNS1_11target_archE1030ELNS1_3gpuE2ELNS1_3repE0EEENS1_30default_config_static_selectorELNS0_4arch9wavefront6targetE1EEEvT1_, .Lfunc_end219-_ZN7rocprim17ROCPRIM_400000_NS6detail17trampoline_kernelINS0_14default_configENS1_20scan_config_selectorIN3c107complexIdEEEEZZNS1_9scan_implILNS1_25lookback_scan_determinismE0ELb0ELb0ES3_PKS7_PS7_S7_ZZZN2at6native31launch_logcumsumexp_cuda_kernelERKNSE_10TensorBaseESI_lENKUlvE_clEvENKUlvE1_clEvEUlS7_S7_E_S7_EEDaPvRmT3_T4_T5_mT6_P12ihipStream_tbENKUlT_T0_E_clISt17integral_constantIbLb1EESZ_EEDaSU_SV_EUlSU_E_NS1_11comp_targetILNS1_3genE8ELNS1_11target_archE1030ELNS1_3gpuE2ELNS1_3repE0EEENS1_30default_config_static_selectorELNS0_4arch9wavefront6targetE1EEEvT1_
                                        ; -- End function
	.section	.AMDGPU.csdata,"",@progbits
; Kernel info:
; codeLenInByte = 0
; NumSgprs: 6
; NumVgprs: 0
; NumAgprs: 0
; TotalNumVgprs: 0
; ScratchSize: 0
; MemoryBound: 0
; FloatMode: 240
; IeeeMode: 1
; LDSByteSize: 0 bytes/workgroup (compile time only)
; SGPRBlocks: 0
; VGPRBlocks: 0
; NumSGPRsForWavesPerEU: 6
; NumVGPRsForWavesPerEU: 1
; AccumOffset: 4
; Occupancy: 8
; WaveLimiterHint : 0
; COMPUTE_PGM_RSRC2:SCRATCH_EN: 0
; COMPUTE_PGM_RSRC2:USER_SGPR: 2
; COMPUTE_PGM_RSRC2:TRAP_HANDLER: 0
; COMPUTE_PGM_RSRC2:TGID_X_EN: 1
; COMPUTE_PGM_RSRC2:TGID_Y_EN: 0
; COMPUTE_PGM_RSRC2:TGID_Z_EN: 0
; COMPUTE_PGM_RSRC2:TIDIG_COMP_CNT: 0
; COMPUTE_PGM_RSRC3_GFX90A:ACCUM_OFFSET: 0
; COMPUTE_PGM_RSRC3_GFX90A:TG_SPLIT: 0
	.section	.text._ZN7rocprim17ROCPRIM_400000_NS6detail17trampoline_kernelINS0_14default_configENS1_20scan_config_selectorIN3c107complexIdEEEEZZNS1_9scan_implILNS1_25lookback_scan_determinismE0ELb0ELb0ES3_PKS7_PS7_S7_ZZZN2at6native31launch_logcumsumexp_cuda_kernelERKNSE_10TensorBaseESI_lENKUlvE_clEvENKUlvE1_clEvEUlS7_S7_E_S7_EEDaPvRmT3_T4_T5_mT6_P12ihipStream_tbENKUlT_T0_E_clISt17integral_constantIbLb1EESZ_EEDaSU_SV_EUlSU_E0_NS1_11comp_targetILNS1_3genE0ELNS1_11target_archE4294967295ELNS1_3gpuE0ELNS1_3repE0EEENS1_30default_config_static_selectorELNS0_4arch9wavefront6targetE1EEEvT1_,"axG",@progbits,_ZN7rocprim17ROCPRIM_400000_NS6detail17trampoline_kernelINS0_14default_configENS1_20scan_config_selectorIN3c107complexIdEEEEZZNS1_9scan_implILNS1_25lookback_scan_determinismE0ELb0ELb0ES3_PKS7_PS7_S7_ZZZN2at6native31launch_logcumsumexp_cuda_kernelERKNSE_10TensorBaseESI_lENKUlvE_clEvENKUlvE1_clEvEUlS7_S7_E_S7_EEDaPvRmT3_T4_T5_mT6_P12ihipStream_tbENKUlT_T0_E_clISt17integral_constantIbLb1EESZ_EEDaSU_SV_EUlSU_E0_NS1_11comp_targetILNS1_3genE0ELNS1_11target_archE4294967295ELNS1_3gpuE0ELNS1_3repE0EEENS1_30default_config_static_selectorELNS0_4arch9wavefront6targetE1EEEvT1_,comdat
	.globl	_ZN7rocprim17ROCPRIM_400000_NS6detail17trampoline_kernelINS0_14default_configENS1_20scan_config_selectorIN3c107complexIdEEEEZZNS1_9scan_implILNS1_25lookback_scan_determinismE0ELb0ELb0ES3_PKS7_PS7_S7_ZZZN2at6native31launch_logcumsumexp_cuda_kernelERKNSE_10TensorBaseESI_lENKUlvE_clEvENKUlvE1_clEvEUlS7_S7_E_S7_EEDaPvRmT3_T4_T5_mT6_P12ihipStream_tbENKUlT_T0_E_clISt17integral_constantIbLb1EESZ_EEDaSU_SV_EUlSU_E0_NS1_11comp_targetILNS1_3genE0ELNS1_11target_archE4294967295ELNS1_3gpuE0ELNS1_3repE0EEENS1_30default_config_static_selectorELNS0_4arch9wavefront6targetE1EEEvT1_ ; -- Begin function _ZN7rocprim17ROCPRIM_400000_NS6detail17trampoline_kernelINS0_14default_configENS1_20scan_config_selectorIN3c107complexIdEEEEZZNS1_9scan_implILNS1_25lookback_scan_determinismE0ELb0ELb0ES3_PKS7_PS7_S7_ZZZN2at6native31launch_logcumsumexp_cuda_kernelERKNSE_10TensorBaseESI_lENKUlvE_clEvENKUlvE1_clEvEUlS7_S7_E_S7_EEDaPvRmT3_T4_T5_mT6_P12ihipStream_tbENKUlT_T0_E_clISt17integral_constantIbLb1EESZ_EEDaSU_SV_EUlSU_E0_NS1_11comp_targetILNS1_3genE0ELNS1_11target_archE4294967295ELNS1_3gpuE0ELNS1_3repE0EEENS1_30default_config_static_selectorELNS0_4arch9wavefront6targetE1EEEvT1_
	.p2align	8
	.type	_ZN7rocprim17ROCPRIM_400000_NS6detail17trampoline_kernelINS0_14default_configENS1_20scan_config_selectorIN3c107complexIdEEEEZZNS1_9scan_implILNS1_25lookback_scan_determinismE0ELb0ELb0ES3_PKS7_PS7_S7_ZZZN2at6native31launch_logcumsumexp_cuda_kernelERKNSE_10TensorBaseESI_lENKUlvE_clEvENKUlvE1_clEvEUlS7_S7_E_S7_EEDaPvRmT3_T4_T5_mT6_P12ihipStream_tbENKUlT_T0_E_clISt17integral_constantIbLb1EESZ_EEDaSU_SV_EUlSU_E0_NS1_11comp_targetILNS1_3genE0ELNS1_11target_archE4294967295ELNS1_3gpuE0ELNS1_3repE0EEENS1_30default_config_static_selectorELNS0_4arch9wavefront6targetE1EEEvT1_,@function
_ZN7rocprim17ROCPRIM_400000_NS6detail17trampoline_kernelINS0_14default_configENS1_20scan_config_selectorIN3c107complexIdEEEEZZNS1_9scan_implILNS1_25lookback_scan_determinismE0ELb0ELb0ES3_PKS7_PS7_S7_ZZZN2at6native31launch_logcumsumexp_cuda_kernelERKNSE_10TensorBaseESI_lENKUlvE_clEvENKUlvE1_clEvEUlS7_S7_E_S7_EEDaPvRmT3_T4_T5_mT6_P12ihipStream_tbENKUlT_T0_E_clISt17integral_constantIbLb1EESZ_EEDaSU_SV_EUlSU_E0_NS1_11comp_targetILNS1_3genE0ELNS1_11target_archE4294967295ELNS1_3gpuE0ELNS1_3repE0EEENS1_30default_config_static_selectorELNS0_4arch9wavefront6targetE1EEEvT1_: ; @_ZN7rocprim17ROCPRIM_400000_NS6detail17trampoline_kernelINS0_14default_configENS1_20scan_config_selectorIN3c107complexIdEEEEZZNS1_9scan_implILNS1_25lookback_scan_determinismE0ELb0ELb0ES3_PKS7_PS7_S7_ZZZN2at6native31launch_logcumsumexp_cuda_kernelERKNSE_10TensorBaseESI_lENKUlvE_clEvENKUlvE1_clEvEUlS7_S7_E_S7_EEDaPvRmT3_T4_T5_mT6_P12ihipStream_tbENKUlT_T0_E_clISt17integral_constantIbLb1EESZ_EEDaSU_SV_EUlSU_E0_NS1_11comp_targetILNS1_3genE0ELNS1_11target_archE4294967295ELNS1_3gpuE0ELNS1_3repE0EEENS1_30default_config_static_selectorELNS0_4arch9wavefront6targetE1EEEvT1_
; %bb.0:
	.section	.rodata,"a",@progbits
	.p2align	6, 0x0
	.amdhsa_kernel _ZN7rocprim17ROCPRIM_400000_NS6detail17trampoline_kernelINS0_14default_configENS1_20scan_config_selectorIN3c107complexIdEEEEZZNS1_9scan_implILNS1_25lookback_scan_determinismE0ELb0ELb0ES3_PKS7_PS7_S7_ZZZN2at6native31launch_logcumsumexp_cuda_kernelERKNSE_10TensorBaseESI_lENKUlvE_clEvENKUlvE1_clEvEUlS7_S7_E_S7_EEDaPvRmT3_T4_T5_mT6_P12ihipStream_tbENKUlT_T0_E_clISt17integral_constantIbLb1EESZ_EEDaSU_SV_EUlSU_E0_NS1_11comp_targetILNS1_3genE0ELNS1_11target_archE4294967295ELNS1_3gpuE0ELNS1_3repE0EEENS1_30default_config_static_selectorELNS0_4arch9wavefront6targetE1EEEvT1_
		.amdhsa_group_segment_fixed_size 0
		.amdhsa_private_segment_fixed_size 0
		.amdhsa_kernarg_size 48
		.amdhsa_user_sgpr_count 2
		.amdhsa_user_sgpr_dispatch_ptr 0
		.amdhsa_user_sgpr_queue_ptr 0
		.amdhsa_user_sgpr_kernarg_segment_ptr 1
		.amdhsa_user_sgpr_dispatch_id 0
		.amdhsa_user_sgpr_kernarg_preload_length 0
		.amdhsa_user_sgpr_kernarg_preload_offset 0
		.amdhsa_user_sgpr_private_segment_size 0
		.amdhsa_uses_dynamic_stack 0
		.amdhsa_enable_private_segment 0
		.amdhsa_system_sgpr_workgroup_id_x 1
		.amdhsa_system_sgpr_workgroup_id_y 0
		.amdhsa_system_sgpr_workgroup_id_z 0
		.amdhsa_system_sgpr_workgroup_info 0
		.amdhsa_system_vgpr_workitem_id 0
		.amdhsa_next_free_vgpr 1
		.amdhsa_next_free_sgpr 0
		.amdhsa_accum_offset 4
		.amdhsa_reserve_vcc 0
		.amdhsa_float_round_mode_32 0
		.amdhsa_float_round_mode_16_64 0
		.amdhsa_float_denorm_mode_32 3
		.amdhsa_float_denorm_mode_16_64 3
		.amdhsa_dx10_clamp 1
		.amdhsa_ieee_mode 1
		.amdhsa_fp16_overflow 0
		.amdhsa_tg_split 0
		.amdhsa_exception_fp_ieee_invalid_op 0
		.amdhsa_exception_fp_denorm_src 0
		.amdhsa_exception_fp_ieee_div_zero 0
		.amdhsa_exception_fp_ieee_overflow 0
		.amdhsa_exception_fp_ieee_underflow 0
		.amdhsa_exception_fp_ieee_inexact 0
		.amdhsa_exception_int_div_zero 0
	.end_amdhsa_kernel
	.section	.text._ZN7rocprim17ROCPRIM_400000_NS6detail17trampoline_kernelINS0_14default_configENS1_20scan_config_selectorIN3c107complexIdEEEEZZNS1_9scan_implILNS1_25lookback_scan_determinismE0ELb0ELb0ES3_PKS7_PS7_S7_ZZZN2at6native31launch_logcumsumexp_cuda_kernelERKNSE_10TensorBaseESI_lENKUlvE_clEvENKUlvE1_clEvEUlS7_S7_E_S7_EEDaPvRmT3_T4_T5_mT6_P12ihipStream_tbENKUlT_T0_E_clISt17integral_constantIbLb1EESZ_EEDaSU_SV_EUlSU_E0_NS1_11comp_targetILNS1_3genE0ELNS1_11target_archE4294967295ELNS1_3gpuE0ELNS1_3repE0EEENS1_30default_config_static_selectorELNS0_4arch9wavefront6targetE1EEEvT1_,"axG",@progbits,_ZN7rocprim17ROCPRIM_400000_NS6detail17trampoline_kernelINS0_14default_configENS1_20scan_config_selectorIN3c107complexIdEEEEZZNS1_9scan_implILNS1_25lookback_scan_determinismE0ELb0ELb0ES3_PKS7_PS7_S7_ZZZN2at6native31launch_logcumsumexp_cuda_kernelERKNSE_10TensorBaseESI_lENKUlvE_clEvENKUlvE1_clEvEUlS7_S7_E_S7_EEDaPvRmT3_T4_T5_mT6_P12ihipStream_tbENKUlT_T0_E_clISt17integral_constantIbLb1EESZ_EEDaSU_SV_EUlSU_E0_NS1_11comp_targetILNS1_3genE0ELNS1_11target_archE4294967295ELNS1_3gpuE0ELNS1_3repE0EEENS1_30default_config_static_selectorELNS0_4arch9wavefront6targetE1EEEvT1_,comdat
.Lfunc_end220:
	.size	_ZN7rocprim17ROCPRIM_400000_NS6detail17trampoline_kernelINS0_14default_configENS1_20scan_config_selectorIN3c107complexIdEEEEZZNS1_9scan_implILNS1_25lookback_scan_determinismE0ELb0ELb0ES3_PKS7_PS7_S7_ZZZN2at6native31launch_logcumsumexp_cuda_kernelERKNSE_10TensorBaseESI_lENKUlvE_clEvENKUlvE1_clEvEUlS7_S7_E_S7_EEDaPvRmT3_T4_T5_mT6_P12ihipStream_tbENKUlT_T0_E_clISt17integral_constantIbLb1EESZ_EEDaSU_SV_EUlSU_E0_NS1_11comp_targetILNS1_3genE0ELNS1_11target_archE4294967295ELNS1_3gpuE0ELNS1_3repE0EEENS1_30default_config_static_selectorELNS0_4arch9wavefront6targetE1EEEvT1_, .Lfunc_end220-_ZN7rocprim17ROCPRIM_400000_NS6detail17trampoline_kernelINS0_14default_configENS1_20scan_config_selectorIN3c107complexIdEEEEZZNS1_9scan_implILNS1_25lookback_scan_determinismE0ELb0ELb0ES3_PKS7_PS7_S7_ZZZN2at6native31launch_logcumsumexp_cuda_kernelERKNSE_10TensorBaseESI_lENKUlvE_clEvENKUlvE1_clEvEUlS7_S7_E_S7_EEDaPvRmT3_T4_T5_mT6_P12ihipStream_tbENKUlT_T0_E_clISt17integral_constantIbLb1EESZ_EEDaSU_SV_EUlSU_E0_NS1_11comp_targetILNS1_3genE0ELNS1_11target_archE4294967295ELNS1_3gpuE0ELNS1_3repE0EEENS1_30default_config_static_selectorELNS0_4arch9wavefront6targetE1EEEvT1_
                                        ; -- End function
	.section	.AMDGPU.csdata,"",@progbits
; Kernel info:
; codeLenInByte = 0
; NumSgprs: 6
; NumVgprs: 0
; NumAgprs: 0
; TotalNumVgprs: 0
; ScratchSize: 0
; MemoryBound: 0
; FloatMode: 240
; IeeeMode: 1
; LDSByteSize: 0 bytes/workgroup (compile time only)
; SGPRBlocks: 0
; VGPRBlocks: 0
; NumSGPRsForWavesPerEU: 6
; NumVGPRsForWavesPerEU: 1
; AccumOffset: 4
; Occupancy: 8
; WaveLimiterHint : 0
; COMPUTE_PGM_RSRC2:SCRATCH_EN: 0
; COMPUTE_PGM_RSRC2:USER_SGPR: 2
; COMPUTE_PGM_RSRC2:TRAP_HANDLER: 0
; COMPUTE_PGM_RSRC2:TGID_X_EN: 1
; COMPUTE_PGM_RSRC2:TGID_Y_EN: 0
; COMPUTE_PGM_RSRC2:TGID_Z_EN: 0
; COMPUTE_PGM_RSRC2:TIDIG_COMP_CNT: 0
; COMPUTE_PGM_RSRC3_GFX90A:ACCUM_OFFSET: 0
; COMPUTE_PGM_RSRC3_GFX90A:TG_SPLIT: 0
	.section	.text._ZN7rocprim17ROCPRIM_400000_NS6detail17trampoline_kernelINS0_14default_configENS1_20scan_config_selectorIN3c107complexIdEEEEZZNS1_9scan_implILNS1_25lookback_scan_determinismE0ELb0ELb0ES3_PKS7_PS7_S7_ZZZN2at6native31launch_logcumsumexp_cuda_kernelERKNSE_10TensorBaseESI_lENKUlvE_clEvENKUlvE1_clEvEUlS7_S7_E_S7_EEDaPvRmT3_T4_T5_mT6_P12ihipStream_tbENKUlT_T0_E_clISt17integral_constantIbLb1EESZ_EEDaSU_SV_EUlSU_E0_NS1_11comp_targetILNS1_3genE5ELNS1_11target_archE942ELNS1_3gpuE9ELNS1_3repE0EEENS1_30default_config_static_selectorELNS0_4arch9wavefront6targetE1EEEvT1_,"axG",@progbits,_ZN7rocprim17ROCPRIM_400000_NS6detail17trampoline_kernelINS0_14default_configENS1_20scan_config_selectorIN3c107complexIdEEEEZZNS1_9scan_implILNS1_25lookback_scan_determinismE0ELb0ELb0ES3_PKS7_PS7_S7_ZZZN2at6native31launch_logcumsumexp_cuda_kernelERKNSE_10TensorBaseESI_lENKUlvE_clEvENKUlvE1_clEvEUlS7_S7_E_S7_EEDaPvRmT3_T4_T5_mT6_P12ihipStream_tbENKUlT_T0_E_clISt17integral_constantIbLb1EESZ_EEDaSU_SV_EUlSU_E0_NS1_11comp_targetILNS1_3genE5ELNS1_11target_archE942ELNS1_3gpuE9ELNS1_3repE0EEENS1_30default_config_static_selectorELNS0_4arch9wavefront6targetE1EEEvT1_,comdat
	.globl	_ZN7rocprim17ROCPRIM_400000_NS6detail17trampoline_kernelINS0_14default_configENS1_20scan_config_selectorIN3c107complexIdEEEEZZNS1_9scan_implILNS1_25lookback_scan_determinismE0ELb0ELb0ES3_PKS7_PS7_S7_ZZZN2at6native31launch_logcumsumexp_cuda_kernelERKNSE_10TensorBaseESI_lENKUlvE_clEvENKUlvE1_clEvEUlS7_S7_E_S7_EEDaPvRmT3_T4_T5_mT6_P12ihipStream_tbENKUlT_T0_E_clISt17integral_constantIbLb1EESZ_EEDaSU_SV_EUlSU_E0_NS1_11comp_targetILNS1_3genE5ELNS1_11target_archE942ELNS1_3gpuE9ELNS1_3repE0EEENS1_30default_config_static_selectorELNS0_4arch9wavefront6targetE1EEEvT1_ ; -- Begin function _ZN7rocprim17ROCPRIM_400000_NS6detail17trampoline_kernelINS0_14default_configENS1_20scan_config_selectorIN3c107complexIdEEEEZZNS1_9scan_implILNS1_25lookback_scan_determinismE0ELb0ELb0ES3_PKS7_PS7_S7_ZZZN2at6native31launch_logcumsumexp_cuda_kernelERKNSE_10TensorBaseESI_lENKUlvE_clEvENKUlvE1_clEvEUlS7_S7_E_S7_EEDaPvRmT3_T4_T5_mT6_P12ihipStream_tbENKUlT_T0_E_clISt17integral_constantIbLb1EESZ_EEDaSU_SV_EUlSU_E0_NS1_11comp_targetILNS1_3genE5ELNS1_11target_archE942ELNS1_3gpuE9ELNS1_3repE0EEENS1_30default_config_static_selectorELNS0_4arch9wavefront6targetE1EEEvT1_
	.p2align	8
	.type	_ZN7rocprim17ROCPRIM_400000_NS6detail17trampoline_kernelINS0_14default_configENS1_20scan_config_selectorIN3c107complexIdEEEEZZNS1_9scan_implILNS1_25lookback_scan_determinismE0ELb0ELb0ES3_PKS7_PS7_S7_ZZZN2at6native31launch_logcumsumexp_cuda_kernelERKNSE_10TensorBaseESI_lENKUlvE_clEvENKUlvE1_clEvEUlS7_S7_E_S7_EEDaPvRmT3_T4_T5_mT6_P12ihipStream_tbENKUlT_T0_E_clISt17integral_constantIbLb1EESZ_EEDaSU_SV_EUlSU_E0_NS1_11comp_targetILNS1_3genE5ELNS1_11target_archE942ELNS1_3gpuE9ELNS1_3repE0EEENS1_30default_config_static_selectorELNS0_4arch9wavefront6targetE1EEEvT1_,@function
_ZN7rocprim17ROCPRIM_400000_NS6detail17trampoline_kernelINS0_14default_configENS1_20scan_config_selectorIN3c107complexIdEEEEZZNS1_9scan_implILNS1_25lookback_scan_determinismE0ELb0ELb0ES3_PKS7_PS7_S7_ZZZN2at6native31launch_logcumsumexp_cuda_kernelERKNSE_10TensorBaseESI_lENKUlvE_clEvENKUlvE1_clEvEUlS7_S7_E_S7_EEDaPvRmT3_T4_T5_mT6_P12ihipStream_tbENKUlT_T0_E_clISt17integral_constantIbLb1EESZ_EEDaSU_SV_EUlSU_E0_NS1_11comp_targetILNS1_3genE5ELNS1_11target_archE942ELNS1_3gpuE9ELNS1_3repE0EEENS1_30default_config_static_selectorELNS0_4arch9wavefront6targetE1EEEvT1_: ; @_ZN7rocprim17ROCPRIM_400000_NS6detail17trampoline_kernelINS0_14default_configENS1_20scan_config_selectorIN3c107complexIdEEEEZZNS1_9scan_implILNS1_25lookback_scan_determinismE0ELb0ELb0ES3_PKS7_PS7_S7_ZZZN2at6native31launch_logcumsumexp_cuda_kernelERKNSE_10TensorBaseESI_lENKUlvE_clEvENKUlvE1_clEvEUlS7_S7_E_S7_EEDaPvRmT3_T4_T5_mT6_P12ihipStream_tbENKUlT_T0_E_clISt17integral_constantIbLb1EESZ_EEDaSU_SV_EUlSU_E0_NS1_11comp_targetILNS1_3genE5ELNS1_11target_archE942ELNS1_3gpuE9ELNS1_3repE0EEENS1_30default_config_static_selectorELNS0_4arch9wavefront6targetE1EEEvT1_
; %bb.0:
	s_mov_b64 s[62:63], s[0:1]
	s_load_dwordx4 s[0:3], s[0:1], 0x0
	v_mov_b32_e32 v41, v0
	v_lshlrev_b32_e32 v164, 4, v41
	s_mov_b32 s32, 0
	s_waitcnt lgkmcnt(0)
	s_load_dwordx4 s[4:7], s[0:1], 0x0
	v_cmp_gt_u32_e64 s[34:35], s2, v41
	s_waitcnt lgkmcnt(0)
	v_mov_b64_e32 v[2:3], s[6:7]
	v_mov_b64_e32 v[0:1], s[4:5]
	s_and_saveexec_b64 s[8:9], s[34:35]
	s_cbranch_execz .LBB221_2
; %bb.1:
	global_load_dwordx4 v[0:3], v164, s[0:1]
.LBB221_2:
	s_or_b64 exec, exec, s[8:9]
	v_or_b32_e32 v8, 0x100, v41
	v_cmp_gt_u32_e64 s[36:37], s2, v8
	v_mov_b64_e32 v[6:7], s[6:7]
	v_mov_b64_e32 v[4:5], s[4:5]
	s_and_saveexec_b64 s[8:9], s[36:37]
	s_cbranch_execz .LBB221_4
; %bb.3:
	v_lshlrev_b32_e32 v4, 4, v8
	global_load_dwordx4 v[4:7], v4, s[0:1]
.LBB221_4:
	s_or_b64 exec, exec, s[8:9]
	v_or_b32_e32 v12, 0x200, v41
	v_cmp_gt_u32_e64 s[38:39], s2, v12
	v_mov_b64_e32 v[10:11], s[6:7]
	v_mov_b64_e32 v[8:9], s[4:5]
	s_and_saveexec_b64 s[8:9], s[38:39]
	s_cbranch_execz .LBB221_6
; %bb.5:
	v_lshlrev_b32_e32 v8, 4, v12
	global_load_dwordx4 v[8:11], v8, s[0:1]
.LBB221_6:
	;; [unrolled: 11-line block ×13, first 2 shown]
	s_or_b64 exec, exec, s[2:3]
	s_movk_i32 s0, 0xd0
	s_waitcnt vmcnt(0)
	ds_write_b128 v164, v[0:3]
	ds_write_b128 v164, v[4:7] offset:4096
	ds_write_b128 v164, v[8:11] offset:8192
	;; [unrolled: 1-line block ×13, first 2 shown]
	v_mad_u32_u24 v46, v41, s0, v164
	s_waitcnt lgkmcnt(0)
	s_barrier
	ds_read_b128 v[42:45], v46
	ds_read_b128 v[128:131], v46 offset:16
	ds_read_b128 v[124:127], v46 offset:32
	;; [unrolled: 1-line block ×13, first 2 shown]
	s_waitcnt lgkmcnt(13)
	v_mov_b32_e32 v0, v42
	v_mov_b32_e32 v1, v43
	;; [unrolled: 1-line block ×4, first 2 shown]
	s_waitcnt lgkmcnt(12)
	v_mov_b32_e32 v4, v128
	v_mov_b32_e32 v5, v129
	v_mov_b32_e32 v6, v130
	v_mov_b32_e32 v7, v131
	s_waitcnt lgkmcnt(0)
	s_barrier
	s_getpc_b64 s[64:65]
	s_add_u32 s64, s64, _ZZZZN2at6native31launch_logcumsumexp_cuda_kernelERKNS_10TensorBaseES3_lENKUlvE_clEvENKUlvE1_clEvENKUlN3c107complexIdEES8_E_clES8_S8_@rel32@lo+4
	s_addc_u32 s65, s65, _ZZZZN2at6native31launch_logcumsumexp_cuda_kernelERKNS_10TensorBaseES3_lENKUlvE_clEvENKUlvE1_clEvENKUlN3c107complexIdEES8_E_clES8_S8_@rel32@hi+12
	s_swappc_b64 s[30:31], s[64:65]
	v_mov_b32_e32 v4, v124
	v_mov_b32_e32 v5, v125
	v_mov_b32_e32 v6, v126
	v_mov_b32_e32 v7, v127
	v_mov_b32_e32 v52, v0
	v_mov_b32_e32 v53, v1
	v_mov_b32_e32 v54, v2
	v_mov_b32_e32 v55, v3
	s_swappc_b64 s[30:31], s[64:65]
	v_mov_b32_e32 v4, v116
	v_mov_b32_e32 v5, v117
	v_mov_b32_e32 v6, v118
	v_mov_b32_e32 v7, v119
	v_mov_b32_e32 v64, v0
	v_mov_b32_e32 v65, v1
	v_mov_b32_e32 v66, v2
	v_mov_b32_e32 v67, v3
	;; [unrolled: 9-line block ×12, first 2 shown]
	s_swappc_b64 s[30:31], s[64:65]
	v_mov_b32_e32 v152, v0
	v_mbcnt_lo_u32_b32 v0, -1, 0
	v_mbcnt_hi_u32_b32 v47, -1, v0
	v_mov_b32_e32 v153, v1
	v_mov_b32_e32 v154, v2
	v_mov_b32_e32 v155, v3
	v_and_b32_e32 v160, 15, v47
	v_mov_b32_dpp v4, v152 row_shr:1 row_mask:0xf bank_mask:0xf
	v_mov_b32_dpp v5, v153 row_shr:1 row_mask:0xf bank_mask:0xf
	;; [unrolled: 1-line block ×4, first 2 shown]
	v_cmp_ne_u32_e32 vcc, 0, v160
	v_mov_b64_e32 v[158:159], v[154:155]
	v_mov_b64_e32 v[156:157], v[152:153]
	v_mov_b32_e32 v0, v152
	s_and_saveexec_b64 s[66:67], vcc
	s_cbranch_execz .LBB221_30
; %bb.29:
	v_mov_b32_e32 v0, v4
	v_mov_b32_e32 v1, v5
	;; [unrolled: 1-line block ×8, first 2 shown]
	s_swappc_b64 s[30:31], s[64:65]
	v_mov_b32_e32 v156, v0
	v_mov_b32_e32 v157, v1
	;; [unrolled: 1-line block ×4, first 2 shown]
.LBB221_30:
	s_or_b64 exec, exec, s[66:67]
	v_mov_b32_dpp v4, v0 row_shr:2 row_mask:0xf bank_mask:0xf
	v_mov_b32_dpp v5, v1 row_shr:2 row_mask:0xf bank_mask:0xf
	v_mov_b32_dpp v6, v2 row_shr:2 row_mask:0xf bank_mask:0xf
	v_mov_b32_dpp v7, v3 row_shr:2 row_mask:0xf bank_mask:0xf
	v_cmp_lt_u32_e32 vcc, 1, v160
	s_and_saveexec_b64 s[64:65], vcc
	s_cbranch_execz .LBB221_32
; %bb.31:
	v_mov_b32_e32 v0, v4
	v_mov_b32_e32 v1, v5
	v_mov_b32_e32 v2, v6
	v_mov_b32_e32 v3, v7
	v_mov_b32_e32 v4, v156
	v_mov_b32_e32 v5, v157
	v_mov_b32_e32 v6, v158
	v_mov_b32_e32 v7, v159
	s_getpc_b64 s[0:1]
	s_add_u32 s0, s0, _ZZZZN2at6native31launch_logcumsumexp_cuda_kernelERKNS_10TensorBaseES3_lENKUlvE_clEvENKUlvE1_clEvENKUlN3c107complexIdEES8_E_clES8_S8_@rel32@lo+4
	s_addc_u32 s1, s1, _ZZZZN2at6native31launch_logcumsumexp_cuda_kernelERKNS_10TensorBaseES3_lENKUlvE_clEvENKUlvE1_clEvENKUlN3c107complexIdEES8_E_clES8_S8_@rel32@hi+12
	s_swappc_b64 s[30:31], s[0:1]
	v_mov_b64_e32 v[158:159], v[2:3]
	v_mov_b64_e32 v[156:157], v[0:1]
.LBB221_32:
	s_or_b64 exec, exec, s[64:65]
	v_mov_b32_dpp v4, v0 row_shr:4 row_mask:0xf bank_mask:0xf
	v_mov_b32_dpp v5, v1 row_shr:4 row_mask:0xf bank_mask:0xf
	v_mov_b32_dpp v6, v2 row_shr:4 row_mask:0xf bank_mask:0xf
	v_mov_b32_dpp v7, v3 row_shr:4 row_mask:0xf bank_mask:0xf
	v_cmp_lt_u32_e32 vcc, 3, v160
	s_and_saveexec_b64 s[64:65], vcc
	s_cbranch_execz .LBB221_34
; %bb.33:
	v_mov_b32_e32 v0, v4
	v_mov_b32_e32 v1, v5
	v_mov_b32_e32 v2, v6
	v_mov_b32_e32 v3, v7
	v_mov_b32_e32 v4, v156
	v_mov_b32_e32 v5, v157
	v_mov_b32_e32 v6, v158
	v_mov_b32_e32 v7, v159
	s_getpc_b64 s[0:1]
	s_add_u32 s0, s0, _ZZZZN2at6native31launch_logcumsumexp_cuda_kernelERKNS_10TensorBaseES3_lENKUlvE_clEvENKUlvE1_clEvENKUlN3c107complexIdEES8_E_clES8_S8_@rel32@lo+4
	s_addc_u32 s1, s1, _ZZZZN2at6native31launch_logcumsumexp_cuda_kernelERKNS_10TensorBaseES3_lENKUlvE_clEvENKUlvE1_clEvENKUlN3c107complexIdEES8_E_clES8_S8_@rel32@hi+12
	s_swappc_b64 s[30:31], s[0:1]
	v_mov_b64_e32 v[158:159], v[2:3]
	v_mov_b64_e32 v[156:157], v[0:1]
.LBB221_34:
	;; [unrolled: 24-line block ×3, first 2 shown]
	s_or_b64 exec, exec, s[64:65]
	v_and_b32_e32 v8, 16, v47
	v_mov_b32_dpp v4, v0 row_bcast:15 row_mask:0xf bank_mask:0xf
	v_mov_b32_dpp v5, v1 row_bcast:15 row_mask:0xf bank_mask:0xf
	;; [unrolled: 1-line block ×4, first 2 shown]
	v_cmp_ne_u32_e32 vcc, 0, v8
	s_and_saveexec_b64 s[64:65], vcc
	s_cbranch_execz .LBB221_38
; %bb.37:
	v_mov_b32_e32 v0, v4
	v_mov_b32_e32 v1, v5
	v_mov_b32_e32 v2, v6
	v_mov_b32_e32 v3, v7
	v_mov_b32_e32 v4, v156
	v_mov_b32_e32 v5, v157
	v_mov_b32_e32 v6, v158
	v_mov_b32_e32 v7, v159
	s_getpc_b64 s[0:1]
	s_add_u32 s0, s0, _ZZZZN2at6native31launch_logcumsumexp_cuda_kernelERKNS_10TensorBaseES3_lENKUlvE_clEvENKUlvE1_clEvENKUlN3c107complexIdEES8_E_clES8_S8_@rel32@lo+4
	s_addc_u32 s1, s1, _ZZZZN2at6native31launch_logcumsumexp_cuda_kernelERKNS_10TensorBaseES3_lENKUlvE_clEvENKUlvE1_clEvENKUlN3c107complexIdEES8_E_clES8_S8_@rel32@hi+12
	s_swappc_b64 s[30:31], s[0:1]
	v_mov_b32_e32 v156, v0
	v_mov_b32_e32 v157, v1
	;; [unrolled: 1-line block ×4, first 2 shown]
.LBB221_38:
	s_or_b64 exec, exec, s[64:65]
	v_mov_b32_dpp v0, v0 row_bcast:31 row_mask:0xf bank_mask:0xf
	v_mov_b32_dpp v1, v1 row_bcast:31 row_mask:0xf bank_mask:0xf
	v_mov_b32_dpp v2, v2 row_bcast:31 row_mask:0xf bank_mask:0xf
	v_mov_b32_dpp v3, v3 row_bcast:31 row_mask:0xf bank_mask:0xf
	v_cmp_lt_u32_e32 vcc, 31, v47
	s_and_saveexec_b64 s[64:65], vcc
	s_cbranch_execz .LBB221_40
; %bb.39:
	v_mov_b32_e32 v4, v156
	v_mov_b32_e32 v5, v157
	;; [unrolled: 1-line block ×4, first 2 shown]
	s_getpc_b64 s[0:1]
	s_add_u32 s0, s0, _ZZZZN2at6native31launch_logcumsumexp_cuda_kernelERKNS_10TensorBaseES3_lENKUlvE_clEvENKUlvE1_clEvENKUlN3c107complexIdEES8_E_clES8_S8_@rel32@lo+4
	s_addc_u32 s1, s1, _ZZZZN2at6native31launch_logcumsumexp_cuda_kernelERKNS_10TensorBaseES3_lENKUlvE_clEvENKUlvE1_clEvENKUlN3c107complexIdEES8_E_clES8_S8_@rel32@hi+12
	s_swappc_b64 s[30:31], s[0:1]
	v_mov_b32_e32 v156, v0
	v_mov_b32_e32 v157, v1
	;; [unrolled: 1-line block ×4, first 2 shown]
.LBB221_40:
	s_or_b64 exec, exec, s[64:65]
	v_or_b32_e32 v0, 63, v41
	v_lshrrev_b32_e32 v165, 6, v41
	v_cmp_eq_u32_e32 vcc, v0, v41
	s_and_saveexec_b64 s[0:1], vcc
	s_cbranch_execz .LBB221_42
; %bb.41:
	v_lshlrev_b32_e32 v0, 4, v165
	ds_write_b128 v0, v[156:159]
.LBB221_42:
	s_or_b64 exec, exec, s[0:1]
	v_cmp_gt_u32_e32 vcc, 4, v41
	s_waitcnt lgkmcnt(0)
	s_barrier
	s_and_saveexec_b64 s[64:65], vcc
	s_cbranch_execz .LBB221_48
; %bb.43:
	ds_read_b128 v[4:7], v164
	v_and_b32_e32 v160, 3, v47
	v_cmp_ne_u32_e32 vcc, 0, v160
	s_waitcnt lgkmcnt(0)
	v_mov_b32_dpp v0, v4 row_shr:1 row_mask:0xf bank_mask:0xf
	v_mov_b32_dpp v1, v5 row_shr:1 row_mask:0xf bank_mask:0xf
	;; [unrolled: 1-line block ×4, first 2 shown]
	s_and_saveexec_b64 s[66:67], vcc
	s_cbranch_execz .LBB221_45
; %bb.44:
	s_getpc_b64 s[0:1]
	s_add_u32 s0, s0, _ZZZZN2at6native31launch_logcumsumexp_cuda_kernelERKNS_10TensorBaseES3_lENKUlvE_clEvENKUlvE1_clEvENKUlN3c107complexIdEES8_E_clES8_S8_@rel32@lo+4
	s_addc_u32 s1, s1, _ZZZZN2at6native31launch_logcumsumexp_cuda_kernelERKNS_10TensorBaseES3_lENKUlvE_clEvENKUlvE1_clEvENKUlN3c107complexIdEES8_E_clES8_S8_@rel32@hi+12
	s_swappc_b64 s[30:31], s[0:1]
	v_mov_b32_e32 v4, v0
	v_mov_b32_e32 v5, v1
	;; [unrolled: 1-line block ×4, first 2 shown]
.LBB221_45:
	s_or_b64 exec, exec, s[66:67]
	v_mov_b32_dpp v0, v4 row_shr:2 row_mask:0xf bank_mask:0xf
	v_mov_b32_dpp v1, v5 row_shr:2 row_mask:0xf bank_mask:0xf
	;; [unrolled: 1-line block ×4, first 2 shown]
	v_cmp_lt_u32_e32 vcc, 1, v160
	s_and_saveexec_b64 s[66:67], vcc
	s_cbranch_execz .LBB221_47
; %bb.46:
	s_getpc_b64 s[0:1]
	s_add_u32 s0, s0, _ZZZZN2at6native31launch_logcumsumexp_cuda_kernelERKNS_10TensorBaseES3_lENKUlvE_clEvENKUlvE1_clEvENKUlN3c107complexIdEES8_E_clES8_S8_@rel32@lo+4
	s_addc_u32 s1, s1, _ZZZZN2at6native31launch_logcumsumexp_cuda_kernelERKNS_10TensorBaseES3_lENKUlvE_clEvENKUlvE1_clEvENKUlN3c107complexIdEES8_E_clES8_S8_@rel32@hi+12
	s_swappc_b64 s[30:31], s[0:1]
	v_mov_b32_e32 v4, v0
	v_mov_b32_e32 v5, v1
	;; [unrolled: 1-line block ×4, first 2 shown]
.LBB221_47:
	s_or_b64 exec, exec, s[66:67]
	ds_write_b128 v164, v[4:7]
.LBB221_48:
	s_or_b64 exec, exec, s[64:65]
	s_load_dwordx2 s[62:63], s[62:63], 0x28
	v_mov_b64_e32 v[162:163], 0
	v_cmp_lt_u32_e32 vcc, 63, v41
	v_mov_b64_e32 v[160:161], v[162:163]
	s_waitcnt lgkmcnt(0)
	s_barrier
	s_and_saveexec_b64 s[64:65], vcc
	s_cbranch_execz .LBB221_50
; %bb.49:
	v_lshl_add_u32 v0, v165, 4, -16
	ds_read_b128 v[160:163], v0
	v_mov_b32_e32 v4, v156
	v_mov_b32_e32 v5, v157
	;; [unrolled: 1-line block ×4, first 2 shown]
	s_waitcnt lgkmcnt(0)
	v_mov_b32_e32 v0, v160
	v_mov_b32_e32 v1, v161
	;; [unrolled: 1-line block ×4, first 2 shown]
	s_getpc_b64 s[0:1]
	s_add_u32 s0, s0, _ZZZZN2at6native31launch_logcumsumexp_cuda_kernelERKNS_10TensorBaseES3_lENKUlvE_clEvENKUlvE1_clEvENKUlN3c107complexIdEES8_E_clES8_S8_@rel32@lo+4
	s_addc_u32 s1, s1, _ZZZZN2at6native31launch_logcumsumexp_cuda_kernelERKNS_10TensorBaseES3_lENKUlvE_clEvENKUlvE1_clEvENKUlN3c107complexIdEES8_E_clES8_S8_@rel32@hi+12
	s_swappc_b64 s[30:31], s[0:1]
	v_mov_b32_e32 v156, v0
	v_mov_b32_e32 v157, v1
	;; [unrolled: 1-line block ×4, first 2 shown]
.LBB221_50:
	s_or_b64 exec, exec, s[64:65]
	v_add_u32_e32 v0, -1, v47
	v_and_b32_e32 v1, 64, v47
	v_cmp_lt_i32_e32 vcc, v0, v1
	s_nop 1
	v_cndmask_b32_e32 v0, v0, v47, vcc
	v_lshlrev_b32_e32 v3, 2, v0
	ds_bpermute_b32 v0, v3, v156
	ds_bpermute_b32 v1, v3, v157
	;; [unrolled: 1-line block ×4, first 2 shown]
	v_cmp_ne_u32_e32 vcc, 0, v41
	s_and_saveexec_b64 s[64:65], vcc
	s_cbranch_execz .LBB221_52
; %bb.51:
	v_cmp_eq_u32_e32 vcc, 0, v47
	v_mov_b32_e32 v4, v42
	v_mov_b32_e32 v5, v43
	s_waitcnt lgkmcnt(3)
	v_cndmask_b32_e32 v0, v0, v160, vcc
	s_waitcnt lgkmcnt(2)
	v_cndmask_b32_e32 v1, v1, v161, vcc
	;; [unrolled: 2-line block ×4, first 2 shown]
	v_mov_b32_e32 v6, v44
	v_mov_b32_e32 v7, v45
	s_getpc_b64 s[66:67]
	s_add_u32 s66, s66, _ZZZZN2at6native31launch_logcumsumexp_cuda_kernelERKNS_10TensorBaseES3_lENKUlvE_clEvENKUlvE1_clEvENKUlN3c107complexIdEES8_E_clES8_S8_@rel32@lo+4
	s_addc_u32 s67, s67, _ZZZZN2at6native31launch_logcumsumexp_cuda_kernelERKNS_10TensorBaseES3_lENKUlvE_clEvENKUlvE1_clEvENKUlN3c107complexIdEES8_E_clES8_S8_@rel32@hi+12
	s_swappc_b64 s[30:31], s[66:67]
	v_mov_b32_e32 v4, v128
	v_mov_b32_e32 v5, v129
	;; [unrolled: 1-line block ×8, first 2 shown]
	;;#ASMSTART
	;;#ASMEND
	s_swappc_b64 s[30:31], s[66:67]
	v_mov_b32_e32 v4, v124
	v_mov_b32_e32 v5, v125
	v_mov_b32_e32 v6, v126
	v_mov_b32_e32 v7, v127
	v_mov_b32_e32 v52, v0
	v_mov_b32_e32 v53, v1
	v_mov_b32_e32 v54, v2
	v_mov_b32_e32 v55, v3
	s_swappc_b64 s[30:31], s[66:67]
	v_mov_b32_e32 v4, v116
	v_mov_b32_e32 v5, v117
	v_mov_b32_e32 v6, v118
	v_mov_b32_e32 v7, v119
	v_mov_b32_e32 v64, v0
	v_mov_b32_e32 v65, v1
	v_mov_b32_e32 v66, v2
	v_mov_b32_e32 v67, v3
	;; [unrolled: 9-line block ×12, first 2 shown]
	s_swappc_b64 s[30:31], s[66:67]
	v_mov_b32_e32 v152, v0
	v_mov_b32_e32 v153, v1
	;; [unrolled: 1-line block ×4, first 2 shown]
.LBB221_52:
	s_or_b64 exec, exec, s[64:65]
	s_movk_i32 s0, 0xff30
	s_waitcnt lgkmcnt(3)
	v_mad_i32_i24 v0, v41, s0, v46
	s_waitcnt lgkmcnt(0)
	s_barrier
	ds_write_b128 v46, v[42:45]
	ds_write_b128 v46, v[52:55] offset:16
	ds_write_b128 v46, v[64:67] offset:32
	;; [unrolled: 1-line block ×13, first 2 shown]
	s_waitcnt lgkmcnt(0)
	s_barrier
	ds_read_b128 v[48:51], v0 offset:4096
	ds_read_b128 v[44:47], v0 offset:8192
	;; [unrolled: 1-line block ×13, first 2 shown]
	v_mov_b32_e32 v165, 0
	v_lshl_add_u64 v[52:53], s[62:63], 0, v[164:165]
	s_and_saveexec_b64 s[0:1], s[34:35]
	s_cbranch_execnz .LBB221_67
; %bb.53:
	s_or_b64 exec, exec, s[0:1]
	s_and_saveexec_b64 s[0:1], s[36:37]
	s_cbranch_execnz .LBB221_68
.LBB221_54:
	s_or_b64 exec, exec, s[0:1]
	s_and_saveexec_b64 s[0:1], s[38:39]
	s_cbranch_execnz .LBB221_69
.LBB221_55:
	s_or_b64 exec, exec, s[0:1]
	s_and_saveexec_b64 s[0:1], s[40:41]
	s_cbranch_execnz .LBB221_70
.LBB221_56:
	s_or_b64 exec, exec, s[0:1]
	s_and_saveexec_b64 s[0:1], s[42:43]
	s_cbranch_execnz .LBB221_71
.LBB221_57:
	s_or_b64 exec, exec, s[0:1]
	s_and_saveexec_b64 s[0:1], s[44:45]
	s_cbranch_execnz .LBB221_72
.LBB221_58:
	s_or_b64 exec, exec, s[0:1]
	s_and_saveexec_b64 s[0:1], s[46:47]
	s_cbranch_execnz .LBB221_73
.LBB221_59:
	s_or_b64 exec, exec, s[0:1]
	s_and_saveexec_b64 s[0:1], s[48:49]
	s_cbranch_execnz .LBB221_74
.LBB221_60:
	s_or_b64 exec, exec, s[0:1]
	s_and_saveexec_b64 s[0:1], s[50:51]
	s_cbranch_execnz .LBB221_75
.LBB221_61:
	s_or_b64 exec, exec, s[0:1]
	s_and_saveexec_b64 s[0:1], s[52:53]
	s_cbranch_execnz .LBB221_76
.LBB221_62:
	s_or_b64 exec, exec, s[0:1]
	s_and_saveexec_b64 s[0:1], s[54:55]
	s_cbranch_execnz .LBB221_77
.LBB221_63:
	s_or_b64 exec, exec, s[0:1]
	s_and_saveexec_b64 s[0:1], s[56:57]
	s_cbranch_execnz .LBB221_78
.LBB221_64:
	s_or_b64 exec, exec, s[0:1]
	s_and_saveexec_b64 s[0:1], s[58:59]
	s_cbranch_execnz .LBB221_79
.LBB221_65:
	s_or_b64 exec, exec, s[0:1]
	s_and_saveexec_b64 s[0:1], s[60:61]
	s_cbranch_execnz .LBB221_80
.LBB221_66:
	s_endpgm
.LBB221_67:
	ds_read_b128 v[54:57], v164
	s_waitcnt lgkmcnt(0)
	global_store_dwordx4 v[52:53], v[54:57], off
	s_or_b64 exec, exec, s[0:1]
	s_and_saveexec_b64 s[0:1], s[36:37]
	s_cbranch_execz .LBB221_54
.LBB221_68:
	v_add_co_u32_e32 v54, vcc, 0x1000, v52
	s_nop 1
	v_addc_co_u32_e32 v55, vcc, 0, v53, vcc
	s_waitcnt lgkmcnt(12)
	global_store_dwordx4 v[54:55], v[48:51], off
	s_or_b64 exec, exec, s[0:1]
	s_and_saveexec_b64 s[0:1], s[38:39]
	s_cbranch_execz .LBB221_55
.LBB221_69:
	s_waitcnt lgkmcnt(12)
	v_add_co_u32_e32 v48, vcc, 0x2000, v52
	s_nop 1
	v_addc_co_u32_e32 v49, vcc, 0, v53, vcc
	s_waitcnt lgkmcnt(11)
	global_store_dwordx4 v[48:49], v[44:47], off
	s_or_b64 exec, exec, s[0:1]
	s_and_saveexec_b64 s[0:1], s[40:41]
	s_cbranch_execz .LBB221_56
.LBB221_70:
	s_waitcnt lgkmcnt(11)
	v_add_co_u32_e32 v44, vcc, 0x3000, v52
	s_nop 1
	v_addc_co_u32_e32 v45, vcc, 0, v53, vcc
	s_waitcnt lgkmcnt(9)
	global_store_dwordx4 v[44:45], v[40:43], off
	s_or_b64 exec, exec, s[0:1]
	s_and_saveexec_b64 s[0:1], s[42:43]
	s_cbranch_execz .LBB221_57
.LBB221_71:
	s_waitcnt lgkmcnt(9)
	v_add_co_u32_e32 v40, vcc, 0x4000, v52
	s_nop 1
	v_addc_co_u32_e32 v41, vcc, 0, v53, vcc
	global_store_dwordx4 v[40:41], v[36:39], off
	s_or_b64 exec, exec, s[0:1]
	s_and_saveexec_b64 s[0:1], s[44:45]
	s_cbranch_execz .LBB221_58
.LBB221_72:
	s_waitcnt lgkmcnt(10)
	v_add_co_u32_e32 v36, vcc, 0x5000, v52
	s_nop 1
	v_addc_co_u32_e32 v37, vcc, 0, v53, vcc
	s_waitcnt lgkmcnt(8)
	global_store_dwordx4 v[36:37], v[32:35], off
	s_or_b64 exec, exec, s[0:1]
	s_and_saveexec_b64 s[0:1], s[46:47]
	s_cbranch_execz .LBB221_59
.LBB221_73:
	s_waitcnt lgkmcnt(8)
	v_add_co_u32_e32 v32, vcc, 0x6000, v52
	s_nop 1
	v_addc_co_u32_e32 v33, vcc, 0, v53, vcc
	s_waitcnt lgkmcnt(7)
	global_store_dwordx4 v[32:33], v[28:31], off
	s_or_b64 exec, exec, s[0:1]
	s_and_saveexec_b64 s[0:1], s[48:49]
	s_cbranch_execz .LBB221_60
.LBB221_74:
	s_waitcnt lgkmcnt(7)
	v_add_co_u32_e32 v28, vcc, 0x7000, v52
	s_nop 1
	v_addc_co_u32_e32 v29, vcc, 0, v53, vcc
	s_waitcnt lgkmcnt(6)
	global_store_dwordx4 v[28:29], v[24:27], off
	s_or_b64 exec, exec, s[0:1]
	s_and_saveexec_b64 s[0:1], s[50:51]
	s_cbranch_execz .LBB221_61
.LBB221_75:
	s_waitcnt lgkmcnt(6)
	v_add_co_u32_e32 v24, vcc, 0x8000, v52
	s_nop 1
	v_addc_co_u32_e32 v25, vcc, 0, v53, vcc
	s_waitcnt lgkmcnt(3)
	global_store_dwordx4 v[24:25], v[20:23], off
	s_or_b64 exec, exec, s[0:1]
	s_and_saveexec_b64 s[0:1], s[52:53]
	s_cbranch_execz .LBB221_62
.LBB221_76:
	s_waitcnt lgkmcnt(3)
	v_add_co_u32_e32 v20, vcc, 0x9000, v52
	s_nop 1
	v_addc_co_u32_e32 v21, vcc, 0, v53, vcc
	global_store_dwordx4 v[20:21], v[16:19], off
	s_or_b64 exec, exec, s[0:1]
	s_and_saveexec_b64 s[0:1], s[54:55]
	s_cbranch_execz .LBB221_63
.LBB221_77:
	s_waitcnt lgkmcnt(5)
	v_add_co_u32_e32 v16, vcc, 0xa000, v52
	s_nop 1
	v_addc_co_u32_e32 v17, vcc, 0, v53, vcc
	s_waitcnt lgkmcnt(4)
	global_store_dwordx4 v[16:17], v[12:15], off
	s_or_b64 exec, exec, s[0:1]
	s_and_saveexec_b64 s[0:1], s[56:57]
	s_cbranch_execz .LBB221_64
.LBB221_78:
	s_waitcnt lgkmcnt(4)
	v_add_co_u32_e32 v12, vcc, 0xb000, v52
	s_nop 1
	v_addc_co_u32_e32 v13, vcc, 0, v53, vcc
	s_waitcnt lgkmcnt(1)
	global_store_dwordx4 v[12:13], v[8:11], off
	s_or_b64 exec, exec, s[0:1]
	s_and_saveexec_b64 s[0:1], s[58:59]
	s_cbranch_execz .LBB221_65
.LBB221_79:
	s_waitcnt lgkmcnt(1)
	v_add_co_u32_e32 v8, vcc, 0xc000, v52
	s_nop 1
	v_addc_co_u32_e32 v9, vcc, 0, v53, vcc
	global_store_dwordx4 v[8:9], v[4:7], off
	s_or_b64 exec, exec, s[0:1]
	s_and_saveexec_b64 s[0:1], s[60:61]
	s_cbranch_execz .LBB221_66
.LBB221_80:
	s_waitcnt lgkmcnt(2)
	v_add_co_u32_e32 v4, vcc, 0xd000, v52
	s_nop 1
	v_addc_co_u32_e32 v5, vcc, 0, v53, vcc
	s_waitcnt lgkmcnt(0)
	global_store_dwordx4 v[4:5], v[0:3], off
	s_endpgm
	.section	.rodata,"a",@progbits
	.p2align	6, 0x0
	.amdhsa_kernel _ZN7rocprim17ROCPRIM_400000_NS6detail17trampoline_kernelINS0_14default_configENS1_20scan_config_selectorIN3c107complexIdEEEEZZNS1_9scan_implILNS1_25lookback_scan_determinismE0ELb0ELb0ES3_PKS7_PS7_S7_ZZZN2at6native31launch_logcumsumexp_cuda_kernelERKNSE_10TensorBaseESI_lENKUlvE_clEvENKUlvE1_clEvEUlS7_S7_E_S7_EEDaPvRmT3_T4_T5_mT6_P12ihipStream_tbENKUlT_T0_E_clISt17integral_constantIbLb1EESZ_EEDaSU_SV_EUlSU_E0_NS1_11comp_targetILNS1_3genE5ELNS1_11target_archE942ELNS1_3gpuE9ELNS1_3repE0EEENS1_30default_config_static_selectorELNS0_4arch9wavefront6targetE1EEEvT1_
		.amdhsa_group_segment_fixed_size 57344
		.amdhsa_private_segment_fixed_size 8
		.amdhsa_kernarg_size 48
		.amdhsa_user_sgpr_count 2
		.amdhsa_user_sgpr_dispatch_ptr 0
		.amdhsa_user_sgpr_queue_ptr 0
		.amdhsa_user_sgpr_kernarg_segment_ptr 1
		.amdhsa_user_sgpr_dispatch_id 0
		.amdhsa_user_sgpr_kernarg_preload_length 0
		.amdhsa_user_sgpr_kernarg_preload_offset 0
		.amdhsa_user_sgpr_private_segment_size 0
		.amdhsa_uses_dynamic_stack 0
		.amdhsa_enable_private_segment 1
		.amdhsa_system_sgpr_workgroup_id_x 1
		.amdhsa_system_sgpr_workgroup_id_y 0
		.amdhsa_system_sgpr_workgroup_id_z 0
		.amdhsa_system_sgpr_workgroup_info 0
		.amdhsa_system_vgpr_workitem_id 0
		.amdhsa_next_free_vgpr 166
		.amdhsa_next_free_sgpr 68
		.amdhsa_accum_offset 168
		.amdhsa_reserve_vcc 1
		.amdhsa_float_round_mode_32 0
		.amdhsa_float_round_mode_16_64 0
		.amdhsa_float_denorm_mode_32 3
		.amdhsa_float_denorm_mode_16_64 3
		.amdhsa_dx10_clamp 1
		.amdhsa_ieee_mode 1
		.amdhsa_fp16_overflow 0
		.amdhsa_tg_split 0
		.amdhsa_exception_fp_ieee_invalid_op 0
		.amdhsa_exception_fp_denorm_src 0
		.amdhsa_exception_fp_ieee_div_zero 0
		.amdhsa_exception_fp_ieee_overflow 0
		.amdhsa_exception_fp_ieee_underflow 0
		.amdhsa_exception_fp_ieee_inexact 0
		.amdhsa_exception_int_div_zero 0
	.end_amdhsa_kernel
	.section	.text._ZN7rocprim17ROCPRIM_400000_NS6detail17trampoline_kernelINS0_14default_configENS1_20scan_config_selectorIN3c107complexIdEEEEZZNS1_9scan_implILNS1_25lookback_scan_determinismE0ELb0ELb0ES3_PKS7_PS7_S7_ZZZN2at6native31launch_logcumsumexp_cuda_kernelERKNSE_10TensorBaseESI_lENKUlvE_clEvENKUlvE1_clEvEUlS7_S7_E_S7_EEDaPvRmT3_T4_T5_mT6_P12ihipStream_tbENKUlT_T0_E_clISt17integral_constantIbLb1EESZ_EEDaSU_SV_EUlSU_E0_NS1_11comp_targetILNS1_3genE5ELNS1_11target_archE942ELNS1_3gpuE9ELNS1_3repE0EEENS1_30default_config_static_selectorELNS0_4arch9wavefront6targetE1EEEvT1_,"axG",@progbits,_ZN7rocprim17ROCPRIM_400000_NS6detail17trampoline_kernelINS0_14default_configENS1_20scan_config_selectorIN3c107complexIdEEEEZZNS1_9scan_implILNS1_25lookback_scan_determinismE0ELb0ELb0ES3_PKS7_PS7_S7_ZZZN2at6native31launch_logcumsumexp_cuda_kernelERKNSE_10TensorBaseESI_lENKUlvE_clEvENKUlvE1_clEvEUlS7_S7_E_S7_EEDaPvRmT3_T4_T5_mT6_P12ihipStream_tbENKUlT_T0_E_clISt17integral_constantIbLb1EESZ_EEDaSU_SV_EUlSU_E0_NS1_11comp_targetILNS1_3genE5ELNS1_11target_archE942ELNS1_3gpuE9ELNS1_3repE0EEENS1_30default_config_static_selectorELNS0_4arch9wavefront6targetE1EEEvT1_,comdat
.Lfunc_end221:
	.size	_ZN7rocprim17ROCPRIM_400000_NS6detail17trampoline_kernelINS0_14default_configENS1_20scan_config_selectorIN3c107complexIdEEEEZZNS1_9scan_implILNS1_25lookback_scan_determinismE0ELb0ELb0ES3_PKS7_PS7_S7_ZZZN2at6native31launch_logcumsumexp_cuda_kernelERKNSE_10TensorBaseESI_lENKUlvE_clEvENKUlvE1_clEvEUlS7_S7_E_S7_EEDaPvRmT3_T4_T5_mT6_P12ihipStream_tbENKUlT_T0_E_clISt17integral_constantIbLb1EESZ_EEDaSU_SV_EUlSU_E0_NS1_11comp_targetILNS1_3genE5ELNS1_11target_archE942ELNS1_3gpuE9ELNS1_3repE0EEENS1_30default_config_static_selectorELNS0_4arch9wavefront6targetE1EEEvT1_, .Lfunc_end221-_ZN7rocprim17ROCPRIM_400000_NS6detail17trampoline_kernelINS0_14default_configENS1_20scan_config_selectorIN3c107complexIdEEEEZZNS1_9scan_implILNS1_25lookback_scan_determinismE0ELb0ELb0ES3_PKS7_PS7_S7_ZZZN2at6native31launch_logcumsumexp_cuda_kernelERKNSE_10TensorBaseESI_lENKUlvE_clEvENKUlvE1_clEvEUlS7_S7_E_S7_EEDaPvRmT3_T4_T5_mT6_P12ihipStream_tbENKUlT_T0_E_clISt17integral_constantIbLb1EESZ_EEDaSU_SV_EUlSU_E0_NS1_11comp_targetILNS1_3genE5ELNS1_11target_archE942ELNS1_3gpuE9ELNS1_3repE0EEENS1_30default_config_static_selectorELNS0_4arch9wavefront6targetE1EEEvT1_
                                        ; -- End function
	.section	.AMDGPU.csdata,"",@progbits
; Kernel info:
; codeLenInByte = 4196
; NumSgprs: 74
; NumVgprs: 166
; NumAgprs: 0
; TotalNumVgprs: 166
; ScratchSize: 8
; MemoryBound: 1
; FloatMode: 240
; IeeeMode: 1
; LDSByteSize: 57344 bytes/workgroup (compile time only)
; SGPRBlocks: 9
; VGPRBlocks: 20
; NumSGPRsForWavesPerEU: 74
; NumVGPRsForWavesPerEU: 166
; AccumOffset: 168
; Occupancy: 1
; WaveLimiterHint : 0
; COMPUTE_PGM_RSRC2:SCRATCH_EN: 1
; COMPUTE_PGM_RSRC2:USER_SGPR: 2
; COMPUTE_PGM_RSRC2:TRAP_HANDLER: 0
; COMPUTE_PGM_RSRC2:TGID_X_EN: 1
; COMPUTE_PGM_RSRC2:TGID_Y_EN: 0
; COMPUTE_PGM_RSRC2:TGID_Z_EN: 0
; COMPUTE_PGM_RSRC2:TIDIG_COMP_CNT: 0
; COMPUTE_PGM_RSRC3_GFX90A:ACCUM_OFFSET: 41
; COMPUTE_PGM_RSRC3_GFX90A:TG_SPLIT: 0
	.section	.text._ZN7rocprim17ROCPRIM_400000_NS6detail17trampoline_kernelINS0_14default_configENS1_20scan_config_selectorIN3c107complexIdEEEEZZNS1_9scan_implILNS1_25lookback_scan_determinismE0ELb0ELb0ES3_PKS7_PS7_S7_ZZZN2at6native31launch_logcumsumexp_cuda_kernelERKNSE_10TensorBaseESI_lENKUlvE_clEvENKUlvE1_clEvEUlS7_S7_E_S7_EEDaPvRmT3_T4_T5_mT6_P12ihipStream_tbENKUlT_T0_E_clISt17integral_constantIbLb1EESZ_EEDaSU_SV_EUlSU_E0_NS1_11comp_targetILNS1_3genE4ELNS1_11target_archE910ELNS1_3gpuE8ELNS1_3repE0EEENS1_30default_config_static_selectorELNS0_4arch9wavefront6targetE1EEEvT1_,"axG",@progbits,_ZN7rocprim17ROCPRIM_400000_NS6detail17trampoline_kernelINS0_14default_configENS1_20scan_config_selectorIN3c107complexIdEEEEZZNS1_9scan_implILNS1_25lookback_scan_determinismE0ELb0ELb0ES3_PKS7_PS7_S7_ZZZN2at6native31launch_logcumsumexp_cuda_kernelERKNSE_10TensorBaseESI_lENKUlvE_clEvENKUlvE1_clEvEUlS7_S7_E_S7_EEDaPvRmT3_T4_T5_mT6_P12ihipStream_tbENKUlT_T0_E_clISt17integral_constantIbLb1EESZ_EEDaSU_SV_EUlSU_E0_NS1_11comp_targetILNS1_3genE4ELNS1_11target_archE910ELNS1_3gpuE8ELNS1_3repE0EEENS1_30default_config_static_selectorELNS0_4arch9wavefront6targetE1EEEvT1_,comdat
	.globl	_ZN7rocprim17ROCPRIM_400000_NS6detail17trampoline_kernelINS0_14default_configENS1_20scan_config_selectorIN3c107complexIdEEEEZZNS1_9scan_implILNS1_25lookback_scan_determinismE0ELb0ELb0ES3_PKS7_PS7_S7_ZZZN2at6native31launch_logcumsumexp_cuda_kernelERKNSE_10TensorBaseESI_lENKUlvE_clEvENKUlvE1_clEvEUlS7_S7_E_S7_EEDaPvRmT3_T4_T5_mT6_P12ihipStream_tbENKUlT_T0_E_clISt17integral_constantIbLb1EESZ_EEDaSU_SV_EUlSU_E0_NS1_11comp_targetILNS1_3genE4ELNS1_11target_archE910ELNS1_3gpuE8ELNS1_3repE0EEENS1_30default_config_static_selectorELNS0_4arch9wavefront6targetE1EEEvT1_ ; -- Begin function _ZN7rocprim17ROCPRIM_400000_NS6detail17trampoline_kernelINS0_14default_configENS1_20scan_config_selectorIN3c107complexIdEEEEZZNS1_9scan_implILNS1_25lookback_scan_determinismE0ELb0ELb0ES3_PKS7_PS7_S7_ZZZN2at6native31launch_logcumsumexp_cuda_kernelERKNSE_10TensorBaseESI_lENKUlvE_clEvENKUlvE1_clEvEUlS7_S7_E_S7_EEDaPvRmT3_T4_T5_mT6_P12ihipStream_tbENKUlT_T0_E_clISt17integral_constantIbLb1EESZ_EEDaSU_SV_EUlSU_E0_NS1_11comp_targetILNS1_3genE4ELNS1_11target_archE910ELNS1_3gpuE8ELNS1_3repE0EEENS1_30default_config_static_selectorELNS0_4arch9wavefront6targetE1EEEvT1_
	.p2align	8
	.type	_ZN7rocprim17ROCPRIM_400000_NS6detail17trampoline_kernelINS0_14default_configENS1_20scan_config_selectorIN3c107complexIdEEEEZZNS1_9scan_implILNS1_25lookback_scan_determinismE0ELb0ELb0ES3_PKS7_PS7_S7_ZZZN2at6native31launch_logcumsumexp_cuda_kernelERKNSE_10TensorBaseESI_lENKUlvE_clEvENKUlvE1_clEvEUlS7_S7_E_S7_EEDaPvRmT3_T4_T5_mT6_P12ihipStream_tbENKUlT_T0_E_clISt17integral_constantIbLb1EESZ_EEDaSU_SV_EUlSU_E0_NS1_11comp_targetILNS1_3genE4ELNS1_11target_archE910ELNS1_3gpuE8ELNS1_3repE0EEENS1_30default_config_static_selectorELNS0_4arch9wavefront6targetE1EEEvT1_,@function
_ZN7rocprim17ROCPRIM_400000_NS6detail17trampoline_kernelINS0_14default_configENS1_20scan_config_selectorIN3c107complexIdEEEEZZNS1_9scan_implILNS1_25lookback_scan_determinismE0ELb0ELb0ES3_PKS7_PS7_S7_ZZZN2at6native31launch_logcumsumexp_cuda_kernelERKNSE_10TensorBaseESI_lENKUlvE_clEvENKUlvE1_clEvEUlS7_S7_E_S7_EEDaPvRmT3_T4_T5_mT6_P12ihipStream_tbENKUlT_T0_E_clISt17integral_constantIbLb1EESZ_EEDaSU_SV_EUlSU_E0_NS1_11comp_targetILNS1_3genE4ELNS1_11target_archE910ELNS1_3gpuE8ELNS1_3repE0EEENS1_30default_config_static_selectorELNS0_4arch9wavefront6targetE1EEEvT1_: ; @_ZN7rocprim17ROCPRIM_400000_NS6detail17trampoline_kernelINS0_14default_configENS1_20scan_config_selectorIN3c107complexIdEEEEZZNS1_9scan_implILNS1_25lookback_scan_determinismE0ELb0ELb0ES3_PKS7_PS7_S7_ZZZN2at6native31launch_logcumsumexp_cuda_kernelERKNSE_10TensorBaseESI_lENKUlvE_clEvENKUlvE1_clEvEUlS7_S7_E_S7_EEDaPvRmT3_T4_T5_mT6_P12ihipStream_tbENKUlT_T0_E_clISt17integral_constantIbLb1EESZ_EEDaSU_SV_EUlSU_E0_NS1_11comp_targetILNS1_3genE4ELNS1_11target_archE910ELNS1_3gpuE8ELNS1_3repE0EEENS1_30default_config_static_selectorELNS0_4arch9wavefront6targetE1EEEvT1_
; %bb.0:
	.section	.rodata,"a",@progbits
	.p2align	6, 0x0
	.amdhsa_kernel _ZN7rocprim17ROCPRIM_400000_NS6detail17trampoline_kernelINS0_14default_configENS1_20scan_config_selectorIN3c107complexIdEEEEZZNS1_9scan_implILNS1_25lookback_scan_determinismE0ELb0ELb0ES3_PKS7_PS7_S7_ZZZN2at6native31launch_logcumsumexp_cuda_kernelERKNSE_10TensorBaseESI_lENKUlvE_clEvENKUlvE1_clEvEUlS7_S7_E_S7_EEDaPvRmT3_T4_T5_mT6_P12ihipStream_tbENKUlT_T0_E_clISt17integral_constantIbLb1EESZ_EEDaSU_SV_EUlSU_E0_NS1_11comp_targetILNS1_3genE4ELNS1_11target_archE910ELNS1_3gpuE8ELNS1_3repE0EEENS1_30default_config_static_selectorELNS0_4arch9wavefront6targetE1EEEvT1_
		.amdhsa_group_segment_fixed_size 0
		.amdhsa_private_segment_fixed_size 0
		.amdhsa_kernarg_size 48
		.amdhsa_user_sgpr_count 2
		.amdhsa_user_sgpr_dispatch_ptr 0
		.amdhsa_user_sgpr_queue_ptr 0
		.amdhsa_user_sgpr_kernarg_segment_ptr 1
		.amdhsa_user_sgpr_dispatch_id 0
		.amdhsa_user_sgpr_kernarg_preload_length 0
		.amdhsa_user_sgpr_kernarg_preload_offset 0
		.amdhsa_user_sgpr_private_segment_size 0
		.amdhsa_uses_dynamic_stack 0
		.amdhsa_enable_private_segment 0
		.amdhsa_system_sgpr_workgroup_id_x 1
		.amdhsa_system_sgpr_workgroup_id_y 0
		.amdhsa_system_sgpr_workgroup_id_z 0
		.amdhsa_system_sgpr_workgroup_info 0
		.amdhsa_system_vgpr_workitem_id 0
		.amdhsa_next_free_vgpr 1
		.amdhsa_next_free_sgpr 0
		.amdhsa_accum_offset 4
		.amdhsa_reserve_vcc 0
		.amdhsa_float_round_mode_32 0
		.amdhsa_float_round_mode_16_64 0
		.amdhsa_float_denorm_mode_32 3
		.amdhsa_float_denorm_mode_16_64 3
		.amdhsa_dx10_clamp 1
		.amdhsa_ieee_mode 1
		.amdhsa_fp16_overflow 0
		.amdhsa_tg_split 0
		.amdhsa_exception_fp_ieee_invalid_op 0
		.amdhsa_exception_fp_denorm_src 0
		.amdhsa_exception_fp_ieee_div_zero 0
		.amdhsa_exception_fp_ieee_overflow 0
		.amdhsa_exception_fp_ieee_underflow 0
		.amdhsa_exception_fp_ieee_inexact 0
		.amdhsa_exception_int_div_zero 0
	.end_amdhsa_kernel
	.section	.text._ZN7rocprim17ROCPRIM_400000_NS6detail17trampoline_kernelINS0_14default_configENS1_20scan_config_selectorIN3c107complexIdEEEEZZNS1_9scan_implILNS1_25lookback_scan_determinismE0ELb0ELb0ES3_PKS7_PS7_S7_ZZZN2at6native31launch_logcumsumexp_cuda_kernelERKNSE_10TensorBaseESI_lENKUlvE_clEvENKUlvE1_clEvEUlS7_S7_E_S7_EEDaPvRmT3_T4_T5_mT6_P12ihipStream_tbENKUlT_T0_E_clISt17integral_constantIbLb1EESZ_EEDaSU_SV_EUlSU_E0_NS1_11comp_targetILNS1_3genE4ELNS1_11target_archE910ELNS1_3gpuE8ELNS1_3repE0EEENS1_30default_config_static_selectorELNS0_4arch9wavefront6targetE1EEEvT1_,"axG",@progbits,_ZN7rocprim17ROCPRIM_400000_NS6detail17trampoline_kernelINS0_14default_configENS1_20scan_config_selectorIN3c107complexIdEEEEZZNS1_9scan_implILNS1_25lookback_scan_determinismE0ELb0ELb0ES3_PKS7_PS7_S7_ZZZN2at6native31launch_logcumsumexp_cuda_kernelERKNSE_10TensorBaseESI_lENKUlvE_clEvENKUlvE1_clEvEUlS7_S7_E_S7_EEDaPvRmT3_T4_T5_mT6_P12ihipStream_tbENKUlT_T0_E_clISt17integral_constantIbLb1EESZ_EEDaSU_SV_EUlSU_E0_NS1_11comp_targetILNS1_3genE4ELNS1_11target_archE910ELNS1_3gpuE8ELNS1_3repE0EEENS1_30default_config_static_selectorELNS0_4arch9wavefront6targetE1EEEvT1_,comdat
.Lfunc_end222:
	.size	_ZN7rocprim17ROCPRIM_400000_NS6detail17trampoline_kernelINS0_14default_configENS1_20scan_config_selectorIN3c107complexIdEEEEZZNS1_9scan_implILNS1_25lookback_scan_determinismE0ELb0ELb0ES3_PKS7_PS7_S7_ZZZN2at6native31launch_logcumsumexp_cuda_kernelERKNSE_10TensorBaseESI_lENKUlvE_clEvENKUlvE1_clEvEUlS7_S7_E_S7_EEDaPvRmT3_T4_T5_mT6_P12ihipStream_tbENKUlT_T0_E_clISt17integral_constantIbLb1EESZ_EEDaSU_SV_EUlSU_E0_NS1_11comp_targetILNS1_3genE4ELNS1_11target_archE910ELNS1_3gpuE8ELNS1_3repE0EEENS1_30default_config_static_selectorELNS0_4arch9wavefront6targetE1EEEvT1_, .Lfunc_end222-_ZN7rocprim17ROCPRIM_400000_NS6detail17trampoline_kernelINS0_14default_configENS1_20scan_config_selectorIN3c107complexIdEEEEZZNS1_9scan_implILNS1_25lookback_scan_determinismE0ELb0ELb0ES3_PKS7_PS7_S7_ZZZN2at6native31launch_logcumsumexp_cuda_kernelERKNSE_10TensorBaseESI_lENKUlvE_clEvENKUlvE1_clEvEUlS7_S7_E_S7_EEDaPvRmT3_T4_T5_mT6_P12ihipStream_tbENKUlT_T0_E_clISt17integral_constantIbLb1EESZ_EEDaSU_SV_EUlSU_E0_NS1_11comp_targetILNS1_3genE4ELNS1_11target_archE910ELNS1_3gpuE8ELNS1_3repE0EEENS1_30default_config_static_selectorELNS0_4arch9wavefront6targetE1EEEvT1_
                                        ; -- End function
	.section	.AMDGPU.csdata,"",@progbits
; Kernel info:
; codeLenInByte = 0
; NumSgprs: 6
; NumVgprs: 0
; NumAgprs: 0
; TotalNumVgprs: 0
; ScratchSize: 0
; MemoryBound: 0
; FloatMode: 240
; IeeeMode: 1
; LDSByteSize: 0 bytes/workgroup (compile time only)
; SGPRBlocks: 0
; VGPRBlocks: 0
; NumSGPRsForWavesPerEU: 6
; NumVGPRsForWavesPerEU: 1
; AccumOffset: 4
; Occupancy: 8
; WaveLimiterHint : 0
; COMPUTE_PGM_RSRC2:SCRATCH_EN: 0
; COMPUTE_PGM_RSRC2:USER_SGPR: 2
; COMPUTE_PGM_RSRC2:TRAP_HANDLER: 0
; COMPUTE_PGM_RSRC2:TGID_X_EN: 1
; COMPUTE_PGM_RSRC2:TGID_Y_EN: 0
; COMPUTE_PGM_RSRC2:TGID_Z_EN: 0
; COMPUTE_PGM_RSRC2:TIDIG_COMP_CNT: 0
; COMPUTE_PGM_RSRC3_GFX90A:ACCUM_OFFSET: 0
; COMPUTE_PGM_RSRC3_GFX90A:TG_SPLIT: 0
	.section	.text._ZN7rocprim17ROCPRIM_400000_NS6detail17trampoline_kernelINS0_14default_configENS1_20scan_config_selectorIN3c107complexIdEEEEZZNS1_9scan_implILNS1_25lookback_scan_determinismE0ELb0ELb0ES3_PKS7_PS7_S7_ZZZN2at6native31launch_logcumsumexp_cuda_kernelERKNSE_10TensorBaseESI_lENKUlvE_clEvENKUlvE1_clEvEUlS7_S7_E_S7_EEDaPvRmT3_T4_T5_mT6_P12ihipStream_tbENKUlT_T0_E_clISt17integral_constantIbLb1EESZ_EEDaSU_SV_EUlSU_E0_NS1_11comp_targetILNS1_3genE3ELNS1_11target_archE908ELNS1_3gpuE7ELNS1_3repE0EEENS1_30default_config_static_selectorELNS0_4arch9wavefront6targetE1EEEvT1_,"axG",@progbits,_ZN7rocprim17ROCPRIM_400000_NS6detail17trampoline_kernelINS0_14default_configENS1_20scan_config_selectorIN3c107complexIdEEEEZZNS1_9scan_implILNS1_25lookback_scan_determinismE0ELb0ELb0ES3_PKS7_PS7_S7_ZZZN2at6native31launch_logcumsumexp_cuda_kernelERKNSE_10TensorBaseESI_lENKUlvE_clEvENKUlvE1_clEvEUlS7_S7_E_S7_EEDaPvRmT3_T4_T5_mT6_P12ihipStream_tbENKUlT_T0_E_clISt17integral_constantIbLb1EESZ_EEDaSU_SV_EUlSU_E0_NS1_11comp_targetILNS1_3genE3ELNS1_11target_archE908ELNS1_3gpuE7ELNS1_3repE0EEENS1_30default_config_static_selectorELNS0_4arch9wavefront6targetE1EEEvT1_,comdat
	.globl	_ZN7rocprim17ROCPRIM_400000_NS6detail17trampoline_kernelINS0_14default_configENS1_20scan_config_selectorIN3c107complexIdEEEEZZNS1_9scan_implILNS1_25lookback_scan_determinismE0ELb0ELb0ES3_PKS7_PS7_S7_ZZZN2at6native31launch_logcumsumexp_cuda_kernelERKNSE_10TensorBaseESI_lENKUlvE_clEvENKUlvE1_clEvEUlS7_S7_E_S7_EEDaPvRmT3_T4_T5_mT6_P12ihipStream_tbENKUlT_T0_E_clISt17integral_constantIbLb1EESZ_EEDaSU_SV_EUlSU_E0_NS1_11comp_targetILNS1_3genE3ELNS1_11target_archE908ELNS1_3gpuE7ELNS1_3repE0EEENS1_30default_config_static_selectorELNS0_4arch9wavefront6targetE1EEEvT1_ ; -- Begin function _ZN7rocprim17ROCPRIM_400000_NS6detail17trampoline_kernelINS0_14default_configENS1_20scan_config_selectorIN3c107complexIdEEEEZZNS1_9scan_implILNS1_25lookback_scan_determinismE0ELb0ELb0ES3_PKS7_PS7_S7_ZZZN2at6native31launch_logcumsumexp_cuda_kernelERKNSE_10TensorBaseESI_lENKUlvE_clEvENKUlvE1_clEvEUlS7_S7_E_S7_EEDaPvRmT3_T4_T5_mT6_P12ihipStream_tbENKUlT_T0_E_clISt17integral_constantIbLb1EESZ_EEDaSU_SV_EUlSU_E0_NS1_11comp_targetILNS1_3genE3ELNS1_11target_archE908ELNS1_3gpuE7ELNS1_3repE0EEENS1_30default_config_static_selectorELNS0_4arch9wavefront6targetE1EEEvT1_
	.p2align	8
	.type	_ZN7rocprim17ROCPRIM_400000_NS6detail17trampoline_kernelINS0_14default_configENS1_20scan_config_selectorIN3c107complexIdEEEEZZNS1_9scan_implILNS1_25lookback_scan_determinismE0ELb0ELb0ES3_PKS7_PS7_S7_ZZZN2at6native31launch_logcumsumexp_cuda_kernelERKNSE_10TensorBaseESI_lENKUlvE_clEvENKUlvE1_clEvEUlS7_S7_E_S7_EEDaPvRmT3_T4_T5_mT6_P12ihipStream_tbENKUlT_T0_E_clISt17integral_constantIbLb1EESZ_EEDaSU_SV_EUlSU_E0_NS1_11comp_targetILNS1_3genE3ELNS1_11target_archE908ELNS1_3gpuE7ELNS1_3repE0EEENS1_30default_config_static_selectorELNS0_4arch9wavefront6targetE1EEEvT1_,@function
_ZN7rocprim17ROCPRIM_400000_NS6detail17trampoline_kernelINS0_14default_configENS1_20scan_config_selectorIN3c107complexIdEEEEZZNS1_9scan_implILNS1_25lookback_scan_determinismE0ELb0ELb0ES3_PKS7_PS7_S7_ZZZN2at6native31launch_logcumsumexp_cuda_kernelERKNSE_10TensorBaseESI_lENKUlvE_clEvENKUlvE1_clEvEUlS7_S7_E_S7_EEDaPvRmT3_T4_T5_mT6_P12ihipStream_tbENKUlT_T0_E_clISt17integral_constantIbLb1EESZ_EEDaSU_SV_EUlSU_E0_NS1_11comp_targetILNS1_3genE3ELNS1_11target_archE908ELNS1_3gpuE7ELNS1_3repE0EEENS1_30default_config_static_selectorELNS0_4arch9wavefront6targetE1EEEvT1_: ; @_ZN7rocprim17ROCPRIM_400000_NS6detail17trampoline_kernelINS0_14default_configENS1_20scan_config_selectorIN3c107complexIdEEEEZZNS1_9scan_implILNS1_25lookback_scan_determinismE0ELb0ELb0ES3_PKS7_PS7_S7_ZZZN2at6native31launch_logcumsumexp_cuda_kernelERKNSE_10TensorBaseESI_lENKUlvE_clEvENKUlvE1_clEvEUlS7_S7_E_S7_EEDaPvRmT3_T4_T5_mT6_P12ihipStream_tbENKUlT_T0_E_clISt17integral_constantIbLb1EESZ_EEDaSU_SV_EUlSU_E0_NS1_11comp_targetILNS1_3genE3ELNS1_11target_archE908ELNS1_3gpuE7ELNS1_3repE0EEENS1_30default_config_static_selectorELNS0_4arch9wavefront6targetE1EEEvT1_
; %bb.0:
	.section	.rodata,"a",@progbits
	.p2align	6, 0x0
	.amdhsa_kernel _ZN7rocprim17ROCPRIM_400000_NS6detail17trampoline_kernelINS0_14default_configENS1_20scan_config_selectorIN3c107complexIdEEEEZZNS1_9scan_implILNS1_25lookback_scan_determinismE0ELb0ELb0ES3_PKS7_PS7_S7_ZZZN2at6native31launch_logcumsumexp_cuda_kernelERKNSE_10TensorBaseESI_lENKUlvE_clEvENKUlvE1_clEvEUlS7_S7_E_S7_EEDaPvRmT3_T4_T5_mT6_P12ihipStream_tbENKUlT_T0_E_clISt17integral_constantIbLb1EESZ_EEDaSU_SV_EUlSU_E0_NS1_11comp_targetILNS1_3genE3ELNS1_11target_archE908ELNS1_3gpuE7ELNS1_3repE0EEENS1_30default_config_static_selectorELNS0_4arch9wavefront6targetE1EEEvT1_
		.amdhsa_group_segment_fixed_size 0
		.amdhsa_private_segment_fixed_size 0
		.amdhsa_kernarg_size 48
		.amdhsa_user_sgpr_count 2
		.amdhsa_user_sgpr_dispatch_ptr 0
		.amdhsa_user_sgpr_queue_ptr 0
		.amdhsa_user_sgpr_kernarg_segment_ptr 1
		.amdhsa_user_sgpr_dispatch_id 0
		.amdhsa_user_sgpr_kernarg_preload_length 0
		.amdhsa_user_sgpr_kernarg_preload_offset 0
		.amdhsa_user_sgpr_private_segment_size 0
		.amdhsa_uses_dynamic_stack 0
		.amdhsa_enable_private_segment 0
		.amdhsa_system_sgpr_workgroup_id_x 1
		.amdhsa_system_sgpr_workgroup_id_y 0
		.amdhsa_system_sgpr_workgroup_id_z 0
		.amdhsa_system_sgpr_workgroup_info 0
		.amdhsa_system_vgpr_workitem_id 0
		.amdhsa_next_free_vgpr 1
		.amdhsa_next_free_sgpr 0
		.amdhsa_accum_offset 4
		.amdhsa_reserve_vcc 0
		.amdhsa_float_round_mode_32 0
		.amdhsa_float_round_mode_16_64 0
		.amdhsa_float_denorm_mode_32 3
		.amdhsa_float_denorm_mode_16_64 3
		.amdhsa_dx10_clamp 1
		.amdhsa_ieee_mode 1
		.amdhsa_fp16_overflow 0
		.amdhsa_tg_split 0
		.amdhsa_exception_fp_ieee_invalid_op 0
		.amdhsa_exception_fp_denorm_src 0
		.amdhsa_exception_fp_ieee_div_zero 0
		.amdhsa_exception_fp_ieee_overflow 0
		.amdhsa_exception_fp_ieee_underflow 0
		.amdhsa_exception_fp_ieee_inexact 0
		.amdhsa_exception_int_div_zero 0
	.end_amdhsa_kernel
	.section	.text._ZN7rocprim17ROCPRIM_400000_NS6detail17trampoline_kernelINS0_14default_configENS1_20scan_config_selectorIN3c107complexIdEEEEZZNS1_9scan_implILNS1_25lookback_scan_determinismE0ELb0ELb0ES3_PKS7_PS7_S7_ZZZN2at6native31launch_logcumsumexp_cuda_kernelERKNSE_10TensorBaseESI_lENKUlvE_clEvENKUlvE1_clEvEUlS7_S7_E_S7_EEDaPvRmT3_T4_T5_mT6_P12ihipStream_tbENKUlT_T0_E_clISt17integral_constantIbLb1EESZ_EEDaSU_SV_EUlSU_E0_NS1_11comp_targetILNS1_3genE3ELNS1_11target_archE908ELNS1_3gpuE7ELNS1_3repE0EEENS1_30default_config_static_selectorELNS0_4arch9wavefront6targetE1EEEvT1_,"axG",@progbits,_ZN7rocprim17ROCPRIM_400000_NS6detail17trampoline_kernelINS0_14default_configENS1_20scan_config_selectorIN3c107complexIdEEEEZZNS1_9scan_implILNS1_25lookback_scan_determinismE0ELb0ELb0ES3_PKS7_PS7_S7_ZZZN2at6native31launch_logcumsumexp_cuda_kernelERKNSE_10TensorBaseESI_lENKUlvE_clEvENKUlvE1_clEvEUlS7_S7_E_S7_EEDaPvRmT3_T4_T5_mT6_P12ihipStream_tbENKUlT_T0_E_clISt17integral_constantIbLb1EESZ_EEDaSU_SV_EUlSU_E0_NS1_11comp_targetILNS1_3genE3ELNS1_11target_archE908ELNS1_3gpuE7ELNS1_3repE0EEENS1_30default_config_static_selectorELNS0_4arch9wavefront6targetE1EEEvT1_,comdat
.Lfunc_end223:
	.size	_ZN7rocprim17ROCPRIM_400000_NS6detail17trampoline_kernelINS0_14default_configENS1_20scan_config_selectorIN3c107complexIdEEEEZZNS1_9scan_implILNS1_25lookback_scan_determinismE0ELb0ELb0ES3_PKS7_PS7_S7_ZZZN2at6native31launch_logcumsumexp_cuda_kernelERKNSE_10TensorBaseESI_lENKUlvE_clEvENKUlvE1_clEvEUlS7_S7_E_S7_EEDaPvRmT3_T4_T5_mT6_P12ihipStream_tbENKUlT_T0_E_clISt17integral_constantIbLb1EESZ_EEDaSU_SV_EUlSU_E0_NS1_11comp_targetILNS1_3genE3ELNS1_11target_archE908ELNS1_3gpuE7ELNS1_3repE0EEENS1_30default_config_static_selectorELNS0_4arch9wavefront6targetE1EEEvT1_, .Lfunc_end223-_ZN7rocprim17ROCPRIM_400000_NS6detail17trampoline_kernelINS0_14default_configENS1_20scan_config_selectorIN3c107complexIdEEEEZZNS1_9scan_implILNS1_25lookback_scan_determinismE0ELb0ELb0ES3_PKS7_PS7_S7_ZZZN2at6native31launch_logcumsumexp_cuda_kernelERKNSE_10TensorBaseESI_lENKUlvE_clEvENKUlvE1_clEvEUlS7_S7_E_S7_EEDaPvRmT3_T4_T5_mT6_P12ihipStream_tbENKUlT_T0_E_clISt17integral_constantIbLb1EESZ_EEDaSU_SV_EUlSU_E0_NS1_11comp_targetILNS1_3genE3ELNS1_11target_archE908ELNS1_3gpuE7ELNS1_3repE0EEENS1_30default_config_static_selectorELNS0_4arch9wavefront6targetE1EEEvT1_
                                        ; -- End function
	.section	.AMDGPU.csdata,"",@progbits
; Kernel info:
; codeLenInByte = 0
; NumSgprs: 6
; NumVgprs: 0
; NumAgprs: 0
; TotalNumVgprs: 0
; ScratchSize: 0
; MemoryBound: 0
; FloatMode: 240
; IeeeMode: 1
; LDSByteSize: 0 bytes/workgroup (compile time only)
; SGPRBlocks: 0
; VGPRBlocks: 0
; NumSGPRsForWavesPerEU: 6
; NumVGPRsForWavesPerEU: 1
; AccumOffset: 4
; Occupancy: 8
; WaveLimiterHint : 0
; COMPUTE_PGM_RSRC2:SCRATCH_EN: 0
; COMPUTE_PGM_RSRC2:USER_SGPR: 2
; COMPUTE_PGM_RSRC2:TRAP_HANDLER: 0
; COMPUTE_PGM_RSRC2:TGID_X_EN: 1
; COMPUTE_PGM_RSRC2:TGID_Y_EN: 0
; COMPUTE_PGM_RSRC2:TGID_Z_EN: 0
; COMPUTE_PGM_RSRC2:TIDIG_COMP_CNT: 0
; COMPUTE_PGM_RSRC3_GFX90A:ACCUM_OFFSET: 0
; COMPUTE_PGM_RSRC3_GFX90A:TG_SPLIT: 0
	.section	.text._ZN7rocprim17ROCPRIM_400000_NS6detail17trampoline_kernelINS0_14default_configENS1_20scan_config_selectorIN3c107complexIdEEEEZZNS1_9scan_implILNS1_25lookback_scan_determinismE0ELb0ELb0ES3_PKS7_PS7_S7_ZZZN2at6native31launch_logcumsumexp_cuda_kernelERKNSE_10TensorBaseESI_lENKUlvE_clEvENKUlvE1_clEvEUlS7_S7_E_S7_EEDaPvRmT3_T4_T5_mT6_P12ihipStream_tbENKUlT_T0_E_clISt17integral_constantIbLb1EESZ_EEDaSU_SV_EUlSU_E0_NS1_11comp_targetILNS1_3genE2ELNS1_11target_archE906ELNS1_3gpuE6ELNS1_3repE0EEENS1_30default_config_static_selectorELNS0_4arch9wavefront6targetE1EEEvT1_,"axG",@progbits,_ZN7rocprim17ROCPRIM_400000_NS6detail17trampoline_kernelINS0_14default_configENS1_20scan_config_selectorIN3c107complexIdEEEEZZNS1_9scan_implILNS1_25lookback_scan_determinismE0ELb0ELb0ES3_PKS7_PS7_S7_ZZZN2at6native31launch_logcumsumexp_cuda_kernelERKNSE_10TensorBaseESI_lENKUlvE_clEvENKUlvE1_clEvEUlS7_S7_E_S7_EEDaPvRmT3_T4_T5_mT6_P12ihipStream_tbENKUlT_T0_E_clISt17integral_constantIbLb1EESZ_EEDaSU_SV_EUlSU_E0_NS1_11comp_targetILNS1_3genE2ELNS1_11target_archE906ELNS1_3gpuE6ELNS1_3repE0EEENS1_30default_config_static_selectorELNS0_4arch9wavefront6targetE1EEEvT1_,comdat
	.globl	_ZN7rocprim17ROCPRIM_400000_NS6detail17trampoline_kernelINS0_14default_configENS1_20scan_config_selectorIN3c107complexIdEEEEZZNS1_9scan_implILNS1_25lookback_scan_determinismE0ELb0ELb0ES3_PKS7_PS7_S7_ZZZN2at6native31launch_logcumsumexp_cuda_kernelERKNSE_10TensorBaseESI_lENKUlvE_clEvENKUlvE1_clEvEUlS7_S7_E_S7_EEDaPvRmT3_T4_T5_mT6_P12ihipStream_tbENKUlT_T0_E_clISt17integral_constantIbLb1EESZ_EEDaSU_SV_EUlSU_E0_NS1_11comp_targetILNS1_3genE2ELNS1_11target_archE906ELNS1_3gpuE6ELNS1_3repE0EEENS1_30default_config_static_selectorELNS0_4arch9wavefront6targetE1EEEvT1_ ; -- Begin function _ZN7rocprim17ROCPRIM_400000_NS6detail17trampoline_kernelINS0_14default_configENS1_20scan_config_selectorIN3c107complexIdEEEEZZNS1_9scan_implILNS1_25lookback_scan_determinismE0ELb0ELb0ES3_PKS7_PS7_S7_ZZZN2at6native31launch_logcumsumexp_cuda_kernelERKNSE_10TensorBaseESI_lENKUlvE_clEvENKUlvE1_clEvEUlS7_S7_E_S7_EEDaPvRmT3_T4_T5_mT6_P12ihipStream_tbENKUlT_T0_E_clISt17integral_constantIbLb1EESZ_EEDaSU_SV_EUlSU_E0_NS1_11comp_targetILNS1_3genE2ELNS1_11target_archE906ELNS1_3gpuE6ELNS1_3repE0EEENS1_30default_config_static_selectorELNS0_4arch9wavefront6targetE1EEEvT1_
	.p2align	8
	.type	_ZN7rocprim17ROCPRIM_400000_NS6detail17trampoline_kernelINS0_14default_configENS1_20scan_config_selectorIN3c107complexIdEEEEZZNS1_9scan_implILNS1_25lookback_scan_determinismE0ELb0ELb0ES3_PKS7_PS7_S7_ZZZN2at6native31launch_logcumsumexp_cuda_kernelERKNSE_10TensorBaseESI_lENKUlvE_clEvENKUlvE1_clEvEUlS7_S7_E_S7_EEDaPvRmT3_T4_T5_mT6_P12ihipStream_tbENKUlT_T0_E_clISt17integral_constantIbLb1EESZ_EEDaSU_SV_EUlSU_E0_NS1_11comp_targetILNS1_3genE2ELNS1_11target_archE906ELNS1_3gpuE6ELNS1_3repE0EEENS1_30default_config_static_selectorELNS0_4arch9wavefront6targetE1EEEvT1_,@function
_ZN7rocprim17ROCPRIM_400000_NS6detail17trampoline_kernelINS0_14default_configENS1_20scan_config_selectorIN3c107complexIdEEEEZZNS1_9scan_implILNS1_25lookback_scan_determinismE0ELb0ELb0ES3_PKS7_PS7_S7_ZZZN2at6native31launch_logcumsumexp_cuda_kernelERKNSE_10TensorBaseESI_lENKUlvE_clEvENKUlvE1_clEvEUlS7_S7_E_S7_EEDaPvRmT3_T4_T5_mT6_P12ihipStream_tbENKUlT_T0_E_clISt17integral_constantIbLb1EESZ_EEDaSU_SV_EUlSU_E0_NS1_11comp_targetILNS1_3genE2ELNS1_11target_archE906ELNS1_3gpuE6ELNS1_3repE0EEENS1_30default_config_static_selectorELNS0_4arch9wavefront6targetE1EEEvT1_: ; @_ZN7rocprim17ROCPRIM_400000_NS6detail17trampoline_kernelINS0_14default_configENS1_20scan_config_selectorIN3c107complexIdEEEEZZNS1_9scan_implILNS1_25lookback_scan_determinismE0ELb0ELb0ES3_PKS7_PS7_S7_ZZZN2at6native31launch_logcumsumexp_cuda_kernelERKNSE_10TensorBaseESI_lENKUlvE_clEvENKUlvE1_clEvEUlS7_S7_E_S7_EEDaPvRmT3_T4_T5_mT6_P12ihipStream_tbENKUlT_T0_E_clISt17integral_constantIbLb1EESZ_EEDaSU_SV_EUlSU_E0_NS1_11comp_targetILNS1_3genE2ELNS1_11target_archE906ELNS1_3gpuE6ELNS1_3repE0EEENS1_30default_config_static_selectorELNS0_4arch9wavefront6targetE1EEEvT1_
; %bb.0:
	.section	.rodata,"a",@progbits
	.p2align	6, 0x0
	.amdhsa_kernel _ZN7rocprim17ROCPRIM_400000_NS6detail17trampoline_kernelINS0_14default_configENS1_20scan_config_selectorIN3c107complexIdEEEEZZNS1_9scan_implILNS1_25lookback_scan_determinismE0ELb0ELb0ES3_PKS7_PS7_S7_ZZZN2at6native31launch_logcumsumexp_cuda_kernelERKNSE_10TensorBaseESI_lENKUlvE_clEvENKUlvE1_clEvEUlS7_S7_E_S7_EEDaPvRmT3_T4_T5_mT6_P12ihipStream_tbENKUlT_T0_E_clISt17integral_constantIbLb1EESZ_EEDaSU_SV_EUlSU_E0_NS1_11comp_targetILNS1_3genE2ELNS1_11target_archE906ELNS1_3gpuE6ELNS1_3repE0EEENS1_30default_config_static_selectorELNS0_4arch9wavefront6targetE1EEEvT1_
		.amdhsa_group_segment_fixed_size 0
		.amdhsa_private_segment_fixed_size 0
		.amdhsa_kernarg_size 48
		.amdhsa_user_sgpr_count 2
		.amdhsa_user_sgpr_dispatch_ptr 0
		.amdhsa_user_sgpr_queue_ptr 0
		.amdhsa_user_sgpr_kernarg_segment_ptr 1
		.amdhsa_user_sgpr_dispatch_id 0
		.amdhsa_user_sgpr_kernarg_preload_length 0
		.amdhsa_user_sgpr_kernarg_preload_offset 0
		.amdhsa_user_sgpr_private_segment_size 0
		.amdhsa_uses_dynamic_stack 0
		.amdhsa_enable_private_segment 0
		.amdhsa_system_sgpr_workgroup_id_x 1
		.amdhsa_system_sgpr_workgroup_id_y 0
		.amdhsa_system_sgpr_workgroup_id_z 0
		.amdhsa_system_sgpr_workgroup_info 0
		.amdhsa_system_vgpr_workitem_id 0
		.amdhsa_next_free_vgpr 1
		.amdhsa_next_free_sgpr 0
		.amdhsa_accum_offset 4
		.amdhsa_reserve_vcc 0
		.amdhsa_float_round_mode_32 0
		.amdhsa_float_round_mode_16_64 0
		.amdhsa_float_denorm_mode_32 3
		.amdhsa_float_denorm_mode_16_64 3
		.amdhsa_dx10_clamp 1
		.amdhsa_ieee_mode 1
		.amdhsa_fp16_overflow 0
		.amdhsa_tg_split 0
		.amdhsa_exception_fp_ieee_invalid_op 0
		.amdhsa_exception_fp_denorm_src 0
		.amdhsa_exception_fp_ieee_div_zero 0
		.amdhsa_exception_fp_ieee_overflow 0
		.amdhsa_exception_fp_ieee_underflow 0
		.amdhsa_exception_fp_ieee_inexact 0
		.amdhsa_exception_int_div_zero 0
	.end_amdhsa_kernel
	.section	.text._ZN7rocprim17ROCPRIM_400000_NS6detail17trampoline_kernelINS0_14default_configENS1_20scan_config_selectorIN3c107complexIdEEEEZZNS1_9scan_implILNS1_25lookback_scan_determinismE0ELb0ELb0ES3_PKS7_PS7_S7_ZZZN2at6native31launch_logcumsumexp_cuda_kernelERKNSE_10TensorBaseESI_lENKUlvE_clEvENKUlvE1_clEvEUlS7_S7_E_S7_EEDaPvRmT3_T4_T5_mT6_P12ihipStream_tbENKUlT_T0_E_clISt17integral_constantIbLb1EESZ_EEDaSU_SV_EUlSU_E0_NS1_11comp_targetILNS1_3genE2ELNS1_11target_archE906ELNS1_3gpuE6ELNS1_3repE0EEENS1_30default_config_static_selectorELNS0_4arch9wavefront6targetE1EEEvT1_,"axG",@progbits,_ZN7rocprim17ROCPRIM_400000_NS6detail17trampoline_kernelINS0_14default_configENS1_20scan_config_selectorIN3c107complexIdEEEEZZNS1_9scan_implILNS1_25lookback_scan_determinismE0ELb0ELb0ES3_PKS7_PS7_S7_ZZZN2at6native31launch_logcumsumexp_cuda_kernelERKNSE_10TensorBaseESI_lENKUlvE_clEvENKUlvE1_clEvEUlS7_S7_E_S7_EEDaPvRmT3_T4_T5_mT6_P12ihipStream_tbENKUlT_T0_E_clISt17integral_constantIbLb1EESZ_EEDaSU_SV_EUlSU_E0_NS1_11comp_targetILNS1_3genE2ELNS1_11target_archE906ELNS1_3gpuE6ELNS1_3repE0EEENS1_30default_config_static_selectorELNS0_4arch9wavefront6targetE1EEEvT1_,comdat
.Lfunc_end224:
	.size	_ZN7rocprim17ROCPRIM_400000_NS6detail17trampoline_kernelINS0_14default_configENS1_20scan_config_selectorIN3c107complexIdEEEEZZNS1_9scan_implILNS1_25lookback_scan_determinismE0ELb0ELb0ES3_PKS7_PS7_S7_ZZZN2at6native31launch_logcumsumexp_cuda_kernelERKNSE_10TensorBaseESI_lENKUlvE_clEvENKUlvE1_clEvEUlS7_S7_E_S7_EEDaPvRmT3_T4_T5_mT6_P12ihipStream_tbENKUlT_T0_E_clISt17integral_constantIbLb1EESZ_EEDaSU_SV_EUlSU_E0_NS1_11comp_targetILNS1_3genE2ELNS1_11target_archE906ELNS1_3gpuE6ELNS1_3repE0EEENS1_30default_config_static_selectorELNS0_4arch9wavefront6targetE1EEEvT1_, .Lfunc_end224-_ZN7rocprim17ROCPRIM_400000_NS6detail17trampoline_kernelINS0_14default_configENS1_20scan_config_selectorIN3c107complexIdEEEEZZNS1_9scan_implILNS1_25lookback_scan_determinismE0ELb0ELb0ES3_PKS7_PS7_S7_ZZZN2at6native31launch_logcumsumexp_cuda_kernelERKNSE_10TensorBaseESI_lENKUlvE_clEvENKUlvE1_clEvEUlS7_S7_E_S7_EEDaPvRmT3_T4_T5_mT6_P12ihipStream_tbENKUlT_T0_E_clISt17integral_constantIbLb1EESZ_EEDaSU_SV_EUlSU_E0_NS1_11comp_targetILNS1_3genE2ELNS1_11target_archE906ELNS1_3gpuE6ELNS1_3repE0EEENS1_30default_config_static_selectorELNS0_4arch9wavefront6targetE1EEEvT1_
                                        ; -- End function
	.section	.AMDGPU.csdata,"",@progbits
; Kernel info:
; codeLenInByte = 0
; NumSgprs: 6
; NumVgprs: 0
; NumAgprs: 0
; TotalNumVgprs: 0
; ScratchSize: 0
; MemoryBound: 0
; FloatMode: 240
; IeeeMode: 1
; LDSByteSize: 0 bytes/workgroup (compile time only)
; SGPRBlocks: 0
; VGPRBlocks: 0
; NumSGPRsForWavesPerEU: 6
; NumVGPRsForWavesPerEU: 1
; AccumOffset: 4
; Occupancy: 8
; WaveLimiterHint : 0
; COMPUTE_PGM_RSRC2:SCRATCH_EN: 0
; COMPUTE_PGM_RSRC2:USER_SGPR: 2
; COMPUTE_PGM_RSRC2:TRAP_HANDLER: 0
; COMPUTE_PGM_RSRC2:TGID_X_EN: 1
; COMPUTE_PGM_RSRC2:TGID_Y_EN: 0
; COMPUTE_PGM_RSRC2:TGID_Z_EN: 0
; COMPUTE_PGM_RSRC2:TIDIG_COMP_CNT: 0
; COMPUTE_PGM_RSRC3_GFX90A:ACCUM_OFFSET: 0
; COMPUTE_PGM_RSRC3_GFX90A:TG_SPLIT: 0
	.section	.text._ZN7rocprim17ROCPRIM_400000_NS6detail17trampoline_kernelINS0_14default_configENS1_20scan_config_selectorIN3c107complexIdEEEEZZNS1_9scan_implILNS1_25lookback_scan_determinismE0ELb0ELb0ES3_PKS7_PS7_S7_ZZZN2at6native31launch_logcumsumexp_cuda_kernelERKNSE_10TensorBaseESI_lENKUlvE_clEvENKUlvE1_clEvEUlS7_S7_E_S7_EEDaPvRmT3_T4_T5_mT6_P12ihipStream_tbENKUlT_T0_E_clISt17integral_constantIbLb1EESZ_EEDaSU_SV_EUlSU_E0_NS1_11comp_targetILNS1_3genE10ELNS1_11target_archE1201ELNS1_3gpuE5ELNS1_3repE0EEENS1_30default_config_static_selectorELNS0_4arch9wavefront6targetE1EEEvT1_,"axG",@progbits,_ZN7rocprim17ROCPRIM_400000_NS6detail17trampoline_kernelINS0_14default_configENS1_20scan_config_selectorIN3c107complexIdEEEEZZNS1_9scan_implILNS1_25lookback_scan_determinismE0ELb0ELb0ES3_PKS7_PS7_S7_ZZZN2at6native31launch_logcumsumexp_cuda_kernelERKNSE_10TensorBaseESI_lENKUlvE_clEvENKUlvE1_clEvEUlS7_S7_E_S7_EEDaPvRmT3_T4_T5_mT6_P12ihipStream_tbENKUlT_T0_E_clISt17integral_constantIbLb1EESZ_EEDaSU_SV_EUlSU_E0_NS1_11comp_targetILNS1_3genE10ELNS1_11target_archE1201ELNS1_3gpuE5ELNS1_3repE0EEENS1_30default_config_static_selectorELNS0_4arch9wavefront6targetE1EEEvT1_,comdat
	.globl	_ZN7rocprim17ROCPRIM_400000_NS6detail17trampoline_kernelINS0_14default_configENS1_20scan_config_selectorIN3c107complexIdEEEEZZNS1_9scan_implILNS1_25lookback_scan_determinismE0ELb0ELb0ES3_PKS7_PS7_S7_ZZZN2at6native31launch_logcumsumexp_cuda_kernelERKNSE_10TensorBaseESI_lENKUlvE_clEvENKUlvE1_clEvEUlS7_S7_E_S7_EEDaPvRmT3_T4_T5_mT6_P12ihipStream_tbENKUlT_T0_E_clISt17integral_constantIbLb1EESZ_EEDaSU_SV_EUlSU_E0_NS1_11comp_targetILNS1_3genE10ELNS1_11target_archE1201ELNS1_3gpuE5ELNS1_3repE0EEENS1_30default_config_static_selectorELNS0_4arch9wavefront6targetE1EEEvT1_ ; -- Begin function _ZN7rocprim17ROCPRIM_400000_NS6detail17trampoline_kernelINS0_14default_configENS1_20scan_config_selectorIN3c107complexIdEEEEZZNS1_9scan_implILNS1_25lookback_scan_determinismE0ELb0ELb0ES3_PKS7_PS7_S7_ZZZN2at6native31launch_logcumsumexp_cuda_kernelERKNSE_10TensorBaseESI_lENKUlvE_clEvENKUlvE1_clEvEUlS7_S7_E_S7_EEDaPvRmT3_T4_T5_mT6_P12ihipStream_tbENKUlT_T0_E_clISt17integral_constantIbLb1EESZ_EEDaSU_SV_EUlSU_E0_NS1_11comp_targetILNS1_3genE10ELNS1_11target_archE1201ELNS1_3gpuE5ELNS1_3repE0EEENS1_30default_config_static_selectorELNS0_4arch9wavefront6targetE1EEEvT1_
	.p2align	8
	.type	_ZN7rocprim17ROCPRIM_400000_NS6detail17trampoline_kernelINS0_14default_configENS1_20scan_config_selectorIN3c107complexIdEEEEZZNS1_9scan_implILNS1_25lookback_scan_determinismE0ELb0ELb0ES3_PKS7_PS7_S7_ZZZN2at6native31launch_logcumsumexp_cuda_kernelERKNSE_10TensorBaseESI_lENKUlvE_clEvENKUlvE1_clEvEUlS7_S7_E_S7_EEDaPvRmT3_T4_T5_mT6_P12ihipStream_tbENKUlT_T0_E_clISt17integral_constantIbLb1EESZ_EEDaSU_SV_EUlSU_E0_NS1_11comp_targetILNS1_3genE10ELNS1_11target_archE1201ELNS1_3gpuE5ELNS1_3repE0EEENS1_30default_config_static_selectorELNS0_4arch9wavefront6targetE1EEEvT1_,@function
_ZN7rocprim17ROCPRIM_400000_NS6detail17trampoline_kernelINS0_14default_configENS1_20scan_config_selectorIN3c107complexIdEEEEZZNS1_9scan_implILNS1_25lookback_scan_determinismE0ELb0ELb0ES3_PKS7_PS7_S7_ZZZN2at6native31launch_logcumsumexp_cuda_kernelERKNSE_10TensorBaseESI_lENKUlvE_clEvENKUlvE1_clEvEUlS7_S7_E_S7_EEDaPvRmT3_T4_T5_mT6_P12ihipStream_tbENKUlT_T0_E_clISt17integral_constantIbLb1EESZ_EEDaSU_SV_EUlSU_E0_NS1_11comp_targetILNS1_3genE10ELNS1_11target_archE1201ELNS1_3gpuE5ELNS1_3repE0EEENS1_30default_config_static_selectorELNS0_4arch9wavefront6targetE1EEEvT1_: ; @_ZN7rocprim17ROCPRIM_400000_NS6detail17trampoline_kernelINS0_14default_configENS1_20scan_config_selectorIN3c107complexIdEEEEZZNS1_9scan_implILNS1_25lookback_scan_determinismE0ELb0ELb0ES3_PKS7_PS7_S7_ZZZN2at6native31launch_logcumsumexp_cuda_kernelERKNSE_10TensorBaseESI_lENKUlvE_clEvENKUlvE1_clEvEUlS7_S7_E_S7_EEDaPvRmT3_T4_T5_mT6_P12ihipStream_tbENKUlT_T0_E_clISt17integral_constantIbLb1EESZ_EEDaSU_SV_EUlSU_E0_NS1_11comp_targetILNS1_3genE10ELNS1_11target_archE1201ELNS1_3gpuE5ELNS1_3repE0EEENS1_30default_config_static_selectorELNS0_4arch9wavefront6targetE1EEEvT1_
; %bb.0:
	.section	.rodata,"a",@progbits
	.p2align	6, 0x0
	.amdhsa_kernel _ZN7rocprim17ROCPRIM_400000_NS6detail17trampoline_kernelINS0_14default_configENS1_20scan_config_selectorIN3c107complexIdEEEEZZNS1_9scan_implILNS1_25lookback_scan_determinismE0ELb0ELb0ES3_PKS7_PS7_S7_ZZZN2at6native31launch_logcumsumexp_cuda_kernelERKNSE_10TensorBaseESI_lENKUlvE_clEvENKUlvE1_clEvEUlS7_S7_E_S7_EEDaPvRmT3_T4_T5_mT6_P12ihipStream_tbENKUlT_T0_E_clISt17integral_constantIbLb1EESZ_EEDaSU_SV_EUlSU_E0_NS1_11comp_targetILNS1_3genE10ELNS1_11target_archE1201ELNS1_3gpuE5ELNS1_3repE0EEENS1_30default_config_static_selectorELNS0_4arch9wavefront6targetE1EEEvT1_
		.amdhsa_group_segment_fixed_size 0
		.amdhsa_private_segment_fixed_size 0
		.amdhsa_kernarg_size 48
		.amdhsa_user_sgpr_count 2
		.amdhsa_user_sgpr_dispatch_ptr 0
		.amdhsa_user_sgpr_queue_ptr 0
		.amdhsa_user_sgpr_kernarg_segment_ptr 1
		.amdhsa_user_sgpr_dispatch_id 0
		.amdhsa_user_sgpr_kernarg_preload_length 0
		.amdhsa_user_sgpr_kernarg_preload_offset 0
		.amdhsa_user_sgpr_private_segment_size 0
		.amdhsa_uses_dynamic_stack 0
		.amdhsa_enable_private_segment 0
		.amdhsa_system_sgpr_workgroup_id_x 1
		.amdhsa_system_sgpr_workgroup_id_y 0
		.amdhsa_system_sgpr_workgroup_id_z 0
		.amdhsa_system_sgpr_workgroup_info 0
		.amdhsa_system_vgpr_workitem_id 0
		.amdhsa_next_free_vgpr 1
		.amdhsa_next_free_sgpr 0
		.amdhsa_accum_offset 4
		.amdhsa_reserve_vcc 0
		.amdhsa_float_round_mode_32 0
		.amdhsa_float_round_mode_16_64 0
		.amdhsa_float_denorm_mode_32 3
		.amdhsa_float_denorm_mode_16_64 3
		.amdhsa_dx10_clamp 1
		.amdhsa_ieee_mode 1
		.amdhsa_fp16_overflow 0
		.amdhsa_tg_split 0
		.amdhsa_exception_fp_ieee_invalid_op 0
		.amdhsa_exception_fp_denorm_src 0
		.amdhsa_exception_fp_ieee_div_zero 0
		.amdhsa_exception_fp_ieee_overflow 0
		.amdhsa_exception_fp_ieee_underflow 0
		.amdhsa_exception_fp_ieee_inexact 0
		.amdhsa_exception_int_div_zero 0
	.end_amdhsa_kernel
	.section	.text._ZN7rocprim17ROCPRIM_400000_NS6detail17trampoline_kernelINS0_14default_configENS1_20scan_config_selectorIN3c107complexIdEEEEZZNS1_9scan_implILNS1_25lookback_scan_determinismE0ELb0ELb0ES3_PKS7_PS7_S7_ZZZN2at6native31launch_logcumsumexp_cuda_kernelERKNSE_10TensorBaseESI_lENKUlvE_clEvENKUlvE1_clEvEUlS7_S7_E_S7_EEDaPvRmT3_T4_T5_mT6_P12ihipStream_tbENKUlT_T0_E_clISt17integral_constantIbLb1EESZ_EEDaSU_SV_EUlSU_E0_NS1_11comp_targetILNS1_3genE10ELNS1_11target_archE1201ELNS1_3gpuE5ELNS1_3repE0EEENS1_30default_config_static_selectorELNS0_4arch9wavefront6targetE1EEEvT1_,"axG",@progbits,_ZN7rocprim17ROCPRIM_400000_NS6detail17trampoline_kernelINS0_14default_configENS1_20scan_config_selectorIN3c107complexIdEEEEZZNS1_9scan_implILNS1_25lookback_scan_determinismE0ELb0ELb0ES3_PKS7_PS7_S7_ZZZN2at6native31launch_logcumsumexp_cuda_kernelERKNSE_10TensorBaseESI_lENKUlvE_clEvENKUlvE1_clEvEUlS7_S7_E_S7_EEDaPvRmT3_T4_T5_mT6_P12ihipStream_tbENKUlT_T0_E_clISt17integral_constantIbLb1EESZ_EEDaSU_SV_EUlSU_E0_NS1_11comp_targetILNS1_3genE10ELNS1_11target_archE1201ELNS1_3gpuE5ELNS1_3repE0EEENS1_30default_config_static_selectorELNS0_4arch9wavefront6targetE1EEEvT1_,comdat
.Lfunc_end225:
	.size	_ZN7rocprim17ROCPRIM_400000_NS6detail17trampoline_kernelINS0_14default_configENS1_20scan_config_selectorIN3c107complexIdEEEEZZNS1_9scan_implILNS1_25lookback_scan_determinismE0ELb0ELb0ES3_PKS7_PS7_S7_ZZZN2at6native31launch_logcumsumexp_cuda_kernelERKNSE_10TensorBaseESI_lENKUlvE_clEvENKUlvE1_clEvEUlS7_S7_E_S7_EEDaPvRmT3_T4_T5_mT6_P12ihipStream_tbENKUlT_T0_E_clISt17integral_constantIbLb1EESZ_EEDaSU_SV_EUlSU_E0_NS1_11comp_targetILNS1_3genE10ELNS1_11target_archE1201ELNS1_3gpuE5ELNS1_3repE0EEENS1_30default_config_static_selectorELNS0_4arch9wavefront6targetE1EEEvT1_, .Lfunc_end225-_ZN7rocprim17ROCPRIM_400000_NS6detail17trampoline_kernelINS0_14default_configENS1_20scan_config_selectorIN3c107complexIdEEEEZZNS1_9scan_implILNS1_25lookback_scan_determinismE0ELb0ELb0ES3_PKS7_PS7_S7_ZZZN2at6native31launch_logcumsumexp_cuda_kernelERKNSE_10TensorBaseESI_lENKUlvE_clEvENKUlvE1_clEvEUlS7_S7_E_S7_EEDaPvRmT3_T4_T5_mT6_P12ihipStream_tbENKUlT_T0_E_clISt17integral_constantIbLb1EESZ_EEDaSU_SV_EUlSU_E0_NS1_11comp_targetILNS1_3genE10ELNS1_11target_archE1201ELNS1_3gpuE5ELNS1_3repE0EEENS1_30default_config_static_selectorELNS0_4arch9wavefront6targetE1EEEvT1_
                                        ; -- End function
	.section	.AMDGPU.csdata,"",@progbits
; Kernel info:
; codeLenInByte = 0
; NumSgprs: 6
; NumVgprs: 0
; NumAgprs: 0
; TotalNumVgprs: 0
; ScratchSize: 0
; MemoryBound: 0
; FloatMode: 240
; IeeeMode: 1
; LDSByteSize: 0 bytes/workgroup (compile time only)
; SGPRBlocks: 0
; VGPRBlocks: 0
; NumSGPRsForWavesPerEU: 6
; NumVGPRsForWavesPerEU: 1
; AccumOffset: 4
; Occupancy: 8
; WaveLimiterHint : 0
; COMPUTE_PGM_RSRC2:SCRATCH_EN: 0
; COMPUTE_PGM_RSRC2:USER_SGPR: 2
; COMPUTE_PGM_RSRC2:TRAP_HANDLER: 0
; COMPUTE_PGM_RSRC2:TGID_X_EN: 1
; COMPUTE_PGM_RSRC2:TGID_Y_EN: 0
; COMPUTE_PGM_RSRC2:TGID_Z_EN: 0
; COMPUTE_PGM_RSRC2:TIDIG_COMP_CNT: 0
; COMPUTE_PGM_RSRC3_GFX90A:ACCUM_OFFSET: 0
; COMPUTE_PGM_RSRC3_GFX90A:TG_SPLIT: 0
	.section	.text._ZN7rocprim17ROCPRIM_400000_NS6detail17trampoline_kernelINS0_14default_configENS1_20scan_config_selectorIN3c107complexIdEEEEZZNS1_9scan_implILNS1_25lookback_scan_determinismE0ELb0ELb0ES3_PKS7_PS7_S7_ZZZN2at6native31launch_logcumsumexp_cuda_kernelERKNSE_10TensorBaseESI_lENKUlvE_clEvENKUlvE1_clEvEUlS7_S7_E_S7_EEDaPvRmT3_T4_T5_mT6_P12ihipStream_tbENKUlT_T0_E_clISt17integral_constantIbLb1EESZ_EEDaSU_SV_EUlSU_E0_NS1_11comp_targetILNS1_3genE10ELNS1_11target_archE1200ELNS1_3gpuE4ELNS1_3repE0EEENS1_30default_config_static_selectorELNS0_4arch9wavefront6targetE1EEEvT1_,"axG",@progbits,_ZN7rocprim17ROCPRIM_400000_NS6detail17trampoline_kernelINS0_14default_configENS1_20scan_config_selectorIN3c107complexIdEEEEZZNS1_9scan_implILNS1_25lookback_scan_determinismE0ELb0ELb0ES3_PKS7_PS7_S7_ZZZN2at6native31launch_logcumsumexp_cuda_kernelERKNSE_10TensorBaseESI_lENKUlvE_clEvENKUlvE1_clEvEUlS7_S7_E_S7_EEDaPvRmT3_T4_T5_mT6_P12ihipStream_tbENKUlT_T0_E_clISt17integral_constantIbLb1EESZ_EEDaSU_SV_EUlSU_E0_NS1_11comp_targetILNS1_3genE10ELNS1_11target_archE1200ELNS1_3gpuE4ELNS1_3repE0EEENS1_30default_config_static_selectorELNS0_4arch9wavefront6targetE1EEEvT1_,comdat
	.globl	_ZN7rocprim17ROCPRIM_400000_NS6detail17trampoline_kernelINS0_14default_configENS1_20scan_config_selectorIN3c107complexIdEEEEZZNS1_9scan_implILNS1_25lookback_scan_determinismE0ELb0ELb0ES3_PKS7_PS7_S7_ZZZN2at6native31launch_logcumsumexp_cuda_kernelERKNSE_10TensorBaseESI_lENKUlvE_clEvENKUlvE1_clEvEUlS7_S7_E_S7_EEDaPvRmT3_T4_T5_mT6_P12ihipStream_tbENKUlT_T0_E_clISt17integral_constantIbLb1EESZ_EEDaSU_SV_EUlSU_E0_NS1_11comp_targetILNS1_3genE10ELNS1_11target_archE1200ELNS1_3gpuE4ELNS1_3repE0EEENS1_30default_config_static_selectorELNS0_4arch9wavefront6targetE1EEEvT1_ ; -- Begin function _ZN7rocprim17ROCPRIM_400000_NS6detail17trampoline_kernelINS0_14default_configENS1_20scan_config_selectorIN3c107complexIdEEEEZZNS1_9scan_implILNS1_25lookback_scan_determinismE0ELb0ELb0ES3_PKS7_PS7_S7_ZZZN2at6native31launch_logcumsumexp_cuda_kernelERKNSE_10TensorBaseESI_lENKUlvE_clEvENKUlvE1_clEvEUlS7_S7_E_S7_EEDaPvRmT3_T4_T5_mT6_P12ihipStream_tbENKUlT_T0_E_clISt17integral_constantIbLb1EESZ_EEDaSU_SV_EUlSU_E0_NS1_11comp_targetILNS1_3genE10ELNS1_11target_archE1200ELNS1_3gpuE4ELNS1_3repE0EEENS1_30default_config_static_selectorELNS0_4arch9wavefront6targetE1EEEvT1_
	.p2align	8
	.type	_ZN7rocprim17ROCPRIM_400000_NS6detail17trampoline_kernelINS0_14default_configENS1_20scan_config_selectorIN3c107complexIdEEEEZZNS1_9scan_implILNS1_25lookback_scan_determinismE0ELb0ELb0ES3_PKS7_PS7_S7_ZZZN2at6native31launch_logcumsumexp_cuda_kernelERKNSE_10TensorBaseESI_lENKUlvE_clEvENKUlvE1_clEvEUlS7_S7_E_S7_EEDaPvRmT3_T4_T5_mT6_P12ihipStream_tbENKUlT_T0_E_clISt17integral_constantIbLb1EESZ_EEDaSU_SV_EUlSU_E0_NS1_11comp_targetILNS1_3genE10ELNS1_11target_archE1200ELNS1_3gpuE4ELNS1_3repE0EEENS1_30default_config_static_selectorELNS0_4arch9wavefront6targetE1EEEvT1_,@function
_ZN7rocprim17ROCPRIM_400000_NS6detail17trampoline_kernelINS0_14default_configENS1_20scan_config_selectorIN3c107complexIdEEEEZZNS1_9scan_implILNS1_25lookback_scan_determinismE0ELb0ELb0ES3_PKS7_PS7_S7_ZZZN2at6native31launch_logcumsumexp_cuda_kernelERKNSE_10TensorBaseESI_lENKUlvE_clEvENKUlvE1_clEvEUlS7_S7_E_S7_EEDaPvRmT3_T4_T5_mT6_P12ihipStream_tbENKUlT_T0_E_clISt17integral_constantIbLb1EESZ_EEDaSU_SV_EUlSU_E0_NS1_11comp_targetILNS1_3genE10ELNS1_11target_archE1200ELNS1_3gpuE4ELNS1_3repE0EEENS1_30default_config_static_selectorELNS0_4arch9wavefront6targetE1EEEvT1_: ; @_ZN7rocprim17ROCPRIM_400000_NS6detail17trampoline_kernelINS0_14default_configENS1_20scan_config_selectorIN3c107complexIdEEEEZZNS1_9scan_implILNS1_25lookback_scan_determinismE0ELb0ELb0ES3_PKS7_PS7_S7_ZZZN2at6native31launch_logcumsumexp_cuda_kernelERKNSE_10TensorBaseESI_lENKUlvE_clEvENKUlvE1_clEvEUlS7_S7_E_S7_EEDaPvRmT3_T4_T5_mT6_P12ihipStream_tbENKUlT_T0_E_clISt17integral_constantIbLb1EESZ_EEDaSU_SV_EUlSU_E0_NS1_11comp_targetILNS1_3genE10ELNS1_11target_archE1200ELNS1_3gpuE4ELNS1_3repE0EEENS1_30default_config_static_selectorELNS0_4arch9wavefront6targetE1EEEvT1_
; %bb.0:
	.section	.rodata,"a",@progbits
	.p2align	6, 0x0
	.amdhsa_kernel _ZN7rocprim17ROCPRIM_400000_NS6detail17trampoline_kernelINS0_14default_configENS1_20scan_config_selectorIN3c107complexIdEEEEZZNS1_9scan_implILNS1_25lookback_scan_determinismE0ELb0ELb0ES3_PKS7_PS7_S7_ZZZN2at6native31launch_logcumsumexp_cuda_kernelERKNSE_10TensorBaseESI_lENKUlvE_clEvENKUlvE1_clEvEUlS7_S7_E_S7_EEDaPvRmT3_T4_T5_mT6_P12ihipStream_tbENKUlT_T0_E_clISt17integral_constantIbLb1EESZ_EEDaSU_SV_EUlSU_E0_NS1_11comp_targetILNS1_3genE10ELNS1_11target_archE1200ELNS1_3gpuE4ELNS1_3repE0EEENS1_30default_config_static_selectorELNS0_4arch9wavefront6targetE1EEEvT1_
		.amdhsa_group_segment_fixed_size 0
		.amdhsa_private_segment_fixed_size 0
		.amdhsa_kernarg_size 48
		.amdhsa_user_sgpr_count 2
		.amdhsa_user_sgpr_dispatch_ptr 0
		.amdhsa_user_sgpr_queue_ptr 0
		.amdhsa_user_sgpr_kernarg_segment_ptr 1
		.amdhsa_user_sgpr_dispatch_id 0
		.amdhsa_user_sgpr_kernarg_preload_length 0
		.amdhsa_user_sgpr_kernarg_preload_offset 0
		.amdhsa_user_sgpr_private_segment_size 0
		.amdhsa_uses_dynamic_stack 0
		.amdhsa_enable_private_segment 0
		.amdhsa_system_sgpr_workgroup_id_x 1
		.amdhsa_system_sgpr_workgroup_id_y 0
		.amdhsa_system_sgpr_workgroup_id_z 0
		.amdhsa_system_sgpr_workgroup_info 0
		.amdhsa_system_vgpr_workitem_id 0
		.amdhsa_next_free_vgpr 1
		.amdhsa_next_free_sgpr 0
		.amdhsa_accum_offset 4
		.amdhsa_reserve_vcc 0
		.amdhsa_float_round_mode_32 0
		.amdhsa_float_round_mode_16_64 0
		.amdhsa_float_denorm_mode_32 3
		.amdhsa_float_denorm_mode_16_64 3
		.amdhsa_dx10_clamp 1
		.amdhsa_ieee_mode 1
		.amdhsa_fp16_overflow 0
		.amdhsa_tg_split 0
		.amdhsa_exception_fp_ieee_invalid_op 0
		.amdhsa_exception_fp_denorm_src 0
		.amdhsa_exception_fp_ieee_div_zero 0
		.amdhsa_exception_fp_ieee_overflow 0
		.amdhsa_exception_fp_ieee_underflow 0
		.amdhsa_exception_fp_ieee_inexact 0
		.amdhsa_exception_int_div_zero 0
	.end_amdhsa_kernel
	.section	.text._ZN7rocprim17ROCPRIM_400000_NS6detail17trampoline_kernelINS0_14default_configENS1_20scan_config_selectorIN3c107complexIdEEEEZZNS1_9scan_implILNS1_25lookback_scan_determinismE0ELb0ELb0ES3_PKS7_PS7_S7_ZZZN2at6native31launch_logcumsumexp_cuda_kernelERKNSE_10TensorBaseESI_lENKUlvE_clEvENKUlvE1_clEvEUlS7_S7_E_S7_EEDaPvRmT3_T4_T5_mT6_P12ihipStream_tbENKUlT_T0_E_clISt17integral_constantIbLb1EESZ_EEDaSU_SV_EUlSU_E0_NS1_11comp_targetILNS1_3genE10ELNS1_11target_archE1200ELNS1_3gpuE4ELNS1_3repE0EEENS1_30default_config_static_selectorELNS0_4arch9wavefront6targetE1EEEvT1_,"axG",@progbits,_ZN7rocprim17ROCPRIM_400000_NS6detail17trampoline_kernelINS0_14default_configENS1_20scan_config_selectorIN3c107complexIdEEEEZZNS1_9scan_implILNS1_25lookback_scan_determinismE0ELb0ELb0ES3_PKS7_PS7_S7_ZZZN2at6native31launch_logcumsumexp_cuda_kernelERKNSE_10TensorBaseESI_lENKUlvE_clEvENKUlvE1_clEvEUlS7_S7_E_S7_EEDaPvRmT3_T4_T5_mT6_P12ihipStream_tbENKUlT_T0_E_clISt17integral_constantIbLb1EESZ_EEDaSU_SV_EUlSU_E0_NS1_11comp_targetILNS1_3genE10ELNS1_11target_archE1200ELNS1_3gpuE4ELNS1_3repE0EEENS1_30default_config_static_selectorELNS0_4arch9wavefront6targetE1EEEvT1_,comdat
.Lfunc_end226:
	.size	_ZN7rocprim17ROCPRIM_400000_NS6detail17trampoline_kernelINS0_14default_configENS1_20scan_config_selectorIN3c107complexIdEEEEZZNS1_9scan_implILNS1_25lookback_scan_determinismE0ELb0ELb0ES3_PKS7_PS7_S7_ZZZN2at6native31launch_logcumsumexp_cuda_kernelERKNSE_10TensorBaseESI_lENKUlvE_clEvENKUlvE1_clEvEUlS7_S7_E_S7_EEDaPvRmT3_T4_T5_mT6_P12ihipStream_tbENKUlT_T0_E_clISt17integral_constantIbLb1EESZ_EEDaSU_SV_EUlSU_E0_NS1_11comp_targetILNS1_3genE10ELNS1_11target_archE1200ELNS1_3gpuE4ELNS1_3repE0EEENS1_30default_config_static_selectorELNS0_4arch9wavefront6targetE1EEEvT1_, .Lfunc_end226-_ZN7rocprim17ROCPRIM_400000_NS6detail17trampoline_kernelINS0_14default_configENS1_20scan_config_selectorIN3c107complexIdEEEEZZNS1_9scan_implILNS1_25lookback_scan_determinismE0ELb0ELb0ES3_PKS7_PS7_S7_ZZZN2at6native31launch_logcumsumexp_cuda_kernelERKNSE_10TensorBaseESI_lENKUlvE_clEvENKUlvE1_clEvEUlS7_S7_E_S7_EEDaPvRmT3_T4_T5_mT6_P12ihipStream_tbENKUlT_T0_E_clISt17integral_constantIbLb1EESZ_EEDaSU_SV_EUlSU_E0_NS1_11comp_targetILNS1_3genE10ELNS1_11target_archE1200ELNS1_3gpuE4ELNS1_3repE0EEENS1_30default_config_static_selectorELNS0_4arch9wavefront6targetE1EEEvT1_
                                        ; -- End function
	.section	.AMDGPU.csdata,"",@progbits
; Kernel info:
; codeLenInByte = 0
; NumSgprs: 6
; NumVgprs: 0
; NumAgprs: 0
; TotalNumVgprs: 0
; ScratchSize: 0
; MemoryBound: 0
; FloatMode: 240
; IeeeMode: 1
; LDSByteSize: 0 bytes/workgroup (compile time only)
; SGPRBlocks: 0
; VGPRBlocks: 0
; NumSGPRsForWavesPerEU: 6
; NumVGPRsForWavesPerEU: 1
; AccumOffset: 4
; Occupancy: 8
; WaveLimiterHint : 0
; COMPUTE_PGM_RSRC2:SCRATCH_EN: 0
; COMPUTE_PGM_RSRC2:USER_SGPR: 2
; COMPUTE_PGM_RSRC2:TRAP_HANDLER: 0
; COMPUTE_PGM_RSRC2:TGID_X_EN: 1
; COMPUTE_PGM_RSRC2:TGID_Y_EN: 0
; COMPUTE_PGM_RSRC2:TGID_Z_EN: 0
; COMPUTE_PGM_RSRC2:TIDIG_COMP_CNT: 0
; COMPUTE_PGM_RSRC3_GFX90A:ACCUM_OFFSET: 0
; COMPUTE_PGM_RSRC3_GFX90A:TG_SPLIT: 0
	.section	.text._ZN7rocprim17ROCPRIM_400000_NS6detail17trampoline_kernelINS0_14default_configENS1_20scan_config_selectorIN3c107complexIdEEEEZZNS1_9scan_implILNS1_25lookback_scan_determinismE0ELb0ELb0ES3_PKS7_PS7_S7_ZZZN2at6native31launch_logcumsumexp_cuda_kernelERKNSE_10TensorBaseESI_lENKUlvE_clEvENKUlvE1_clEvEUlS7_S7_E_S7_EEDaPvRmT3_T4_T5_mT6_P12ihipStream_tbENKUlT_T0_E_clISt17integral_constantIbLb1EESZ_EEDaSU_SV_EUlSU_E0_NS1_11comp_targetILNS1_3genE9ELNS1_11target_archE1100ELNS1_3gpuE3ELNS1_3repE0EEENS1_30default_config_static_selectorELNS0_4arch9wavefront6targetE1EEEvT1_,"axG",@progbits,_ZN7rocprim17ROCPRIM_400000_NS6detail17trampoline_kernelINS0_14default_configENS1_20scan_config_selectorIN3c107complexIdEEEEZZNS1_9scan_implILNS1_25lookback_scan_determinismE0ELb0ELb0ES3_PKS7_PS7_S7_ZZZN2at6native31launch_logcumsumexp_cuda_kernelERKNSE_10TensorBaseESI_lENKUlvE_clEvENKUlvE1_clEvEUlS7_S7_E_S7_EEDaPvRmT3_T4_T5_mT6_P12ihipStream_tbENKUlT_T0_E_clISt17integral_constantIbLb1EESZ_EEDaSU_SV_EUlSU_E0_NS1_11comp_targetILNS1_3genE9ELNS1_11target_archE1100ELNS1_3gpuE3ELNS1_3repE0EEENS1_30default_config_static_selectorELNS0_4arch9wavefront6targetE1EEEvT1_,comdat
	.globl	_ZN7rocprim17ROCPRIM_400000_NS6detail17trampoline_kernelINS0_14default_configENS1_20scan_config_selectorIN3c107complexIdEEEEZZNS1_9scan_implILNS1_25lookback_scan_determinismE0ELb0ELb0ES3_PKS7_PS7_S7_ZZZN2at6native31launch_logcumsumexp_cuda_kernelERKNSE_10TensorBaseESI_lENKUlvE_clEvENKUlvE1_clEvEUlS7_S7_E_S7_EEDaPvRmT3_T4_T5_mT6_P12ihipStream_tbENKUlT_T0_E_clISt17integral_constantIbLb1EESZ_EEDaSU_SV_EUlSU_E0_NS1_11comp_targetILNS1_3genE9ELNS1_11target_archE1100ELNS1_3gpuE3ELNS1_3repE0EEENS1_30default_config_static_selectorELNS0_4arch9wavefront6targetE1EEEvT1_ ; -- Begin function _ZN7rocprim17ROCPRIM_400000_NS6detail17trampoline_kernelINS0_14default_configENS1_20scan_config_selectorIN3c107complexIdEEEEZZNS1_9scan_implILNS1_25lookback_scan_determinismE0ELb0ELb0ES3_PKS7_PS7_S7_ZZZN2at6native31launch_logcumsumexp_cuda_kernelERKNSE_10TensorBaseESI_lENKUlvE_clEvENKUlvE1_clEvEUlS7_S7_E_S7_EEDaPvRmT3_T4_T5_mT6_P12ihipStream_tbENKUlT_T0_E_clISt17integral_constantIbLb1EESZ_EEDaSU_SV_EUlSU_E0_NS1_11comp_targetILNS1_3genE9ELNS1_11target_archE1100ELNS1_3gpuE3ELNS1_3repE0EEENS1_30default_config_static_selectorELNS0_4arch9wavefront6targetE1EEEvT1_
	.p2align	8
	.type	_ZN7rocprim17ROCPRIM_400000_NS6detail17trampoline_kernelINS0_14default_configENS1_20scan_config_selectorIN3c107complexIdEEEEZZNS1_9scan_implILNS1_25lookback_scan_determinismE0ELb0ELb0ES3_PKS7_PS7_S7_ZZZN2at6native31launch_logcumsumexp_cuda_kernelERKNSE_10TensorBaseESI_lENKUlvE_clEvENKUlvE1_clEvEUlS7_S7_E_S7_EEDaPvRmT3_T4_T5_mT6_P12ihipStream_tbENKUlT_T0_E_clISt17integral_constantIbLb1EESZ_EEDaSU_SV_EUlSU_E0_NS1_11comp_targetILNS1_3genE9ELNS1_11target_archE1100ELNS1_3gpuE3ELNS1_3repE0EEENS1_30default_config_static_selectorELNS0_4arch9wavefront6targetE1EEEvT1_,@function
_ZN7rocprim17ROCPRIM_400000_NS6detail17trampoline_kernelINS0_14default_configENS1_20scan_config_selectorIN3c107complexIdEEEEZZNS1_9scan_implILNS1_25lookback_scan_determinismE0ELb0ELb0ES3_PKS7_PS7_S7_ZZZN2at6native31launch_logcumsumexp_cuda_kernelERKNSE_10TensorBaseESI_lENKUlvE_clEvENKUlvE1_clEvEUlS7_S7_E_S7_EEDaPvRmT3_T4_T5_mT6_P12ihipStream_tbENKUlT_T0_E_clISt17integral_constantIbLb1EESZ_EEDaSU_SV_EUlSU_E0_NS1_11comp_targetILNS1_3genE9ELNS1_11target_archE1100ELNS1_3gpuE3ELNS1_3repE0EEENS1_30default_config_static_selectorELNS0_4arch9wavefront6targetE1EEEvT1_: ; @_ZN7rocprim17ROCPRIM_400000_NS6detail17trampoline_kernelINS0_14default_configENS1_20scan_config_selectorIN3c107complexIdEEEEZZNS1_9scan_implILNS1_25lookback_scan_determinismE0ELb0ELb0ES3_PKS7_PS7_S7_ZZZN2at6native31launch_logcumsumexp_cuda_kernelERKNSE_10TensorBaseESI_lENKUlvE_clEvENKUlvE1_clEvEUlS7_S7_E_S7_EEDaPvRmT3_T4_T5_mT6_P12ihipStream_tbENKUlT_T0_E_clISt17integral_constantIbLb1EESZ_EEDaSU_SV_EUlSU_E0_NS1_11comp_targetILNS1_3genE9ELNS1_11target_archE1100ELNS1_3gpuE3ELNS1_3repE0EEENS1_30default_config_static_selectorELNS0_4arch9wavefront6targetE1EEEvT1_
; %bb.0:
	.section	.rodata,"a",@progbits
	.p2align	6, 0x0
	.amdhsa_kernel _ZN7rocprim17ROCPRIM_400000_NS6detail17trampoline_kernelINS0_14default_configENS1_20scan_config_selectorIN3c107complexIdEEEEZZNS1_9scan_implILNS1_25lookback_scan_determinismE0ELb0ELb0ES3_PKS7_PS7_S7_ZZZN2at6native31launch_logcumsumexp_cuda_kernelERKNSE_10TensorBaseESI_lENKUlvE_clEvENKUlvE1_clEvEUlS7_S7_E_S7_EEDaPvRmT3_T4_T5_mT6_P12ihipStream_tbENKUlT_T0_E_clISt17integral_constantIbLb1EESZ_EEDaSU_SV_EUlSU_E0_NS1_11comp_targetILNS1_3genE9ELNS1_11target_archE1100ELNS1_3gpuE3ELNS1_3repE0EEENS1_30default_config_static_selectorELNS0_4arch9wavefront6targetE1EEEvT1_
		.amdhsa_group_segment_fixed_size 0
		.amdhsa_private_segment_fixed_size 0
		.amdhsa_kernarg_size 48
		.amdhsa_user_sgpr_count 2
		.amdhsa_user_sgpr_dispatch_ptr 0
		.amdhsa_user_sgpr_queue_ptr 0
		.amdhsa_user_sgpr_kernarg_segment_ptr 1
		.amdhsa_user_sgpr_dispatch_id 0
		.amdhsa_user_sgpr_kernarg_preload_length 0
		.amdhsa_user_sgpr_kernarg_preload_offset 0
		.amdhsa_user_sgpr_private_segment_size 0
		.amdhsa_uses_dynamic_stack 0
		.amdhsa_enable_private_segment 0
		.amdhsa_system_sgpr_workgroup_id_x 1
		.amdhsa_system_sgpr_workgroup_id_y 0
		.amdhsa_system_sgpr_workgroup_id_z 0
		.amdhsa_system_sgpr_workgroup_info 0
		.amdhsa_system_vgpr_workitem_id 0
		.amdhsa_next_free_vgpr 1
		.amdhsa_next_free_sgpr 0
		.amdhsa_accum_offset 4
		.amdhsa_reserve_vcc 0
		.amdhsa_float_round_mode_32 0
		.amdhsa_float_round_mode_16_64 0
		.amdhsa_float_denorm_mode_32 3
		.amdhsa_float_denorm_mode_16_64 3
		.amdhsa_dx10_clamp 1
		.amdhsa_ieee_mode 1
		.amdhsa_fp16_overflow 0
		.amdhsa_tg_split 0
		.amdhsa_exception_fp_ieee_invalid_op 0
		.amdhsa_exception_fp_denorm_src 0
		.amdhsa_exception_fp_ieee_div_zero 0
		.amdhsa_exception_fp_ieee_overflow 0
		.amdhsa_exception_fp_ieee_underflow 0
		.amdhsa_exception_fp_ieee_inexact 0
		.amdhsa_exception_int_div_zero 0
	.end_amdhsa_kernel
	.section	.text._ZN7rocprim17ROCPRIM_400000_NS6detail17trampoline_kernelINS0_14default_configENS1_20scan_config_selectorIN3c107complexIdEEEEZZNS1_9scan_implILNS1_25lookback_scan_determinismE0ELb0ELb0ES3_PKS7_PS7_S7_ZZZN2at6native31launch_logcumsumexp_cuda_kernelERKNSE_10TensorBaseESI_lENKUlvE_clEvENKUlvE1_clEvEUlS7_S7_E_S7_EEDaPvRmT3_T4_T5_mT6_P12ihipStream_tbENKUlT_T0_E_clISt17integral_constantIbLb1EESZ_EEDaSU_SV_EUlSU_E0_NS1_11comp_targetILNS1_3genE9ELNS1_11target_archE1100ELNS1_3gpuE3ELNS1_3repE0EEENS1_30default_config_static_selectorELNS0_4arch9wavefront6targetE1EEEvT1_,"axG",@progbits,_ZN7rocprim17ROCPRIM_400000_NS6detail17trampoline_kernelINS0_14default_configENS1_20scan_config_selectorIN3c107complexIdEEEEZZNS1_9scan_implILNS1_25lookback_scan_determinismE0ELb0ELb0ES3_PKS7_PS7_S7_ZZZN2at6native31launch_logcumsumexp_cuda_kernelERKNSE_10TensorBaseESI_lENKUlvE_clEvENKUlvE1_clEvEUlS7_S7_E_S7_EEDaPvRmT3_T4_T5_mT6_P12ihipStream_tbENKUlT_T0_E_clISt17integral_constantIbLb1EESZ_EEDaSU_SV_EUlSU_E0_NS1_11comp_targetILNS1_3genE9ELNS1_11target_archE1100ELNS1_3gpuE3ELNS1_3repE0EEENS1_30default_config_static_selectorELNS0_4arch9wavefront6targetE1EEEvT1_,comdat
.Lfunc_end227:
	.size	_ZN7rocprim17ROCPRIM_400000_NS6detail17trampoline_kernelINS0_14default_configENS1_20scan_config_selectorIN3c107complexIdEEEEZZNS1_9scan_implILNS1_25lookback_scan_determinismE0ELb0ELb0ES3_PKS7_PS7_S7_ZZZN2at6native31launch_logcumsumexp_cuda_kernelERKNSE_10TensorBaseESI_lENKUlvE_clEvENKUlvE1_clEvEUlS7_S7_E_S7_EEDaPvRmT3_T4_T5_mT6_P12ihipStream_tbENKUlT_T0_E_clISt17integral_constantIbLb1EESZ_EEDaSU_SV_EUlSU_E0_NS1_11comp_targetILNS1_3genE9ELNS1_11target_archE1100ELNS1_3gpuE3ELNS1_3repE0EEENS1_30default_config_static_selectorELNS0_4arch9wavefront6targetE1EEEvT1_, .Lfunc_end227-_ZN7rocprim17ROCPRIM_400000_NS6detail17trampoline_kernelINS0_14default_configENS1_20scan_config_selectorIN3c107complexIdEEEEZZNS1_9scan_implILNS1_25lookback_scan_determinismE0ELb0ELb0ES3_PKS7_PS7_S7_ZZZN2at6native31launch_logcumsumexp_cuda_kernelERKNSE_10TensorBaseESI_lENKUlvE_clEvENKUlvE1_clEvEUlS7_S7_E_S7_EEDaPvRmT3_T4_T5_mT6_P12ihipStream_tbENKUlT_T0_E_clISt17integral_constantIbLb1EESZ_EEDaSU_SV_EUlSU_E0_NS1_11comp_targetILNS1_3genE9ELNS1_11target_archE1100ELNS1_3gpuE3ELNS1_3repE0EEENS1_30default_config_static_selectorELNS0_4arch9wavefront6targetE1EEEvT1_
                                        ; -- End function
	.section	.AMDGPU.csdata,"",@progbits
; Kernel info:
; codeLenInByte = 0
; NumSgprs: 6
; NumVgprs: 0
; NumAgprs: 0
; TotalNumVgprs: 0
; ScratchSize: 0
; MemoryBound: 0
; FloatMode: 240
; IeeeMode: 1
; LDSByteSize: 0 bytes/workgroup (compile time only)
; SGPRBlocks: 0
; VGPRBlocks: 0
; NumSGPRsForWavesPerEU: 6
; NumVGPRsForWavesPerEU: 1
; AccumOffset: 4
; Occupancy: 8
; WaveLimiterHint : 0
; COMPUTE_PGM_RSRC2:SCRATCH_EN: 0
; COMPUTE_PGM_RSRC2:USER_SGPR: 2
; COMPUTE_PGM_RSRC2:TRAP_HANDLER: 0
; COMPUTE_PGM_RSRC2:TGID_X_EN: 1
; COMPUTE_PGM_RSRC2:TGID_Y_EN: 0
; COMPUTE_PGM_RSRC2:TGID_Z_EN: 0
; COMPUTE_PGM_RSRC2:TIDIG_COMP_CNT: 0
; COMPUTE_PGM_RSRC3_GFX90A:ACCUM_OFFSET: 0
; COMPUTE_PGM_RSRC3_GFX90A:TG_SPLIT: 0
	.section	.text._ZN7rocprim17ROCPRIM_400000_NS6detail17trampoline_kernelINS0_14default_configENS1_20scan_config_selectorIN3c107complexIdEEEEZZNS1_9scan_implILNS1_25lookback_scan_determinismE0ELb0ELb0ES3_PKS7_PS7_S7_ZZZN2at6native31launch_logcumsumexp_cuda_kernelERKNSE_10TensorBaseESI_lENKUlvE_clEvENKUlvE1_clEvEUlS7_S7_E_S7_EEDaPvRmT3_T4_T5_mT6_P12ihipStream_tbENKUlT_T0_E_clISt17integral_constantIbLb1EESZ_EEDaSU_SV_EUlSU_E0_NS1_11comp_targetILNS1_3genE8ELNS1_11target_archE1030ELNS1_3gpuE2ELNS1_3repE0EEENS1_30default_config_static_selectorELNS0_4arch9wavefront6targetE1EEEvT1_,"axG",@progbits,_ZN7rocprim17ROCPRIM_400000_NS6detail17trampoline_kernelINS0_14default_configENS1_20scan_config_selectorIN3c107complexIdEEEEZZNS1_9scan_implILNS1_25lookback_scan_determinismE0ELb0ELb0ES3_PKS7_PS7_S7_ZZZN2at6native31launch_logcumsumexp_cuda_kernelERKNSE_10TensorBaseESI_lENKUlvE_clEvENKUlvE1_clEvEUlS7_S7_E_S7_EEDaPvRmT3_T4_T5_mT6_P12ihipStream_tbENKUlT_T0_E_clISt17integral_constantIbLb1EESZ_EEDaSU_SV_EUlSU_E0_NS1_11comp_targetILNS1_3genE8ELNS1_11target_archE1030ELNS1_3gpuE2ELNS1_3repE0EEENS1_30default_config_static_selectorELNS0_4arch9wavefront6targetE1EEEvT1_,comdat
	.globl	_ZN7rocprim17ROCPRIM_400000_NS6detail17trampoline_kernelINS0_14default_configENS1_20scan_config_selectorIN3c107complexIdEEEEZZNS1_9scan_implILNS1_25lookback_scan_determinismE0ELb0ELb0ES3_PKS7_PS7_S7_ZZZN2at6native31launch_logcumsumexp_cuda_kernelERKNSE_10TensorBaseESI_lENKUlvE_clEvENKUlvE1_clEvEUlS7_S7_E_S7_EEDaPvRmT3_T4_T5_mT6_P12ihipStream_tbENKUlT_T0_E_clISt17integral_constantIbLb1EESZ_EEDaSU_SV_EUlSU_E0_NS1_11comp_targetILNS1_3genE8ELNS1_11target_archE1030ELNS1_3gpuE2ELNS1_3repE0EEENS1_30default_config_static_selectorELNS0_4arch9wavefront6targetE1EEEvT1_ ; -- Begin function _ZN7rocprim17ROCPRIM_400000_NS6detail17trampoline_kernelINS0_14default_configENS1_20scan_config_selectorIN3c107complexIdEEEEZZNS1_9scan_implILNS1_25lookback_scan_determinismE0ELb0ELb0ES3_PKS7_PS7_S7_ZZZN2at6native31launch_logcumsumexp_cuda_kernelERKNSE_10TensorBaseESI_lENKUlvE_clEvENKUlvE1_clEvEUlS7_S7_E_S7_EEDaPvRmT3_T4_T5_mT6_P12ihipStream_tbENKUlT_T0_E_clISt17integral_constantIbLb1EESZ_EEDaSU_SV_EUlSU_E0_NS1_11comp_targetILNS1_3genE8ELNS1_11target_archE1030ELNS1_3gpuE2ELNS1_3repE0EEENS1_30default_config_static_selectorELNS0_4arch9wavefront6targetE1EEEvT1_
	.p2align	8
	.type	_ZN7rocprim17ROCPRIM_400000_NS6detail17trampoline_kernelINS0_14default_configENS1_20scan_config_selectorIN3c107complexIdEEEEZZNS1_9scan_implILNS1_25lookback_scan_determinismE0ELb0ELb0ES3_PKS7_PS7_S7_ZZZN2at6native31launch_logcumsumexp_cuda_kernelERKNSE_10TensorBaseESI_lENKUlvE_clEvENKUlvE1_clEvEUlS7_S7_E_S7_EEDaPvRmT3_T4_T5_mT6_P12ihipStream_tbENKUlT_T0_E_clISt17integral_constantIbLb1EESZ_EEDaSU_SV_EUlSU_E0_NS1_11comp_targetILNS1_3genE8ELNS1_11target_archE1030ELNS1_3gpuE2ELNS1_3repE0EEENS1_30default_config_static_selectorELNS0_4arch9wavefront6targetE1EEEvT1_,@function
_ZN7rocprim17ROCPRIM_400000_NS6detail17trampoline_kernelINS0_14default_configENS1_20scan_config_selectorIN3c107complexIdEEEEZZNS1_9scan_implILNS1_25lookback_scan_determinismE0ELb0ELb0ES3_PKS7_PS7_S7_ZZZN2at6native31launch_logcumsumexp_cuda_kernelERKNSE_10TensorBaseESI_lENKUlvE_clEvENKUlvE1_clEvEUlS7_S7_E_S7_EEDaPvRmT3_T4_T5_mT6_P12ihipStream_tbENKUlT_T0_E_clISt17integral_constantIbLb1EESZ_EEDaSU_SV_EUlSU_E0_NS1_11comp_targetILNS1_3genE8ELNS1_11target_archE1030ELNS1_3gpuE2ELNS1_3repE0EEENS1_30default_config_static_selectorELNS0_4arch9wavefront6targetE1EEEvT1_: ; @_ZN7rocprim17ROCPRIM_400000_NS6detail17trampoline_kernelINS0_14default_configENS1_20scan_config_selectorIN3c107complexIdEEEEZZNS1_9scan_implILNS1_25lookback_scan_determinismE0ELb0ELb0ES3_PKS7_PS7_S7_ZZZN2at6native31launch_logcumsumexp_cuda_kernelERKNSE_10TensorBaseESI_lENKUlvE_clEvENKUlvE1_clEvEUlS7_S7_E_S7_EEDaPvRmT3_T4_T5_mT6_P12ihipStream_tbENKUlT_T0_E_clISt17integral_constantIbLb1EESZ_EEDaSU_SV_EUlSU_E0_NS1_11comp_targetILNS1_3genE8ELNS1_11target_archE1030ELNS1_3gpuE2ELNS1_3repE0EEENS1_30default_config_static_selectorELNS0_4arch9wavefront6targetE1EEEvT1_
; %bb.0:
	.section	.rodata,"a",@progbits
	.p2align	6, 0x0
	.amdhsa_kernel _ZN7rocprim17ROCPRIM_400000_NS6detail17trampoline_kernelINS0_14default_configENS1_20scan_config_selectorIN3c107complexIdEEEEZZNS1_9scan_implILNS1_25lookback_scan_determinismE0ELb0ELb0ES3_PKS7_PS7_S7_ZZZN2at6native31launch_logcumsumexp_cuda_kernelERKNSE_10TensorBaseESI_lENKUlvE_clEvENKUlvE1_clEvEUlS7_S7_E_S7_EEDaPvRmT3_T4_T5_mT6_P12ihipStream_tbENKUlT_T0_E_clISt17integral_constantIbLb1EESZ_EEDaSU_SV_EUlSU_E0_NS1_11comp_targetILNS1_3genE8ELNS1_11target_archE1030ELNS1_3gpuE2ELNS1_3repE0EEENS1_30default_config_static_selectorELNS0_4arch9wavefront6targetE1EEEvT1_
		.amdhsa_group_segment_fixed_size 0
		.amdhsa_private_segment_fixed_size 0
		.amdhsa_kernarg_size 48
		.amdhsa_user_sgpr_count 2
		.amdhsa_user_sgpr_dispatch_ptr 0
		.amdhsa_user_sgpr_queue_ptr 0
		.amdhsa_user_sgpr_kernarg_segment_ptr 1
		.amdhsa_user_sgpr_dispatch_id 0
		.amdhsa_user_sgpr_kernarg_preload_length 0
		.amdhsa_user_sgpr_kernarg_preload_offset 0
		.amdhsa_user_sgpr_private_segment_size 0
		.amdhsa_uses_dynamic_stack 0
		.amdhsa_enable_private_segment 0
		.amdhsa_system_sgpr_workgroup_id_x 1
		.amdhsa_system_sgpr_workgroup_id_y 0
		.amdhsa_system_sgpr_workgroup_id_z 0
		.amdhsa_system_sgpr_workgroup_info 0
		.amdhsa_system_vgpr_workitem_id 0
		.amdhsa_next_free_vgpr 1
		.amdhsa_next_free_sgpr 0
		.amdhsa_accum_offset 4
		.amdhsa_reserve_vcc 0
		.amdhsa_float_round_mode_32 0
		.amdhsa_float_round_mode_16_64 0
		.amdhsa_float_denorm_mode_32 3
		.amdhsa_float_denorm_mode_16_64 3
		.amdhsa_dx10_clamp 1
		.amdhsa_ieee_mode 1
		.amdhsa_fp16_overflow 0
		.amdhsa_tg_split 0
		.amdhsa_exception_fp_ieee_invalid_op 0
		.amdhsa_exception_fp_denorm_src 0
		.amdhsa_exception_fp_ieee_div_zero 0
		.amdhsa_exception_fp_ieee_overflow 0
		.amdhsa_exception_fp_ieee_underflow 0
		.amdhsa_exception_fp_ieee_inexact 0
		.amdhsa_exception_int_div_zero 0
	.end_amdhsa_kernel
	.section	.text._ZN7rocprim17ROCPRIM_400000_NS6detail17trampoline_kernelINS0_14default_configENS1_20scan_config_selectorIN3c107complexIdEEEEZZNS1_9scan_implILNS1_25lookback_scan_determinismE0ELb0ELb0ES3_PKS7_PS7_S7_ZZZN2at6native31launch_logcumsumexp_cuda_kernelERKNSE_10TensorBaseESI_lENKUlvE_clEvENKUlvE1_clEvEUlS7_S7_E_S7_EEDaPvRmT3_T4_T5_mT6_P12ihipStream_tbENKUlT_T0_E_clISt17integral_constantIbLb1EESZ_EEDaSU_SV_EUlSU_E0_NS1_11comp_targetILNS1_3genE8ELNS1_11target_archE1030ELNS1_3gpuE2ELNS1_3repE0EEENS1_30default_config_static_selectorELNS0_4arch9wavefront6targetE1EEEvT1_,"axG",@progbits,_ZN7rocprim17ROCPRIM_400000_NS6detail17trampoline_kernelINS0_14default_configENS1_20scan_config_selectorIN3c107complexIdEEEEZZNS1_9scan_implILNS1_25lookback_scan_determinismE0ELb0ELb0ES3_PKS7_PS7_S7_ZZZN2at6native31launch_logcumsumexp_cuda_kernelERKNSE_10TensorBaseESI_lENKUlvE_clEvENKUlvE1_clEvEUlS7_S7_E_S7_EEDaPvRmT3_T4_T5_mT6_P12ihipStream_tbENKUlT_T0_E_clISt17integral_constantIbLb1EESZ_EEDaSU_SV_EUlSU_E0_NS1_11comp_targetILNS1_3genE8ELNS1_11target_archE1030ELNS1_3gpuE2ELNS1_3repE0EEENS1_30default_config_static_selectorELNS0_4arch9wavefront6targetE1EEEvT1_,comdat
.Lfunc_end228:
	.size	_ZN7rocprim17ROCPRIM_400000_NS6detail17trampoline_kernelINS0_14default_configENS1_20scan_config_selectorIN3c107complexIdEEEEZZNS1_9scan_implILNS1_25lookback_scan_determinismE0ELb0ELb0ES3_PKS7_PS7_S7_ZZZN2at6native31launch_logcumsumexp_cuda_kernelERKNSE_10TensorBaseESI_lENKUlvE_clEvENKUlvE1_clEvEUlS7_S7_E_S7_EEDaPvRmT3_T4_T5_mT6_P12ihipStream_tbENKUlT_T0_E_clISt17integral_constantIbLb1EESZ_EEDaSU_SV_EUlSU_E0_NS1_11comp_targetILNS1_3genE8ELNS1_11target_archE1030ELNS1_3gpuE2ELNS1_3repE0EEENS1_30default_config_static_selectorELNS0_4arch9wavefront6targetE1EEEvT1_, .Lfunc_end228-_ZN7rocprim17ROCPRIM_400000_NS6detail17trampoline_kernelINS0_14default_configENS1_20scan_config_selectorIN3c107complexIdEEEEZZNS1_9scan_implILNS1_25lookback_scan_determinismE0ELb0ELb0ES3_PKS7_PS7_S7_ZZZN2at6native31launch_logcumsumexp_cuda_kernelERKNSE_10TensorBaseESI_lENKUlvE_clEvENKUlvE1_clEvEUlS7_S7_E_S7_EEDaPvRmT3_T4_T5_mT6_P12ihipStream_tbENKUlT_T0_E_clISt17integral_constantIbLb1EESZ_EEDaSU_SV_EUlSU_E0_NS1_11comp_targetILNS1_3genE8ELNS1_11target_archE1030ELNS1_3gpuE2ELNS1_3repE0EEENS1_30default_config_static_selectorELNS0_4arch9wavefront6targetE1EEEvT1_
                                        ; -- End function
	.section	.AMDGPU.csdata,"",@progbits
; Kernel info:
; codeLenInByte = 0
; NumSgprs: 6
; NumVgprs: 0
; NumAgprs: 0
; TotalNumVgprs: 0
; ScratchSize: 0
; MemoryBound: 0
; FloatMode: 240
; IeeeMode: 1
; LDSByteSize: 0 bytes/workgroup (compile time only)
; SGPRBlocks: 0
; VGPRBlocks: 0
; NumSGPRsForWavesPerEU: 6
; NumVGPRsForWavesPerEU: 1
; AccumOffset: 4
; Occupancy: 8
; WaveLimiterHint : 0
; COMPUTE_PGM_RSRC2:SCRATCH_EN: 0
; COMPUTE_PGM_RSRC2:USER_SGPR: 2
; COMPUTE_PGM_RSRC2:TRAP_HANDLER: 0
; COMPUTE_PGM_RSRC2:TGID_X_EN: 1
; COMPUTE_PGM_RSRC2:TGID_Y_EN: 0
; COMPUTE_PGM_RSRC2:TGID_Z_EN: 0
; COMPUTE_PGM_RSRC2:TIDIG_COMP_CNT: 0
; COMPUTE_PGM_RSRC3_GFX90A:ACCUM_OFFSET: 0
; COMPUTE_PGM_RSRC3_GFX90A:TG_SPLIT: 0
	.section	.text._ZN7rocprim17ROCPRIM_400000_NS6detail31init_lookback_scan_state_kernelINS1_19lookback_scan_stateIN3c107complexIdEELb1ELb0EEENS1_16block_id_wrapperIjLb0EEEEEvT_jT0_jPNSA_10value_typeE,"axG",@progbits,_ZN7rocprim17ROCPRIM_400000_NS6detail31init_lookback_scan_state_kernelINS1_19lookback_scan_stateIN3c107complexIdEELb1ELb0EEENS1_16block_id_wrapperIjLb0EEEEEvT_jT0_jPNSA_10value_typeE,comdat
	.protected	_ZN7rocprim17ROCPRIM_400000_NS6detail31init_lookback_scan_state_kernelINS1_19lookback_scan_stateIN3c107complexIdEELb1ELb0EEENS1_16block_id_wrapperIjLb0EEEEEvT_jT0_jPNSA_10value_typeE ; -- Begin function _ZN7rocprim17ROCPRIM_400000_NS6detail31init_lookback_scan_state_kernelINS1_19lookback_scan_stateIN3c107complexIdEELb1ELb0EEENS1_16block_id_wrapperIjLb0EEEEEvT_jT0_jPNSA_10value_typeE
	.globl	_ZN7rocprim17ROCPRIM_400000_NS6detail31init_lookback_scan_state_kernelINS1_19lookback_scan_stateIN3c107complexIdEELb1ELb0EEENS1_16block_id_wrapperIjLb0EEEEEvT_jT0_jPNSA_10value_typeE
	.p2align	8
	.type	_ZN7rocprim17ROCPRIM_400000_NS6detail31init_lookback_scan_state_kernelINS1_19lookback_scan_stateIN3c107complexIdEELb1ELb0EEENS1_16block_id_wrapperIjLb0EEEEEvT_jT0_jPNSA_10value_typeE,@function
_ZN7rocprim17ROCPRIM_400000_NS6detail31init_lookback_scan_state_kernelINS1_19lookback_scan_stateIN3c107complexIdEELb1ELb0EEENS1_16block_id_wrapperIjLb0EEEEEvT_jT0_jPNSA_10value_typeE: ; @_ZN7rocprim17ROCPRIM_400000_NS6detail31init_lookback_scan_state_kernelINS1_19lookback_scan_stateIN3c107complexIdEELb1ELb0EEENS1_16block_id_wrapperIjLb0EEEEEvT_jT0_jPNSA_10value_typeE
; %bb.0:
	s_load_dword s3, s[0:1], 0x3c
	s_load_dwordx2 s[6:7], s[0:1], 0x28
	s_load_dwordx2 s[4:5], s[0:1], 0x10
	s_load_dword s14, s[0:1], 0x18
	s_waitcnt lgkmcnt(0)
	s_and_b32 s3, s3, 0xffff
	s_mul_i32 s2, s2, s3
	s_cmp_eq_u64 s[6:7], 0
	v_add_u32_e32 v0, s2, v0
	s_cbranch_scc1 .LBB229_11
; %bb.1:
	s_load_dword s2, s[0:1], 0x20
	s_mov_b32 s11, 0
	s_waitcnt lgkmcnt(0)
	s_cmp_lt_u32 s2, s14
	s_cselect_b32 s3, s2, 0
	v_cmp_eq_u32_e32 vcc, s3, v0
	s_and_saveexec_b64 s[8:9], vcc
	s_cbranch_execz .LBB229_10
; %bb.2:
	s_add_i32 s10, s2, 64
	v_mov_b32_e32 v1, s10
	global_load_ubyte v1, v1, s[4:5] sc1
	s_load_dwordx4 s[0:3], s[0:1], 0x0
	s_add_u32 s12, s4, s10
	s_addc_u32 s13, s5, 0
	s_waitcnt vmcnt(0)
	v_cmp_ne_u16_e32 vcc, 0, v1
	v_readfirstlane_b32 s15, v1
	s_cbranch_vccz .LBB229_4
; %bb.3:
	s_and_b32 s12, 0xffff, s15
	s_branch .LBB229_9
.LBB229_4:
	s_mov_b32 s15, 1
	v_mov_b32_e32 v1, 0
.LBB229_5:                              ; =>This Loop Header: Depth=1
                                        ;     Child Loop BB229_6 Depth 2
	s_max_u32 s16, s15, 1
.LBB229_6:                              ;   Parent Loop BB229_5 Depth=1
                                        ; =>  This Inner Loop Header: Depth=2
	s_add_i32 s16, s16, -1
	s_cmp_eq_u32 s16, 0
	s_sleep 1
	s_cbranch_scc0 .LBB229_6
; %bb.7:                                ;   in Loop: Header=BB229_5 Depth=1
	global_load_ubyte v2, v1, s[12:13] sc1
	s_cmp_lt_u32 s15, 32
	s_cselect_b64 s[16:17], -1, 0
	s_cmp_lg_u64 s[16:17], 0
	s_addc_u32 s15, s15, 0
	s_waitcnt vmcnt(0)
	v_cmp_ne_u16_e32 vcc, 0, v2
	v_readfirstlane_b32 s16, v2
	s_cbranch_vccz .LBB229_5
; %bb.8:
	s_and_b32 s12, 0xffff, s16
.LBB229_9:
	s_cmp_eq_u32 s12, 1
	s_waitcnt lgkmcnt(0)
	s_cselect_b32 s3, s1, s3
	s_cselect_b32 s2, s0, s2
	s_lshl_b64 s[0:1], s[10:11], 4
	s_add_u32 s0, s2, s0
	s_addc_u32 s1, s3, s1
	v_mov_b32_e32 v1, 0
	s_waitcnt vmcnt(0)
	global_load_dword v2, v1, s[0:1] sc1
	global_load_dword v3, v1, s[0:1] offset:4 sc1
	global_load_dword v4, v1, s[0:1] offset:8 sc1
	;; [unrolled: 1-line block ×3, first 2 shown]
	s_waitcnt vmcnt(0)
	global_store_dwordx4 v1, v[2:5], s[6:7]
.LBB229_10:
	s_or_b64 exec, exec, s[8:9]
.LBB229_11:
	v_cmp_gt_u32_e32 vcc, s14, v0
	s_and_saveexec_b64 s[0:1], vcc
	s_cbranch_execnz .LBB229_14
; %bb.12:
	s_or_b64 exec, exec, s[0:1]
	v_cmp_gt_u32_e32 vcc, 64, v0
	s_and_saveexec_b64 s[0:1], vcc
	s_cbranch_execnz .LBB229_15
.LBB229_13:
	s_endpgm
.LBB229_14:
	v_add_u32_e32 v1, 64, v0
	v_mov_b32_e32 v2, 0
	global_store_byte v1, v2, s[4:5]
	s_or_b64 exec, exec, s[0:1]
	v_cmp_gt_u32_e32 vcc, 64, v0
	s_and_saveexec_b64 s[0:1], vcc
	s_cbranch_execz .LBB229_13
.LBB229_15:
	v_mov_b32_e32 v1, 0xff
	global_store_byte v0, v1, s[4:5]
	s_endpgm
	.section	.rodata,"a",@progbits
	.p2align	6, 0x0
	.amdhsa_kernel _ZN7rocprim17ROCPRIM_400000_NS6detail31init_lookback_scan_state_kernelINS1_19lookback_scan_stateIN3c107complexIdEELb1ELb0EEENS1_16block_id_wrapperIjLb0EEEEEvT_jT0_jPNSA_10value_typeE
		.amdhsa_group_segment_fixed_size 0
		.amdhsa_private_segment_fixed_size 0
		.amdhsa_kernarg_size 304
		.amdhsa_user_sgpr_count 2
		.amdhsa_user_sgpr_dispatch_ptr 0
		.amdhsa_user_sgpr_queue_ptr 0
		.amdhsa_user_sgpr_kernarg_segment_ptr 1
		.amdhsa_user_sgpr_dispatch_id 0
		.amdhsa_user_sgpr_kernarg_preload_length 0
		.amdhsa_user_sgpr_kernarg_preload_offset 0
		.amdhsa_user_sgpr_private_segment_size 0
		.amdhsa_uses_dynamic_stack 0
		.amdhsa_enable_private_segment 0
		.amdhsa_system_sgpr_workgroup_id_x 1
		.amdhsa_system_sgpr_workgroup_id_y 0
		.amdhsa_system_sgpr_workgroup_id_z 0
		.amdhsa_system_sgpr_workgroup_info 0
		.amdhsa_system_vgpr_workitem_id 0
		.amdhsa_next_free_vgpr 6
		.amdhsa_next_free_sgpr 18
		.amdhsa_accum_offset 8
		.amdhsa_reserve_vcc 1
		.amdhsa_float_round_mode_32 0
		.amdhsa_float_round_mode_16_64 0
		.amdhsa_float_denorm_mode_32 3
		.amdhsa_float_denorm_mode_16_64 3
		.amdhsa_dx10_clamp 1
		.amdhsa_ieee_mode 1
		.amdhsa_fp16_overflow 0
		.amdhsa_tg_split 0
		.amdhsa_exception_fp_ieee_invalid_op 0
		.amdhsa_exception_fp_denorm_src 0
		.amdhsa_exception_fp_ieee_div_zero 0
		.amdhsa_exception_fp_ieee_overflow 0
		.amdhsa_exception_fp_ieee_underflow 0
		.amdhsa_exception_fp_ieee_inexact 0
		.amdhsa_exception_int_div_zero 0
	.end_amdhsa_kernel
	.section	.text._ZN7rocprim17ROCPRIM_400000_NS6detail31init_lookback_scan_state_kernelINS1_19lookback_scan_stateIN3c107complexIdEELb1ELb0EEENS1_16block_id_wrapperIjLb0EEEEEvT_jT0_jPNSA_10value_typeE,"axG",@progbits,_ZN7rocprim17ROCPRIM_400000_NS6detail31init_lookback_scan_state_kernelINS1_19lookback_scan_stateIN3c107complexIdEELb1ELb0EEENS1_16block_id_wrapperIjLb0EEEEEvT_jT0_jPNSA_10value_typeE,comdat
.Lfunc_end229:
	.size	_ZN7rocprim17ROCPRIM_400000_NS6detail31init_lookback_scan_state_kernelINS1_19lookback_scan_stateIN3c107complexIdEELb1ELb0EEENS1_16block_id_wrapperIjLb0EEEEEvT_jT0_jPNSA_10value_typeE, .Lfunc_end229-_ZN7rocprim17ROCPRIM_400000_NS6detail31init_lookback_scan_state_kernelINS1_19lookback_scan_stateIN3c107complexIdEELb1ELb0EEENS1_16block_id_wrapperIjLb0EEEEEvT_jT0_jPNSA_10value_typeE
                                        ; -- End function
	.section	.AMDGPU.csdata,"",@progbits
; Kernel info:
; codeLenInByte = 400
; NumSgprs: 24
; NumVgprs: 6
; NumAgprs: 0
; TotalNumVgprs: 6
; ScratchSize: 0
; MemoryBound: 0
; FloatMode: 240
; IeeeMode: 1
; LDSByteSize: 0 bytes/workgroup (compile time only)
; SGPRBlocks: 2
; VGPRBlocks: 0
; NumSGPRsForWavesPerEU: 24
; NumVGPRsForWavesPerEU: 6
; AccumOffset: 8
; Occupancy: 8
; WaveLimiterHint : 0
; COMPUTE_PGM_RSRC2:SCRATCH_EN: 0
; COMPUTE_PGM_RSRC2:USER_SGPR: 2
; COMPUTE_PGM_RSRC2:TRAP_HANDLER: 0
; COMPUTE_PGM_RSRC2:TGID_X_EN: 1
; COMPUTE_PGM_RSRC2:TGID_Y_EN: 0
; COMPUTE_PGM_RSRC2:TGID_Z_EN: 0
; COMPUTE_PGM_RSRC2:TIDIG_COMP_CNT: 0
; COMPUTE_PGM_RSRC3_GFX90A:ACCUM_OFFSET: 1
; COMPUTE_PGM_RSRC3_GFX90A:TG_SPLIT: 0
	.section	.text._ZN7rocprim17ROCPRIM_400000_NS6detail17trampoline_kernelINS0_14default_configENS1_20scan_config_selectorIN3c107complexIdEEEEZZNS1_9scan_implILNS1_25lookback_scan_determinismE0ELb0ELb0ES3_PKS7_PS7_S7_ZZZN2at6native31launch_logcumsumexp_cuda_kernelERKNSE_10TensorBaseESI_lENKUlvE_clEvENKUlvE1_clEvEUlS7_S7_E_S7_EEDaPvRmT3_T4_T5_mT6_P12ihipStream_tbENKUlT_T0_E_clISt17integral_constantIbLb1EESY_IbLb0EEEEDaSU_SV_EUlSU_E_NS1_11comp_targetILNS1_3genE0ELNS1_11target_archE4294967295ELNS1_3gpuE0ELNS1_3repE0EEENS1_30default_config_static_selectorELNS0_4arch9wavefront6targetE1EEEvT1_,"axG",@progbits,_ZN7rocprim17ROCPRIM_400000_NS6detail17trampoline_kernelINS0_14default_configENS1_20scan_config_selectorIN3c107complexIdEEEEZZNS1_9scan_implILNS1_25lookback_scan_determinismE0ELb0ELb0ES3_PKS7_PS7_S7_ZZZN2at6native31launch_logcumsumexp_cuda_kernelERKNSE_10TensorBaseESI_lENKUlvE_clEvENKUlvE1_clEvEUlS7_S7_E_S7_EEDaPvRmT3_T4_T5_mT6_P12ihipStream_tbENKUlT_T0_E_clISt17integral_constantIbLb1EESY_IbLb0EEEEDaSU_SV_EUlSU_E_NS1_11comp_targetILNS1_3genE0ELNS1_11target_archE4294967295ELNS1_3gpuE0ELNS1_3repE0EEENS1_30default_config_static_selectorELNS0_4arch9wavefront6targetE1EEEvT1_,comdat
	.globl	_ZN7rocprim17ROCPRIM_400000_NS6detail17trampoline_kernelINS0_14default_configENS1_20scan_config_selectorIN3c107complexIdEEEEZZNS1_9scan_implILNS1_25lookback_scan_determinismE0ELb0ELb0ES3_PKS7_PS7_S7_ZZZN2at6native31launch_logcumsumexp_cuda_kernelERKNSE_10TensorBaseESI_lENKUlvE_clEvENKUlvE1_clEvEUlS7_S7_E_S7_EEDaPvRmT3_T4_T5_mT6_P12ihipStream_tbENKUlT_T0_E_clISt17integral_constantIbLb1EESY_IbLb0EEEEDaSU_SV_EUlSU_E_NS1_11comp_targetILNS1_3genE0ELNS1_11target_archE4294967295ELNS1_3gpuE0ELNS1_3repE0EEENS1_30default_config_static_selectorELNS0_4arch9wavefront6targetE1EEEvT1_ ; -- Begin function _ZN7rocprim17ROCPRIM_400000_NS6detail17trampoline_kernelINS0_14default_configENS1_20scan_config_selectorIN3c107complexIdEEEEZZNS1_9scan_implILNS1_25lookback_scan_determinismE0ELb0ELb0ES3_PKS7_PS7_S7_ZZZN2at6native31launch_logcumsumexp_cuda_kernelERKNSE_10TensorBaseESI_lENKUlvE_clEvENKUlvE1_clEvEUlS7_S7_E_S7_EEDaPvRmT3_T4_T5_mT6_P12ihipStream_tbENKUlT_T0_E_clISt17integral_constantIbLb1EESY_IbLb0EEEEDaSU_SV_EUlSU_E_NS1_11comp_targetILNS1_3genE0ELNS1_11target_archE4294967295ELNS1_3gpuE0ELNS1_3repE0EEENS1_30default_config_static_selectorELNS0_4arch9wavefront6targetE1EEEvT1_
	.p2align	8
	.type	_ZN7rocprim17ROCPRIM_400000_NS6detail17trampoline_kernelINS0_14default_configENS1_20scan_config_selectorIN3c107complexIdEEEEZZNS1_9scan_implILNS1_25lookback_scan_determinismE0ELb0ELb0ES3_PKS7_PS7_S7_ZZZN2at6native31launch_logcumsumexp_cuda_kernelERKNSE_10TensorBaseESI_lENKUlvE_clEvENKUlvE1_clEvEUlS7_S7_E_S7_EEDaPvRmT3_T4_T5_mT6_P12ihipStream_tbENKUlT_T0_E_clISt17integral_constantIbLb1EESY_IbLb0EEEEDaSU_SV_EUlSU_E_NS1_11comp_targetILNS1_3genE0ELNS1_11target_archE4294967295ELNS1_3gpuE0ELNS1_3repE0EEENS1_30default_config_static_selectorELNS0_4arch9wavefront6targetE1EEEvT1_,@function
_ZN7rocprim17ROCPRIM_400000_NS6detail17trampoline_kernelINS0_14default_configENS1_20scan_config_selectorIN3c107complexIdEEEEZZNS1_9scan_implILNS1_25lookback_scan_determinismE0ELb0ELb0ES3_PKS7_PS7_S7_ZZZN2at6native31launch_logcumsumexp_cuda_kernelERKNSE_10TensorBaseESI_lENKUlvE_clEvENKUlvE1_clEvEUlS7_S7_E_S7_EEDaPvRmT3_T4_T5_mT6_P12ihipStream_tbENKUlT_T0_E_clISt17integral_constantIbLb1EESY_IbLb0EEEEDaSU_SV_EUlSU_E_NS1_11comp_targetILNS1_3genE0ELNS1_11target_archE4294967295ELNS1_3gpuE0ELNS1_3repE0EEENS1_30default_config_static_selectorELNS0_4arch9wavefront6targetE1EEEvT1_: ; @_ZN7rocprim17ROCPRIM_400000_NS6detail17trampoline_kernelINS0_14default_configENS1_20scan_config_selectorIN3c107complexIdEEEEZZNS1_9scan_implILNS1_25lookback_scan_determinismE0ELb0ELb0ES3_PKS7_PS7_S7_ZZZN2at6native31launch_logcumsumexp_cuda_kernelERKNSE_10TensorBaseESI_lENKUlvE_clEvENKUlvE1_clEvEUlS7_S7_E_S7_EEDaPvRmT3_T4_T5_mT6_P12ihipStream_tbENKUlT_T0_E_clISt17integral_constantIbLb1EESY_IbLb0EEEEDaSU_SV_EUlSU_E_NS1_11comp_targetILNS1_3genE0ELNS1_11target_archE4294967295ELNS1_3gpuE0ELNS1_3repE0EEENS1_30default_config_static_selectorELNS0_4arch9wavefront6targetE1EEEvT1_
; %bb.0:
	.section	.rodata,"a",@progbits
	.p2align	6, 0x0
	.amdhsa_kernel _ZN7rocprim17ROCPRIM_400000_NS6detail17trampoline_kernelINS0_14default_configENS1_20scan_config_selectorIN3c107complexIdEEEEZZNS1_9scan_implILNS1_25lookback_scan_determinismE0ELb0ELb0ES3_PKS7_PS7_S7_ZZZN2at6native31launch_logcumsumexp_cuda_kernelERKNSE_10TensorBaseESI_lENKUlvE_clEvENKUlvE1_clEvEUlS7_S7_E_S7_EEDaPvRmT3_T4_T5_mT6_P12ihipStream_tbENKUlT_T0_E_clISt17integral_constantIbLb1EESY_IbLb0EEEEDaSU_SV_EUlSU_E_NS1_11comp_targetILNS1_3genE0ELNS1_11target_archE4294967295ELNS1_3gpuE0ELNS1_3repE0EEENS1_30default_config_static_selectorELNS0_4arch9wavefront6targetE1EEEvT1_
		.amdhsa_group_segment_fixed_size 0
		.amdhsa_private_segment_fixed_size 0
		.amdhsa_kernarg_size 128
		.amdhsa_user_sgpr_count 2
		.amdhsa_user_sgpr_dispatch_ptr 0
		.amdhsa_user_sgpr_queue_ptr 0
		.amdhsa_user_sgpr_kernarg_segment_ptr 1
		.amdhsa_user_sgpr_dispatch_id 0
		.amdhsa_user_sgpr_kernarg_preload_length 0
		.amdhsa_user_sgpr_kernarg_preload_offset 0
		.amdhsa_user_sgpr_private_segment_size 0
		.amdhsa_uses_dynamic_stack 0
		.amdhsa_enable_private_segment 0
		.amdhsa_system_sgpr_workgroup_id_x 1
		.amdhsa_system_sgpr_workgroup_id_y 0
		.amdhsa_system_sgpr_workgroup_id_z 0
		.amdhsa_system_sgpr_workgroup_info 0
		.amdhsa_system_vgpr_workitem_id 0
		.amdhsa_next_free_vgpr 1
		.amdhsa_next_free_sgpr 0
		.amdhsa_accum_offset 4
		.amdhsa_reserve_vcc 0
		.amdhsa_float_round_mode_32 0
		.amdhsa_float_round_mode_16_64 0
		.amdhsa_float_denorm_mode_32 3
		.amdhsa_float_denorm_mode_16_64 3
		.amdhsa_dx10_clamp 1
		.amdhsa_ieee_mode 1
		.amdhsa_fp16_overflow 0
		.amdhsa_tg_split 0
		.amdhsa_exception_fp_ieee_invalid_op 0
		.amdhsa_exception_fp_denorm_src 0
		.amdhsa_exception_fp_ieee_div_zero 0
		.amdhsa_exception_fp_ieee_overflow 0
		.amdhsa_exception_fp_ieee_underflow 0
		.amdhsa_exception_fp_ieee_inexact 0
		.amdhsa_exception_int_div_zero 0
	.end_amdhsa_kernel
	.section	.text._ZN7rocprim17ROCPRIM_400000_NS6detail17trampoline_kernelINS0_14default_configENS1_20scan_config_selectorIN3c107complexIdEEEEZZNS1_9scan_implILNS1_25lookback_scan_determinismE0ELb0ELb0ES3_PKS7_PS7_S7_ZZZN2at6native31launch_logcumsumexp_cuda_kernelERKNSE_10TensorBaseESI_lENKUlvE_clEvENKUlvE1_clEvEUlS7_S7_E_S7_EEDaPvRmT3_T4_T5_mT6_P12ihipStream_tbENKUlT_T0_E_clISt17integral_constantIbLb1EESY_IbLb0EEEEDaSU_SV_EUlSU_E_NS1_11comp_targetILNS1_3genE0ELNS1_11target_archE4294967295ELNS1_3gpuE0ELNS1_3repE0EEENS1_30default_config_static_selectorELNS0_4arch9wavefront6targetE1EEEvT1_,"axG",@progbits,_ZN7rocprim17ROCPRIM_400000_NS6detail17trampoline_kernelINS0_14default_configENS1_20scan_config_selectorIN3c107complexIdEEEEZZNS1_9scan_implILNS1_25lookback_scan_determinismE0ELb0ELb0ES3_PKS7_PS7_S7_ZZZN2at6native31launch_logcumsumexp_cuda_kernelERKNSE_10TensorBaseESI_lENKUlvE_clEvENKUlvE1_clEvEUlS7_S7_E_S7_EEDaPvRmT3_T4_T5_mT6_P12ihipStream_tbENKUlT_T0_E_clISt17integral_constantIbLb1EESY_IbLb0EEEEDaSU_SV_EUlSU_E_NS1_11comp_targetILNS1_3genE0ELNS1_11target_archE4294967295ELNS1_3gpuE0ELNS1_3repE0EEENS1_30default_config_static_selectorELNS0_4arch9wavefront6targetE1EEEvT1_,comdat
.Lfunc_end230:
	.size	_ZN7rocprim17ROCPRIM_400000_NS6detail17trampoline_kernelINS0_14default_configENS1_20scan_config_selectorIN3c107complexIdEEEEZZNS1_9scan_implILNS1_25lookback_scan_determinismE0ELb0ELb0ES3_PKS7_PS7_S7_ZZZN2at6native31launch_logcumsumexp_cuda_kernelERKNSE_10TensorBaseESI_lENKUlvE_clEvENKUlvE1_clEvEUlS7_S7_E_S7_EEDaPvRmT3_T4_T5_mT6_P12ihipStream_tbENKUlT_T0_E_clISt17integral_constantIbLb1EESY_IbLb0EEEEDaSU_SV_EUlSU_E_NS1_11comp_targetILNS1_3genE0ELNS1_11target_archE4294967295ELNS1_3gpuE0ELNS1_3repE0EEENS1_30default_config_static_selectorELNS0_4arch9wavefront6targetE1EEEvT1_, .Lfunc_end230-_ZN7rocprim17ROCPRIM_400000_NS6detail17trampoline_kernelINS0_14default_configENS1_20scan_config_selectorIN3c107complexIdEEEEZZNS1_9scan_implILNS1_25lookback_scan_determinismE0ELb0ELb0ES3_PKS7_PS7_S7_ZZZN2at6native31launch_logcumsumexp_cuda_kernelERKNSE_10TensorBaseESI_lENKUlvE_clEvENKUlvE1_clEvEUlS7_S7_E_S7_EEDaPvRmT3_T4_T5_mT6_P12ihipStream_tbENKUlT_T0_E_clISt17integral_constantIbLb1EESY_IbLb0EEEEDaSU_SV_EUlSU_E_NS1_11comp_targetILNS1_3genE0ELNS1_11target_archE4294967295ELNS1_3gpuE0ELNS1_3repE0EEENS1_30default_config_static_selectorELNS0_4arch9wavefront6targetE1EEEvT1_
                                        ; -- End function
	.section	.AMDGPU.csdata,"",@progbits
; Kernel info:
; codeLenInByte = 0
; NumSgprs: 6
; NumVgprs: 0
; NumAgprs: 0
; TotalNumVgprs: 0
; ScratchSize: 0
; MemoryBound: 0
; FloatMode: 240
; IeeeMode: 1
; LDSByteSize: 0 bytes/workgroup (compile time only)
; SGPRBlocks: 0
; VGPRBlocks: 0
; NumSGPRsForWavesPerEU: 6
; NumVGPRsForWavesPerEU: 1
; AccumOffset: 4
; Occupancy: 8
; WaveLimiterHint : 0
; COMPUTE_PGM_RSRC2:SCRATCH_EN: 0
; COMPUTE_PGM_RSRC2:USER_SGPR: 2
; COMPUTE_PGM_RSRC2:TRAP_HANDLER: 0
; COMPUTE_PGM_RSRC2:TGID_X_EN: 1
; COMPUTE_PGM_RSRC2:TGID_Y_EN: 0
; COMPUTE_PGM_RSRC2:TGID_Z_EN: 0
; COMPUTE_PGM_RSRC2:TIDIG_COMP_CNT: 0
; COMPUTE_PGM_RSRC3_GFX90A:ACCUM_OFFSET: 0
; COMPUTE_PGM_RSRC3_GFX90A:TG_SPLIT: 0
	.section	.text._ZN7rocprim17ROCPRIM_400000_NS6detail17trampoline_kernelINS0_14default_configENS1_20scan_config_selectorIN3c107complexIdEEEEZZNS1_9scan_implILNS1_25lookback_scan_determinismE0ELb0ELb0ES3_PKS7_PS7_S7_ZZZN2at6native31launch_logcumsumexp_cuda_kernelERKNSE_10TensorBaseESI_lENKUlvE_clEvENKUlvE1_clEvEUlS7_S7_E_S7_EEDaPvRmT3_T4_T5_mT6_P12ihipStream_tbENKUlT_T0_E_clISt17integral_constantIbLb1EESY_IbLb0EEEEDaSU_SV_EUlSU_E_NS1_11comp_targetILNS1_3genE5ELNS1_11target_archE942ELNS1_3gpuE9ELNS1_3repE0EEENS1_30default_config_static_selectorELNS0_4arch9wavefront6targetE1EEEvT1_,"axG",@progbits,_ZN7rocprim17ROCPRIM_400000_NS6detail17trampoline_kernelINS0_14default_configENS1_20scan_config_selectorIN3c107complexIdEEEEZZNS1_9scan_implILNS1_25lookback_scan_determinismE0ELb0ELb0ES3_PKS7_PS7_S7_ZZZN2at6native31launch_logcumsumexp_cuda_kernelERKNSE_10TensorBaseESI_lENKUlvE_clEvENKUlvE1_clEvEUlS7_S7_E_S7_EEDaPvRmT3_T4_T5_mT6_P12ihipStream_tbENKUlT_T0_E_clISt17integral_constantIbLb1EESY_IbLb0EEEEDaSU_SV_EUlSU_E_NS1_11comp_targetILNS1_3genE5ELNS1_11target_archE942ELNS1_3gpuE9ELNS1_3repE0EEENS1_30default_config_static_selectorELNS0_4arch9wavefront6targetE1EEEvT1_,comdat
	.globl	_ZN7rocprim17ROCPRIM_400000_NS6detail17trampoline_kernelINS0_14default_configENS1_20scan_config_selectorIN3c107complexIdEEEEZZNS1_9scan_implILNS1_25lookback_scan_determinismE0ELb0ELb0ES3_PKS7_PS7_S7_ZZZN2at6native31launch_logcumsumexp_cuda_kernelERKNSE_10TensorBaseESI_lENKUlvE_clEvENKUlvE1_clEvEUlS7_S7_E_S7_EEDaPvRmT3_T4_T5_mT6_P12ihipStream_tbENKUlT_T0_E_clISt17integral_constantIbLb1EESY_IbLb0EEEEDaSU_SV_EUlSU_E_NS1_11comp_targetILNS1_3genE5ELNS1_11target_archE942ELNS1_3gpuE9ELNS1_3repE0EEENS1_30default_config_static_selectorELNS0_4arch9wavefront6targetE1EEEvT1_ ; -- Begin function _ZN7rocprim17ROCPRIM_400000_NS6detail17trampoline_kernelINS0_14default_configENS1_20scan_config_selectorIN3c107complexIdEEEEZZNS1_9scan_implILNS1_25lookback_scan_determinismE0ELb0ELb0ES3_PKS7_PS7_S7_ZZZN2at6native31launch_logcumsumexp_cuda_kernelERKNSE_10TensorBaseESI_lENKUlvE_clEvENKUlvE1_clEvEUlS7_S7_E_S7_EEDaPvRmT3_T4_T5_mT6_P12ihipStream_tbENKUlT_T0_E_clISt17integral_constantIbLb1EESY_IbLb0EEEEDaSU_SV_EUlSU_E_NS1_11comp_targetILNS1_3genE5ELNS1_11target_archE942ELNS1_3gpuE9ELNS1_3repE0EEENS1_30default_config_static_selectorELNS0_4arch9wavefront6targetE1EEEvT1_
	.p2align	8
	.type	_ZN7rocprim17ROCPRIM_400000_NS6detail17trampoline_kernelINS0_14default_configENS1_20scan_config_selectorIN3c107complexIdEEEEZZNS1_9scan_implILNS1_25lookback_scan_determinismE0ELb0ELb0ES3_PKS7_PS7_S7_ZZZN2at6native31launch_logcumsumexp_cuda_kernelERKNSE_10TensorBaseESI_lENKUlvE_clEvENKUlvE1_clEvEUlS7_S7_E_S7_EEDaPvRmT3_T4_T5_mT6_P12ihipStream_tbENKUlT_T0_E_clISt17integral_constantIbLb1EESY_IbLb0EEEEDaSU_SV_EUlSU_E_NS1_11comp_targetILNS1_3genE5ELNS1_11target_archE942ELNS1_3gpuE9ELNS1_3repE0EEENS1_30default_config_static_selectorELNS0_4arch9wavefront6targetE1EEEvT1_,@function
_ZN7rocprim17ROCPRIM_400000_NS6detail17trampoline_kernelINS0_14default_configENS1_20scan_config_selectorIN3c107complexIdEEEEZZNS1_9scan_implILNS1_25lookback_scan_determinismE0ELb0ELb0ES3_PKS7_PS7_S7_ZZZN2at6native31launch_logcumsumexp_cuda_kernelERKNSE_10TensorBaseESI_lENKUlvE_clEvENKUlvE1_clEvEUlS7_S7_E_S7_EEDaPvRmT3_T4_T5_mT6_P12ihipStream_tbENKUlT_T0_E_clISt17integral_constantIbLb1EESY_IbLb0EEEEDaSU_SV_EUlSU_E_NS1_11comp_targetILNS1_3genE5ELNS1_11target_archE942ELNS1_3gpuE9ELNS1_3repE0EEENS1_30default_config_static_selectorELNS0_4arch9wavefront6targetE1EEEvT1_: ; @_ZN7rocprim17ROCPRIM_400000_NS6detail17trampoline_kernelINS0_14default_configENS1_20scan_config_selectorIN3c107complexIdEEEEZZNS1_9scan_implILNS1_25lookback_scan_determinismE0ELb0ELb0ES3_PKS7_PS7_S7_ZZZN2at6native31launch_logcumsumexp_cuda_kernelERKNSE_10TensorBaseESI_lENKUlvE_clEvENKUlvE1_clEvEUlS7_S7_E_S7_EEDaPvRmT3_T4_T5_mT6_P12ihipStream_tbENKUlT_T0_E_clISt17integral_constantIbLb1EESY_IbLb0EEEEDaSU_SV_EUlSU_E_NS1_11comp_targetILNS1_3genE5ELNS1_11target_archE942ELNS1_3gpuE9ELNS1_3repE0EEENS1_30default_config_static_selectorELNS0_4arch9wavefront6targetE1EEEvT1_
; %bb.0:
	s_mov_b64 s[34:35], s[0:1]
	s_load_dwordx8 s[36:43], s[0:1], 0x0
	s_nop 0
	s_load_dword s0, s[0:1], 0x50
	s_nop 0
	s_load_dwordx4 s[52:55], s[34:35], 0x38
	s_load_dwordx2 s[60:61], s[34:35], 0x48
	s_mov_b32 s33, s2
	s_waitcnt lgkmcnt(0)
	s_lshl_b64 s[56:57], s[38:39], 4
	s_add_u32 s2, s36, s56
	s_addc_u32 s3, s37, s57
	s_add_i32 s4, s0, -1
	s_mul_i32 s5, s4, 0xe00
	s_sub_u32 s62, s42, s5
	s_subb_u32 s63, s43, 0
	s_mov_b32 s1, 0
	s_mul_i32 s0, s33, 0xe00
	s_cmp_lg_u32 s33, s4
	s_cselect_b64 s[42:43], -1, 0
	s_lshl_b64 s[58:59], s[0:1], 4
	v_mov_b32_e32 v46, v0
	s_add_u32 s2, s2, s58
	s_addc_u32 s3, s3, s59
	s_mov_b64 s[0:1], -1
	s_and_b64 vcc, exec, s[42:43]
	v_lshlrev_b32_e32 v164, 4, v46
	s_mov_b32 s32, 0
	s_cbranch_vccz .LBB231_2
; %bb.1:
	v_mov_b32_e32 v165, 0
	v_lshl_add_u64 v[44:45], s[2:3], 0, v[164:165]
	v_add_co_u32_e32 v12, vcc, 0x1000, v44
	global_load_dwordx4 v[0:3], v164, s[2:3]
	s_nop 0
	v_addc_co_u32_e32 v13, vcc, 0, v45, vcc
	v_add_co_u32_e32 v14, vcc, 0x2000, v44
	s_mov_b64 s[0:1], 0
	s_nop 0
	v_addc_co_u32_e32 v15, vcc, 0, v45, vcc
	v_add_co_u32_e32 v20, vcc, 0x3000, v44
	global_load_dwordx4 v[4:7], v[12:13], off
	global_load_dwordx4 v[8:11], v[14:15], off
	v_addc_co_u32_e32 v21, vcc, 0, v45, vcc
	v_add_co_u32_e32 v22, vcc, 0x4000, v44
	s_nop 1
	v_addc_co_u32_e32 v23, vcc, 0, v45, vcc
	v_add_co_u32_e32 v28, vcc, 0x5000, v44
	global_load_dwordx4 v[12:15], v[20:21], off
	global_load_dwordx4 v[16:19], v[22:23], off
	v_addc_co_u32_e32 v29, vcc, 0, v45, vcc
	v_add_co_u32_e32 v30, vcc, 0x6000, v44
	;; [unrolled: 7-line block ×5, first 2 shown]
	s_nop 1
	v_addc_co_u32_e32 v59, vcc, 0, v45, vcc
	global_load_dwordx4 v[48:51], v[56:57], off
	global_load_dwordx4 v[52:55], v[58:59], off
	v_add_co_u32_e32 v44, vcc, 0xd000, v44
	s_nop 1
	v_addc_co_u32_e32 v45, vcc, 0, v45, vcc
	global_load_dwordx4 v[56:59], v[44:45], off
	s_waitcnt vmcnt(13)
	ds_write_b128 v164, v[0:3]
	s_waitcnt vmcnt(12)
	ds_write_b128 v164, v[4:7] offset:4096
	s_waitcnt vmcnt(11)
	ds_write_b128 v164, v[8:11] offset:8192
	;; [unrolled: 2-line block ×13, first 2 shown]
	s_waitcnt lgkmcnt(0)
	s_barrier
.LBB231_2:
	s_andn2_b64 vcc, exec, s[0:1]
	v_cmp_gt_u32_e64 s[0:1], s62, v46
	s_cbranch_vccnz .LBB231_32
; %bb.3:
	s_load_dwordx4 s[4:7], s[2:3], 0x0
	s_waitcnt lgkmcnt(0)
	v_mov_b64_e32 v[2:3], s[6:7]
	v_mov_b64_e32 v[0:1], s[4:5]
	s_and_saveexec_b64 s[8:9], s[0:1]
	s_cbranch_execz .LBB231_5
; %bb.4:
	global_load_dwordx4 v[0:3], v164, s[2:3]
.LBB231_5:
	s_or_b64 exec, exec, s[8:9]
	v_or_b32_e32 v8, 0x100, v46
	v_cmp_gt_u32_e32 vcc, s62, v8
	v_mov_b64_e32 v[6:7], s[6:7]
	v_mov_b64_e32 v[4:5], s[4:5]
	s_and_saveexec_b64 s[0:1], vcc
	s_cbranch_execz .LBB231_7
; %bb.6:
	v_lshlrev_b32_e32 v4, 4, v8
	global_load_dwordx4 v[4:7], v4, s[2:3]
.LBB231_7:
	s_or_b64 exec, exec, s[0:1]
	v_or_b32_e32 v12, 0x200, v46
	v_cmp_gt_u32_e32 vcc, s62, v12
	v_mov_b64_e32 v[10:11], s[6:7]
	v_mov_b64_e32 v[8:9], s[4:5]
	s_and_saveexec_b64 s[0:1], vcc
	s_cbranch_execz .LBB231_9
; %bb.8:
	v_lshlrev_b32_e32 v8, 4, v12
	global_load_dwordx4 v[8:11], v8, s[2:3]
.LBB231_9:
	;; [unrolled: 11-line block ×13, first 2 shown]
	s_or_b64 exec, exec, s[0:1]
	s_waitcnt vmcnt(0)
	ds_write_b128 v164, v[0:3]
	ds_write_b128 v164, v[4:7] offset:4096
	ds_write_b128 v164, v[8:11] offset:8192
	;; [unrolled: 1-line block ×13, first 2 shown]
	s_waitcnt lgkmcnt(0)
	s_barrier
.LBB231_32:
	v_mul_u32_u24_e32 v166, 14, v46
	v_lshlrev_b32_e32 v41, 4, v166
	ds_read_b128 v[42:45], v41
	ds_read_b128 v[100:103], v41 offset:16
	ds_read_b128 v[96:99], v41 offset:32
	;; [unrolled: 1-line block ×13, first 2 shown]
	s_cmp_lg_u32 s33, 0
	s_waitcnt lgkmcnt(0)
	s_barrier
	s_cbranch_scc0 .LBB231_105
; %bb.33:
	v_mov_b32_e32 v0, v42
	v_mov_b32_e32 v1, v43
	;; [unrolled: 1-line block ×8, first 2 shown]
	s_getpc_b64 s[36:37]
	s_add_u32 s36, s36, _ZZZZN2at6native31launch_logcumsumexp_cuda_kernelERKNS_10TensorBaseES3_lENKUlvE_clEvENKUlvE1_clEvENKUlN3c107complexIdEES8_E_clES8_S8_@rel32@lo+4
	s_addc_u32 s37, s37, _ZZZZN2at6native31launch_logcumsumexp_cuda_kernelERKNS_10TensorBaseES3_lENKUlvE_clEvENKUlvE1_clEvENKUlN3c107complexIdEES8_E_clES8_S8_@rel32@hi+12
	s_swappc_b64 s[30:31], s[36:37]
	v_mov_b32_e32 v4, v96
	v_mov_b32_e32 v5, v97
	v_mov_b32_e32 v6, v98
	v_mov_b32_e32 v7, v99
	s_swappc_b64 s[30:31], s[36:37]
	v_mov_b32_e32 v4, v92
	v_mov_b32_e32 v5, v93
	v_mov_b32_e32 v6, v94
	v_mov_b32_e32 v7, v95
	s_swappc_b64 s[30:31], s[36:37]
	v_mov_b32_e32 v4, v88
	v_mov_b32_e32 v5, v89
	v_mov_b32_e32 v6, v90
	v_mov_b32_e32 v7, v91
	s_swappc_b64 s[30:31], s[36:37]
	v_mov_b32_e32 v4, v84
	v_mov_b32_e32 v5, v85
	v_mov_b32_e32 v6, v86
	v_mov_b32_e32 v7, v87
	s_swappc_b64 s[30:31], s[36:37]
	v_mov_b32_e32 v4, v80
	v_mov_b32_e32 v5, v81
	v_mov_b32_e32 v6, v82
	v_mov_b32_e32 v7, v83
	s_swappc_b64 s[30:31], s[36:37]
	v_mov_b32_e32 v4, v76
	v_mov_b32_e32 v5, v77
	v_mov_b32_e32 v6, v78
	v_mov_b32_e32 v7, v79
	s_swappc_b64 s[30:31], s[36:37]
	v_mov_b32_e32 v4, v72
	v_mov_b32_e32 v5, v73
	v_mov_b32_e32 v6, v74
	v_mov_b32_e32 v7, v75
	s_swappc_b64 s[30:31], s[36:37]
	v_mov_b32_e32 v4, v68
	v_mov_b32_e32 v5, v69
	v_mov_b32_e32 v6, v70
	v_mov_b32_e32 v7, v71
	s_swappc_b64 s[30:31], s[36:37]
	v_mov_b32_e32 v4, v64
	v_mov_b32_e32 v5, v65
	v_mov_b32_e32 v6, v66
	v_mov_b32_e32 v7, v67
	s_swappc_b64 s[30:31], s[36:37]
	v_mov_b32_e32 v4, v60
	v_mov_b32_e32 v5, v61
	v_mov_b32_e32 v6, v62
	v_mov_b32_e32 v7, v63
	s_swappc_b64 s[30:31], s[36:37]
	v_mov_b32_e32 v4, v56
	v_mov_b32_e32 v5, v57
	v_mov_b32_e32 v6, v58
	v_mov_b32_e32 v7, v59
	s_swappc_b64 s[30:31], s[36:37]
	v_mov_b32_e32 v4, v52
	v_mov_b32_e32 v5, v53
	v_mov_b32_e32 v6, v54
	v_mov_b32_e32 v7, v55
	s_swappc_b64 s[30:31], s[36:37]
	v_mov_b32_e32 v108, v0
	v_mbcnt_lo_u32_b32 v0, -1, 0
	v_mbcnt_hi_u32_b32 v112, -1, v0
	v_mov_b32_e32 v109, v1
	v_mov_b32_e32 v110, v2
	;; [unrolled: 1-line block ×3, first 2 shown]
	v_and_b32_e32 v47, 15, v112
	v_mov_b32_dpp v0, v108 row_shr:1 row_mask:0xf bank_mask:0xf
	v_mov_b32_dpp v1, v109 row_shr:1 row_mask:0xf bank_mask:0xf
	;; [unrolled: 1-line block ×4, first 2 shown]
	v_cmp_ne_u32_e32 vcc, 0, v47
	s_and_saveexec_b64 s[38:39], vcc
	s_cbranch_execz .LBB231_35
; %bb.34:
	v_mov_b32_e32 v4, v108
	v_mov_b32_e32 v5, v109
	;; [unrolled: 1-line block ×4, first 2 shown]
	s_swappc_b64 s[30:31], s[36:37]
	v_mov_b32_e32 v108, v0
	v_mov_b32_e32 v109, v1
	;; [unrolled: 1-line block ×4, first 2 shown]
.LBB231_35:
	s_or_b64 exec, exec, s[38:39]
	v_mov_b32_dpp v0, v108 row_shr:2 row_mask:0xf bank_mask:0xf
	v_mov_b32_dpp v1, v109 row_shr:2 row_mask:0xf bank_mask:0xf
	v_mov_b32_dpp v2, v110 row_shr:2 row_mask:0xf bank_mask:0xf
	v_mov_b32_dpp v3, v111 row_shr:2 row_mask:0xf bank_mask:0xf
	v_cmp_lt_u32_e32 vcc, 1, v47
	s_and_saveexec_b64 s[36:37], vcc
	s_cbranch_execz .LBB231_37
; %bb.36:
	v_mov_b32_e32 v4, v108
	v_mov_b32_e32 v5, v109
	v_mov_b32_e32 v6, v110
	v_mov_b32_e32 v7, v111
	s_getpc_b64 s[0:1]
	s_add_u32 s0, s0, _ZZZZN2at6native31launch_logcumsumexp_cuda_kernelERKNS_10TensorBaseES3_lENKUlvE_clEvENKUlvE1_clEvENKUlN3c107complexIdEES8_E_clES8_S8_@rel32@lo+4
	s_addc_u32 s1, s1, _ZZZZN2at6native31launch_logcumsumexp_cuda_kernelERKNS_10TensorBaseES3_lENKUlvE_clEvENKUlvE1_clEvENKUlN3c107complexIdEES8_E_clES8_S8_@rel32@hi+12
	s_swappc_b64 s[30:31], s[0:1]
	v_mov_b32_e32 v108, v0
	v_mov_b32_e32 v109, v1
	v_mov_b32_e32 v110, v2
	v_mov_b32_e32 v111, v3
.LBB231_37:
	s_or_b64 exec, exec, s[36:37]
	v_mov_b32_dpp v0, v108 row_shr:4 row_mask:0xf bank_mask:0xf
	v_mov_b32_dpp v1, v109 row_shr:4 row_mask:0xf bank_mask:0xf
	v_mov_b32_dpp v2, v110 row_shr:4 row_mask:0xf bank_mask:0xf
	v_mov_b32_dpp v3, v111 row_shr:4 row_mask:0xf bank_mask:0xf
	v_cmp_lt_u32_e32 vcc, 3, v47
	s_and_saveexec_b64 s[36:37], vcc
	s_cbranch_execz .LBB231_39
; %bb.38:
	v_mov_b32_e32 v4, v108
	v_mov_b32_e32 v5, v109
	v_mov_b32_e32 v6, v110
	v_mov_b32_e32 v7, v111
	s_getpc_b64 s[0:1]
	s_add_u32 s0, s0, _ZZZZN2at6native31launch_logcumsumexp_cuda_kernelERKNS_10TensorBaseES3_lENKUlvE_clEvENKUlvE1_clEvENKUlN3c107complexIdEES8_E_clES8_S8_@rel32@lo+4
	s_addc_u32 s1, s1, _ZZZZN2at6native31launch_logcumsumexp_cuda_kernelERKNS_10TensorBaseES3_lENKUlvE_clEvENKUlvE1_clEvENKUlN3c107complexIdEES8_E_clES8_S8_@rel32@hi+12
	s_swappc_b64 s[30:31], s[0:1]
	v_mov_b32_e32 v108, v0
	v_mov_b32_e32 v109, v1
	v_mov_b32_e32 v110, v2
	v_mov_b32_e32 v111, v3
.LBB231_39:
	;; [unrolled: 22-line block ×3, first 2 shown]
	s_or_b64 exec, exec, s[36:37]
	v_and_b32_e32 v4, 16, v112
	v_mov_b32_dpp v0, v108 row_bcast:15 row_mask:0xf bank_mask:0xf
	v_mov_b32_dpp v1, v109 row_bcast:15 row_mask:0xf bank_mask:0xf
	v_mov_b32_dpp v2, v110 row_bcast:15 row_mask:0xf bank_mask:0xf
	v_mov_b32_dpp v3, v111 row_bcast:15 row_mask:0xf bank_mask:0xf
	v_cmp_ne_u32_e32 vcc, 0, v4
	s_and_saveexec_b64 s[36:37], vcc
	s_cbranch_execz .LBB231_43
; %bb.42:
	v_mov_b32_e32 v4, v108
	v_mov_b32_e32 v5, v109
	;; [unrolled: 1-line block ×4, first 2 shown]
	s_getpc_b64 s[0:1]
	s_add_u32 s0, s0, _ZZZZN2at6native31launch_logcumsumexp_cuda_kernelERKNS_10TensorBaseES3_lENKUlvE_clEvENKUlvE1_clEvENKUlN3c107complexIdEES8_E_clES8_S8_@rel32@lo+4
	s_addc_u32 s1, s1, _ZZZZN2at6native31launch_logcumsumexp_cuda_kernelERKNS_10TensorBaseES3_lENKUlvE_clEvENKUlvE1_clEvENKUlN3c107complexIdEES8_E_clES8_S8_@rel32@hi+12
	s_swappc_b64 s[30:31], s[0:1]
	v_mov_b32_e32 v108, v0
	v_mov_b32_e32 v109, v1
	;; [unrolled: 1-line block ×4, first 2 shown]
.LBB231_43:
	s_or_b64 exec, exec, s[36:37]
	v_mov_b32_dpp v0, v108 row_bcast:31 row_mask:0xf bank_mask:0xf
	v_mov_b32_dpp v1, v109 row_bcast:31 row_mask:0xf bank_mask:0xf
	;; [unrolled: 1-line block ×4, first 2 shown]
	v_cmp_lt_u32_e32 vcc, 31, v112
	s_and_saveexec_b64 s[36:37], vcc
	s_cbranch_execz .LBB231_45
; %bb.44:
	v_mov_b32_e32 v4, v108
	v_mov_b32_e32 v5, v109
	;; [unrolled: 1-line block ×4, first 2 shown]
	s_getpc_b64 s[0:1]
	s_add_u32 s0, s0, _ZZZZN2at6native31launch_logcumsumexp_cuda_kernelERKNS_10TensorBaseES3_lENKUlvE_clEvENKUlvE1_clEvENKUlN3c107complexIdEES8_E_clES8_S8_@rel32@lo+4
	s_addc_u32 s1, s1, _ZZZZN2at6native31launch_logcumsumexp_cuda_kernelERKNS_10TensorBaseES3_lENKUlvE_clEvENKUlvE1_clEvENKUlN3c107complexIdEES8_E_clES8_S8_@rel32@hi+12
	s_swappc_b64 s[30:31], s[0:1]
	v_mov_b32_e32 v108, v0
	v_mov_b32_e32 v109, v1
	;; [unrolled: 1-line block ×4, first 2 shown]
.LBB231_45:
	s_or_b64 exec, exec, s[36:37]
	v_or_b32_e32 v0, 63, v46
	v_lshrrev_b32_e32 v47, 6, v46
	v_cmp_eq_u32_e32 vcc, v0, v46
	s_and_saveexec_b64 s[0:1], vcc
	s_cbranch_execz .LBB231_47
; %bb.46:
	v_lshlrev_b32_e32 v0, 4, v47
	ds_write_b128 v0, v[108:111]
.LBB231_47:
	s_or_b64 exec, exec, s[0:1]
	v_cmp_gt_u32_e32 vcc, 4, v46
	s_waitcnt lgkmcnt(0)
	s_barrier
	s_and_saveexec_b64 s[36:37], vcc
	s_cbranch_execz .LBB231_53
; %bb.48:
	ds_read_b128 v[4:7], v164
	v_and_b32_e32 v104, 3, v112
	v_cmp_ne_u32_e32 vcc, 0, v104
	s_waitcnt lgkmcnt(0)
	v_mov_b32_dpp v0, v4 row_shr:1 row_mask:0xf bank_mask:0xf
	v_mov_b32_dpp v1, v5 row_shr:1 row_mask:0xf bank_mask:0xf
	v_mov_b32_dpp v2, v6 row_shr:1 row_mask:0xf bank_mask:0xf
	v_mov_b32_dpp v3, v7 row_shr:1 row_mask:0xf bank_mask:0xf
	s_and_saveexec_b64 s[38:39], vcc
	s_cbranch_execz .LBB231_50
; %bb.49:
	s_getpc_b64 s[0:1]
	s_add_u32 s0, s0, _ZZZZN2at6native31launch_logcumsumexp_cuda_kernelERKNS_10TensorBaseES3_lENKUlvE_clEvENKUlvE1_clEvENKUlN3c107complexIdEES8_E_clES8_S8_@rel32@lo+4
	s_addc_u32 s1, s1, _ZZZZN2at6native31launch_logcumsumexp_cuda_kernelERKNS_10TensorBaseES3_lENKUlvE_clEvENKUlvE1_clEvENKUlN3c107complexIdEES8_E_clES8_S8_@rel32@hi+12
	s_swappc_b64 s[30:31], s[0:1]
	v_mov_b32_e32 v4, v0
	v_mov_b32_e32 v5, v1
	;; [unrolled: 1-line block ×4, first 2 shown]
.LBB231_50:
	s_or_b64 exec, exec, s[38:39]
	v_mov_b32_dpp v0, v4 row_shr:2 row_mask:0xf bank_mask:0xf
	v_mov_b32_dpp v1, v5 row_shr:2 row_mask:0xf bank_mask:0xf
	;; [unrolled: 1-line block ×4, first 2 shown]
	v_cmp_lt_u32_e32 vcc, 1, v104
	s_and_saveexec_b64 s[38:39], vcc
	s_cbranch_execz .LBB231_52
; %bb.51:
	s_getpc_b64 s[0:1]
	s_add_u32 s0, s0, _ZZZZN2at6native31launch_logcumsumexp_cuda_kernelERKNS_10TensorBaseES3_lENKUlvE_clEvENKUlvE1_clEvENKUlN3c107complexIdEES8_E_clES8_S8_@rel32@lo+4
	s_addc_u32 s1, s1, _ZZZZN2at6native31launch_logcumsumexp_cuda_kernelERKNS_10TensorBaseES3_lENKUlvE_clEvENKUlvE1_clEvENKUlN3c107complexIdEES8_E_clES8_S8_@rel32@hi+12
	s_swappc_b64 s[30:31], s[0:1]
	v_mov_b32_e32 v4, v0
	v_mov_b32_e32 v5, v1
	;; [unrolled: 1-line block ×4, first 2 shown]
.LBB231_52:
	s_or_b64 exec, exec, s[38:39]
	ds_write_b128 v164, v[4:7]
.LBB231_53:
	s_or_b64 exec, exec, s[36:37]
	v_mov_b64_e32 v[106:107], 0
	v_cmp_gt_u32_e64 s[38:39], 64, v46
	v_cmp_lt_u32_e32 vcc, 63, v46
	v_mov_b64_e32 v[104:105], v[106:107]
	s_waitcnt lgkmcnt(0)
	s_barrier
	s_and_saveexec_b64 s[36:37], vcc
	s_cbranch_execz .LBB231_55
; %bb.54:
	v_lshl_add_u32 v0, v47, 4, -16
	ds_read_b128 v[104:107], v0
	v_mov_b32_e32 v4, v108
	v_mov_b32_e32 v5, v109
	;; [unrolled: 1-line block ×4, first 2 shown]
	s_waitcnt lgkmcnt(0)
	v_mov_b32_e32 v0, v104
	v_mov_b32_e32 v1, v105
	;; [unrolled: 1-line block ×4, first 2 shown]
	s_getpc_b64 s[0:1]
	s_add_u32 s0, s0, _ZZZZN2at6native31launch_logcumsumexp_cuda_kernelERKNS_10TensorBaseES3_lENKUlvE_clEvENKUlvE1_clEvENKUlN3c107complexIdEES8_E_clES8_S8_@rel32@lo+4
	s_addc_u32 s1, s1, _ZZZZN2at6native31launch_logcumsumexp_cuda_kernelERKNS_10TensorBaseES3_lENKUlvE_clEvENKUlvE1_clEvENKUlN3c107complexIdEES8_E_clES8_S8_@rel32@hi+12
	s_swappc_b64 s[30:31], s[0:1]
	v_mov_b32_e32 v108, v0
	v_mov_b32_e32 v109, v1
	;; [unrolled: 1-line block ×4, first 2 shown]
.LBB231_55:
	s_or_b64 exec, exec, s[36:37]
	v_add_u32_e32 v0, -1, v112
	v_and_b32_e32 v1, 64, v112
	v_cmp_lt_i32_e32 vcc, v0, v1
	v_cmp_eq_u32_e64 s[36:37], 0, v112
	s_nop 0
	v_cndmask_b32_e32 v0, v0, v112, vcc
	v_lshlrev_b32_e32 v0, 2, v0
	ds_bpermute_b32 v47, v0, v108
	ds_bpermute_b32 v120, v0, v109
	;; [unrolled: 1-line block ×4, first 2 shown]
	s_and_saveexec_b64 s[44:45], s[38:39]
	s_cbranch_execz .LBB231_102
; %bb.56:
	v_mov_b32_e32 v1, 0
	ds_read_b128 v[108:111], v1 offset:48
	s_and_saveexec_b64 s[0:1], s[36:37]
	s_cbranch_execz .LBB231_58
; %bb.57:
	s_add_i32 s2, s33, 64
	s_mov_b32 s3, 0
	s_lshl_b64 s[4:5], s[2:3], 4
	s_add_u32 s4, s52, s4
	s_addc_u32 s5, s53, s5
	v_mov_b32_e32 v0, s2
	v_mov_b32_e32 v2, 1
	s_waitcnt lgkmcnt(0)
	global_store_dword v1, v108, s[4:5] sc1
	global_store_dword v1, v109, s[4:5] offset:4 sc1
	global_store_dword v1, v110, s[4:5] offset:8 sc1
	global_store_dword v1, v111, s[4:5] offset:12 sc1
	s_waitcnt vmcnt(0)
	global_store_byte v0, v2, s[60:61] sc1
.LBB231_58:
	s_or_b64 exec, exec, s[0:1]
	v_xad_u32 v116, v112, -1, s33
	v_add_u32_e32 v0, 64, v116
	global_load_ubyte v123, v0, s[60:61] sc1
	s_waitcnt vmcnt(0)
	v_cmp_eq_u16_e32 vcc, 0, v123
	s_and_saveexec_b64 s[0:1], vcc
	s_cbranch_execz .LBB231_64
; %bb.59:
	v_lshl_add_u64 v[2:3], s[60:61], 0, v[0:1]
	s_mov_b32 s4, 1
	s_mov_b64 s[2:3], 0
.LBB231_60:                             ; =>This Loop Header: Depth=1
                                        ;     Child Loop BB231_61 Depth 2
	s_max_u32 s5, s4, 1
.LBB231_61:                             ;   Parent Loop BB231_60 Depth=1
                                        ; =>  This Inner Loop Header: Depth=2
	s_add_i32 s5, s5, -1
	s_cmp_eq_u32 s5, 0
	s_sleep 1
	s_cbranch_scc0 .LBB231_61
; %bb.62:                               ;   in Loop: Header=BB231_60 Depth=1
	global_load_ubyte v123, v[2:3], off sc1
	s_cmp_lt_u32 s4, 32
	s_cselect_b64 s[6:7], -1, 0
	s_cmp_lg_u64 s[6:7], 0
	s_addc_u32 s4, s4, 0
	s_waitcnt vmcnt(0)
	v_cmp_ne_u16_e32 vcc, 0, v123
	s_or_b64 s[2:3], vcc, s[2:3]
	s_andn2_b64 exec, exec, s[2:3]
	s_cbranch_execnz .LBB231_60
; %bb.63:
	s_or_b64 exec, exec, s[2:3]
.LBB231_64:
	s_or_b64 exec, exec, s[0:1]
	v_mov_b32_e32 v2, s55
	v_mov_b32_e32 v3, s53
	v_cmp_eq_u16_e32 vcc, 1, v123
	v_mov_b32_e32 v4, s52
	s_waitcnt vmcnt(0)
	v_cndmask_b32_e32 v3, v2, v3, vcc
	v_mov_b32_e32 v2, s54
	v_cndmask_b32_e32 v2, v2, v4, vcc
	v_lshl_add_u64 v[0:1], v[0:1], 4, v[2:3]
	s_waitcnt lgkmcnt(0)
	global_load_dword v4, v[0:1], off sc1
	global_load_dword v5, v[0:1], off offset:4 sc1
	global_load_dword v6, v[0:1], off offset:8 sc1
	;; [unrolled: 1-line block ×3, first 2 shown]
	v_cmp_eq_u16_e32 vcc, 2, v123
	v_lshlrev_b64 v[118:119], v112, -1
	v_and_b32_e32 v124, 63, v112
	v_and_b32_e32 v0, vcc_hi, v119
	v_and_b32_e32 v8, vcc_lo, v118
	v_cmp_ne_u32_e32 vcc, 63, v124
	v_or_b32_e32 v0, 0x80000000, v0
	v_ffbl_b32_e32 v9, v0
	v_addc_co_u32_e32 v1, vcc, 0, v112, vcc
	v_lshlrev_b32_e32 v125, 2, v1
	v_add_u32_e32 v9, 32, v9
	v_ffbl_b32_e32 v8, v8
	v_min_u32_e32 v113, v8, v9
	v_cmp_lt_u32_e32 vcc, v124, v113
	s_waitcnt vmcnt(3)
	ds_bpermute_b32 v0, v125, v4
	s_waitcnt vmcnt(2)
	ds_bpermute_b32 v1, v125, v5
	;; [unrolled: 2-line block ×4, first 2 shown]
	s_and_saveexec_b64 s[38:39], vcc
	s_cbranch_execz .LBB231_66
; %bb.65:
	s_getpc_b64 s[0:1]
	s_add_u32 s0, s0, _ZZZZN2at6native31launch_logcumsumexp_cuda_kernelERKNS_10TensorBaseES3_lENKUlvE_clEvENKUlvE1_clEvENKUlN3c107complexIdEES8_E_clES8_S8_@rel32@lo+4
	s_addc_u32 s1, s1, _ZZZZN2at6native31launch_logcumsumexp_cuda_kernelERKNS_10TensorBaseES3_lENKUlvE_clEvENKUlvE1_clEvENKUlN3c107complexIdEES8_E_clES8_S8_@rel32@hi+12
	s_swappc_b64 s[30:31], s[0:1]
	v_mov_b32_e32 v4, v0
	v_mov_b32_e32 v5, v1
	v_mov_b32_e32 v6, v2
	v_mov_b32_e32 v7, v3
.LBB231_66:
	s_or_b64 exec, exec, s[38:39]
	v_cmp_gt_u32_e32 vcc, 62, v124
	v_add_u32_e32 v127, 2, v124
	s_waitcnt lgkmcnt(3)
	v_cndmask_b32_e64 v0, 0, 1, vcc
	v_lshlrev_b32_e32 v0, 1, v0
	v_add_lshl_u32 v126, v0, v112, 2
	ds_bpermute_b32 v0, v126, v4
	s_waitcnt lgkmcnt(3)
	ds_bpermute_b32 v1, v126, v5
	s_waitcnt lgkmcnt(3)
	ds_bpermute_b32 v2, v126, v6
	s_waitcnt lgkmcnt(3)
	ds_bpermute_b32 v3, v126, v7
	v_cmp_le_u32_e32 vcc, v127, v113
	s_and_saveexec_b64 s[38:39], vcc
	s_cbranch_execz .LBB231_68
; %bb.67:
	s_getpc_b64 s[0:1]
	s_add_u32 s0, s0, _ZZZZN2at6native31launch_logcumsumexp_cuda_kernelERKNS_10TensorBaseES3_lENKUlvE_clEvENKUlvE1_clEvENKUlN3c107complexIdEES8_E_clES8_S8_@rel32@lo+4
	s_addc_u32 s1, s1, _ZZZZN2at6native31launch_logcumsumexp_cuda_kernelERKNS_10TensorBaseES3_lENKUlvE_clEvENKUlvE1_clEvENKUlN3c107complexIdEES8_E_clES8_S8_@rel32@hi+12
	s_swappc_b64 s[30:31], s[0:1]
	v_mov_b32_e32 v4, v0
	v_mov_b32_e32 v5, v1
	v_mov_b32_e32 v6, v2
	v_mov_b32_e32 v7, v3
.LBB231_68:
	s_or_b64 exec, exec, s[38:39]
	v_cmp_gt_u32_e32 vcc, 60, v124
	v_add_u32_e32 v129, 4, v124
	s_waitcnt lgkmcnt(3)
	v_cndmask_b32_e64 v0, 0, 1, vcc
	v_lshlrev_b32_e32 v0, 2, v0
	v_add_lshl_u32 v128, v0, v112, 2
	ds_bpermute_b32 v0, v128, v4
	s_waitcnt lgkmcnt(3)
	ds_bpermute_b32 v1, v128, v5
	s_waitcnt lgkmcnt(3)
	ds_bpermute_b32 v2, v128, v6
	s_waitcnt lgkmcnt(3)
	ds_bpermute_b32 v3, v128, v7
	v_cmp_le_u32_e32 vcc, v129, v113
	;; [unrolled: 27-line block ×5, first 2 shown]
	s_and_saveexec_b64 s[38:39], vcc
	s_cbranch_execz .LBB231_76
; %bb.75:
	s_getpc_b64 s[0:1]
	s_add_u32 s0, s0, _ZZZZN2at6native31launch_logcumsumexp_cuda_kernelERKNS_10TensorBaseES3_lENKUlvE_clEvENKUlvE1_clEvENKUlN3c107complexIdEES8_E_clES8_S8_@rel32@lo+4
	s_addc_u32 s1, s1, _ZZZZN2at6native31launch_logcumsumexp_cuda_kernelERKNS_10TensorBaseES3_lENKUlvE_clEvENKUlvE1_clEvENKUlN3c107complexIdEES8_E_clES8_S8_@rel32@hi+12
	s_swappc_b64 s[30:31], s[0:1]
	v_mov_b32_e32 v4, v0
	v_mov_b32_e32 v5, v1
	;; [unrolled: 1-line block ×4, first 2 shown]
.LBB231_76:
	s_or_b64 exec, exec, s[38:39]
	v_mov_b32_e32 v117, 0
	v_mov_b32_e32 v136, 2
	s_branch .LBB231_78
.LBB231_77:                             ;   in Loop: Header=BB231_78 Depth=1
	s_or_b64 exec, exec, s[38:39]
	s_waitcnt lgkmcnt(3)
	v_mov_b32_e32 v0, v4
	s_waitcnt lgkmcnt(2)
	v_mov_b32_e32 v1, v5
	;; [unrolled: 2-line block ×4, first 2 shown]
	v_mov_b32_e32 v4, v112
	v_mov_b32_e32 v5, v113
	;; [unrolled: 1-line block ×4, first 2 shown]
	v_subrev_u32_e32 v116, 64, v116
	s_getpc_b64 s[0:1]
	s_add_u32 s0, s0, _ZZZZN2at6native31launch_logcumsumexp_cuda_kernelERKNS_10TensorBaseES3_lENKUlvE_clEvENKUlvE1_clEvENKUlN3c107complexIdEES8_E_clES8_S8_@rel32@lo+4
	s_addc_u32 s1, s1, _ZZZZN2at6native31launch_logcumsumexp_cuda_kernelERKNS_10TensorBaseES3_lENKUlvE_clEvENKUlvE1_clEvENKUlN3c107complexIdEES8_E_clES8_S8_@rel32@hi+12
	s_swappc_b64 s[30:31], s[0:1]
	v_mov_b32_e32 v4, v0
	v_mov_b32_e32 v5, v1
	;; [unrolled: 1-line block ×4, first 2 shown]
.LBB231_78:                             ; =>This Loop Header: Depth=1
                                        ;     Child Loop BB231_81 Depth 2
                                        ;       Child Loop BB231_82 Depth 3
	v_cmp_ne_u16_sdwa s[0:1], v123, v136 src0_sel:BYTE_0 src1_sel:DWORD
	v_mov_b64_e32 v[114:115], v[6:7]
	v_mov_b64_e32 v[112:113], v[4:5]
	s_waitcnt lgkmcnt(3)
	v_cndmask_b32_e64 v0, 0, 1, s[0:1]
	;;#ASMSTART
	;;#ASMEND
	s_nop 0
	v_cmp_ne_u32_e32 vcc, 0, v0
	s_cmp_lg_u64 vcc, exec
	s_cbranch_scc1 .LBB231_97
; %bb.79:                               ;   in Loop: Header=BB231_78 Depth=1
	global_load_ubyte v123, v116, s[60:61] sc1
	s_waitcnt vmcnt(0)
	v_cmp_eq_u16_e32 vcc, 0, v123
	s_and_saveexec_b64 s[0:1], vcc
	s_cbranch_execz .LBB231_85
; %bb.80:                               ;   in Loop: Header=BB231_78 Depth=1
	s_waitcnt lgkmcnt(2)
	v_lshl_add_u64 v[0:1], s[60:61], 0, v[116:117]
	s_mov_b32 s4, 1
	s_mov_b64 s[2:3], 0
.LBB231_81:                             ;   Parent Loop BB231_78 Depth=1
                                        ; =>  This Loop Header: Depth=2
                                        ;       Child Loop BB231_82 Depth 3
	s_max_u32 s5, s4, 1
.LBB231_82:                             ;   Parent Loop BB231_78 Depth=1
                                        ;     Parent Loop BB231_81 Depth=2
                                        ; =>    This Inner Loop Header: Depth=3
	s_add_i32 s5, s5, -1
	s_cmp_eq_u32 s5, 0
	s_sleep 1
	s_cbranch_scc0 .LBB231_82
; %bb.83:                               ;   in Loop: Header=BB231_81 Depth=2
	global_load_ubyte v123, v[0:1], off sc1
	s_cmp_lt_u32 s4, 32
	s_cselect_b64 s[6:7], -1, 0
	s_cmp_lg_u64 s[6:7], 0
	s_addc_u32 s4, s4, 0
	s_waitcnt vmcnt(0)
	v_cmp_ne_u16_e32 vcc, 0, v123
	s_or_b64 s[2:3], vcc, s[2:3]
	s_andn2_b64 exec, exec, s[2:3]
	s_cbranch_execnz .LBB231_81
; %bb.84:                               ;   in Loop: Header=BB231_78 Depth=1
	s_or_b64 exec, exec, s[2:3]
.LBB231_85:                             ;   in Loop: Header=BB231_78 Depth=1
	s_or_b64 exec, exec, s[0:1]
	v_mov_b32_e32 v0, s55
	s_waitcnt lgkmcnt(2)
	v_mov_b32_e32 v1, s53
	v_cmp_eq_u16_e32 vcc, 1, v123
	s_waitcnt lgkmcnt(1)
	v_mov_b32_e32 v2, s52
	s_waitcnt vmcnt(0)
	v_cndmask_b32_e32 v1, v0, v1, vcc
	v_mov_b32_e32 v0, s54
	v_cndmask_b32_e32 v0, v0, v2, vcc
	v_lshl_add_u64 v[0:1], v[116:117], 4, v[0:1]
	s_waitcnt lgkmcnt(0)
	global_load_dword v4, v[0:1], off sc1
	global_load_dword v5, v[0:1], off offset:4 sc1
	global_load_dword v6, v[0:1], off offset:8 sc1
	;; [unrolled: 1-line block ×3, first 2 shown]
	v_cmp_eq_u16_e32 vcc, 2, v123
	s_waitcnt vmcnt(2)
	ds_bpermute_b32 v1, v125, v5
	v_and_b32_e32 v0, vcc_hi, v119
	v_or_b32_e32 v0, 0x80000000, v0
	v_ffbl_b32_e32 v9, v0
	ds_bpermute_b32 v0, v125, v4
	s_waitcnt vmcnt(1)
	ds_bpermute_b32 v2, v125, v6
	s_waitcnt vmcnt(0)
	ds_bpermute_b32 v3, v125, v7
	v_and_b32_e32 v8, vcc_lo, v118
	v_add_u32_e32 v9, 32, v9
	v_ffbl_b32_e32 v8, v8
	v_min_u32_e32 v137, v8, v9
	v_cmp_lt_u32_e32 vcc, v124, v137
	s_and_saveexec_b64 s[38:39], vcc
	s_cbranch_execz .LBB231_87
; %bb.86:                               ;   in Loop: Header=BB231_78 Depth=1
	s_getpc_b64 s[0:1]
	s_add_u32 s0, s0, _ZZZZN2at6native31launch_logcumsumexp_cuda_kernelERKNS_10TensorBaseES3_lENKUlvE_clEvENKUlvE1_clEvENKUlN3c107complexIdEES8_E_clES8_S8_@rel32@lo+4
	s_addc_u32 s1, s1, _ZZZZN2at6native31launch_logcumsumexp_cuda_kernelERKNS_10TensorBaseES3_lENKUlvE_clEvENKUlvE1_clEvENKUlN3c107complexIdEES8_E_clES8_S8_@rel32@hi+12
	s_swappc_b64 s[30:31], s[0:1]
	v_mov_b32_e32 v4, v0
	v_mov_b32_e32 v5, v1
	;; [unrolled: 1-line block ×4, first 2 shown]
.LBB231_87:                             ;   in Loop: Header=BB231_78 Depth=1
	s_or_b64 exec, exec, s[38:39]
	s_waitcnt lgkmcnt(2)
	ds_bpermute_b32 v0, v126, v4
	ds_bpermute_b32 v1, v126, v5
	s_waitcnt lgkmcnt(3)
	ds_bpermute_b32 v2, v126, v6
	s_waitcnt lgkmcnt(3)
	ds_bpermute_b32 v3, v126, v7
	v_cmp_le_u32_e32 vcc, v127, v137
	s_and_saveexec_b64 s[38:39], vcc
	s_cbranch_execz .LBB231_89
; %bb.88:                               ;   in Loop: Header=BB231_78 Depth=1
	s_getpc_b64 s[0:1]
	s_add_u32 s0, s0, _ZZZZN2at6native31launch_logcumsumexp_cuda_kernelERKNS_10TensorBaseES3_lENKUlvE_clEvENKUlvE1_clEvENKUlN3c107complexIdEES8_E_clES8_S8_@rel32@lo+4
	s_addc_u32 s1, s1, _ZZZZN2at6native31launch_logcumsumexp_cuda_kernelERKNS_10TensorBaseES3_lENKUlvE_clEvENKUlvE1_clEvENKUlN3c107complexIdEES8_E_clES8_S8_@rel32@hi+12
	s_swappc_b64 s[30:31], s[0:1]
	v_mov_b32_e32 v4, v0
	v_mov_b32_e32 v5, v1
	v_mov_b32_e32 v6, v2
	v_mov_b32_e32 v7, v3
.LBB231_89:                             ;   in Loop: Header=BB231_78 Depth=1
	s_or_b64 exec, exec, s[38:39]
	s_waitcnt lgkmcnt(3)
	ds_bpermute_b32 v0, v128, v4
	s_waitcnt lgkmcnt(3)
	ds_bpermute_b32 v1, v128, v5
	s_waitcnt lgkmcnt(3)
	ds_bpermute_b32 v2, v128, v6
	s_waitcnt lgkmcnt(3)
	ds_bpermute_b32 v3, v128, v7
	v_cmp_le_u32_e32 vcc, v129, v137
	s_and_saveexec_b64 s[38:39], vcc
	s_cbranch_execz .LBB231_91
; %bb.90:                               ;   in Loop: Header=BB231_78 Depth=1
	s_getpc_b64 s[0:1]
	s_add_u32 s0, s0, _ZZZZN2at6native31launch_logcumsumexp_cuda_kernelERKNS_10TensorBaseES3_lENKUlvE_clEvENKUlvE1_clEvENKUlN3c107complexIdEES8_E_clES8_S8_@rel32@lo+4
	s_addc_u32 s1, s1, _ZZZZN2at6native31launch_logcumsumexp_cuda_kernelERKNS_10TensorBaseES3_lENKUlvE_clEvENKUlvE1_clEvENKUlN3c107complexIdEES8_E_clES8_S8_@rel32@hi+12
	s_swappc_b64 s[30:31], s[0:1]
	v_mov_b32_e32 v4, v0
	v_mov_b32_e32 v5, v1
	v_mov_b32_e32 v6, v2
	v_mov_b32_e32 v7, v3
.LBB231_91:                             ;   in Loop: Header=BB231_78 Depth=1
	s_or_b64 exec, exec, s[38:39]
	s_waitcnt lgkmcnt(3)
	ds_bpermute_b32 v0, v130, v4
	s_waitcnt lgkmcnt(3)
	;; [unrolled: 22-line block ×4, first 2 shown]
	ds_bpermute_b32 v1, v134, v5
	s_waitcnt lgkmcnt(3)
	ds_bpermute_b32 v2, v134, v6
	s_waitcnt lgkmcnt(3)
	ds_bpermute_b32 v3, v134, v7
	v_cmp_le_u32_e32 vcc, v135, v137
	s_and_saveexec_b64 s[38:39], vcc
	s_cbranch_execz .LBB231_77
; %bb.96:                               ;   in Loop: Header=BB231_78 Depth=1
	s_getpc_b64 s[0:1]
	s_add_u32 s0, s0, _ZZZZN2at6native31launch_logcumsumexp_cuda_kernelERKNS_10TensorBaseES3_lENKUlvE_clEvENKUlvE1_clEvENKUlN3c107complexIdEES8_E_clES8_S8_@rel32@lo+4
	s_addc_u32 s1, s1, _ZZZZN2at6native31launch_logcumsumexp_cuda_kernelERKNS_10TensorBaseES3_lENKUlvE_clEvENKUlvE1_clEvENKUlN3c107complexIdEES8_E_clES8_S8_@rel32@hi+12
	s_swappc_b64 s[30:31], s[0:1]
	v_mov_b32_e32 v4, v0
	v_mov_b32_e32 v5, v1
	;; [unrolled: 1-line block ×4, first 2 shown]
	s_branch .LBB231_77
.LBB231_97:                             ;   in Loop: Header=BB231_78 Depth=1
                                        ; implicit-def: $vgpr6_vgpr7
                                        ; implicit-def: $vgpr4_vgpr5
                                        ; implicit-def: $vgpr123
	s_cbranch_execz .LBB231_78
; %bb.98:
	s_and_saveexec_b64 s[38:39], s[36:37]
	s_cbranch_execz .LBB231_100
; %bb.99:
	v_mov_b32_e32 v0, v112
	s_waitcnt lgkmcnt(2)
	v_mov_b32_e32 v1, v113
	s_waitcnt lgkmcnt(1)
	;; [unrolled: 2-line block ×3, first 2 shown]
	v_mov_b32_e32 v3, v115
	v_mov_b32_e32 v4, v108
	;; [unrolled: 1-line block ×5, first 2 shown]
	s_getpc_b64 s[0:1]
	s_add_u32 s0, s0, _ZZZZN2at6native31launch_logcumsumexp_cuda_kernelERKNS_10TensorBaseES3_lENKUlvE_clEvENKUlvE1_clEvENKUlN3c107complexIdEES8_E_clES8_S8_@rel32@lo+4
	s_addc_u32 s1, s1, _ZZZZN2at6native31launch_logcumsumexp_cuda_kernelERKNS_10TensorBaseES3_lENKUlvE_clEvENKUlvE1_clEvENKUlN3c107complexIdEES8_E_clES8_S8_@rel32@hi+12
	s_swappc_b64 s[30:31], s[0:1]
	s_add_i32 s0, s33, 64
	s_mov_b32 s1, 0
	s_lshl_b64 s[2:3], s[0:1], 4
	s_add_u32 s2, s54, s2
	s_addc_u32 s3, s55, s3
	v_mov_b32_e32 v4, 0
	global_store_dword v4, v0, s[2:3] sc1
	global_store_dword v4, v1, s[2:3] offset:4 sc1
	global_store_dword v4, v2, s[2:3] offset:8 sc1
	;; [unrolled: 1-line block ×3, first 2 shown]
	v_mov_b32_e32 v0, s0
	v_mov_b32_e32 v1, 2
	s_waitcnt vmcnt(0)
	global_store_byte v0, v1, s[60:61] sc1
.LBB231_100:
	s_or_b64 exec, exec, s[38:39]
	v_cmp_eq_u32_e32 vcc, 0, v46
	s_and_b64 exec, exec, vcc
	s_cbranch_execz .LBB231_102
; %bb.101:
	v_mov_b32_e32 v0, 0
	ds_write_b128 v0, v[112:115] offset:48
.LBB231_102:
	s_or_b64 exec, exec, s[44:45]
	v_mov_b32_e32 v0, 0
	s_waitcnt lgkmcnt(0)
	s_barrier
	ds_read_b128 v[108:111], v0 offset:48
	v_cmp_ne_u32_e32 vcc, 0, v46
	v_mov_b64_e32 v[6:7], v[44:45]
	v_mov_b64_e32 v[4:5], v[42:43]
	s_and_saveexec_b64 s[38:39], vcc
	s_cbranch_execz .LBB231_104
; %bb.103:
	v_cndmask_b32_e64 v2, v121, v106, s[36:37]
	v_cndmask_b32_e64 v3, v122, v107, s[36:37]
	;; [unrolled: 1-line block ×4, first 2 shown]
	v_mov_b32_e32 v4, v42
	v_mov_b32_e32 v5, v43
	;; [unrolled: 1-line block ×4, first 2 shown]
	s_getpc_b64 s[0:1]
	s_add_u32 s0, s0, _ZZZZN2at6native31launch_logcumsumexp_cuda_kernelERKNS_10TensorBaseES3_lENKUlvE_clEvENKUlvE1_clEvENKUlN3c107complexIdEES8_E_clES8_S8_@rel32@lo+4
	s_addc_u32 s1, s1, _ZZZZN2at6native31launch_logcumsumexp_cuda_kernelERKNS_10TensorBaseES3_lENKUlvE_clEvENKUlvE1_clEvENKUlN3c107complexIdEES8_E_clES8_S8_@rel32@hi+12
	s_swappc_b64 s[30:31], s[0:1]
	v_mov_b32_e32 v4, v0
	v_mov_b32_e32 v5, v1
	v_mov_b32_e32 v6, v2
	v_mov_b32_e32 v7, v3
.LBB231_104:
	s_or_b64 exec, exec, s[38:39]
	s_waitcnt lgkmcnt(0)
	v_mov_b32_e32 v0, v108
	v_mov_b32_e32 v1, v109
	;; [unrolled: 1-line block ×4, first 2 shown]
	s_getpc_b64 s[36:37]
	s_add_u32 s36, s36, _ZZZZN2at6native31launch_logcumsumexp_cuda_kernelERKNS_10TensorBaseES3_lENKUlvE_clEvENKUlvE1_clEvENKUlN3c107complexIdEES8_E_clES8_S8_@rel32@lo+4
	s_addc_u32 s37, s37, _ZZZZN2at6native31launch_logcumsumexp_cuda_kernelERKNS_10TensorBaseES3_lENKUlvE_clEvENKUlvE1_clEvENKUlN3c107complexIdEES8_E_clES8_S8_@rel32@hi+12
	s_swappc_b64 s[30:31], s[36:37]
	v_mov_b32_e32 v4, v100
	v_mov_b32_e32 v5, v101
	v_mov_b32_e32 v6, v102
	v_mov_b32_e32 v7, v103
	v_mov_b32_e32 v156, v0
	v_mov_b32_e32 v157, v1
	v_mov_b32_e32 v158, v2
	v_mov_b32_e32 v159, v3
	s_swappc_b64 s[30:31], s[36:37]
	v_mov_b32_e32 v4, v96
	v_mov_b32_e32 v5, v97
	v_mov_b32_e32 v6, v98
	v_mov_b32_e32 v7, v99
	v_mov_b32_e32 v104, v0
	v_mov_b32_e32 v105, v1
	v_mov_b32_e32 v106, v2
	v_mov_b32_e32 v107, v3
	;; [unrolled: 9-line block ×13, first 2 shown]
	s_swappc_b64 s[30:31], s[36:37]
	v_mov_b32_e32 v152, v0
	v_mov_b32_e32 v153, v1
	;; [unrolled: 1-line block ×4, first 2 shown]
	s_load_dwordx8 s[44:51], s[34:35], 0x58
	s_branch .LBB231_135
.LBB231_105:
                                        ; implicit-def: $vgpr156_vgpr157
                                        ; implicit-def: $vgpr104_vgpr105
                                        ; implicit-def: $vgpr108_vgpr109
                                        ; implicit-def: $vgpr112_vgpr113
                                        ; implicit-def: $vgpr116_vgpr117
                                        ; implicit-def: $vgpr120_vgpr121
                                        ; implicit-def: $vgpr124_vgpr125
                                        ; implicit-def: $vgpr128_vgpr129
                                        ; implicit-def: $vgpr132_vgpr133
                                        ; implicit-def: $vgpr136_vgpr137
                                        ; implicit-def: $vgpr140_vgpr141
                                        ; implicit-def: $vgpr144_vgpr145
                                        ; implicit-def: $vgpr148_vgpr149
                                        ; implicit-def: $vgpr152_vgpr153
	s_load_dwordx8 s[44:51], s[34:35], 0x58
	s_cbranch_execz .LBB231_135
; %bb.106:
	s_waitcnt lgkmcnt(0)
	s_cmp_lg_u64 s[48:49], 0
	s_cselect_b64 s[0:1], -1, 0
	v_cmp_eq_u32_e32 vcc, 0, v46
	v_cmp_ne_u32_e64 s[34:35], 0, v46
	s_and_b64 s[0:1], vcc, s[0:1]
	s_and_saveexec_b64 s[36:37], s[0:1]
	s_cbranch_execz .LBB231_108
; %bb.107:
	v_mov_b32_e32 v0, 0
	global_load_dwordx4 v[0:3], v0, s[44:45]
	v_mov_b32_e32 v4, v42
	v_mov_b32_e32 v5, v43
	;; [unrolled: 1-line block ×4, first 2 shown]
	s_getpc_b64 s[0:1]
	s_add_u32 s0, s0, _ZZZZN2at6native31launch_logcumsumexp_cuda_kernelERKNS_10TensorBaseES3_lENKUlvE_clEvENKUlvE1_clEvENKUlN3c107complexIdEES8_E_clES8_S8_@rel32@lo+4
	s_addc_u32 s1, s1, _ZZZZN2at6native31launch_logcumsumexp_cuda_kernelERKNS_10TensorBaseES3_lENKUlvE_clEvENKUlvE1_clEvENKUlN3c107complexIdEES8_E_clES8_S8_@rel32@hi+12
	s_swappc_b64 s[30:31], s[0:1]
	v_mov_b32_e32 v42, v0
	v_mov_b32_e32 v43, v1
	v_mov_b32_e32 v44, v2
	v_mov_b32_e32 v45, v3
.LBB231_108:
	s_or_b64 exec, exec, s[36:37]
	v_mov_b32_e32 v0, v42
	v_mov_b32_e32 v1, v43
	;; [unrolled: 1-line block ×8, first 2 shown]
	s_getpc_b64 s[36:37]
	s_add_u32 s36, s36, _ZZZZN2at6native31launch_logcumsumexp_cuda_kernelERKNS_10TensorBaseES3_lENKUlvE_clEvENKUlvE1_clEvENKUlN3c107complexIdEES8_E_clES8_S8_@rel32@lo+4
	s_addc_u32 s37, s37, _ZZZZN2at6native31launch_logcumsumexp_cuda_kernelERKNS_10TensorBaseES3_lENKUlvE_clEvENKUlvE1_clEvENKUlN3c107complexIdEES8_E_clES8_S8_@rel32@hi+12
	s_swappc_b64 s[30:31], s[36:37]
	v_mov_b32_e32 v4, v96
	v_mov_b32_e32 v5, v97
	v_mov_b32_e32 v6, v98
	v_mov_b32_e32 v7, v99
	v_mov_b32_e32 v104, v0
	v_mov_b32_e32 v105, v1
	v_mov_b32_e32 v106, v2
	v_mov_b32_e32 v107, v3
	s_swappc_b64 s[30:31], s[36:37]
	v_mov_b32_e32 v4, v92
	v_mov_b32_e32 v5, v93
	v_mov_b32_e32 v6, v94
	v_mov_b32_e32 v7, v95
	v_mov_b32_e32 v108, v0
	v_mov_b32_e32 v109, v1
	v_mov_b32_e32 v110, v2
	v_mov_b32_e32 v111, v3
	;; [unrolled: 9-line block ×12, first 2 shown]
	s_swappc_b64 s[30:31], s[36:37]
	v_mov_b32_e32 v152, v0
	v_mbcnt_lo_u32_b32 v0, -1, 0
	v_mbcnt_hi_u32_b32 v47, -1, v0
	v_mov_b32_e32 v153, v1
	v_mov_b32_e32 v154, v2
	;; [unrolled: 1-line block ×3, first 2 shown]
	v_and_b32_e32 v160, 15, v47
	v_mov_b32_dpp v4, v152 row_shr:1 row_mask:0xf bank_mask:0xf
	v_mov_b32_dpp v5, v153 row_shr:1 row_mask:0xf bank_mask:0xf
	;; [unrolled: 1-line block ×4, first 2 shown]
	v_cmp_ne_u32_e32 vcc, 0, v160
	v_mov_b64_e32 v[158:159], v[154:155]
	v_mov_b64_e32 v[156:157], v[152:153]
	v_mov_b32_e32 v0, v152
	s_and_saveexec_b64 s[38:39], vcc
	s_cbranch_execz .LBB231_110
; %bb.109:
	v_mov_b32_e32 v0, v4
	v_mov_b32_e32 v1, v5
	;; [unrolled: 1-line block ×8, first 2 shown]
	s_swappc_b64 s[30:31], s[36:37]
	v_mov_b32_e32 v156, v0
	v_mov_b32_e32 v157, v1
	;; [unrolled: 1-line block ×4, first 2 shown]
.LBB231_110:
	s_or_b64 exec, exec, s[38:39]
	v_mov_b32_dpp v4, v0 row_shr:2 row_mask:0xf bank_mask:0xf
	v_mov_b32_dpp v5, v1 row_shr:2 row_mask:0xf bank_mask:0xf
	v_mov_b32_dpp v6, v2 row_shr:2 row_mask:0xf bank_mask:0xf
	v_mov_b32_dpp v7, v3 row_shr:2 row_mask:0xf bank_mask:0xf
	v_cmp_lt_u32_e32 vcc, 1, v160
	s_and_saveexec_b64 s[36:37], vcc
	s_cbranch_execz .LBB231_112
; %bb.111:
	v_mov_b32_e32 v0, v4
	v_mov_b32_e32 v1, v5
	v_mov_b32_e32 v2, v6
	v_mov_b32_e32 v3, v7
	v_mov_b32_e32 v4, v156
	v_mov_b32_e32 v5, v157
	v_mov_b32_e32 v6, v158
	v_mov_b32_e32 v7, v159
	s_getpc_b64 s[0:1]
	s_add_u32 s0, s0, _ZZZZN2at6native31launch_logcumsumexp_cuda_kernelERKNS_10TensorBaseES3_lENKUlvE_clEvENKUlvE1_clEvENKUlN3c107complexIdEES8_E_clES8_S8_@rel32@lo+4
	s_addc_u32 s1, s1, _ZZZZN2at6native31launch_logcumsumexp_cuda_kernelERKNS_10TensorBaseES3_lENKUlvE_clEvENKUlvE1_clEvENKUlN3c107complexIdEES8_E_clES8_S8_@rel32@hi+12
	s_swappc_b64 s[30:31], s[0:1]
	v_mov_b64_e32 v[158:159], v[2:3]
	v_mov_b64_e32 v[156:157], v[0:1]
.LBB231_112:
	s_or_b64 exec, exec, s[36:37]
	v_mov_b32_dpp v4, v0 row_shr:4 row_mask:0xf bank_mask:0xf
	v_mov_b32_dpp v5, v1 row_shr:4 row_mask:0xf bank_mask:0xf
	v_mov_b32_dpp v6, v2 row_shr:4 row_mask:0xf bank_mask:0xf
	v_mov_b32_dpp v7, v3 row_shr:4 row_mask:0xf bank_mask:0xf
	v_cmp_lt_u32_e32 vcc, 3, v160
	s_and_saveexec_b64 s[36:37], vcc
	s_cbranch_execz .LBB231_114
; %bb.113:
	v_mov_b32_e32 v0, v4
	v_mov_b32_e32 v1, v5
	v_mov_b32_e32 v2, v6
	v_mov_b32_e32 v3, v7
	v_mov_b32_e32 v4, v156
	v_mov_b32_e32 v5, v157
	v_mov_b32_e32 v6, v158
	v_mov_b32_e32 v7, v159
	s_getpc_b64 s[0:1]
	s_add_u32 s0, s0, _ZZZZN2at6native31launch_logcumsumexp_cuda_kernelERKNS_10TensorBaseES3_lENKUlvE_clEvENKUlvE1_clEvENKUlN3c107complexIdEES8_E_clES8_S8_@rel32@lo+4
	s_addc_u32 s1, s1, _ZZZZN2at6native31launch_logcumsumexp_cuda_kernelERKNS_10TensorBaseES3_lENKUlvE_clEvENKUlvE1_clEvENKUlN3c107complexIdEES8_E_clES8_S8_@rel32@hi+12
	s_swappc_b64 s[30:31], s[0:1]
	v_mov_b64_e32 v[158:159], v[2:3]
	v_mov_b64_e32 v[156:157], v[0:1]
.LBB231_114:
	;; [unrolled: 24-line block ×3, first 2 shown]
	s_or_b64 exec, exec, s[36:37]
	v_and_b32_e32 v8, 16, v47
	v_mov_b32_dpp v4, v0 row_bcast:15 row_mask:0xf bank_mask:0xf
	v_mov_b32_dpp v5, v1 row_bcast:15 row_mask:0xf bank_mask:0xf
	;; [unrolled: 1-line block ×4, first 2 shown]
	v_cmp_ne_u32_e32 vcc, 0, v8
	s_and_saveexec_b64 s[36:37], vcc
	s_cbranch_execz .LBB231_118
; %bb.117:
	v_mov_b32_e32 v0, v4
	v_mov_b32_e32 v1, v5
	;; [unrolled: 1-line block ×8, first 2 shown]
	s_getpc_b64 s[0:1]
	s_add_u32 s0, s0, _ZZZZN2at6native31launch_logcumsumexp_cuda_kernelERKNS_10TensorBaseES3_lENKUlvE_clEvENKUlvE1_clEvENKUlN3c107complexIdEES8_E_clES8_S8_@rel32@lo+4
	s_addc_u32 s1, s1, _ZZZZN2at6native31launch_logcumsumexp_cuda_kernelERKNS_10TensorBaseES3_lENKUlvE_clEvENKUlvE1_clEvENKUlN3c107complexIdEES8_E_clES8_S8_@rel32@hi+12
	s_swappc_b64 s[30:31], s[0:1]
	v_mov_b32_e32 v156, v0
	v_mov_b32_e32 v157, v1
	;; [unrolled: 1-line block ×4, first 2 shown]
.LBB231_118:
	s_or_b64 exec, exec, s[36:37]
	v_mov_b32_dpp v0, v0 row_bcast:31 row_mask:0xf bank_mask:0xf
	v_mov_b32_dpp v1, v1 row_bcast:31 row_mask:0xf bank_mask:0xf
	;; [unrolled: 1-line block ×4, first 2 shown]
	v_cmp_lt_u32_e32 vcc, 31, v47
	s_and_saveexec_b64 s[36:37], vcc
	s_cbranch_execz .LBB231_120
; %bb.119:
	v_mov_b32_e32 v4, v156
	v_mov_b32_e32 v5, v157
	;; [unrolled: 1-line block ×4, first 2 shown]
	s_getpc_b64 s[0:1]
	s_add_u32 s0, s0, _ZZZZN2at6native31launch_logcumsumexp_cuda_kernelERKNS_10TensorBaseES3_lENKUlvE_clEvENKUlvE1_clEvENKUlN3c107complexIdEES8_E_clES8_S8_@rel32@lo+4
	s_addc_u32 s1, s1, _ZZZZN2at6native31launch_logcumsumexp_cuda_kernelERKNS_10TensorBaseES3_lENKUlvE_clEvENKUlvE1_clEvENKUlN3c107complexIdEES8_E_clES8_S8_@rel32@hi+12
	s_swappc_b64 s[30:31], s[0:1]
	v_mov_b32_e32 v156, v0
	v_mov_b32_e32 v157, v1
	;; [unrolled: 1-line block ×4, first 2 shown]
.LBB231_120:
	s_or_b64 exec, exec, s[36:37]
	v_or_b32_e32 v0, 63, v46
	v_lshrrev_b32_e32 v165, 6, v46
	v_cmp_eq_u32_e32 vcc, v0, v46
	s_and_saveexec_b64 s[0:1], vcc
	s_cbranch_execz .LBB231_122
; %bb.121:
	v_lshlrev_b32_e32 v0, 4, v165
	ds_write_b128 v0, v[156:159]
.LBB231_122:
	s_or_b64 exec, exec, s[0:1]
	v_cmp_gt_u32_e32 vcc, 4, v46
	s_waitcnt lgkmcnt(0)
	s_barrier
	s_and_saveexec_b64 s[36:37], vcc
	s_cbranch_execz .LBB231_128
; %bb.123:
	s_movk_i32 s0, 0xff30
	v_mad_i32_i24 v0, v46, s0, v41
	ds_read_b128 v[4:7], v0
	v_and_b32_e32 v160, 3, v47
	v_cmp_ne_u32_e32 vcc, 0, v160
	s_waitcnt lgkmcnt(0)
	v_mov_b32_dpp v0, v4 row_shr:1 row_mask:0xf bank_mask:0xf
	v_mov_b32_dpp v1, v5 row_shr:1 row_mask:0xf bank_mask:0xf
	;; [unrolled: 1-line block ×4, first 2 shown]
	s_and_saveexec_b64 s[38:39], vcc
	s_cbranch_execz .LBB231_125
; %bb.124:
	s_getpc_b64 s[0:1]
	s_add_u32 s0, s0, _ZZZZN2at6native31launch_logcumsumexp_cuda_kernelERKNS_10TensorBaseES3_lENKUlvE_clEvENKUlvE1_clEvENKUlN3c107complexIdEES8_E_clES8_S8_@rel32@lo+4
	s_addc_u32 s1, s1, _ZZZZN2at6native31launch_logcumsumexp_cuda_kernelERKNS_10TensorBaseES3_lENKUlvE_clEvENKUlvE1_clEvENKUlN3c107complexIdEES8_E_clES8_S8_@rel32@hi+12
	s_swappc_b64 s[30:31], s[0:1]
	v_mov_b32_e32 v4, v0
	v_mov_b32_e32 v5, v1
	;; [unrolled: 1-line block ×4, first 2 shown]
.LBB231_125:
	s_or_b64 exec, exec, s[38:39]
	v_mul_i32_i24_e32 v161, 0xffffff30, v46
	v_mov_b32_dpp v0, v4 row_shr:2 row_mask:0xf bank_mask:0xf
	v_mov_b32_dpp v1, v5 row_shr:2 row_mask:0xf bank_mask:0xf
	;; [unrolled: 1-line block ×4, first 2 shown]
	v_cmp_lt_u32_e32 vcc, 1, v160
	s_and_saveexec_b64 s[38:39], vcc
	s_cbranch_execz .LBB231_127
; %bb.126:
	s_getpc_b64 s[0:1]
	s_add_u32 s0, s0, _ZZZZN2at6native31launch_logcumsumexp_cuda_kernelERKNS_10TensorBaseES3_lENKUlvE_clEvENKUlvE1_clEvENKUlN3c107complexIdEES8_E_clES8_S8_@rel32@lo+4
	s_addc_u32 s1, s1, _ZZZZN2at6native31launch_logcumsumexp_cuda_kernelERKNS_10TensorBaseES3_lENKUlvE_clEvENKUlvE1_clEvENKUlN3c107complexIdEES8_E_clES8_S8_@rel32@hi+12
	s_swappc_b64 s[30:31], s[0:1]
	v_mov_b32_e32 v4, v0
	v_mov_b32_e32 v5, v1
	;; [unrolled: 1-line block ×4, first 2 shown]
.LBB231_127:
	s_or_b64 exec, exec, s[38:39]
	v_add_u32_e32 v0, v41, v161
	ds_write_b128 v0, v[4:7]
.LBB231_128:
	s_or_b64 exec, exec, s[36:37]
	v_mov_b64_e32 v[162:163], 0
	v_cmp_lt_u32_e32 vcc, 63, v46
	v_mov_b64_e32 v[160:161], v[162:163]
	s_waitcnt lgkmcnt(0)
	s_barrier
	s_and_saveexec_b64 s[36:37], vcc
	s_cbranch_execz .LBB231_130
; %bb.129:
	v_lshl_add_u32 v0, v165, 4, -16
	ds_read_b128 v[160:163], v0
	v_mov_b32_e32 v4, v156
	v_mov_b32_e32 v5, v157
	;; [unrolled: 1-line block ×4, first 2 shown]
	s_waitcnt lgkmcnt(0)
	v_mov_b32_e32 v0, v160
	v_mov_b32_e32 v1, v161
	;; [unrolled: 1-line block ×4, first 2 shown]
	s_getpc_b64 s[0:1]
	s_add_u32 s0, s0, _ZZZZN2at6native31launch_logcumsumexp_cuda_kernelERKNS_10TensorBaseES3_lENKUlvE_clEvENKUlvE1_clEvENKUlN3c107complexIdEES8_E_clES8_S8_@rel32@lo+4
	s_addc_u32 s1, s1, _ZZZZN2at6native31launch_logcumsumexp_cuda_kernelERKNS_10TensorBaseES3_lENKUlvE_clEvENKUlvE1_clEvENKUlN3c107complexIdEES8_E_clES8_S8_@rel32@hi+12
	s_swappc_b64 s[30:31], s[0:1]
	v_mov_b32_e32 v156, v0
	v_mov_b32_e32 v157, v1
	;; [unrolled: 1-line block ×4, first 2 shown]
.LBB231_130:
	s_or_b64 exec, exec, s[36:37]
	v_add_u32_e32 v0, -1, v47
	v_and_b32_e32 v1, 64, v47
	v_cmp_lt_i32_e32 vcc, v0, v1
	s_nop 1
	v_cndmask_b32_e32 v0, v0, v47, vcc
	v_lshlrev_b32_e32 v3, 2, v0
	ds_bpermute_b32 v0, v3, v156
	ds_bpermute_b32 v1, v3, v157
	ds_bpermute_b32 v2, v3, v158
	ds_bpermute_b32 v3, v3, v159
	s_and_saveexec_b64 s[36:37], s[34:35]
	s_cbranch_execz .LBB231_132
; %bb.131:
	v_cmp_eq_u32_e32 vcc, 0, v47
	v_mov_b32_e32 v4, v42
	v_mov_b32_e32 v5, v43
	s_waitcnt lgkmcnt(3)
	v_cndmask_b32_e32 v0, v0, v160, vcc
	s_waitcnt lgkmcnt(2)
	v_cndmask_b32_e32 v1, v1, v161, vcc
	;; [unrolled: 2-line block ×4, first 2 shown]
	v_mov_b32_e32 v6, v44
	v_mov_b32_e32 v7, v45
	s_getpc_b64 s[34:35]
	s_add_u32 s34, s34, _ZZZZN2at6native31launch_logcumsumexp_cuda_kernelERKNS_10TensorBaseES3_lENKUlvE_clEvENKUlvE1_clEvENKUlN3c107complexIdEES8_E_clES8_S8_@rel32@lo+4
	s_addc_u32 s35, s35, _ZZZZN2at6native31launch_logcumsumexp_cuda_kernelERKNS_10TensorBaseES3_lENKUlvE_clEvENKUlvE1_clEvENKUlN3c107complexIdEES8_E_clES8_S8_@rel32@hi+12
	s_swappc_b64 s[30:31], s[34:35]
	v_mov_b32_e32 v4, v100
	v_mov_b32_e32 v5, v101
	;; [unrolled: 1-line block ×8, first 2 shown]
	;;#ASMSTART
	;;#ASMEND
	s_swappc_b64 s[30:31], s[34:35]
	v_mov_b32_e32 v4, v96
	v_mov_b32_e32 v5, v97
	v_mov_b32_e32 v6, v98
	v_mov_b32_e32 v7, v99
	v_mov_b32_e32 v104, v0
	v_mov_b32_e32 v105, v1
	v_mov_b32_e32 v106, v2
	v_mov_b32_e32 v107, v3
	s_swappc_b64 s[30:31], s[34:35]
	v_mov_b32_e32 v4, v92
	v_mov_b32_e32 v5, v93
	v_mov_b32_e32 v6, v94
	v_mov_b32_e32 v7, v95
	v_mov_b32_e32 v108, v0
	v_mov_b32_e32 v109, v1
	v_mov_b32_e32 v110, v2
	v_mov_b32_e32 v111, v3
	;; [unrolled: 9-line block ×12, first 2 shown]
	s_swappc_b64 s[30:31], s[34:35]
	v_mov_b32_e32 v152, v0
	v_mov_b32_e32 v153, v1
	;; [unrolled: 1-line block ×4, first 2 shown]
.LBB231_132:
	s_or_b64 exec, exec, s[36:37]
	s_movk_i32 s0, 0xff
	v_cmp_eq_u32_e32 vcc, s0, v46
	s_and_saveexec_b64 s[0:1], vcc
	s_cbranch_execz .LBB231_134
; %bb.133:
	s_waitcnt lgkmcnt(3)
	v_mov_b32_e32 v0, 0
	s_waitcnt lgkmcnt(2)
	v_mov_b32_e32 v1, 2
	global_store_dword v0, v152, s[54:55] offset:1024 sc1
	global_store_dword v0, v153, s[54:55] offset:1028 sc1
	;; [unrolled: 1-line block ×4, first 2 shown]
	s_waitcnt vmcnt(0) lgkmcnt(0)
	global_store_byte v0, v1, s[60:61] offset:64 sc1
.LBB231_134:
	s_or_b64 exec, exec, s[0:1]
	v_mov_b64_e32 v[156:157], v[42:43]
	v_mov_b64_e32 v[158:159], v[44:45]
.LBB231_135:
	s_add_u32 s0, s40, s56
	s_addc_u32 s1, s41, s57
	s_add_u32 s0, s0, s58
	s_addc_u32 s1, s1, s59
	s_mov_b64 s[2:3], -1
	s_and_b64 vcc, exec, s[42:43]
	s_waitcnt lgkmcnt(0)
	s_barrier
	s_cbranch_vccz .LBB231_137
; %bb.136:
	v_mov_b32_e32 v165, 0
	ds_write_b128 v41, v[156:159]
	ds_write_b128 v41, v[104:107] offset:16
	ds_write_b128 v41, v[108:111] offset:32
	;; [unrolled: 1-line block ×13, first 2 shown]
	s_waitcnt lgkmcnt(0)
	s_barrier
	ds_read_b128 v[0:3], v164
	ds_read_b128 v[4:7], v164 offset:4096
	ds_read_b128 v[8:11], v164 offset:8192
	;; [unrolled: 1-line block ×13, first 2 shown]
	v_lshl_add_u64 v[60:61], s[0:1], 0, v[164:165]
	s_movk_i32 s2, 0x2000
	s_waitcnt lgkmcnt(13)
	global_store_dwordx4 v164, v[0:3], s[0:1]
	s_nop 1
	v_add_co_u32_e32 v0, vcc, s2, v60
	s_movk_i32 s2, 0x4000
	s_nop 0
	v_addc_co_u32_e32 v1, vcc, 0, v61, vcc
	s_waitcnt lgkmcnt(12)
	global_store_dwordx4 v[0:1], v[4:7], off offset:-4096
	s_waitcnt lgkmcnt(11)
	global_store_dwordx4 v[0:1], v[8:11], off
	v_add_co_u32_e32 v0, vcc, s2, v60
	s_movk_i32 s2, 0x6000
	s_nop 0
	v_addc_co_u32_e32 v1, vcc, 0, v61, vcc
	s_waitcnt lgkmcnt(10)
	global_store_dwordx4 v[0:1], v[12:15], off offset:-4096
	s_waitcnt lgkmcnt(9)
	global_store_dwordx4 v[0:1], v[16:19], off
	v_add_co_u32_e32 v0, vcc, s2, v60
	s_mov_b32 s2, 0x8000
	s_nop 0
	v_addc_co_u32_e32 v1, vcc, 0, v61, vcc
	s_waitcnt lgkmcnt(8)
	global_store_dwordx4 v[0:1], v[20:23], off offset:-4096
	s_waitcnt lgkmcnt(7)
	global_store_dwordx4 v[0:1], v[24:27], off
	v_add_co_u32_e32 v0, vcc, s2, v60
	s_mov_b32 s2, 0xa000
	s_nop 0
	v_addc_co_u32_e32 v1, vcc, 0, v61, vcc
	s_waitcnt lgkmcnt(6)
	global_store_dwordx4 v[0:1], v[28:31], off offset:-4096
	s_waitcnt lgkmcnt(5)
	global_store_dwordx4 v[0:1], v[32:35], off
	v_add_co_u32_e32 v0, vcc, s2, v60
	s_mov_b64 s[2:3], 0
	s_nop 0
	v_addc_co_u32_e32 v1, vcc, 0, v61, vcc
	s_waitcnt lgkmcnt(4)
	global_store_dwordx4 v[0:1], v[36:39], off offset:-4096
	s_waitcnt lgkmcnt(3)
	global_store_dwordx4 v[0:1], v[42:45], off
	v_add_co_u32_e32 v0, vcc, 0xb000, v60
	s_nop 1
	v_addc_co_u32_e32 v1, vcc, 0, v61, vcc
	s_waitcnt lgkmcnt(2)
	global_store_dwordx4 v[0:1], v[48:51], off
	v_add_co_u32_e32 v0, vcc, 0xc000, v60
	s_nop 1
	v_addc_co_u32_e32 v1, vcc, 0, v61, vcc
	;; [unrolled: 5-line block ×3, first 2 shown]
	s_waitcnt lgkmcnt(0)
	global_store_dwordx4 v[0:1], v[56:59], off
.LBB231_137:
	s_andn2_b64 vcc, exec, s[2:3]
	s_cbranch_vccnz .LBB231_217
; %bb.138:
	ds_write_b128 v41, v[156:159]
	ds_write_b128 v41, v[104:107] offset:16
	ds_write_b128 v41, v[108:111] offset:32
	;; [unrolled: 1-line block ×13, first 2 shown]
	s_waitcnt lgkmcnt(0)
	s_barrier
	ds_read_b128 v[4:7], v164
	ds_read_b128 v[0:3], v164 offset:4096
	ds_read_b128 v[8:11], v164 offset:8192
	ds_read_b128 v[12:15], v164 offset:12288
	ds_read_b128 v[20:23], v164 offset:16384
	ds_read_b128 v[16:19], v164 offset:20480
	ds_read_b128 v[32:35], v164 offset:24576
	ds_read_b128 v[36:39], v164 offset:28672
	ds_read_b128 v[28:31], v164 offset:32768
	ds_read_b128 v[40:43], v164 offset:36864
	ds_read_b128 v[24:27], v164 offset:40960
	ds_read_b128 v[48:51], v164 offset:45056
	ds_read_b128 v[52:55], v164 offset:49152
	ds_read_b128 v[56:59], v164 offset:53248
	v_mov_b32_e32 v165, 0
	v_lshl_add_u64 v[44:45], s[0:1], 0, v[164:165]
	v_cmp_gt_u32_e32 vcc, s62, v46
	s_and_saveexec_b64 s[0:1], vcc
	s_cbranch_execz .LBB231_140
; %bb.139:
	s_waitcnt lgkmcnt(13)
	global_store_dwordx4 v[44:45], v[4:7], off
.LBB231_140:
	s_or_b64 exec, exec, s[0:1]
	v_or_b32_e32 v47, 0x100, v46
	v_cmp_gt_u32_e32 vcc, s62, v47
	s_and_saveexec_b64 s[0:1], vcc
	s_cbranch_execz .LBB231_142
; %bb.141:
	v_add_co_u32_e32 v60, vcc, 0x1000, v44
	s_nop 1
	v_addc_co_u32_e32 v61, vcc, 0, v45, vcc
	s_waitcnt lgkmcnt(12)
	global_store_dwordx4 v[60:61], v[0:3], off
.LBB231_142:
	s_or_b64 exec, exec, s[0:1]
	v_or_b32_e32 v47, 0x200, v46
	v_cmp_gt_u32_e32 vcc, s62, v47
	s_and_saveexec_b64 s[0:1], vcc
	s_cbranch_execz .LBB231_144
; %bb.143:
	v_add_co_u32_e32 v60, vcc, 0x2000, v44
	s_nop 1
	v_addc_co_u32_e32 v61, vcc, 0, v45, vcc
	s_waitcnt lgkmcnt(11)
	global_store_dwordx4 v[60:61], v[8:11], off
.LBB231_144:
	;; [unrolled: 12-line block ×13, first 2 shown]
	s_or_b64 exec, exec, s[0:1]
	v_cmp_lt_u64_e64 s[0:1], s[50:51], 2
	s_and_b64 vcc, exec, s[0:1]
	s_cbranch_vccnz .LBB231_217
; %bb.167:
	s_add_u32 s0, s62, -1
	s_addc_u32 s1, s63, -1
	s_add_u32 s2, 0, 0x49240800
	s_addc_u32 s3, 0, 50
	s_add_i32 s3, s3, 0x12492460
	s_mul_hi_u32 s7, s2, -14
	s_sub_i32 s7, s7, s2
	s_mul_i32 s8, s3, -14
	s_mul_i32 s4, s2, -14
	s_add_i32 s7, s7, s8
	s_mul_hi_u32 s5, s3, s4
	s_mul_i32 s6, s3, s4
	s_mul_i32 s9, s2, s7
	s_mul_hi_u32 s4, s2, s4
	s_mul_hi_u32 s8, s2, s7
	s_add_u32 s4, s4, s9
	s_addc_u32 s8, 0, s8
	s_add_u32 s4, s4, s6
	s_mul_hi_u32 s9, s3, s7
	s_addc_u32 s4, s8, s5
	s_addc_u32 s5, s9, 0
	s_mul_i32 s6, s3, s7
	s_add_u32 s4, s4, s6
	v_mov_b32_e32 v44, s4
	s_addc_u32 s5, 0, s5
	v_add_co_u32_e32 v44, vcc, s2, v44
	s_cmp_lg_u64 vcc, 0
	s_addc_u32 s2, s3, s5
	v_readfirstlane_b32 s5, v44
	s_mul_i32 s4, s0, s2
	s_mul_hi_u32 s6, s0, s5
	s_mul_hi_u32 s3, s0, s2
	s_add_u32 s4, s6, s4
	s_addc_u32 s3, 0, s3
	s_mul_hi_u32 s7, s1, s5
	s_mul_i32 s5, s1, s5
	s_add_u32 s4, s4, s5
	s_mul_hi_u32 s6, s1, s2
	s_addc_u32 s3, s3, s7
	s_addc_u32 s4, s6, 0
	s_mul_i32 s2, s1, s2
	s_add_u32 s2, s3, s2
	s_addc_u32 s3, 0, s4
	s_add_u32 s4, s2, 1
	s_addc_u32 s5, s3, 0
	s_add_u32 s6, s2, 2
	s_mul_i32 s8, s3, 14
	s_mul_hi_u32 s9, s2, 14
	s_addc_u32 s7, s3, 0
	s_add_i32 s9, s9, s8
	s_mul_i32 s8, s2, 14
	v_mov_b32_e32 v44, s8
	v_sub_co_u32_e32 v44, vcc, s0, v44
	s_cmp_lg_u64 vcc, 0
	s_subb_u32 s8, s1, s9
	v_subrev_co_u32_e32 v45, vcc, 14, v44
	s_cmp_lg_u64 vcc, 0
	s_subb_u32 s9, s8, 0
	v_readfirstlane_b32 s10, v45
	s_cmp_gt_u32 s10, 13
	s_cselect_b32 s10, -1, 0
	s_cmp_eq_u32 s9, 0
	s_cselect_b32 s9, s10, -1
	s_cmp_lg_u32 s9, 0
	s_cselect_b32 s4, s6, s4
	v_readfirstlane_b32 s6, v44
	s_cselect_b32 s5, s7, s5
	s_cmp_gt_u32 s6, 13
	s_cselect_b32 s6, -1, 0
	s_cmp_eq_u32 s8, 0
	s_cselect_b32 s6, s6, -1
	s_cmp_lg_u32 s6, 0
	v_mov_b32_e32 v47, v165
	s_cselect_b32 s3, s5, s3
	s_cselect_b32 s2, s4, s2
	v_cmp_eq_u64_e32 vcc, s[2:3], v[46:47]
	s_and_saveexec_b64 s[2:3], vcc
	s_cbranch_execz .LBB231_217
; %bb.168:
	v_mul_hi_u32_u24_e32 v45, 14, v46
	v_mov_b32_e32 v46, s1
	v_sub_co_u32_e32 v44, vcc, s0, v166
	s_nop 1
	v_subb_co_u32_e32 v45, vcc, v46, v45, vcc
	v_cmp_lt_i64_e32 vcc, 6, v[44:45]
	s_and_saveexec_b64 s[0:1], vcc
	s_xor_b64 s[0:1], exec, s[0:1]
	s_cbranch_execz .LBB231_194
; %bb.169:
	v_cmp_lt_i64_e32 vcc, 9, v[44:45]
	s_and_saveexec_b64 s[2:3], vcc
	s_xor_b64 s[2:3], exec, s[2:3]
	s_cbranch_execz .LBB231_183
; %bb.170:
	;; [unrolled: 5-line block ×4, first 2 shown]
	s_waitcnt lgkmcnt(12)
	v_mov_b32_e32 v0, 0
	s_waitcnt lgkmcnt(0)
	global_store_dwordx4 v0, v[56:59], s[46:47]
                                        ; implicit-def: $vgpr52_vgpr53_vgpr54_vgpr55
.LBB231_173:
	s_andn2_saveexec_b64 s[6:7], s[6:7]
	s_cbranch_execz .LBB231_175
; %bb.174:
	s_waitcnt lgkmcnt(12)
	v_mov_b32_e32 v0, 0
	s_waitcnt lgkmcnt(1)
	global_store_dwordx4 v0, v[52:55], s[46:47]
.LBB231_175:
	s_or_b64 exec, exec, s[6:7]
                                        ; implicit-def: $vgpr24_vgpr25_vgpr26_vgpr27
                                        ; implicit-def: $vgpr44_vgpr45
                                        ; implicit-def: $vgpr48_vgpr49_vgpr50_vgpr51
.LBB231_176:
	s_andn2_saveexec_b64 s[4:5], s[4:5]
	s_cbranch_execz .LBB231_182
; %bb.177:
	v_cmp_lt_i64_e32 vcc, 10, v[44:45]
	s_and_saveexec_b64 s[6:7], vcc
	s_xor_b64 s[6:7], exec, s[6:7]
	s_cbranch_execz .LBB231_179
; %bb.178:
	s_waitcnt lgkmcnt(12)
	v_mov_b32_e32 v0, 0
	s_waitcnt lgkmcnt(2)
	global_store_dwordx4 v0, v[48:51], s[46:47]
                                        ; implicit-def: $vgpr24_vgpr25_vgpr26_vgpr27
.LBB231_179:
	s_andn2_saveexec_b64 s[6:7], s[6:7]
	s_cbranch_execz .LBB231_181
; %bb.180:
	s_waitcnt lgkmcnt(12)
	v_mov_b32_e32 v0, 0
	s_waitcnt lgkmcnt(3)
	global_store_dwordx4 v0, v[24:27], s[46:47]
.LBB231_181:
	s_or_b64 exec, exec, s[6:7]
.LBB231_182:
	s_or_b64 exec, exec, s[4:5]
                                        ; implicit-def: $vgpr36_vgpr37_vgpr38_vgpr39
                                        ; implicit-def: $vgpr44_vgpr45
                                        ; implicit-def: $vgpr28_vgpr29_vgpr30_vgpr31
                                        ; implicit-def: $vgpr40_vgpr41_vgpr42_vgpr43
.LBB231_183:
	s_andn2_saveexec_b64 s[2:3], s[2:3]
	s_cbranch_execz .LBB231_193
; %bb.184:
	v_cmp_lt_i64_e32 vcc, 7, v[44:45]
	s_and_saveexec_b64 s[4:5], vcc
	s_xor_b64 s[4:5], exec, s[4:5]
	s_cbranch_execz .LBB231_190
; %bb.185:
	v_cmp_lt_i64_e32 vcc, 8, v[44:45]
	s_and_saveexec_b64 s[6:7], vcc
	s_xor_b64 s[6:7], exec, s[6:7]
	s_cbranch_execz .LBB231_187
; %bb.186:
	s_waitcnt lgkmcnt(12)
	v_mov_b32_e32 v0, 0
	s_waitcnt lgkmcnt(4)
	global_store_dwordx4 v0, v[40:43], s[46:47]
                                        ; implicit-def: $vgpr28_vgpr29_vgpr30_vgpr31
.LBB231_187:
	s_andn2_saveexec_b64 s[6:7], s[6:7]
	s_cbranch_execz .LBB231_189
; %bb.188:
	s_waitcnt lgkmcnt(12)
	v_mov_b32_e32 v0, 0
	s_waitcnt lgkmcnt(5)
	global_store_dwordx4 v0, v[28:31], s[46:47]
.LBB231_189:
	s_or_b64 exec, exec, s[6:7]
                                        ; implicit-def: $vgpr36_vgpr37_vgpr38_vgpr39
.LBB231_190:
	s_andn2_saveexec_b64 s[4:5], s[4:5]
	s_cbranch_execz .LBB231_192
; %bb.191:
	s_waitcnt lgkmcnt(12)
	v_mov_b32_e32 v0, 0
	s_waitcnt lgkmcnt(6)
	global_store_dwordx4 v0, v[36:39], s[46:47]
.LBB231_192:
	s_or_b64 exec, exec, s[4:5]
.LBB231_193:
	s_or_b64 exec, exec, s[2:3]
                                        ; implicit-def: $vgpr44_vgpr45
                                        ; implicit-def: $vgpr20_vgpr21_vgpr22_vgpr23
                                        ; implicit-def: $vgpr0_vgpr1_vgpr2_vgpr3
                                        ; implicit-def: $vgpr8_vgpr9_vgpr10_vgpr11
                                        ; implicit-def: $vgpr4_vgpr5_vgpr6_vgpr7
                                        ; implicit-def: $vgpr16_vgpr17_vgpr18_vgpr19
                                        ; implicit-def: $vgpr12_vgpr13_vgpr14_vgpr15
                                        ; implicit-def: $vgpr32_vgpr33_vgpr34_vgpr35
.LBB231_194:
	s_andn2_saveexec_b64 s[0:1], s[0:1]
	s_cbranch_execz .LBB231_217
; %bb.195:
	v_cmp_lt_i64_e32 vcc, 3, v[44:45]
	s_and_saveexec_b64 s[0:1], vcc
	s_xor_b64 s[0:1], exec, s[0:1]
	s_cbranch_execz .LBB231_205
; %bb.196:
	v_cmp_lt_i64_e32 vcc, 4, v[44:45]
	s_and_saveexec_b64 s[2:3], vcc
	s_xor_b64 s[2:3], exec, s[2:3]
	;; [unrolled: 5-line block ×3, first 2 shown]
	s_cbranch_execz .LBB231_199
; %bb.198:
	s_waitcnt lgkmcnt(12)
	v_mov_b32_e32 v0, 0
	s_waitcnt lgkmcnt(7)
	global_store_dwordx4 v0, v[32:35], s[46:47]
                                        ; implicit-def: $vgpr16_vgpr17_vgpr18_vgpr19
.LBB231_199:
	s_andn2_saveexec_b64 s[4:5], s[4:5]
	s_cbranch_execz .LBB231_201
; %bb.200:
	s_waitcnt lgkmcnt(12)
	v_mov_b32_e32 v0, 0
	s_waitcnt lgkmcnt(8)
	global_store_dwordx4 v0, v[16:19], s[46:47]
.LBB231_201:
	s_or_b64 exec, exec, s[4:5]
                                        ; implicit-def: $vgpr20_vgpr21_vgpr22_vgpr23
.LBB231_202:
	s_andn2_saveexec_b64 s[2:3], s[2:3]
	s_cbranch_execz .LBB231_204
; %bb.203:
	s_waitcnt lgkmcnt(12)
	v_mov_b32_e32 v0, 0
	s_waitcnt lgkmcnt(9)
	global_store_dwordx4 v0, v[20:23], s[46:47]
.LBB231_204:
	s_or_b64 exec, exec, s[2:3]
                                        ; implicit-def: $vgpr44_vgpr45
                                        ; implicit-def: $vgpr0_vgpr1_vgpr2_vgpr3
                                        ; implicit-def: $vgpr8_vgpr9_vgpr10_vgpr11
                                        ; implicit-def: $vgpr4_vgpr5_vgpr6_vgpr7
                                        ; implicit-def: $vgpr12_vgpr13_vgpr14_vgpr15
.LBB231_205:
	s_andn2_saveexec_b64 s[0:1], s[0:1]
	s_cbranch_execz .LBB231_217
; %bb.206:
	v_cmp_lt_i64_e32 vcc, 1, v[44:45]
	s_and_saveexec_b64 s[0:1], vcc
	s_xor_b64 s[0:1], exec, s[0:1]
	s_cbranch_execz .LBB231_212
; %bb.207:
	v_cmp_lt_i64_e32 vcc, 2, v[44:45]
	s_and_saveexec_b64 s[2:3], vcc
	s_xor_b64 s[2:3], exec, s[2:3]
	s_cbranch_execz .LBB231_209
; %bb.208:
	s_waitcnt lgkmcnt(12)
	v_mov_b32_e32 v0, 0
	s_waitcnt lgkmcnt(10)
	global_store_dwordx4 v0, v[12:15], s[46:47]
                                        ; implicit-def: $vgpr8_vgpr9_vgpr10_vgpr11
.LBB231_209:
	s_andn2_saveexec_b64 s[2:3], s[2:3]
	s_cbranch_execz .LBB231_211
; %bb.210:
	s_waitcnt lgkmcnt(12)
	v_mov_b32_e32 v0, 0
	s_waitcnt lgkmcnt(11)
	global_store_dwordx4 v0, v[8:11], s[46:47]
.LBB231_211:
	s_or_b64 exec, exec, s[2:3]
                                        ; implicit-def: $vgpr0_vgpr1_vgpr2_vgpr3
                                        ; implicit-def: $vgpr44_vgpr45
                                        ; implicit-def: $vgpr4_vgpr5_vgpr6_vgpr7
.LBB231_212:
	s_andn2_saveexec_b64 s[0:1], s[0:1]
	s_cbranch_execz .LBB231_217
; %bb.213:
	v_cmp_ne_u64_e32 vcc, 1, v[44:45]
	s_and_saveexec_b64 s[0:1], vcc
	s_xor_b64 s[0:1], exec, s[0:1]
	s_cbranch_execz .LBB231_215
; %bb.214:
	s_waitcnt lgkmcnt(12)
	v_mov_b32_e32 v0, 0
	global_store_dwordx4 v0, v[4:7], s[46:47]
                                        ; implicit-def: $vgpr0_vgpr1_vgpr2_vgpr3
.LBB231_215:
	s_andn2_saveexec_b64 s[0:1], s[0:1]
	s_cbranch_execz .LBB231_217
; %bb.216:
	s_waitcnt lgkmcnt(13)
	v_mov_b32_e32 v4, 0
	s_waitcnt lgkmcnt(12)
	global_store_dwordx4 v4, v[0:3], s[46:47]
.LBB231_217:
	s_endpgm
	.section	.rodata,"a",@progbits
	.p2align	6, 0x0
	.amdhsa_kernel _ZN7rocprim17ROCPRIM_400000_NS6detail17trampoline_kernelINS0_14default_configENS1_20scan_config_selectorIN3c107complexIdEEEEZZNS1_9scan_implILNS1_25lookback_scan_determinismE0ELb0ELb0ES3_PKS7_PS7_S7_ZZZN2at6native31launch_logcumsumexp_cuda_kernelERKNSE_10TensorBaseESI_lENKUlvE_clEvENKUlvE1_clEvEUlS7_S7_E_S7_EEDaPvRmT3_T4_T5_mT6_P12ihipStream_tbENKUlT_T0_E_clISt17integral_constantIbLb1EESY_IbLb0EEEEDaSU_SV_EUlSU_E_NS1_11comp_targetILNS1_3genE5ELNS1_11target_archE942ELNS1_3gpuE9ELNS1_3repE0EEENS1_30default_config_static_selectorELNS0_4arch9wavefront6targetE1EEEvT1_
		.amdhsa_group_segment_fixed_size 57344
		.amdhsa_private_segment_fixed_size 8
		.amdhsa_kernarg_size 128
		.amdhsa_user_sgpr_count 2
		.amdhsa_user_sgpr_dispatch_ptr 0
		.amdhsa_user_sgpr_queue_ptr 0
		.amdhsa_user_sgpr_kernarg_segment_ptr 1
		.amdhsa_user_sgpr_dispatch_id 0
		.amdhsa_user_sgpr_kernarg_preload_length 0
		.amdhsa_user_sgpr_kernarg_preload_offset 0
		.amdhsa_user_sgpr_private_segment_size 0
		.amdhsa_uses_dynamic_stack 0
		.amdhsa_enable_private_segment 1
		.amdhsa_system_sgpr_workgroup_id_x 1
		.amdhsa_system_sgpr_workgroup_id_y 0
		.amdhsa_system_sgpr_workgroup_id_z 0
		.amdhsa_system_sgpr_workgroup_info 0
		.amdhsa_system_vgpr_workitem_id 0
		.amdhsa_next_free_vgpr 167
		.amdhsa_next_free_sgpr 64
		.amdhsa_accum_offset 168
		.amdhsa_reserve_vcc 1
		.amdhsa_float_round_mode_32 0
		.amdhsa_float_round_mode_16_64 0
		.amdhsa_float_denorm_mode_32 3
		.amdhsa_float_denorm_mode_16_64 3
		.amdhsa_dx10_clamp 1
		.amdhsa_ieee_mode 1
		.amdhsa_fp16_overflow 0
		.amdhsa_tg_split 0
		.amdhsa_exception_fp_ieee_invalid_op 0
		.amdhsa_exception_fp_denorm_src 0
		.amdhsa_exception_fp_ieee_div_zero 0
		.amdhsa_exception_fp_ieee_overflow 0
		.amdhsa_exception_fp_ieee_underflow 0
		.amdhsa_exception_fp_ieee_inexact 0
		.amdhsa_exception_int_div_zero 0
	.end_amdhsa_kernel
	.section	.text._ZN7rocprim17ROCPRIM_400000_NS6detail17trampoline_kernelINS0_14default_configENS1_20scan_config_selectorIN3c107complexIdEEEEZZNS1_9scan_implILNS1_25lookback_scan_determinismE0ELb0ELb0ES3_PKS7_PS7_S7_ZZZN2at6native31launch_logcumsumexp_cuda_kernelERKNSE_10TensorBaseESI_lENKUlvE_clEvENKUlvE1_clEvEUlS7_S7_E_S7_EEDaPvRmT3_T4_T5_mT6_P12ihipStream_tbENKUlT_T0_E_clISt17integral_constantIbLb1EESY_IbLb0EEEEDaSU_SV_EUlSU_E_NS1_11comp_targetILNS1_3genE5ELNS1_11target_archE942ELNS1_3gpuE9ELNS1_3repE0EEENS1_30default_config_static_selectorELNS0_4arch9wavefront6targetE1EEEvT1_,"axG",@progbits,_ZN7rocprim17ROCPRIM_400000_NS6detail17trampoline_kernelINS0_14default_configENS1_20scan_config_selectorIN3c107complexIdEEEEZZNS1_9scan_implILNS1_25lookback_scan_determinismE0ELb0ELb0ES3_PKS7_PS7_S7_ZZZN2at6native31launch_logcumsumexp_cuda_kernelERKNSE_10TensorBaseESI_lENKUlvE_clEvENKUlvE1_clEvEUlS7_S7_E_S7_EEDaPvRmT3_T4_T5_mT6_P12ihipStream_tbENKUlT_T0_E_clISt17integral_constantIbLb1EESY_IbLb0EEEEDaSU_SV_EUlSU_E_NS1_11comp_targetILNS1_3genE5ELNS1_11target_archE942ELNS1_3gpuE9ELNS1_3repE0EEENS1_30default_config_static_selectorELNS0_4arch9wavefront6targetE1EEEvT1_,comdat
.Lfunc_end231:
	.size	_ZN7rocprim17ROCPRIM_400000_NS6detail17trampoline_kernelINS0_14default_configENS1_20scan_config_selectorIN3c107complexIdEEEEZZNS1_9scan_implILNS1_25lookback_scan_determinismE0ELb0ELb0ES3_PKS7_PS7_S7_ZZZN2at6native31launch_logcumsumexp_cuda_kernelERKNSE_10TensorBaseESI_lENKUlvE_clEvENKUlvE1_clEvEUlS7_S7_E_S7_EEDaPvRmT3_T4_T5_mT6_P12ihipStream_tbENKUlT_T0_E_clISt17integral_constantIbLb1EESY_IbLb0EEEEDaSU_SV_EUlSU_E_NS1_11comp_targetILNS1_3genE5ELNS1_11target_archE942ELNS1_3gpuE9ELNS1_3repE0EEENS1_30default_config_static_selectorELNS0_4arch9wavefront6targetE1EEEvT1_, .Lfunc_end231-_ZN7rocprim17ROCPRIM_400000_NS6detail17trampoline_kernelINS0_14default_configENS1_20scan_config_selectorIN3c107complexIdEEEEZZNS1_9scan_implILNS1_25lookback_scan_determinismE0ELb0ELb0ES3_PKS7_PS7_S7_ZZZN2at6native31launch_logcumsumexp_cuda_kernelERKNSE_10TensorBaseESI_lENKUlvE_clEvENKUlvE1_clEvEUlS7_S7_E_S7_EEDaPvRmT3_T4_T5_mT6_P12ihipStream_tbENKUlT_T0_E_clISt17integral_constantIbLb1EESY_IbLb0EEEEDaSU_SV_EUlSU_E_NS1_11comp_targetILNS1_3genE5ELNS1_11target_archE942ELNS1_3gpuE9ELNS1_3repE0EEENS1_30default_config_static_selectorELNS0_4arch9wavefront6targetE1EEEvT1_
                                        ; -- End function
	.section	.AMDGPU.csdata,"",@progbits
; Kernel info:
; codeLenInByte = 10888
; NumSgprs: 70
; NumVgprs: 167
; NumAgprs: 0
; TotalNumVgprs: 167
; ScratchSize: 8
; MemoryBound: 1
; FloatMode: 240
; IeeeMode: 1
; LDSByteSize: 57344 bytes/workgroup (compile time only)
; SGPRBlocks: 8
; VGPRBlocks: 20
; NumSGPRsForWavesPerEU: 70
; NumVGPRsForWavesPerEU: 167
; AccumOffset: 168
; Occupancy: 1
; WaveLimiterHint : 1
; COMPUTE_PGM_RSRC2:SCRATCH_EN: 1
; COMPUTE_PGM_RSRC2:USER_SGPR: 2
; COMPUTE_PGM_RSRC2:TRAP_HANDLER: 0
; COMPUTE_PGM_RSRC2:TGID_X_EN: 1
; COMPUTE_PGM_RSRC2:TGID_Y_EN: 0
; COMPUTE_PGM_RSRC2:TGID_Z_EN: 0
; COMPUTE_PGM_RSRC2:TIDIG_COMP_CNT: 0
; COMPUTE_PGM_RSRC3_GFX90A:ACCUM_OFFSET: 41
; COMPUTE_PGM_RSRC3_GFX90A:TG_SPLIT: 0
	.section	.text._ZN7rocprim17ROCPRIM_400000_NS6detail17trampoline_kernelINS0_14default_configENS1_20scan_config_selectorIN3c107complexIdEEEEZZNS1_9scan_implILNS1_25lookback_scan_determinismE0ELb0ELb0ES3_PKS7_PS7_S7_ZZZN2at6native31launch_logcumsumexp_cuda_kernelERKNSE_10TensorBaseESI_lENKUlvE_clEvENKUlvE1_clEvEUlS7_S7_E_S7_EEDaPvRmT3_T4_T5_mT6_P12ihipStream_tbENKUlT_T0_E_clISt17integral_constantIbLb1EESY_IbLb0EEEEDaSU_SV_EUlSU_E_NS1_11comp_targetILNS1_3genE4ELNS1_11target_archE910ELNS1_3gpuE8ELNS1_3repE0EEENS1_30default_config_static_selectorELNS0_4arch9wavefront6targetE1EEEvT1_,"axG",@progbits,_ZN7rocprim17ROCPRIM_400000_NS6detail17trampoline_kernelINS0_14default_configENS1_20scan_config_selectorIN3c107complexIdEEEEZZNS1_9scan_implILNS1_25lookback_scan_determinismE0ELb0ELb0ES3_PKS7_PS7_S7_ZZZN2at6native31launch_logcumsumexp_cuda_kernelERKNSE_10TensorBaseESI_lENKUlvE_clEvENKUlvE1_clEvEUlS7_S7_E_S7_EEDaPvRmT3_T4_T5_mT6_P12ihipStream_tbENKUlT_T0_E_clISt17integral_constantIbLb1EESY_IbLb0EEEEDaSU_SV_EUlSU_E_NS1_11comp_targetILNS1_3genE4ELNS1_11target_archE910ELNS1_3gpuE8ELNS1_3repE0EEENS1_30default_config_static_selectorELNS0_4arch9wavefront6targetE1EEEvT1_,comdat
	.globl	_ZN7rocprim17ROCPRIM_400000_NS6detail17trampoline_kernelINS0_14default_configENS1_20scan_config_selectorIN3c107complexIdEEEEZZNS1_9scan_implILNS1_25lookback_scan_determinismE0ELb0ELb0ES3_PKS7_PS7_S7_ZZZN2at6native31launch_logcumsumexp_cuda_kernelERKNSE_10TensorBaseESI_lENKUlvE_clEvENKUlvE1_clEvEUlS7_S7_E_S7_EEDaPvRmT3_T4_T5_mT6_P12ihipStream_tbENKUlT_T0_E_clISt17integral_constantIbLb1EESY_IbLb0EEEEDaSU_SV_EUlSU_E_NS1_11comp_targetILNS1_3genE4ELNS1_11target_archE910ELNS1_3gpuE8ELNS1_3repE0EEENS1_30default_config_static_selectorELNS0_4arch9wavefront6targetE1EEEvT1_ ; -- Begin function _ZN7rocprim17ROCPRIM_400000_NS6detail17trampoline_kernelINS0_14default_configENS1_20scan_config_selectorIN3c107complexIdEEEEZZNS1_9scan_implILNS1_25lookback_scan_determinismE0ELb0ELb0ES3_PKS7_PS7_S7_ZZZN2at6native31launch_logcumsumexp_cuda_kernelERKNSE_10TensorBaseESI_lENKUlvE_clEvENKUlvE1_clEvEUlS7_S7_E_S7_EEDaPvRmT3_T4_T5_mT6_P12ihipStream_tbENKUlT_T0_E_clISt17integral_constantIbLb1EESY_IbLb0EEEEDaSU_SV_EUlSU_E_NS1_11comp_targetILNS1_3genE4ELNS1_11target_archE910ELNS1_3gpuE8ELNS1_3repE0EEENS1_30default_config_static_selectorELNS0_4arch9wavefront6targetE1EEEvT1_
	.p2align	8
	.type	_ZN7rocprim17ROCPRIM_400000_NS6detail17trampoline_kernelINS0_14default_configENS1_20scan_config_selectorIN3c107complexIdEEEEZZNS1_9scan_implILNS1_25lookback_scan_determinismE0ELb0ELb0ES3_PKS7_PS7_S7_ZZZN2at6native31launch_logcumsumexp_cuda_kernelERKNSE_10TensorBaseESI_lENKUlvE_clEvENKUlvE1_clEvEUlS7_S7_E_S7_EEDaPvRmT3_T4_T5_mT6_P12ihipStream_tbENKUlT_T0_E_clISt17integral_constantIbLb1EESY_IbLb0EEEEDaSU_SV_EUlSU_E_NS1_11comp_targetILNS1_3genE4ELNS1_11target_archE910ELNS1_3gpuE8ELNS1_3repE0EEENS1_30default_config_static_selectorELNS0_4arch9wavefront6targetE1EEEvT1_,@function
_ZN7rocprim17ROCPRIM_400000_NS6detail17trampoline_kernelINS0_14default_configENS1_20scan_config_selectorIN3c107complexIdEEEEZZNS1_9scan_implILNS1_25lookback_scan_determinismE0ELb0ELb0ES3_PKS7_PS7_S7_ZZZN2at6native31launch_logcumsumexp_cuda_kernelERKNSE_10TensorBaseESI_lENKUlvE_clEvENKUlvE1_clEvEUlS7_S7_E_S7_EEDaPvRmT3_T4_T5_mT6_P12ihipStream_tbENKUlT_T0_E_clISt17integral_constantIbLb1EESY_IbLb0EEEEDaSU_SV_EUlSU_E_NS1_11comp_targetILNS1_3genE4ELNS1_11target_archE910ELNS1_3gpuE8ELNS1_3repE0EEENS1_30default_config_static_selectorELNS0_4arch9wavefront6targetE1EEEvT1_: ; @_ZN7rocprim17ROCPRIM_400000_NS6detail17trampoline_kernelINS0_14default_configENS1_20scan_config_selectorIN3c107complexIdEEEEZZNS1_9scan_implILNS1_25lookback_scan_determinismE0ELb0ELb0ES3_PKS7_PS7_S7_ZZZN2at6native31launch_logcumsumexp_cuda_kernelERKNSE_10TensorBaseESI_lENKUlvE_clEvENKUlvE1_clEvEUlS7_S7_E_S7_EEDaPvRmT3_T4_T5_mT6_P12ihipStream_tbENKUlT_T0_E_clISt17integral_constantIbLb1EESY_IbLb0EEEEDaSU_SV_EUlSU_E_NS1_11comp_targetILNS1_3genE4ELNS1_11target_archE910ELNS1_3gpuE8ELNS1_3repE0EEENS1_30default_config_static_selectorELNS0_4arch9wavefront6targetE1EEEvT1_
; %bb.0:
	.section	.rodata,"a",@progbits
	.p2align	6, 0x0
	.amdhsa_kernel _ZN7rocprim17ROCPRIM_400000_NS6detail17trampoline_kernelINS0_14default_configENS1_20scan_config_selectorIN3c107complexIdEEEEZZNS1_9scan_implILNS1_25lookback_scan_determinismE0ELb0ELb0ES3_PKS7_PS7_S7_ZZZN2at6native31launch_logcumsumexp_cuda_kernelERKNSE_10TensorBaseESI_lENKUlvE_clEvENKUlvE1_clEvEUlS7_S7_E_S7_EEDaPvRmT3_T4_T5_mT6_P12ihipStream_tbENKUlT_T0_E_clISt17integral_constantIbLb1EESY_IbLb0EEEEDaSU_SV_EUlSU_E_NS1_11comp_targetILNS1_3genE4ELNS1_11target_archE910ELNS1_3gpuE8ELNS1_3repE0EEENS1_30default_config_static_selectorELNS0_4arch9wavefront6targetE1EEEvT1_
		.amdhsa_group_segment_fixed_size 0
		.amdhsa_private_segment_fixed_size 0
		.amdhsa_kernarg_size 128
		.amdhsa_user_sgpr_count 2
		.amdhsa_user_sgpr_dispatch_ptr 0
		.amdhsa_user_sgpr_queue_ptr 0
		.amdhsa_user_sgpr_kernarg_segment_ptr 1
		.amdhsa_user_sgpr_dispatch_id 0
		.amdhsa_user_sgpr_kernarg_preload_length 0
		.amdhsa_user_sgpr_kernarg_preload_offset 0
		.amdhsa_user_sgpr_private_segment_size 0
		.amdhsa_uses_dynamic_stack 0
		.amdhsa_enable_private_segment 0
		.amdhsa_system_sgpr_workgroup_id_x 1
		.amdhsa_system_sgpr_workgroup_id_y 0
		.amdhsa_system_sgpr_workgroup_id_z 0
		.amdhsa_system_sgpr_workgroup_info 0
		.amdhsa_system_vgpr_workitem_id 0
		.amdhsa_next_free_vgpr 1
		.amdhsa_next_free_sgpr 0
		.amdhsa_accum_offset 4
		.amdhsa_reserve_vcc 0
		.amdhsa_float_round_mode_32 0
		.amdhsa_float_round_mode_16_64 0
		.amdhsa_float_denorm_mode_32 3
		.amdhsa_float_denorm_mode_16_64 3
		.amdhsa_dx10_clamp 1
		.amdhsa_ieee_mode 1
		.amdhsa_fp16_overflow 0
		.amdhsa_tg_split 0
		.amdhsa_exception_fp_ieee_invalid_op 0
		.amdhsa_exception_fp_denorm_src 0
		.amdhsa_exception_fp_ieee_div_zero 0
		.amdhsa_exception_fp_ieee_overflow 0
		.amdhsa_exception_fp_ieee_underflow 0
		.amdhsa_exception_fp_ieee_inexact 0
		.amdhsa_exception_int_div_zero 0
	.end_amdhsa_kernel
	.section	.text._ZN7rocprim17ROCPRIM_400000_NS6detail17trampoline_kernelINS0_14default_configENS1_20scan_config_selectorIN3c107complexIdEEEEZZNS1_9scan_implILNS1_25lookback_scan_determinismE0ELb0ELb0ES3_PKS7_PS7_S7_ZZZN2at6native31launch_logcumsumexp_cuda_kernelERKNSE_10TensorBaseESI_lENKUlvE_clEvENKUlvE1_clEvEUlS7_S7_E_S7_EEDaPvRmT3_T4_T5_mT6_P12ihipStream_tbENKUlT_T0_E_clISt17integral_constantIbLb1EESY_IbLb0EEEEDaSU_SV_EUlSU_E_NS1_11comp_targetILNS1_3genE4ELNS1_11target_archE910ELNS1_3gpuE8ELNS1_3repE0EEENS1_30default_config_static_selectorELNS0_4arch9wavefront6targetE1EEEvT1_,"axG",@progbits,_ZN7rocprim17ROCPRIM_400000_NS6detail17trampoline_kernelINS0_14default_configENS1_20scan_config_selectorIN3c107complexIdEEEEZZNS1_9scan_implILNS1_25lookback_scan_determinismE0ELb0ELb0ES3_PKS7_PS7_S7_ZZZN2at6native31launch_logcumsumexp_cuda_kernelERKNSE_10TensorBaseESI_lENKUlvE_clEvENKUlvE1_clEvEUlS7_S7_E_S7_EEDaPvRmT3_T4_T5_mT6_P12ihipStream_tbENKUlT_T0_E_clISt17integral_constantIbLb1EESY_IbLb0EEEEDaSU_SV_EUlSU_E_NS1_11comp_targetILNS1_3genE4ELNS1_11target_archE910ELNS1_3gpuE8ELNS1_3repE0EEENS1_30default_config_static_selectorELNS0_4arch9wavefront6targetE1EEEvT1_,comdat
.Lfunc_end232:
	.size	_ZN7rocprim17ROCPRIM_400000_NS6detail17trampoline_kernelINS0_14default_configENS1_20scan_config_selectorIN3c107complexIdEEEEZZNS1_9scan_implILNS1_25lookback_scan_determinismE0ELb0ELb0ES3_PKS7_PS7_S7_ZZZN2at6native31launch_logcumsumexp_cuda_kernelERKNSE_10TensorBaseESI_lENKUlvE_clEvENKUlvE1_clEvEUlS7_S7_E_S7_EEDaPvRmT3_T4_T5_mT6_P12ihipStream_tbENKUlT_T0_E_clISt17integral_constantIbLb1EESY_IbLb0EEEEDaSU_SV_EUlSU_E_NS1_11comp_targetILNS1_3genE4ELNS1_11target_archE910ELNS1_3gpuE8ELNS1_3repE0EEENS1_30default_config_static_selectorELNS0_4arch9wavefront6targetE1EEEvT1_, .Lfunc_end232-_ZN7rocprim17ROCPRIM_400000_NS6detail17trampoline_kernelINS0_14default_configENS1_20scan_config_selectorIN3c107complexIdEEEEZZNS1_9scan_implILNS1_25lookback_scan_determinismE0ELb0ELb0ES3_PKS7_PS7_S7_ZZZN2at6native31launch_logcumsumexp_cuda_kernelERKNSE_10TensorBaseESI_lENKUlvE_clEvENKUlvE1_clEvEUlS7_S7_E_S7_EEDaPvRmT3_T4_T5_mT6_P12ihipStream_tbENKUlT_T0_E_clISt17integral_constantIbLb1EESY_IbLb0EEEEDaSU_SV_EUlSU_E_NS1_11comp_targetILNS1_3genE4ELNS1_11target_archE910ELNS1_3gpuE8ELNS1_3repE0EEENS1_30default_config_static_selectorELNS0_4arch9wavefront6targetE1EEEvT1_
                                        ; -- End function
	.section	.AMDGPU.csdata,"",@progbits
; Kernel info:
; codeLenInByte = 0
; NumSgprs: 6
; NumVgprs: 0
; NumAgprs: 0
; TotalNumVgprs: 0
; ScratchSize: 0
; MemoryBound: 0
; FloatMode: 240
; IeeeMode: 1
; LDSByteSize: 0 bytes/workgroup (compile time only)
; SGPRBlocks: 0
; VGPRBlocks: 0
; NumSGPRsForWavesPerEU: 6
; NumVGPRsForWavesPerEU: 1
; AccumOffset: 4
; Occupancy: 8
; WaveLimiterHint : 0
; COMPUTE_PGM_RSRC2:SCRATCH_EN: 0
; COMPUTE_PGM_RSRC2:USER_SGPR: 2
; COMPUTE_PGM_RSRC2:TRAP_HANDLER: 0
; COMPUTE_PGM_RSRC2:TGID_X_EN: 1
; COMPUTE_PGM_RSRC2:TGID_Y_EN: 0
; COMPUTE_PGM_RSRC2:TGID_Z_EN: 0
; COMPUTE_PGM_RSRC2:TIDIG_COMP_CNT: 0
; COMPUTE_PGM_RSRC3_GFX90A:ACCUM_OFFSET: 0
; COMPUTE_PGM_RSRC3_GFX90A:TG_SPLIT: 0
	.section	.text._ZN7rocprim17ROCPRIM_400000_NS6detail17trampoline_kernelINS0_14default_configENS1_20scan_config_selectorIN3c107complexIdEEEEZZNS1_9scan_implILNS1_25lookback_scan_determinismE0ELb0ELb0ES3_PKS7_PS7_S7_ZZZN2at6native31launch_logcumsumexp_cuda_kernelERKNSE_10TensorBaseESI_lENKUlvE_clEvENKUlvE1_clEvEUlS7_S7_E_S7_EEDaPvRmT3_T4_T5_mT6_P12ihipStream_tbENKUlT_T0_E_clISt17integral_constantIbLb1EESY_IbLb0EEEEDaSU_SV_EUlSU_E_NS1_11comp_targetILNS1_3genE3ELNS1_11target_archE908ELNS1_3gpuE7ELNS1_3repE0EEENS1_30default_config_static_selectorELNS0_4arch9wavefront6targetE1EEEvT1_,"axG",@progbits,_ZN7rocprim17ROCPRIM_400000_NS6detail17trampoline_kernelINS0_14default_configENS1_20scan_config_selectorIN3c107complexIdEEEEZZNS1_9scan_implILNS1_25lookback_scan_determinismE0ELb0ELb0ES3_PKS7_PS7_S7_ZZZN2at6native31launch_logcumsumexp_cuda_kernelERKNSE_10TensorBaseESI_lENKUlvE_clEvENKUlvE1_clEvEUlS7_S7_E_S7_EEDaPvRmT3_T4_T5_mT6_P12ihipStream_tbENKUlT_T0_E_clISt17integral_constantIbLb1EESY_IbLb0EEEEDaSU_SV_EUlSU_E_NS1_11comp_targetILNS1_3genE3ELNS1_11target_archE908ELNS1_3gpuE7ELNS1_3repE0EEENS1_30default_config_static_selectorELNS0_4arch9wavefront6targetE1EEEvT1_,comdat
	.globl	_ZN7rocprim17ROCPRIM_400000_NS6detail17trampoline_kernelINS0_14default_configENS1_20scan_config_selectorIN3c107complexIdEEEEZZNS1_9scan_implILNS1_25lookback_scan_determinismE0ELb0ELb0ES3_PKS7_PS7_S7_ZZZN2at6native31launch_logcumsumexp_cuda_kernelERKNSE_10TensorBaseESI_lENKUlvE_clEvENKUlvE1_clEvEUlS7_S7_E_S7_EEDaPvRmT3_T4_T5_mT6_P12ihipStream_tbENKUlT_T0_E_clISt17integral_constantIbLb1EESY_IbLb0EEEEDaSU_SV_EUlSU_E_NS1_11comp_targetILNS1_3genE3ELNS1_11target_archE908ELNS1_3gpuE7ELNS1_3repE0EEENS1_30default_config_static_selectorELNS0_4arch9wavefront6targetE1EEEvT1_ ; -- Begin function _ZN7rocprim17ROCPRIM_400000_NS6detail17trampoline_kernelINS0_14default_configENS1_20scan_config_selectorIN3c107complexIdEEEEZZNS1_9scan_implILNS1_25lookback_scan_determinismE0ELb0ELb0ES3_PKS7_PS7_S7_ZZZN2at6native31launch_logcumsumexp_cuda_kernelERKNSE_10TensorBaseESI_lENKUlvE_clEvENKUlvE1_clEvEUlS7_S7_E_S7_EEDaPvRmT3_T4_T5_mT6_P12ihipStream_tbENKUlT_T0_E_clISt17integral_constantIbLb1EESY_IbLb0EEEEDaSU_SV_EUlSU_E_NS1_11comp_targetILNS1_3genE3ELNS1_11target_archE908ELNS1_3gpuE7ELNS1_3repE0EEENS1_30default_config_static_selectorELNS0_4arch9wavefront6targetE1EEEvT1_
	.p2align	8
	.type	_ZN7rocprim17ROCPRIM_400000_NS6detail17trampoline_kernelINS0_14default_configENS1_20scan_config_selectorIN3c107complexIdEEEEZZNS1_9scan_implILNS1_25lookback_scan_determinismE0ELb0ELb0ES3_PKS7_PS7_S7_ZZZN2at6native31launch_logcumsumexp_cuda_kernelERKNSE_10TensorBaseESI_lENKUlvE_clEvENKUlvE1_clEvEUlS7_S7_E_S7_EEDaPvRmT3_T4_T5_mT6_P12ihipStream_tbENKUlT_T0_E_clISt17integral_constantIbLb1EESY_IbLb0EEEEDaSU_SV_EUlSU_E_NS1_11comp_targetILNS1_3genE3ELNS1_11target_archE908ELNS1_3gpuE7ELNS1_3repE0EEENS1_30default_config_static_selectorELNS0_4arch9wavefront6targetE1EEEvT1_,@function
_ZN7rocprim17ROCPRIM_400000_NS6detail17trampoline_kernelINS0_14default_configENS1_20scan_config_selectorIN3c107complexIdEEEEZZNS1_9scan_implILNS1_25lookback_scan_determinismE0ELb0ELb0ES3_PKS7_PS7_S7_ZZZN2at6native31launch_logcumsumexp_cuda_kernelERKNSE_10TensorBaseESI_lENKUlvE_clEvENKUlvE1_clEvEUlS7_S7_E_S7_EEDaPvRmT3_T4_T5_mT6_P12ihipStream_tbENKUlT_T0_E_clISt17integral_constantIbLb1EESY_IbLb0EEEEDaSU_SV_EUlSU_E_NS1_11comp_targetILNS1_3genE3ELNS1_11target_archE908ELNS1_3gpuE7ELNS1_3repE0EEENS1_30default_config_static_selectorELNS0_4arch9wavefront6targetE1EEEvT1_: ; @_ZN7rocprim17ROCPRIM_400000_NS6detail17trampoline_kernelINS0_14default_configENS1_20scan_config_selectorIN3c107complexIdEEEEZZNS1_9scan_implILNS1_25lookback_scan_determinismE0ELb0ELb0ES3_PKS7_PS7_S7_ZZZN2at6native31launch_logcumsumexp_cuda_kernelERKNSE_10TensorBaseESI_lENKUlvE_clEvENKUlvE1_clEvEUlS7_S7_E_S7_EEDaPvRmT3_T4_T5_mT6_P12ihipStream_tbENKUlT_T0_E_clISt17integral_constantIbLb1EESY_IbLb0EEEEDaSU_SV_EUlSU_E_NS1_11comp_targetILNS1_3genE3ELNS1_11target_archE908ELNS1_3gpuE7ELNS1_3repE0EEENS1_30default_config_static_selectorELNS0_4arch9wavefront6targetE1EEEvT1_
; %bb.0:
	.section	.rodata,"a",@progbits
	.p2align	6, 0x0
	.amdhsa_kernel _ZN7rocprim17ROCPRIM_400000_NS6detail17trampoline_kernelINS0_14default_configENS1_20scan_config_selectorIN3c107complexIdEEEEZZNS1_9scan_implILNS1_25lookback_scan_determinismE0ELb0ELb0ES3_PKS7_PS7_S7_ZZZN2at6native31launch_logcumsumexp_cuda_kernelERKNSE_10TensorBaseESI_lENKUlvE_clEvENKUlvE1_clEvEUlS7_S7_E_S7_EEDaPvRmT3_T4_T5_mT6_P12ihipStream_tbENKUlT_T0_E_clISt17integral_constantIbLb1EESY_IbLb0EEEEDaSU_SV_EUlSU_E_NS1_11comp_targetILNS1_3genE3ELNS1_11target_archE908ELNS1_3gpuE7ELNS1_3repE0EEENS1_30default_config_static_selectorELNS0_4arch9wavefront6targetE1EEEvT1_
		.amdhsa_group_segment_fixed_size 0
		.amdhsa_private_segment_fixed_size 0
		.amdhsa_kernarg_size 128
		.amdhsa_user_sgpr_count 2
		.amdhsa_user_sgpr_dispatch_ptr 0
		.amdhsa_user_sgpr_queue_ptr 0
		.amdhsa_user_sgpr_kernarg_segment_ptr 1
		.amdhsa_user_sgpr_dispatch_id 0
		.amdhsa_user_sgpr_kernarg_preload_length 0
		.amdhsa_user_sgpr_kernarg_preload_offset 0
		.amdhsa_user_sgpr_private_segment_size 0
		.amdhsa_uses_dynamic_stack 0
		.amdhsa_enable_private_segment 0
		.amdhsa_system_sgpr_workgroup_id_x 1
		.amdhsa_system_sgpr_workgroup_id_y 0
		.amdhsa_system_sgpr_workgroup_id_z 0
		.amdhsa_system_sgpr_workgroup_info 0
		.amdhsa_system_vgpr_workitem_id 0
		.amdhsa_next_free_vgpr 1
		.amdhsa_next_free_sgpr 0
		.amdhsa_accum_offset 4
		.amdhsa_reserve_vcc 0
		.amdhsa_float_round_mode_32 0
		.amdhsa_float_round_mode_16_64 0
		.amdhsa_float_denorm_mode_32 3
		.amdhsa_float_denorm_mode_16_64 3
		.amdhsa_dx10_clamp 1
		.amdhsa_ieee_mode 1
		.amdhsa_fp16_overflow 0
		.amdhsa_tg_split 0
		.amdhsa_exception_fp_ieee_invalid_op 0
		.amdhsa_exception_fp_denorm_src 0
		.amdhsa_exception_fp_ieee_div_zero 0
		.amdhsa_exception_fp_ieee_overflow 0
		.amdhsa_exception_fp_ieee_underflow 0
		.amdhsa_exception_fp_ieee_inexact 0
		.amdhsa_exception_int_div_zero 0
	.end_amdhsa_kernel
	.section	.text._ZN7rocprim17ROCPRIM_400000_NS6detail17trampoline_kernelINS0_14default_configENS1_20scan_config_selectorIN3c107complexIdEEEEZZNS1_9scan_implILNS1_25lookback_scan_determinismE0ELb0ELb0ES3_PKS7_PS7_S7_ZZZN2at6native31launch_logcumsumexp_cuda_kernelERKNSE_10TensorBaseESI_lENKUlvE_clEvENKUlvE1_clEvEUlS7_S7_E_S7_EEDaPvRmT3_T4_T5_mT6_P12ihipStream_tbENKUlT_T0_E_clISt17integral_constantIbLb1EESY_IbLb0EEEEDaSU_SV_EUlSU_E_NS1_11comp_targetILNS1_3genE3ELNS1_11target_archE908ELNS1_3gpuE7ELNS1_3repE0EEENS1_30default_config_static_selectorELNS0_4arch9wavefront6targetE1EEEvT1_,"axG",@progbits,_ZN7rocprim17ROCPRIM_400000_NS6detail17trampoline_kernelINS0_14default_configENS1_20scan_config_selectorIN3c107complexIdEEEEZZNS1_9scan_implILNS1_25lookback_scan_determinismE0ELb0ELb0ES3_PKS7_PS7_S7_ZZZN2at6native31launch_logcumsumexp_cuda_kernelERKNSE_10TensorBaseESI_lENKUlvE_clEvENKUlvE1_clEvEUlS7_S7_E_S7_EEDaPvRmT3_T4_T5_mT6_P12ihipStream_tbENKUlT_T0_E_clISt17integral_constantIbLb1EESY_IbLb0EEEEDaSU_SV_EUlSU_E_NS1_11comp_targetILNS1_3genE3ELNS1_11target_archE908ELNS1_3gpuE7ELNS1_3repE0EEENS1_30default_config_static_selectorELNS0_4arch9wavefront6targetE1EEEvT1_,comdat
.Lfunc_end233:
	.size	_ZN7rocprim17ROCPRIM_400000_NS6detail17trampoline_kernelINS0_14default_configENS1_20scan_config_selectorIN3c107complexIdEEEEZZNS1_9scan_implILNS1_25lookback_scan_determinismE0ELb0ELb0ES3_PKS7_PS7_S7_ZZZN2at6native31launch_logcumsumexp_cuda_kernelERKNSE_10TensorBaseESI_lENKUlvE_clEvENKUlvE1_clEvEUlS7_S7_E_S7_EEDaPvRmT3_T4_T5_mT6_P12ihipStream_tbENKUlT_T0_E_clISt17integral_constantIbLb1EESY_IbLb0EEEEDaSU_SV_EUlSU_E_NS1_11comp_targetILNS1_3genE3ELNS1_11target_archE908ELNS1_3gpuE7ELNS1_3repE0EEENS1_30default_config_static_selectorELNS0_4arch9wavefront6targetE1EEEvT1_, .Lfunc_end233-_ZN7rocprim17ROCPRIM_400000_NS6detail17trampoline_kernelINS0_14default_configENS1_20scan_config_selectorIN3c107complexIdEEEEZZNS1_9scan_implILNS1_25lookback_scan_determinismE0ELb0ELb0ES3_PKS7_PS7_S7_ZZZN2at6native31launch_logcumsumexp_cuda_kernelERKNSE_10TensorBaseESI_lENKUlvE_clEvENKUlvE1_clEvEUlS7_S7_E_S7_EEDaPvRmT3_T4_T5_mT6_P12ihipStream_tbENKUlT_T0_E_clISt17integral_constantIbLb1EESY_IbLb0EEEEDaSU_SV_EUlSU_E_NS1_11comp_targetILNS1_3genE3ELNS1_11target_archE908ELNS1_3gpuE7ELNS1_3repE0EEENS1_30default_config_static_selectorELNS0_4arch9wavefront6targetE1EEEvT1_
                                        ; -- End function
	.section	.AMDGPU.csdata,"",@progbits
; Kernel info:
; codeLenInByte = 0
; NumSgprs: 6
; NumVgprs: 0
; NumAgprs: 0
; TotalNumVgprs: 0
; ScratchSize: 0
; MemoryBound: 0
; FloatMode: 240
; IeeeMode: 1
; LDSByteSize: 0 bytes/workgroup (compile time only)
; SGPRBlocks: 0
; VGPRBlocks: 0
; NumSGPRsForWavesPerEU: 6
; NumVGPRsForWavesPerEU: 1
; AccumOffset: 4
; Occupancy: 8
; WaveLimiterHint : 0
; COMPUTE_PGM_RSRC2:SCRATCH_EN: 0
; COMPUTE_PGM_RSRC2:USER_SGPR: 2
; COMPUTE_PGM_RSRC2:TRAP_HANDLER: 0
; COMPUTE_PGM_RSRC2:TGID_X_EN: 1
; COMPUTE_PGM_RSRC2:TGID_Y_EN: 0
; COMPUTE_PGM_RSRC2:TGID_Z_EN: 0
; COMPUTE_PGM_RSRC2:TIDIG_COMP_CNT: 0
; COMPUTE_PGM_RSRC3_GFX90A:ACCUM_OFFSET: 0
; COMPUTE_PGM_RSRC3_GFX90A:TG_SPLIT: 0
	.section	.text._ZN7rocprim17ROCPRIM_400000_NS6detail17trampoline_kernelINS0_14default_configENS1_20scan_config_selectorIN3c107complexIdEEEEZZNS1_9scan_implILNS1_25lookback_scan_determinismE0ELb0ELb0ES3_PKS7_PS7_S7_ZZZN2at6native31launch_logcumsumexp_cuda_kernelERKNSE_10TensorBaseESI_lENKUlvE_clEvENKUlvE1_clEvEUlS7_S7_E_S7_EEDaPvRmT3_T4_T5_mT6_P12ihipStream_tbENKUlT_T0_E_clISt17integral_constantIbLb1EESY_IbLb0EEEEDaSU_SV_EUlSU_E_NS1_11comp_targetILNS1_3genE2ELNS1_11target_archE906ELNS1_3gpuE6ELNS1_3repE0EEENS1_30default_config_static_selectorELNS0_4arch9wavefront6targetE1EEEvT1_,"axG",@progbits,_ZN7rocprim17ROCPRIM_400000_NS6detail17trampoline_kernelINS0_14default_configENS1_20scan_config_selectorIN3c107complexIdEEEEZZNS1_9scan_implILNS1_25lookback_scan_determinismE0ELb0ELb0ES3_PKS7_PS7_S7_ZZZN2at6native31launch_logcumsumexp_cuda_kernelERKNSE_10TensorBaseESI_lENKUlvE_clEvENKUlvE1_clEvEUlS7_S7_E_S7_EEDaPvRmT3_T4_T5_mT6_P12ihipStream_tbENKUlT_T0_E_clISt17integral_constantIbLb1EESY_IbLb0EEEEDaSU_SV_EUlSU_E_NS1_11comp_targetILNS1_3genE2ELNS1_11target_archE906ELNS1_3gpuE6ELNS1_3repE0EEENS1_30default_config_static_selectorELNS0_4arch9wavefront6targetE1EEEvT1_,comdat
	.globl	_ZN7rocprim17ROCPRIM_400000_NS6detail17trampoline_kernelINS0_14default_configENS1_20scan_config_selectorIN3c107complexIdEEEEZZNS1_9scan_implILNS1_25lookback_scan_determinismE0ELb0ELb0ES3_PKS7_PS7_S7_ZZZN2at6native31launch_logcumsumexp_cuda_kernelERKNSE_10TensorBaseESI_lENKUlvE_clEvENKUlvE1_clEvEUlS7_S7_E_S7_EEDaPvRmT3_T4_T5_mT6_P12ihipStream_tbENKUlT_T0_E_clISt17integral_constantIbLb1EESY_IbLb0EEEEDaSU_SV_EUlSU_E_NS1_11comp_targetILNS1_3genE2ELNS1_11target_archE906ELNS1_3gpuE6ELNS1_3repE0EEENS1_30default_config_static_selectorELNS0_4arch9wavefront6targetE1EEEvT1_ ; -- Begin function _ZN7rocprim17ROCPRIM_400000_NS6detail17trampoline_kernelINS0_14default_configENS1_20scan_config_selectorIN3c107complexIdEEEEZZNS1_9scan_implILNS1_25lookback_scan_determinismE0ELb0ELb0ES3_PKS7_PS7_S7_ZZZN2at6native31launch_logcumsumexp_cuda_kernelERKNSE_10TensorBaseESI_lENKUlvE_clEvENKUlvE1_clEvEUlS7_S7_E_S7_EEDaPvRmT3_T4_T5_mT6_P12ihipStream_tbENKUlT_T0_E_clISt17integral_constantIbLb1EESY_IbLb0EEEEDaSU_SV_EUlSU_E_NS1_11comp_targetILNS1_3genE2ELNS1_11target_archE906ELNS1_3gpuE6ELNS1_3repE0EEENS1_30default_config_static_selectorELNS0_4arch9wavefront6targetE1EEEvT1_
	.p2align	8
	.type	_ZN7rocprim17ROCPRIM_400000_NS6detail17trampoline_kernelINS0_14default_configENS1_20scan_config_selectorIN3c107complexIdEEEEZZNS1_9scan_implILNS1_25lookback_scan_determinismE0ELb0ELb0ES3_PKS7_PS7_S7_ZZZN2at6native31launch_logcumsumexp_cuda_kernelERKNSE_10TensorBaseESI_lENKUlvE_clEvENKUlvE1_clEvEUlS7_S7_E_S7_EEDaPvRmT3_T4_T5_mT6_P12ihipStream_tbENKUlT_T0_E_clISt17integral_constantIbLb1EESY_IbLb0EEEEDaSU_SV_EUlSU_E_NS1_11comp_targetILNS1_3genE2ELNS1_11target_archE906ELNS1_3gpuE6ELNS1_3repE0EEENS1_30default_config_static_selectorELNS0_4arch9wavefront6targetE1EEEvT1_,@function
_ZN7rocprim17ROCPRIM_400000_NS6detail17trampoline_kernelINS0_14default_configENS1_20scan_config_selectorIN3c107complexIdEEEEZZNS1_9scan_implILNS1_25lookback_scan_determinismE0ELb0ELb0ES3_PKS7_PS7_S7_ZZZN2at6native31launch_logcumsumexp_cuda_kernelERKNSE_10TensorBaseESI_lENKUlvE_clEvENKUlvE1_clEvEUlS7_S7_E_S7_EEDaPvRmT3_T4_T5_mT6_P12ihipStream_tbENKUlT_T0_E_clISt17integral_constantIbLb1EESY_IbLb0EEEEDaSU_SV_EUlSU_E_NS1_11comp_targetILNS1_3genE2ELNS1_11target_archE906ELNS1_3gpuE6ELNS1_3repE0EEENS1_30default_config_static_selectorELNS0_4arch9wavefront6targetE1EEEvT1_: ; @_ZN7rocprim17ROCPRIM_400000_NS6detail17trampoline_kernelINS0_14default_configENS1_20scan_config_selectorIN3c107complexIdEEEEZZNS1_9scan_implILNS1_25lookback_scan_determinismE0ELb0ELb0ES3_PKS7_PS7_S7_ZZZN2at6native31launch_logcumsumexp_cuda_kernelERKNSE_10TensorBaseESI_lENKUlvE_clEvENKUlvE1_clEvEUlS7_S7_E_S7_EEDaPvRmT3_T4_T5_mT6_P12ihipStream_tbENKUlT_T0_E_clISt17integral_constantIbLb1EESY_IbLb0EEEEDaSU_SV_EUlSU_E_NS1_11comp_targetILNS1_3genE2ELNS1_11target_archE906ELNS1_3gpuE6ELNS1_3repE0EEENS1_30default_config_static_selectorELNS0_4arch9wavefront6targetE1EEEvT1_
; %bb.0:
	.section	.rodata,"a",@progbits
	.p2align	6, 0x0
	.amdhsa_kernel _ZN7rocprim17ROCPRIM_400000_NS6detail17trampoline_kernelINS0_14default_configENS1_20scan_config_selectorIN3c107complexIdEEEEZZNS1_9scan_implILNS1_25lookback_scan_determinismE0ELb0ELb0ES3_PKS7_PS7_S7_ZZZN2at6native31launch_logcumsumexp_cuda_kernelERKNSE_10TensorBaseESI_lENKUlvE_clEvENKUlvE1_clEvEUlS7_S7_E_S7_EEDaPvRmT3_T4_T5_mT6_P12ihipStream_tbENKUlT_T0_E_clISt17integral_constantIbLb1EESY_IbLb0EEEEDaSU_SV_EUlSU_E_NS1_11comp_targetILNS1_3genE2ELNS1_11target_archE906ELNS1_3gpuE6ELNS1_3repE0EEENS1_30default_config_static_selectorELNS0_4arch9wavefront6targetE1EEEvT1_
		.amdhsa_group_segment_fixed_size 0
		.amdhsa_private_segment_fixed_size 0
		.amdhsa_kernarg_size 128
		.amdhsa_user_sgpr_count 2
		.amdhsa_user_sgpr_dispatch_ptr 0
		.amdhsa_user_sgpr_queue_ptr 0
		.amdhsa_user_sgpr_kernarg_segment_ptr 1
		.amdhsa_user_sgpr_dispatch_id 0
		.amdhsa_user_sgpr_kernarg_preload_length 0
		.amdhsa_user_sgpr_kernarg_preload_offset 0
		.amdhsa_user_sgpr_private_segment_size 0
		.amdhsa_uses_dynamic_stack 0
		.amdhsa_enable_private_segment 0
		.amdhsa_system_sgpr_workgroup_id_x 1
		.amdhsa_system_sgpr_workgroup_id_y 0
		.amdhsa_system_sgpr_workgroup_id_z 0
		.amdhsa_system_sgpr_workgroup_info 0
		.amdhsa_system_vgpr_workitem_id 0
		.amdhsa_next_free_vgpr 1
		.amdhsa_next_free_sgpr 0
		.amdhsa_accum_offset 4
		.amdhsa_reserve_vcc 0
		.amdhsa_float_round_mode_32 0
		.amdhsa_float_round_mode_16_64 0
		.amdhsa_float_denorm_mode_32 3
		.amdhsa_float_denorm_mode_16_64 3
		.amdhsa_dx10_clamp 1
		.amdhsa_ieee_mode 1
		.amdhsa_fp16_overflow 0
		.amdhsa_tg_split 0
		.amdhsa_exception_fp_ieee_invalid_op 0
		.amdhsa_exception_fp_denorm_src 0
		.amdhsa_exception_fp_ieee_div_zero 0
		.amdhsa_exception_fp_ieee_overflow 0
		.amdhsa_exception_fp_ieee_underflow 0
		.amdhsa_exception_fp_ieee_inexact 0
		.amdhsa_exception_int_div_zero 0
	.end_amdhsa_kernel
	.section	.text._ZN7rocprim17ROCPRIM_400000_NS6detail17trampoline_kernelINS0_14default_configENS1_20scan_config_selectorIN3c107complexIdEEEEZZNS1_9scan_implILNS1_25lookback_scan_determinismE0ELb0ELb0ES3_PKS7_PS7_S7_ZZZN2at6native31launch_logcumsumexp_cuda_kernelERKNSE_10TensorBaseESI_lENKUlvE_clEvENKUlvE1_clEvEUlS7_S7_E_S7_EEDaPvRmT3_T4_T5_mT6_P12ihipStream_tbENKUlT_T0_E_clISt17integral_constantIbLb1EESY_IbLb0EEEEDaSU_SV_EUlSU_E_NS1_11comp_targetILNS1_3genE2ELNS1_11target_archE906ELNS1_3gpuE6ELNS1_3repE0EEENS1_30default_config_static_selectorELNS0_4arch9wavefront6targetE1EEEvT1_,"axG",@progbits,_ZN7rocprim17ROCPRIM_400000_NS6detail17trampoline_kernelINS0_14default_configENS1_20scan_config_selectorIN3c107complexIdEEEEZZNS1_9scan_implILNS1_25lookback_scan_determinismE0ELb0ELb0ES3_PKS7_PS7_S7_ZZZN2at6native31launch_logcumsumexp_cuda_kernelERKNSE_10TensorBaseESI_lENKUlvE_clEvENKUlvE1_clEvEUlS7_S7_E_S7_EEDaPvRmT3_T4_T5_mT6_P12ihipStream_tbENKUlT_T0_E_clISt17integral_constantIbLb1EESY_IbLb0EEEEDaSU_SV_EUlSU_E_NS1_11comp_targetILNS1_3genE2ELNS1_11target_archE906ELNS1_3gpuE6ELNS1_3repE0EEENS1_30default_config_static_selectorELNS0_4arch9wavefront6targetE1EEEvT1_,comdat
.Lfunc_end234:
	.size	_ZN7rocprim17ROCPRIM_400000_NS6detail17trampoline_kernelINS0_14default_configENS1_20scan_config_selectorIN3c107complexIdEEEEZZNS1_9scan_implILNS1_25lookback_scan_determinismE0ELb0ELb0ES3_PKS7_PS7_S7_ZZZN2at6native31launch_logcumsumexp_cuda_kernelERKNSE_10TensorBaseESI_lENKUlvE_clEvENKUlvE1_clEvEUlS7_S7_E_S7_EEDaPvRmT3_T4_T5_mT6_P12ihipStream_tbENKUlT_T0_E_clISt17integral_constantIbLb1EESY_IbLb0EEEEDaSU_SV_EUlSU_E_NS1_11comp_targetILNS1_3genE2ELNS1_11target_archE906ELNS1_3gpuE6ELNS1_3repE0EEENS1_30default_config_static_selectorELNS0_4arch9wavefront6targetE1EEEvT1_, .Lfunc_end234-_ZN7rocprim17ROCPRIM_400000_NS6detail17trampoline_kernelINS0_14default_configENS1_20scan_config_selectorIN3c107complexIdEEEEZZNS1_9scan_implILNS1_25lookback_scan_determinismE0ELb0ELb0ES3_PKS7_PS7_S7_ZZZN2at6native31launch_logcumsumexp_cuda_kernelERKNSE_10TensorBaseESI_lENKUlvE_clEvENKUlvE1_clEvEUlS7_S7_E_S7_EEDaPvRmT3_T4_T5_mT6_P12ihipStream_tbENKUlT_T0_E_clISt17integral_constantIbLb1EESY_IbLb0EEEEDaSU_SV_EUlSU_E_NS1_11comp_targetILNS1_3genE2ELNS1_11target_archE906ELNS1_3gpuE6ELNS1_3repE0EEENS1_30default_config_static_selectorELNS0_4arch9wavefront6targetE1EEEvT1_
                                        ; -- End function
	.section	.AMDGPU.csdata,"",@progbits
; Kernel info:
; codeLenInByte = 0
; NumSgprs: 6
; NumVgprs: 0
; NumAgprs: 0
; TotalNumVgprs: 0
; ScratchSize: 0
; MemoryBound: 0
; FloatMode: 240
; IeeeMode: 1
; LDSByteSize: 0 bytes/workgroup (compile time only)
; SGPRBlocks: 0
; VGPRBlocks: 0
; NumSGPRsForWavesPerEU: 6
; NumVGPRsForWavesPerEU: 1
; AccumOffset: 4
; Occupancy: 8
; WaveLimiterHint : 0
; COMPUTE_PGM_RSRC2:SCRATCH_EN: 0
; COMPUTE_PGM_RSRC2:USER_SGPR: 2
; COMPUTE_PGM_RSRC2:TRAP_HANDLER: 0
; COMPUTE_PGM_RSRC2:TGID_X_EN: 1
; COMPUTE_PGM_RSRC2:TGID_Y_EN: 0
; COMPUTE_PGM_RSRC2:TGID_Z_EN: 0
; COMPUTE_PGM_RSRC2:TIDIG_COMP_CNT: 0
; COMPUTE_PGM_RSRC3_GFX90A:ACCUM_OFFSET: 0
; COMPUTE_PGM_RSRC3_GFX90A:TG_SPLIT: 0
	.section	.text._ZN7rocprim17ROCPRIM_400000_NS6detail17trampoline_kernelINS0_14default_configENS1_20scan_config_selectorIN3c107complexIdEEEEZZNS1_9scan_implILNS1_25lookback_scan_determinismE0ELb0ELb0ES3_PKS7_PS7_S7_ZZZN2at6native31launch_logcumsumexp_cuda_kernelERKNSE_10TensorBaseESI_lENKUlvE_clEvENKUlvE1_clEvEUlS7_S7_E_S7_EEDaPvRmT3_T4_T5_mT6_P12ihipStream_tbENKUlT_T0_E_clISt17integral_constantIbLb1EESY_IbLb0EEEEDaSU_SV_EUlSU_E_NS1_11comp_targetILNS1_3genE10ELNS1_11target_archE1201ELNS1_3gpuE5ELNS1_3repE0EEENS1_30default_config_static_selectorELNS0_4arch9wavefront6targetE1EEEvT1_,"axG",@progbits,_ZN7rocprim17ROCPRIM_400000_NS6detail17trampoline_kernelINS0_14default_configENS1_20scan_config_selectorIN3c107complexIdEEEEZZNS1_9scan_implILNS1_25lookback_scan_determinismE0ELb0ELb0ES3_PKS7_PS7_S7_ZZZN2at6native31launch_logcumsumexp_cuda_kernelERKNSE_10TensorBaseESI_lENKUlvE_clEvENKUlvE1_clEvEUlS7_S7_E_S7_EEDaPvRmT3_T4_T5_mT6_P12ihipStream_tbENKUlT_T0_E_clISt17integral_constantIbLb1EESY_IbLb0EEEEDaSU_SV_EUlSU_E_NS1_11comp_targetILNS1_3genE10ELNS1_11target_archE1201ELNS1_3gpuE5ELNS1_3repE0EEENS1_30default_config_static_selectorELNS0_4arch9wavefront6targetE1EEEvT1_,comdat
	.globl	_ZN7rocprim17ROCPRIM_400000_NS6detail17trampoline_kernelINS0_14default_configENS1_20scan_config_selectorIN3c107complexIdEEEEZZNS1_9scan_implILNS1_25lookback_scan_determinismE0ELb0ELb0ES3_PKS7_PS7_S7_ZZZN2at6native31launch_logcumsumexp_cuda_kernelERKNSE_10TensorBaseESI_lENKUlvE_clEvENKUlvE1_clEvEUlS7_S7_E_S7_EEDaPvRmT3_T4_T5_mT6_P12ihipStream_tbENKUlT_T0_E_clISt17integral_constantIbLb1EESY_IbLb0EEEEDaSU_SV_EUlSU_E_NS1_11comp_targetILNS1_3genE10ELNS1_11target_archE1201ELNS1_3gpuE5ELNS1_3repE0EEENS1_30default_config_static_selectorELNS0_4arch9wavefront6targetE1EEEvT1_ ; -- Begin function _ZN7rocprim17ROCPRIM_400000_NS6detail17trampoline_kernelINS0_14default_configENS1_20scan_config_selectorIN3c107complexIdEEEEZZNS1_9scan_implILNS1_25lookback_scan_determinismE0ELb0ELb0ES3_PKS7_PS7_S7_ZZZN2at6native31launch_logcumsumexp_cuda_kernelERKNSE_10TensorBaseESI_lENKUlvE_clEvENKUlvE1_clEvEUlS7_S7_E_S7_EEDaPvRmT3_T4_T5_mT6_P12ihipStream_tbENKUlT_T0_E_clISt17integral_constantIbLb1EESY_IbLb0EEEEDaSU_SV_EUlSU_E_NS1_11comp_targetILNS1_3genE10ELNS1_11target_archE1201ELNS1_3gpuE5ELNS1_3repE0EEENS1_30default_config_static_selectorELNS0_4arch9wavefront6targetE1EEEvT1_
	.p2align	8
	.type	_ZN7rocprim17ROCPRIM_400000_NS6detail17trampoline_kernelINS0_14default_configENS1_20scan_config_selectorIN3c107complexIdEEEEZZNS1_9scan_implILNS1_25lookback_scan_determinismE0ELb0ELb0ES3_PKS7_PS7_S7_ZZZN2at6native31launch_logcumsumexp_cuda_kernelERKNSE_10TensorBaseESI_lENKUlvE_clEvENKUlvE1_clEvEUlS7_S7_E_S7_EEDaPvRmT3_T4_T5_mT6_P12ihipStream_tbENKUlT_T0_E_clISt17integral_constantIbLb1EESY_IbLb0EEEEDaSU_SV_EUlSU_E_NS1_11comp_targetILNS1_3genE10ELNS1_11target_archE1201ELNS1_3gpuE5ELNS1_3repE0EEENS1_30default_config_static_selectorELNS0_4arch9wavefront6targetE1EEEvT1_,@function
_ZN7rocprim17ROCPRIM_400000_NS6detail17trampoline_kernelINS0_14default_configENS1_20scan_config_selectorIN3c107complexIdEEEEZZNS1_9scan_implILNS1_25lookback_scan_determinismE0ELb0ELb0ES3_PKS7_PS7_S7_ZZZN2at6native31launch_logcumsumexp_cuda_kernelERKNSE_10TensorBaseESI_lENKUlvE_clEvENKUlvE1_clEvEUlS7_S7_E_S7_EEDaPvRmT3_T4_T5_mT6_P12ihipStream_tbENKUlT_T0_E_clISt17integral_constantIbLb1EESY_IbLb0EEEEDaSU_SV_EUlSU_E_NS1_11comp_targetILNS1_3genE10ELNS1_11target_archE1201ELNS1_3gpuE5ELNS1_3repE0EEENS1_30default_config_static_selectorELNS0_4arch9wavefront6targetE1EEEvT1_: ; @_ZN7rocprim17ROCPRIM_400000_NS6detail17trampoline_kernelINS0_14default_configENS1_20scan_config_selectorIN3c107complexIdEEEEZZNS1_9scan_implILNS1_25lookback_scan_determinismE0ELb0ELb0ES3_PKS7_PS7_S7_ZZZN2at6native31launch_logcumsumexp_cuda_kernelERKNSE_10TensorBaseESI_lENKUlvE_clEvENKUlvE1_clEvEUlS7_S7_E_S7_EEDaPvRmT3_T4_T5_mT6_P12ihipStream_tbENKUlT_T0_E_clISt17integral_constantIbLb1EESY_IbLb0EEEEDaSU_SV_EUlSU_E_NS1_11comp_targetILNS1_3genE10ELNS1_11target_archE1201ELNS1_3gpuE5ELNS1_3repE0EEENS1_30default_config_static_selectorELNS0_4arch9wavefront6targetE1EEEvT1_
; %bb.0:
	.section	.rodata,"a",@progbits
	.p2align	6, 0x0
	.amdhsa_kernel _ZN7rocprim17ROCPRIM_400000_NS6detail17trampoline_kernelINS0_14default_configENS1_20scan_config_selectorIN3c107complexIdEEEEZZNS1_9scan_implILNS1_25lookback_scan_determinismE0ELb0ELb0ES3_PKS7_PS7_S7_ZZZN2at6native31launch_logcumsumexp_cuda_kernelERKNSE_10TensorBaseESI_lENKUlvE_clEvENKUlvE1_clEvEUlS7_S7_E_S7_EEDaPvRmT3_T4_T5_mT6_P12ihipStream_tbENKUlT_T0_E_clISt17integral_constantIbLb1EESY_IbLb0EEEEDaSU_SV_EUlSU_E_NS1_11comp_targetILNS1_3genE10ELNS1_11target_archE1201ELNS1_3gpuE5ELNS1_3repE0EEENS1_30default_config_static_selectorELNS0_4arch9wavefront6targetE1EEEvT1_
		.amdhsa_group_segment_fixed_size 0
		.amdhsa_private_segment_fixed_size 0
		.amdhsa_kernarg_size 128
		.amdhsa_user_sgpr_count 2
		.amdhsa_user_sgpr_dispatch_ptr 0
		.amdhsa_user_sgpr_queue_ptr 0
		.amdhsa_user_sgpr_kernarg_segment_ptr 1
		.amdhsa_user_sgpr_dispatch_id 0
		.amdhsa_user_sgpr_kernarg_preload_length 0
		.amdhsa_user_sgpr_kernarg_preload_offset 0
		.amdhsa_user_sgpr_private_segment_size 0
		.amdhsa_uses_dynamic_stack 0
		.amdhsa_enable_private_segment 0
		.amdhsa_system_sgpr_workgroup_id_x 1
		.amdhsa_system_sgpr_workgroup_id_y 0
		.amdhsa_system_sgpr_workgroup_id_z 0
		.amdhsa_system_sgpr_workgroup_info 0
		.amdhsa_system_vgpr_workitem_id 0
		.amdhsa_next_free_vgpr 1
		.amdhsa_next_free_sgpr 0
		.amdhsa_accum_offset 4
		.amdhsa_reserve_vcc 0
		.amdhsa_float_round_mode_32 0
		.amdhsa_float_round_mode_16_64 0
		.amdhsa_float_denorm_mode_32 3
		.amdhsa_float_denorm_mode_16_64 3
		.amdhsa_dx10_clamp 1
		.amdhsa_ieee_mode 1
		.amdhsa_fp16_overflow 0
		.amdhsa_tg_split 0
		.amdhsa_exception_fp_ieee_invalid_op 0
		.amdhsa_exception_fp_denorm_src 0
		.amdhsa_exception_fp_ieee_div_zero 0
		.amdhsa_exception_fp_ieee_overflow 0
		.amdhsa_exception_fp_ieee_underflow 0
		.amdhsa_exception_fp_ieee_inexact 0
		.amdhsa_exception_int_div_zero 0
	.end_amdhsa_kernel
	.section	.text._ZN7rocprim17ROCPRIM_400000_NS6detail17trampoline_kernelINS0_14default_configENS1_20scan_config_selectorIN3c107complexIdEEEEZZNS1_9scan_implILNS1_25lookback_scan_determinismE0ELb0ELb0ES3_PKS7_PS7_S7_ZZZN2at6native31launch_logcumsumexp_cuda_kernelERKNSE_10TensorBaseESI_lENKUlvE_clEvENKUlvE1_clEvEUlS7_S7_E_S7_EEDaPvRmT3_T4_T5_mT6_P12ihipStream_tbENKUlT_T0_E_clISt17integral_constantIbLb1EESY_IbLb0EEEEDaSU_SV_EUlSU_E_NS1_11comp_targetILNS1_3genE10ELNS1_11target_archE1201ELNS1_3gpuE5ELNS1_3repE0EEENS1_30default_config_static_selectorELNS0_4arch9wavefront6targetE1EEEvT1_,"axG",@progbits,_ZN7rocprim17ROCPRIM_400000_NS6detail17trampoline_kernelINS0_14default_configENS1_20scan_config_selectorIN3c107complexIdEEEEZZNS1_9scan_implILNS1_25lookback_scan_determinismE0ELb0ELb0ES3_PKS7_PS7_S7_ZZZN2at6native31launch_logcumsumexp_cuda_kernelERKNSE_10TensorBaseESI_lENKUlvE_clEvENKUlvE1_clEvEUlS7_S7_E_S7_EEDaPvRmT3_T4_T5_mT6_P12ihipStream_tbENKUlT_T0_E_clISt17integral_constantIbLb1EESY_IbLb0EEEEDaSU_SV_EUlSU_E_NS1_11comp_targetILNS1_3genE10ELNS1_11target_archE1201ELNS1_3gpuE5ELNS1_3repE0EEENS1_30default_config_static_selectorELNS0_4arch9wavefront6targetE1EEEvT1_,comdat
.Lfunc_end235:
	.size	_ZN7rocprim17ROCPRIM_400000_NS6detail17trampoline_kernelINS0_14default_configENS1_20scan_config_selectorIN3c107complexIdEEEEZZNS1_9scan_implILNS1_25lookback_scan_determinismE0ELb0ELb0ES3_PKS7_PS7_S7_ZZZN2at6native31launch_logcumsumexp_cuda_kernelERKNSE_10TensorBaseESI_lENKUlvE_clEvENKUlvE1_clEvEUlS7_S7_E_S7_EEDaPvRmT3_T4_T5_mT6_P12ihipStream_tbENKUlT_T0_E_clISt17integral_constantIbLb1EESY_IbLb0EEEEDaSU_SV_EUlSU_E_NS1_11comp_targetILNS1_3genE10ELNS1_11target_archE1201ELNS1_3gpuE5ELNS1_3repE0EEENS1_30default_config_static_selectorELNS0_4arch9wavefront6targetE1EEEvT1_, .Lfunc_end235-_ZN7rocprim17ROCPRIM_400000_NS6detail17trampoline_kernelINS0_14default_configENS1_20scan_config_selectorIN3c107complexIdEEEEZZNS1_9scan_implILNS1_25lookback_scan_determinismE0ELb0ELb0ES3_PKS7_PS7_S7_ZZZN2at6native31launch_logcumsumexp_cuda_kernelERKNSE_10TensorBaseESI_lENKUlvE_clEvENKUlvE1_clEvEUlS7_S7_E_S7_EEDaPvRmT3_T4_T5_mT6_P12ihipStream_tbENKUlT_T0_E_clISt17integral_constantIbLb1EESY_IbLb0EEEEDaSU_SV_EUlSU_E_NS1_11comp_targetILNS1_3genE10ELNS1_11target_archE1201ELNS1_3gpuE5ELNS1_3repE0EEENS1_30default_config_static_selectorELNS0_4arch9wavefront6targetE1EEEvT1_
                                        ; -- End function
	.section	.AMDGPU.csdata,"",@progbits
; Kernel info:
; codeLenInByte = 0
; NumSgprs: 6
; NumVgprs: 0
; NumAgprs: 0
; TotalNumVgprs: 0
; ScratchSize: 0
; MemoryBound: 0
; FloatMode: 240
; IeeeMode: 1
; LDSByteSize: 0 bytes/workgroup (compile time only)
; SGPRBlocks: 0
; VGPRBlocks: 0
; NumSGPRsForWavesPerEU: 6
; NumVGPRsForWavesPerEU: 1
; AccumOffset: 4
; Occupancy: 8
; WaveLimiterHint : 0
; COMPUTE_PGM_RSRC2:SCRATCH_EN: 0
; COMPUTE_PGM_RSRC2:USER_SGPR: 2
; COMPUTE_PGM_RSRC2:TRAP_HANDLER: 0
; COMPUTE_PGM_RSRC2:TGID_X_EN: 1
; COMPUTE_PGM_RSRC2:TGID_Y_EN: 0
; COMPUTE_PGM_RSRC2:TGID_Z_EN: 0
; COMPUTE_PGM_RSRC2:TIDIG_COMP_CNT: 0
; COMPUTE_PGM_RSRC3_GFX90A:ACCUM_OFFSET: 0
; COMPUTE_PGM_RSRC3_GFX90A:TG_SPLIT: 0
	.section	.text._ZN7rocprim17ROCPRIM_400000_NS6detail17trampoline_kernelINS0_14default_configENS1_20scan_config_selectorIN3c107complexIdEEEEZZNS1_9scan_implILNS1_25lookback_scan_determinismE0ELb0ELb0ES3_PKS7_PS7_S7_ZZZN2at6native31launch_logcumsumexp_cuda_kernelERKNSE_10TensorBaseESI_lENKUlvE_clEvENKUlvE1_clEvEUlS7_S7_E_S7_EEDaPvRmT3_T4_T5_mT6_P12ihipStream_tbENKUlT_T0_E_clISt17integral_constantIbLb1EESY_IbLb0EEEEDaSU_SV_EUlSU_E_NS1_11comp_targetILNS1_3genE10ELNS1_11target_archE1200ELNS1_3gpuE4ELNS1_3repE0EEENS1_30default_config_static_selectorELNS0_4arch9wavefront6targetE1EEEvT1_,"axG",@progbits,_ZN7rocprim17ROCPRIM_400000_NS6detail17trampoline_kernelINS0_14default_configENS1_20scan_config_selectorIN3c107complexIdEEEEZZNS1_9scan_implILNS1_25lookback_scan_determinismE0ELb0ELb0ES3_PKS7_PS7_S7_ZZZN2at6native31launch_logcumsumexp_cuda_kernelERKNSE_10TensorBaseESI_lENKUlvE_clEvENKUlvE1_clEvEUlS7_S7_E_S7_EEDaPvRmT3_T4_T5_mT6_P12ihipStream_tbENKUlT_T0_E_clISt17integral_constantIbLb1EESY_IbLb0EEEEDaSU_SV_EUlSU_E_NS1_11comp_targetILNS1_3genE10ELNS1_11target_archE1200ELNS1_3gpuE4ELNS1_3repE0EEENS1_30default_config_static_selectorELNS0_4arch9wavefront6targetE1EEEvT1_,comdat
	.globl	_ZN7rocprim17ROCPRIM_400000_NS6detail17trampoline_kernelINS0_14default_configENS1_20scan_config_selectorIN3c107complexIdEEEEZZNS1_9scan_implILNS1_25lookback_scan_determinismE0ELb0ELb0ES3_PKS7_PS7_S7_ZZZN2at6native31launch_logcumsumexp_cuda_kernelERKNSE_10TensorBaseESI_lENKUlvE_clEvENKUlvE1_clEvEUlS7_S7_E_S7_EEDaPvRmT3_T4_T5_mT6_P12ihipStream_tbENKUlT_T0_E_clISt17integral_constantIbLb1EESY_IbLb0EEEEDaSU_SV_EUlSU_E_NS1_11comp_targetILNS1_3genE10ELNS1_11target_archE1200ELNS1_3gpuE4ELNS1_3repE0EEENS1_30default_config_static_selectorELNS0_4arch9wavefront6targetE1EEEvT1_ ; -- Begin function _ZN7rocprim17ROCPRIM_400000_NS6detail17trampoline_kernelINS0_14default_configENS1_20scan_config_selectorIN3c107complexIdEEEEZZNS1_9scan_implILNS1_25lookback_scan_determinismE0ELb0ELb0ES3_PKS7_PS7_S7_ZZZN2at6native31launch_logcumsumexp_cuda_kernelERKNSE_10TensorBaseESI_lENKUlvE_clEvENKUlvE1_clEvEUlS7_S7_E_S7_EEDaPvRmT3_T4_T5_mT6_P12ihipStream_tbENKUlT_T0_E_clISt17integral_constantIbLb1EESY_IbLb0EEEEDaSU_SV_EUlSU_E_NS1_11comp_targetILNS1_3genE10ELNS1_11target_archE1200ELNS1_3gpuE4ELNS1_3repE0EEENS1_30default_config_static_selectorELNS0_4arch9wavefront6targetE1EEEvT1_
	.p2align	8
	.type	_ZN7rocprim17ROCPRIM_400000_NS6detail17trampoline_kernelINS0_14default_configENS1_20scan_config_selectorIN3c107complexIdEEEEZZNS1_9scan_implILNS1_25lookback_scan_determinismE0ELb0ELb0ES3_PKS7_PS7_S7_ZZZN2at6native31launch_logcumsumexp_cuda_kernelERKNSE_10TensorBaseESI_lENKUlvE_clEvENKUlvE1_clEvEUlS7_S7_E_S7_EEDaPvRmT3_T4_T5_mT6_P12ihipStream_tbENKUlT_T0_E_clISt17integral_constantIbLb1EESY_IbLb0EEEEDaSU_SV_EUlSU_E_NS1_11comp_targetILNS1_3genE10ELNS1_11target_archE1200ELNS1_3gpuE4ELNS1_3repE0EEENS1_30default_config_static_selectorELNS0_4arch9wavefront6targetE1EEEvT1_,@function
_ZN7rocprim17ROCPRIM_400000_NS6detail17trampoline_kernelINS0_14default_configENS1_20scan_config_selectorIN3c107complexIdEEEEZZNS1_9scan_implILNS1_25lookback_scan_determinismE0ELb0ELb0ES3_PKS7_PS7_S7_ZZZN2at6native31launch_logcumsumexp_cuda_kernelERKNSE_10TensorBaseESI_lENKUlvE_clEvENKUlvE1_clEvEUlS7_S7_E_S7_EEDaPvRmT3_T4_T5_mT6_P12ihipStream_tbENKUlT_T0_E_clISt17integral_constantIbLb1EESY_IbLb0EEEEDaSU_SV_EUlSU_E_NS1_11comp_targetILNS1_3genE10ELNS1_11target_archE1200ELNS1_3gpuE4ELNS1_3repE0EEENS1_30default_config_static_selectorELNS0_4arch9wavefront6targetE1EEEvT1_: ; @_ZN7rocprim17ROCPRIM_400000_NS6detail17trampoline_kernelINS0_14default_configENS1_20scan_config_selectorIN3c107complexIdEEEEZZNS1_9scan_implILNS1_25lookback_scan_determinismE0ELb0ELb0ES3_PKS7_PS7_S7_ZZZN2at6native31launch_logcumsumexp_cuda_kernelERKNSE_10TensorBaseESI_lENKUlvE_clEvENKUlvE1_clEvEUlS7_S7_E_S7_EEDaPvRmT3_T4_T5_mT6_P12ihipStream_tbENKUlT_T0_E_clISt17integral_constantIbLb1EESY_IbLb0EEEEDaSU_SV_EUlSU_E_NS1_11comp_targetILNS1_3genE10ELNS1_11target_archE1200ELNS1_3gpuE4ELNS1_3repE0EEENS1_30default_config_static_selectorELNS0_4arch9wavefront6targetE1EEEvT1_
; %bb.0:
	.section	.rodata,"a",@progbits
	.p2align	6, 0x0
	.amdhsa_kernel _ZN7rocprim17ROCPRIM_400000_NS6detail17trampoline_kernelINS0_14default_configENS1_20scan_config_selectorIN3c107complexIdEEEEZZNS1_9scan_implILNS1_25lookback_scan_determinismE0ELb0ELb0ES3_PKS7_PS7_S7_ZZZN2at6native31launch_logcumsumexp_cuda_kernelERKNSE_10TensorBaseESI_lENKUlvE_clEvENKUlvE1_clEvEUlS7_S7_E_S7_EEDaPvRmT3_T4_T5_mT6_P12ihipStream_tbENKUlT_T0_E_clISt17integral_constantIbLb1EESY_IbLb0EEEEDaSU_SV_EUlSU_E_NS1_11comp_targetILNS1_3genE10ELNS1_11target_archE1200ELNS1_3gpuE4ELNS1_3repE0EEENS1_30default_config_static_selectorELNS0_4arch9wavefront6targetE1EEEvT1_
		.amdhsa_group_segment_fixed_size 0
		.amdhsa_private_segment_fixed_size 0
		.amdhsa_kernarg_size 128
		.amdhsa_user_sgpr_count 2
		.amdhsa_user_sgpr_dispatch_ptr 0
		.amdhsa_user_sgpr_queue_ptr 0
		.amdhsa_user_sgpr_kernarg_segment_ptr 1
		.amdhsa_user_sgpr_dispatch_id 0
		.amdhsa_user_sgpr_kernarg_preload_length 0
		.amdhsa_user_sgpr_kernarg_preload_offset 0
		.amdhsa_user_sgpr_private_segment_size 0
		.amdhsa_uses_dynamic_stack 0
		.amdhsa_enable_private_segment 0
		.amdhsa_system_sgpr_workgroup_id_x 1
		.amdhsa_system_sgpr_workgroup_id_y 0
		.amdhsa_system_sgpr_workgroup_id_z 0
		.amdhsa_system_sgpr_workgroup_info 0
		.amdhsa_system_vgpr_workitem_id 0
		.amdhsa_next_free_vgpr 1
		.amdhsa_next_free_sgpr 0
		.amdhsa_accum_offset 4
		.amdhsa_reserve_vcc 0
		.amdhsa_float_round_mode_32 0
		.amdhsa_float_round_mode_16_64 0
		.amdhsa_float_denorm_mode_32 3
		.amdhsa_float_denorm_mode_16_64 3
		.amdhsa_dx10_clamp 1
		.amdhsa_ieee_mode 1
		.amdhsa_fp16_overflow 0
		.amdhsa_tg_split 0
		.amdhsa_exception_fp_ieee_invalid_op 0
		.amdhsa_exception_fp_denorm_src 0
		.amdhsa_exception_fp_ieee_div_zero 0
		.amdhsa_exception_fp_ieee_overflow 0
		.amdhsa_exception_fp_ieee_underflow 0
		.amdhsa_exception_fp_ieee_inexact 0
		.amdhsa_exception_int_div_zero 0
	.end_amdhsa_kernel
	.section	.text._ZN7rocprim17ROCPRIM_400000_NS6detail17trampoline_kernelINS0_14default_configENS1_20scan_config_selectorIN3c107complexIdEEEEZZNS1_9scan_implILNS1_25lookback_scan_determinismE0ELb0ELb0ES3_PKS7_PS7_S7_ZZZN2at6native31launch_logcumsumexp_cuda_kernelERKNSE_10TensorBaseESI_lENKUlvE_clEvENKUlvE1_clEvEUlS7_S7_E_S7_EEDaPvRmT3_T4_T5_mT6_P12ihipStream_tbENKUlT_T0_E_clISt17integral_constantIbLb1EESY_IbLb0EEEEDaSU_SV_EUlSU_E_NS1_11comp_targetILNS1_3genE10ELNS1_11target_archE1200ELNS1_3gpuE4ELNS1_3repE0EEENS1_30default_config_static_selectorELNS0_4arch9wavefront6targetE1EEEvT1_,"axG",@progbits,_ZN7rocprim17ROCPRIM_400000_NS6detail17trampoline_kernelINS0_14default_configENS1_20scan_config_selectorIN3c107complexIdEEEEZZNS1_9scan_implILNS1_25lookback_scan_determinismE0ELb0ELb0ES3_PKS7_PS7_S7_ZZZN2at6native31launch_logcumsumexp_cuda_kernelERKNSE_10TensorBaseESI_lENKUlvE_clEvENKUlvE1_clEvEUlS7_S7_E_S7_EEDaPvRmT3_T4_T5_mT6_P12ihipStream_tbENKUlT_T0_E_clISt17integral_constantIbLb1EESY_IbLb0EEEEDaSU_SV_EUlSU_E_NS1_11comp_targetILNS1_3genE10ELNS1_11target_archE1200ELNS1_3gpuE4ELNS1_3repE0EEENS1_30default_config_static_selectorELNS0_4arch9wavefront6targetE1EEEvT1_,comdat
.Lfunc_end236:
	.size	_ZN7rocprim17ROCPRIM_400000_NS6detail17trampoline_kernelINS0_14default_configENS1_20scan_config_selectorIN3c107complexIdEEEEZZNS1_9scan_implILNS1_25lookback_scan_determinismE0ELb0ELb0ES3_PKS7_PS7_S7_ZZZN2at6native31launch_logcumsumexp_cuda_kernelERKNSE_10TensorBaseESI_lENKUlvE_clEvENKUlvE1_clEvEUlS7_S7_E_S7_EEDaPvRmT3_T4_T5_mT6_P12ihipStream_tbENKUlT_T0_E_clISt17integral_constantIbLb1EESY_IbLb0EEEEDaSU_SV_EUlSU_E_NS1_11comp_targetILNS1_3genE10ELNS1_11target_archE1200ELNS1_3gpuE4ELNS1_3repE0EEENS1_30default_config_static_selectorELNS0_4arch9wavefront6targetE1EEEvT1_, .Lfunc_end236-_ZN7rocprim17ROCPRIM_400000_NS6detail17trampoline_kernelINS0_14default_configENS1_20scan_config_selectorIN3c107complexIdEEEEZZNS1_9scan_implILNS1_25lookback_scan_determinismE0ELb0ELb0ES3_PKS7_PS7_S7_ZZZN2at6native31launch_logcumsumexp_cuda_kernelERKNSE_10TensorBaseESI_lENKUlvE_clEvENKUlvE1_clEvEUlS7_S7_E_S7_EEDaPvRmT3_T4_T5_mT6_P12ihipStream_tbENKUlT_T0_E_clISt17integral_constantIbLb1EESY_IbLb0EEEEDaSU_SV_EUlSU_E_NS1_11comp_targetILNS1_3genE10ELNS1_11target_archE1200ELNS1_3gpuE4ELNS1_3repE0EEENS1_30default_config_static_selectorELNS0_4arch9wavefront6targetE1EEEvT1_
                                        ; -- End function
	.section	.AMDGPU.csdata,"",@progbits
; Kernel info:
; codeLenInByte = 0
; NumSgprs: 6
; NumVgprs: 0
; NumAgprs: 0
; TotalNumVgprs: 0
; ScratchSize: 0
; MemoryBound: 0
; FloatMode: 240
; IeeeMode: 1
; LDSByteSize: 0 bytes/workgroup (compile time only)
; SGPRBlocks: 0
; VGPRBlocks: 0
; NumSGPRsForWavesPerEU: 6
; NumVGPRsForWavesPerEU: 1
; AccumOffset: 4
; Occupancy: 8
; WaveLimiterHint : 0
; COMPUTE_PGM_RSRC2:SCRATCH_EN: 0
; COMPUTE_PGM_RSRC2:USER_SGPR: 2
; COMPUTE_PGM_RSRC2:TRAP_HANDLER: 0
; COMPUTE_PGM_RSRC2:TGID_X_EN: 1
; COMPUTE_PGM_RSRC2:TGID_Y_EN: 0
; COMPUTE_PGM_RSRC2:TGID_Z_EN: 0
; COMPUTE_PGM_RSRC2:TIDIG_COMP_CNT: 0
; COMPUTE_PGM_RSRC3_GFX90A:ACCUM_OFFSET: 0
; COMPUTE_PGM_RSRC3_GFX90A:TG_SPLIT: 0
	.section	.text._ZN7rocprim17ROCPRIM_400000_NS6detail17trampoline_kernelINS0_14default_configENS1_20scan_config_selectorIN3c107complexIdEEEEZZNS1_9scan_implILNS1_25lookback_scan_determinismE0ELb0ELb0ES3_PKS7_PS7_S7_ZZZN2at6native31launch_logcumsumexp_cuda_kernelERKNSE_10TensorBaseESI_lENKUlvE_clEvENKUlvE1_clEvEUlS7_S7_E_S7_EEDaPvRmT3_T4_T5_mT6_P12ihipStream_tbENKUlT_T0_E_clISt17integral_constantIbLb1EESY_IbLb0EEEEDaSU_SV_EUlSU_E_NS1_11comp_targetILNS1_3genE9ELNS1_11target_archE1100ELNS1_3gpuE3ELNS1_3repE0EEENS1_30default_config_static_selectorELNS0_4arch9wavefront6targetE1EEEvT1_,"axG",@progbits,_ZN7rocprim17ROCPRIM_400000_NS6detail17trampoline_kernelINS0_14default_configENS1_20scan_config_selectorIN3c107complexIdEEEEZZNS1_9scan_implILNS1_25lookback_scan_determinismE0ELb0ELb0ES3_PKS7_PS7_S7_ZZZN2at6native31launch_logcumsumexp_cuda_kernelERKNSE_10TensorBaseESI_lENKUlvE_clEvENKUlvE1_clEvEUlS7_S7_E_S7_EEDaPvRmT3_T4_T5_mT6_P12ihipStream_tbENKUlT_T0_E_clISt17integral_constantIbLb1EESY_IbLb0EEEEDaSU_SV_EUlSU_E_NS1_11comp_targetILNS1_3genE9ELNS1_11target_archE1100ELNS1_3gpuE3ELNS1_3repE0EEENS1_30default_config_static_selectorELNS0_4arch9wavefront6targetE1EEEvT1_,comdat
	.globl	_ZN7rocprim17ROCPRIM_400000_NS6detail17trampoline_kernelINS0_14default_configENS1_20scan_config_selectorIN3c107complexIdEEEEZZNS1_9scan_implILNS1_25lookback_scan_determinismE0ELb0ELb0ES3_PKS7_PS7_S7_ZZZN2at6native31launch_logcumsumexp_cuda_kernelERKNSE_10TensorBaseESI_lENKUlvE_clEvENKUlvE1_clEvEUlS7_S7_E_S7_EEDaPvRmT3_T4_T5_mT6_P12ihipStream_tbENKUlT_T0_E_clISt17integral_constantIbLb1EESY_IbLb0EEEEDaSU_SV_EUlSU_E_NS1_11comp_targetILNS1_3genE9ELNS1_11target_archE1100ELNS1_3gpuE3ELNS1_3repE0EEENS1_30default_config_static_selectorELNS0_4arch9wavefront6targetE1EEEvT1_ ; -- Begin function _ZN7rocprim17ROCPRIM_400000_NS6detail17trampoline_kernelINS0_14default_configENS1_20scan_config_selectorIN3c107complexIdEEEEZZNS1_9scan_implILNS1_25lookback_scan_determinismE0ELb0ELb0ES3_PKS7_PS7_S7_ZZZN2at6native31launch_logcumsumexp_cuda_kernelERKNSE_10TensorBaseESI_lENKUlvE_clEvENKUlvE1_clEvEUlS7_S7_E_S7_EEDaPvRmT3_T4_T5_mT6_P12ihipStream_tbENKUlT_T0_E_clISt17integral_constantIbLb1EESY_IbLb0EEEEDaSU_SV_EUlSU_E_NS1_11comp_targetILNS1_3genE9ELNS1_11target_archE1100ELNS1_3gpuE3ELNS1_3repE0EEENS1_30default_config_static_selectorELNS0_4arch9wavefront6targetE1EEEvT1_
	.p2align	8
	.type	_ZN7rocprim17ROCPRIM_400000_NS6detail17trampoline_kernelINS0_14default_configENS1_20scan_config_selectorIN3c107complexIdEEEEZZNS1_9scan_implILNS1_25lookback_scan_determinismE0ELb0ELb0ES3_PKS7_PS7_S7_ZZZN2at6native31launch_logcumsumexp_cuda_kernelERKNSE_10TensorBaseESI_lENKUlvE_clEvENKUlvE1_clEvEUlS7_S7_E_S7_EEDaPvRmT3_T4_T5_mT6_P12ihipStream_tbENKUlT_T0_E_clISt17integral_constantIbLb1EESY_IbLb0EEEEDaSU_SV_EUlSU_E_NS1_11comp_targetILNS1_3genE9ELNS1_11target_archE1100ELNS1_3gpuE3ELNS1_3repE0EEENS1_30default_config_static_selectorELNS0_4arch9wavefront6targetE1EEEvT1_,@function
_ZN7rocprim17ROCPRIM_400000_NS6detail17trampoline_kernelINS0_14default_configENS1_20scan_config_selectorIN3c107complexIdEEEEZZNS1_9scan_implILNS1_25lookback_scan_determinismE0ELb0ELb0ES3_PKS7_PS7_S7_ZZZN2at6native31launch_logcumsumexp_cuda_kernelERKNSE_10TensorBaseESI_lENKUlvE_clEvENKUlvE1_clEvEUlS7_S7_E_S7_EEDaPvRmT3_T4_T5_mT6_P12ihipStream_tbENKUlT_T0_E_clISt17integral_constantIbLb1EESY_IbLb0EEEEDaSU_SV_EUlSU_E_NS1_11comp_targetILNS1_3genE9ELNS1_11target_archE1100ELNS1_3gpuE3ELNS1_3repE0EEENS1_30default_config_static_selectorELNS0_4arch9wavefront6targetE1EEEvT1_: ; @_ZN7rocprim17ROCPRIM_400000_NS6detail17trampoline_kernelINS0_14default_configENS1_20scan_config_selectorIN3c107complexIdEEEEZZNS1_9scan_implILNS1_25lookback_scan_determinismE0ELb0ELb0ES3_PKS7_PS7_S7_ZZZN2at6native31launch_logcumsumexp_cuda_kernelERKNSE_10TensorBaseESI_lENKUlvE_clEvENKUlvE1_clEvEUlS7_S7_E_S7_EEDaPvRmT3_T4_T5_mT6_P12ihipStream_tbENKUlT_T0_E_clISt17integral_constantIbLb1EESY_IbLb0EEEEDaSU_SV_EUlSU_E_NS1_11comp_targetILNS1_3genE9ELNS1_11target_archE1100ELNS1_3gpuE3ELNS1_3repE0EEENS1_30default_config_static_selectorELNS0_4arch9wavefront6targetE1EEEvT1_
; %bb.0:
	.section	.rodata,"a",@progbits
	.p2align	6, 0x0
	.amdhsa_kernel _ZN7rocprim17ROCPRIM_400000_NS6detail17trampoline_kernelINS0_14default_configENS1_20scan_config_selectorIN3c107complexIdEEEEZZNS1_9scan_implILNS1_25lookback_scan_determinismE0ELb0ELb0ES3_PKS7_PS7_S7_ZZZN2at6native31launch_logcumsumexp_cuda_kernelERKNSE_10TensorBaseESI_lENKUlvE_clEvENKUlvE1_clEvEUlS7_S7_E_S7_EEDaPvRmT3_T4_T5_mT6_P12ihipStream_tbENKUlT_T0_E_clISt17integral_constantIbLb1EESY_IbLb0EEEEDaSU_SV_EUlSU_E_NS1_11comp_targetILNS1_3genE9ELNS1_11target_archE1100ELNS1_3gpuE3ELNS1_3repE0EEENS1_30default_config_static_selectorELNS0_4arch9wavefront6targetE1EEEvT1_
		.amdhsa_group_segment_fixed_size 0
		.amdhsa_private_segment_fixed_size 0
		.amdhsa_kernarg_size 128
		.amdhsa_user_sgpr_count 2
		.amdhsa_user_sgpr_dispatch_ptr 0
		.amdhsa_user_sgpr_queue_ptr 0
		.amdhsa_user_sgpr_kernarg_segment_ptr 1
		.amdhsa_user_sgpr_dispatch_id 0
		.amdhsa_user_sgpr_kernarg_preload_length 0
		.amdhsa_user_sgpr_kernarg_preload_offset 0
		.amdhsa_user_sgpr_private_segment_size 0
		.amdhsa_uses_dynamic_stack 0
		.amdhsa_enable_private_segment 0
		.amdhsa_system_sgpr_workgroup_id_x 1
		.amdhsa_system_sgpr_workgroup_id_y 0
		.amdhsa_system_sgpr_workgroup_id_z 0
		.amdhsa_system_sgpr_workgroup_info 0
		.amdhsa_system_vgpr_workitem_id 0
		.amdhsa_next_free_vgpr 1
		.amdhsa_next_free_sgpr 0
		.amdhsa_accum_offset 4
		.amdhsa_reserve_vcc 0
		.amdhsa_float_round_mode_32 0
		.amdhsa_float_round_mode_16_64 0
		.amdhsa_float_denorm_mode_32 3
		.amdhsa_float_denorm_mode_16_64 3
		.amdhsa_dx10_clamp 1
		.amdhsa_ieee_mode 1
		.amdhsa_fp16_overflow 0
		.amdhsa_tg_split 0
		.amdhsa_exception_fp_ieee_invalid_op 0
		.amdhsa_exception_fp_denorm_src 0
		.amdhsa_exception_fp_ieee_div_zero 0
		.amdhsa_exception_fp_ieee_overflow 0
		.amdhsa_exception_fp_ieee_underflow 0
		.amdhsa_exception_fp_ieee_inexact 0
		.amdhsa_exception_int_div_zero 0
	.end_amdhsa_kernel
	.section	.text._ZN7rocprim17ROCPRIM_400000_NS6detail17trampoline_kernelINS0_14default_configENS1_20scan_config_selectorIN3c107complexIdEEEEZZNS1_9scan_implILNS1_25lookback_scan_determinismE0ELb0ELb0ES3_PKS7_PS7_S7_ZZZN2at6native31launch_logcumsumexp_cuda_kernelERKNSE_10TensorBaseESI_lENKUlvE_clEvENKUlvE1_clEvEUlS7_S7_E_S7_EEDaPvRmT3_T4_T5_mT6_P12ihipStream_tbENKUlT_T0_E_clISt17integral_constantIbLb1EESY_IbLb0EEEEDaSU_SV_EUlSU_E_NS1_11comp_targetILNS1_3genE9ELNS1_11target_archE1100ELNS1_3gpuE3ELNS1_3repE0EEENS1_30default_config_static_selectorELNS0_4arch9wavefront6targetE1EEEvT1_,"axG",@progbits,_ZN7rocprim17ROCPRIM_400000_NS6detail17trampoline_kernelINS0_14default_configENS1_20scan_config_selectorIN3c107complexIdEEEEZZNS1_9scan_implILNS1_25lookback_scan_determinismE0ELb0ELb0ES3_PKS7_PS7_S7_ZZZN2at6native31launch_logcumsumexp_cuda_kernelERKNSE_10TensorBaseESI_lENKUlvE_clEvENKUlvE1_clEvEUlS7_S7_E_S7_EEDaPvRmT3_T4_T5_mT6_P12ihipStream_tbENKUlT_T0_E_clISt17integral_constantIbLb1EESY_IbLb0EEEEDaSU_SV_EUlSU_E_NS1_11comp_targetILNS1_3genE9ELNS1_11target_archE1100ELNS1_3gpuE3ELNS1_3repE0EEENS1_30default_config_static_selectorELNS0_4arch9wavefront6targetE1EEEvT1_,comdat
.Lfunc_end237:
	.size	_ZN7rocprim17ROCPRIM_400000_NS6detail17trampoline_kernelINS0_14default_configENS1_20scan_config_selectorIN3c107complexIdEEEEZZNS1_9scan_implILNS1_25lookback_scan_determinismE0ELb0ELb0ES3_PKS7_PS7_S7_ZZZN2at6native31launch_logcumsumexp_cuda_kernelERKNSE_10TensorBaseESI_lENKUlvE_clEvENKUlvE1_clEvEUlS7_S7_E_S7_EEDaPvRmT3_T4_T5_mT6_P12ihipStream_tbENKUlT_T0_E_clISt17integral_constantIbLb1EESY_IbLb0EEEEDaSU_SV_EUlSU_E_NS1_11comp_targetILNS1_3genE9ELNS1_11target_archE1100ELNS1_3gpuE3ELNS1_3repE0EEENS1_30default_config_static_selectorELNS0_4arch9wavefront6targetE1EEEvT1_, .Lfunc_end237-_ZN7rocprim17ROCPRIM_400000_NS6detail17trampoline_kernelINS0_14default_configENS1_20scan_config_selectorIN3c107complexIdEEEEZZNS1_9scan_implILNS1_25lookback_scan_determinismE0ELb0ELb0ES3_PKS7_PS7_S7_ZZZN2at6native31launch_logcumsumexp_cuda_kernelERKNSE_10TensorBaseESI_lENKUlvE_clEvENKUlvE1_clEvEUlS7_S7_E_S7_EEDaPvRmT3_T4_T5_mT6_P12ihipStream_tbENKUlT_T0_E_clISt17integral_constantIbLb1EESY_IbLb0EEEEDaSU_SV_EUlSU_E_NS1_11comp_targetILNS1_3genE9ELNS1_11target_archE1100ELNS1_3gpuE3ELNS1_3repE0EEENS1_30default_config_static_selectorELNS0_4arch9wavefront6targetE1EEEvT1_
                                        ; -- End function
	.section	.AMDGPU.csdata,"",@progbits
; Kernel info:
; codeLenInByte = 0
; NumSgprs: 6
; NumVgprs: 0
; NumAgprs: 0
; TotalNumVgprs: 0
; ScratchSize: 0
; MemoryBound: 0
; FloatMode: 240
; IeeeMode: 1
; LDSByteSize: 0 bytes/workgroup (compile time only)
; SGPRBlocks: 0
; VGPRBlocks: 0
; NumSGPRsForWavesPerEU: 6
; NumVGPRsForWavesPerEU: 1
; AccumOffset: 4
; Occupancy: 8
; WaveLimiterHint : 0
; COMPUTE_PGM_RSRC2:SCRATCH_EN: 0
; COMPUTE_PGM_RSRC2:USER_SGPR: 2
; COMPUTE_PGM_RSRC2:TRAP_HANDLER: 0
; COMPUTE_PGM_RSRC2:TGID_X_EN: 1
; COMPUTE_PGM_RSRC2:TGID_Y_EN: 0
; COMPUTE_PGM_RSRC2:TGID_Z_EN: 0
; COMPUTE_PGM_RSRC2:TIDIG_COMP_CNT: 0
; COMPUTE_PGM_RSRC3_GFX90A:ACCUM_OFFSET: 0
; COMPUTE_PGM_RSRC3_GFX90A:TG_SPLIT: 0
	.section	.text._ZN7rocprim17ROCPRIM_400000_NS6detail17trampoline_kernelINS0_14default_configENS1_20scan_config_selectorIN3c107complexIdEEEEZZNS1_9scan_implILNS1_25lookback_scan_determinismE0ELb0ELb0ES3_PKS7_PS7_S7_ZZZN2at6native31launch_logcumsumexp_cuda_kernelERKNSE_10TensorBaseESI_lENKUlvE_clEvENKUlvE1_clEvEUlS7_S7_E_S7_EEDaPvRmT3_T4_T5_mT6_P12ihipStream_tbENKUlT_T0_E_clISt17integral_constantIbLb1EESY_IbLb0EEEEDaSU_SV_EUlSU_E_NS1_11comp_targetILNS1_3genE8ELNS1_11target_archE1030ELNS1_3gpuE2ELNS1_3repE0EEENS1_30default_config_static_selectorELNS0_4arch9wavefront6targetE1EEEvT1_,"axG",@progbits,_ZN7rocprim17ROCPRIM_400000_NS6detail17trampoline_kernelINS0_14default_configENS1_20scan_config_selectorIN3c107complexIdEEEEZZNS1_9scan_implILNS1_25lookback_scan_determinismE0ELb0ELb0ES3_PKS7_PS7_S7_ZZZN2at6native31launch_logcumsumexp_cuda_kernelERKNSE_10TensorBaseESI_lENKUlvE_clEvENKUlvE1_clEvEUlS7_S7_E_S7_EEDaPvRmT3_T4_T5_mT6_P12ihipStream_tbENKUlT_T0_E_clISt17integral_constantIbLb1EESY_IbLb0EEEEDaSU_SV_EUlSU_E_NS1_11comp_targetILNS1_3genE8ELNS1_11target_archE1030ELNS1_3gpuE2ELNS1_3repE0EEENS1_30default_config_static_selectorELNS0_4arch9wavefront6targetE1EEEvT1_,comdat
	.globl	_ZN7rocprim17ROCPRIM_400000_NS6detail17trampoline_kernelINS0_14default_configENS1_20scan_config_selectorIN3c107complexIdEEEEZZNS1_9scan_implILNS1_25lookback_scan_determinismE0ELb0ELb0ES3_PKS7_PS7_S7_ZZZN2at6native31launch_logcumsumexp_cuda_kernelERKNSE_10TensorBaseESI_lENKUlvE_clEvENKUlvE1_clEvEUlS7_S7_E_S7_EEDaPvRmT3_T4_T5_mT6_P12ihipStream_tbENKUlT_T0_E_clISt17integral_constantIbLb1EESY_IbLb0EEEEDaSU_SV_EUlSU_E_NS1_11comp_targetILNS1_3genE8ELNS1_11target_archE1030ELNS1_3gpuE2ELNS1_3repE0EEENS1_30default_config_static_selectorELNS0_4arch9wavefront6targetE1EEEvT1_ ; -- Begin function _ZN7rocprim17ROCPRIM_400000_NS6detail17trampoline_kernelINS0_14default_configENS1_20scan_config_selectorIN3c107complexIdEEEEZZNS1_9scan_implILNS1_25lookback_scan_determinismE0ELb0ELb0ES3_PKS7_PS7_S7_ZZZN2at6native31launch_logcumsumexp_cuda_kernelERKNSE_10TensorBaseESI_lENKUlvE_clEvENKUlvE1_clEvEUlS7_S7_E_S7_EEDaPvRmT3_T4_T5_mT6_P12ihipStream_tbENKUlT_T0_E_clISt17integral_constantIbLb1EESY_IbLb0EEEEDaSU_SV_EUlSU_E_NS1_11comp_targetILNS1_3genE8ELNS1_11target_archE1030ELNS1_3gpuE2ELNS1_3repE0EEENS1_30default_config_static_selectorELNS0_4arch9wavefront6targetE1EEEvT1_
	.p2align	8
	.type	_ZN7rocprim17ROCPRIM_400000_NS6detail17trampoline_kernelINS0_14default_configENS1_20scan_config_selectorIN3c107complexIdEEEEZZNS1_9scan_implILNS1_25lookback_scan_determinismE0ELb0ELb0ES3_PKS7_PS7_S7_ZZZN2at6native31launch_logcumsumexp_cuda_kernelERKNSE_10TensorBaseESI_lENKUlvE_clEvENKUlvE1_clEvEUlS7_S7_E_S7_EEDaPvRmT3_T4_T5_mT6_P12ihipStream_tbENKUlT_T0_E_clISt17integral_constantIbLb1EESY_IbLb0EEEEDaSU_SV_EUlSU_E_NS1_11comp_targetILNS1_3genE8ELNS1_11target_archE1030ELNS1_3gpuE2ELNS1_3repE0EEENS1_30default_config_static_selectorELNS0_4arch9wavefront6targetE1EEEvT1_,@function
_ZN7rocprim17ROCPRIM_400000_NS6detail17trampoline_kernelINS0_14default_configENS1_20scan_config_selectorIN3c107complexIdEEEEZZNS1_9scan_implILNS1_25lookback_scan_determinismE0ELb0ELb0ES3_PKS7_PS7_S7_ZZZN2at6native31launch_logcumsumexp_cuda_kernelERKNSE_10TensorBaseESI_lENKUlvE_clEvENKUlvE1_clEvEUlS7_S7_E_S7_EEDaPvRmT3_T4_T5_mT6_P12ihipStream_tbENKUlT_T0_E_clISt17integral_constantIbLb1EESY_IbLb0EEEEDaSU_SV_EUlSU_E_NS1_11comp_targetILNS1_3genE8ELNS1_11target_archE1030ELNS1_3gpuE2ELNS1_3repE0EEENS1_30default_config_static_selectorELNS0_4arch9wavefront6targetE1EEEvT1_: ; @_ZN7rocprim17ROCPRIM_400000_NS6detail17trampoline_kernelINS0_14default_configENS1_20scan_config_selectorIN3c107complexIdEEEEZZNS1_9scan_implILNS1_25lookback_scan_determinismE0ELb0ELb0ES3_PKS7_PS7_S7_ZZZN2at6native31launch_logcumsumexp_cuda_kernelERKNSE_10TensorBaseESI_lENKUlvE_clEvENKUlvE1_clEvEUlS7_S7_E_S7_EEDaPvRmT3_T4_T5_mT6_P12ihipStream_tbENKUlT_T0_E_clISt17integral_constantIbLb1EESY_IbLb0EEEEDaSU_SV_EUlSU_E_NS1_11comp_targetILNS1_3genE8ELNS1_11target_archE1030ELNS1_3gpuE2ELNS1_3repE0EEENS1_30default_config_static_selectorELNS0_4arch9wavefront6targetE1EEEvT1_
; %bb.0:
	.section	.rodata,"a",@progbits
	.p2align	6, 0x0
	.amdhsa_kernel _ZN7rocprim17ROCPRIM_400000_NS6detail17trampoline_kernelINS0_14default_configENS1_20scan_config_selectorIN3c107complexIdEEEEZZNS1_9scan_implILNS1_25lookback_scan_determinismE0ELb0ELb0ES3_PKS7_PS7_S7_ZZZN2at6native31launch_logcumsumexp_cuda_kernelERKNSE_10TensorBaseESI_lENKUlvE_clEvENKUlvE1_clEvEUlS7_S7_E_S7_EEDaPvRmT3_T4_T5_mT6_P12ihipStream_tbENKUlT_T0_E_clISt17integral_constantIbLb1EESY_IbLb0EEEEDaSU_SV_EUlSU_E_NS1_11comp_targetILNS1_3genE8ELNS1_11target_archE1030ELNS1_3gpuE2ELNS1_3repE0EEENS1_30default_config_static_selectorELNS0_4arch9wavefront6targetE1EEEvT1_
		.amdhsa_group_segment_fixed_size 0
		.amdhsa_private_segment_fixed_size 0
		.amdhsa_kernarg_size 128
		.amdhsa_user_sgpr_count 2
		.amdhsa_user_sgpr_dispatch_ptr 0
		.amdhsa_user_sgpr_queue_ptr 0
		.amdhsa_user_sgpr_kernarg_segment_ptr 1
		.amdhsa_user_sgpr_dispatch_id 0
		.amdhsa_user_sgpr_kernarg_preload_length 0
		.amdhsa_user_sgpr_kernarg_preload_offset 0
		.amdhsa_user_sgpr_private_segment_size 0
		.amdhsa_uses_dynamic_stack 0
		.amdhsa_enable_private_segment 0
		.amdhsa_system_sgpr_workgroup_id_x 1
		.amdhsa_system_sgpr_workgroup_id_y 0
		.amdhsa_system_sgpr_workgroup_id_z 0
		.amdhsa_system_sgpr_workgroup_info 0
		.amdhsa_system_vgpr_workitem_id 0
		.amdhsa_next_free_vgpr 1
		.amdhsa_next_free_sgpr 0
		.amdhsa_accum_offset 4
		.amdhsa_reserve_vcc 0
		.amdhsa_float_round_mode_32 0
		.amdhsa_float_round_mode_16_64 0
		.amdhsa_float_denorm_mode_32 3
		.amdhsa_float_denorm_mode_16_64 3
		.amdhsa_dx10_clamp 1
		.amdhsa_ieee_mode 1
		.amdhsa_fp16_overflow 0
		.amdhsa_tg_split 0
		.amdhsa_exception_fp_ieee_invalid_op 0
		.amdhsa_exception_fp_denorm_src 0
		.amdhsa_exception_fp_ieee_div_zero 0
		.amdhsa_exception_fp_ieee_overflow 0
		.amdhsa_exception_fp_ieee_underflow 0
		.amdhsa_exception_fp_ieee_inexact 0
		.amdhsa_exception_int_div_zero 0
	.end_amdhsa_kernel
	.section	.text._ZN7rocprim17ROCPRIM_400000_NS6detail17trampoline_kernelINS0_14default_configENS1_20scan_config_selectorIN3c107complexIdEEEEZZNS1_9scan_implILNS1_25lookback_scan_determinismE0ELb0ELb0ES3_PKS7_PS7_S7_ZZZN2at6native31launch_logcumsumexp_cuda_kernelERKNSE_10TensorBaseESI_lENKUlvE_clEvENKUlvE1_clEvEUlS7_S7_E_S7_EEDaPvRmT3_T4_T5_mT6_P12ihipStream_tbENKUlT_T0_E_clISt17integral_constantIbLb1EESY_IbLb0EEEEDaSU_SV_EUlSU_E_NS1_11comp_targetILNS1_3genE8ELNS1_11target_archE1030ELNS1_3gpuE2ELNS1_3repE0EEENS1_30default_config_static_selectorELNS0_4arch9wavefront6targetE1EEEvT1_,"axG",@progbits,_ZN7rocprim17ROCPRIM_400000_NS6detail17trampoline_kernelINS0_14default_configENS1_20scan_config_selectorIN3c107complexIdEEEEZZNS1_9scan_implILNS1_25lookback_scan_determinismE0ELb0ELb0ES3_PKS7_PS7_S7_ZZZN2at6native31launch_logcumsumexp_cuda_kernelERKNSE_10TensorBaseESI_lENKUlvE_clEvENKUlvE1_clEvEUlS7_S7_E_S7_EEDaPvRmT3_T4_T5_mT6_P12ihipStream_tbENKUlT_T0_E_clISt17integral_constantIbLb1EESY_IbLb0EEEEDaSU_SV_EUlSU_E_NS1_11comp_targetILNS1_3genE8ELNS1_11target_archE1030ELNS1_3gpuE2ELNS1_3repE0EEENS1_30default_config_static_selectorELNS0_4arch9wavefront6targetE1EEEvT1_,comdat
.Lfunc_end238:
	.size	_ZN7rocprim17ROCPRIM_400000_NS6detail17trampoline_kernelINS0_14default_configENS1_20scan_config_selectorIN3c107complexIdEEEEZZNS1_9scan_implILNS1_25lookback_scan_determinismE0ELb0ELb0ES3_PKS7_PS7_S7_ZZZN2at6native31launch_logcumsumexp_cuda_kernelERKNSE_10TensorBaseESI_lENKUlvE_clEvENKUlvE1_clEvEUlS7_S7_E_S7_EEDaPvRmT3_T4_T5_mT6_P12ihipStream_tbENKUlT_T0_E_clISt17integral_constantIbLb1EESY_IbLb0EEEEDaSU_SV_EUlSU_E_NS1_11comp_targetILNS1_3genE8ELNS1_11target_archE1030ELNS1_3gpuE2ELNS1_3repE0EEENS1_30default_config_static_selectorELNS0_4arch9wavefront6targetE1EEEvT1_, .Lfunc_end238-_ZN7rocprim17ROCPRIM_400000_NS6detail17trampoline_kernelINS0_14default_configENS1_20scan_config_selectorIN3c107complexIdEEEEZZNS1_9scan_implILNS1_25lookback_scan_determinismE0ELb0ELb0ES3_PKS7_PS7_S7_ZZZN2at6native31launch_logcumsumexp_cuda_kernelERKNSE_10TensorBaseESI_lENKUlvE_clEvENKUlvE1_clEvEUlS7_S7_E_S7_EEDaPvRmT3_T4_T5_mT6_P12ihipStream_tbENKUlT_T0_E_clISt17integral_constantIbLb1EESY_IbLb0EEEEDaSU_SV_EUlSU_E_NS1_11comp_targetILNS1_3genE8ELNS1_11target_archE1030ELNS1_3gpuE2ELNS1_3repE0EEENS1_30default_config_static_selectorELNS0_4arch9wavefront6targetE1EEEvT1_
                                        ; -- End function
	.section	.AMDGPU.csdata,"",@progbits
; Kernel info:
; codeLenInByte = 0
; NumSgprs: 6
; NumVgprs: 0
; NumAgprs: 0
; TotalNumVgprs: 0
; ScratchSize: 0
; MemoryBound: 0
; FloatMode: 240
; IeeeMode: 1
; LDSByteSize: 0 bytes/workgroup (compile time only)
; SGPRBlocks: 0
; VGPRBlocks: 0
; NumSGPRsForWavesPerEU: 6
; NumVGPRsForWavesPerEU: 1
; AccumOffset: 4
; Occupancy: 8
; WaveLimiterHint : 0
; COMPUTE_PGM_RSRC2:SCRATCH_EN: 0
; COMPUTE_PGM_RSRC2:USER_SGPR: 2
; COMPUTE_PGM_RSRC2:TRAP_HANDLER: 0
; COMPUTE_PGM_RSRC2:TGID_X_EN: 1
; COMPUTE_PGM_RSRC2:TGID_Y_EN: 0
; COMPUTE_PGM_RSRC2:TGID_Z_EN: 0
; COMPUTE_PGM_RSRC2:TIDIG_COMP_CNT: 0
; COMPUTE_PGM_RSRC3_GFX90A:ACCUM_OFFSET: 0
; COMPUTE_PGM_RSRC3_GFX90A:TG_SPLIT: 0
	.section	.text._ZN7rocprim17ROCPRIM_400000_NS6detail17trampoline_kernelINS0_14default_configENS1_20scan_config_selectorIN3c107complexIdEEEEZZNS1_9scan_implILNS1_25lookback_scan_determinismE0ELb0ELb0ES3_PKS7_PS7_S7_ZZZN2at6native31launch_logcumsumexp_cuda_kernelERKNSE_10TensorBaseESI_lENKUlvE_clEvENKUlvE1_clEvEUlS7_S7_E_S7_EEDaPvRmT3_T4_T5_mT6_P12ihipStream_tbENKUlT_T0_E_clISt17integral_constantIbLb1EESY_IbLb0EEEEDaSU_SV_EUlSU_E0_NS1_11comp_targetILNS1_3genE0ELNS1_11target_archE4294967295ELNS1_3gpuE0ELNS1_3repE0EEENS1_30default_config_static_selectorELNS0_4arch9wavefront6targetE1EEEvT1_,"axG",@progbits,_ZN7rocprim17ROCPRIM_400000_NS6detail17trampoline_kernelINS0_14default_configENS1_20scan_config_selectorIN3c107complexIdEEEEZZNS1_9scan_implILNS1_25lookback_scan_determinismE0ELb0ELb0ES3_PKS7_PS7_S7_ZZZN2at6native31launch_logcumsumexp_cuda_kernelERKNSE_10TensorBaseESI_lENKUlvE_clEvENKUlvE1_clEvEUlS7_S7_E_S7_EEDaPvRmT3_T4_T5_mT6_P12ihipStream_tbENKUlT_T0_E_clISt17integral_constantIbLb1EESY_IbLb0EEEEDaSU_SV_EUlSU_E0_NS1_11comp_targetILNS1_3genE0ELNS1_11target_archE4294967295ELNS1_3gpuE0ELNS1_3repE0EEENS1_30default_config_static_selectorELNS0_4arch9wavefront6targetE1EEEvT1_,comdat
	.globl	_ZN7rocprim17ROCPRIM_400000_NS6detail17trampoline_kernelINS0_14default_configENS1_20scan_config_selectorIN3c107complexIdEEEEZZNS1_9scan_implILNS1_25lookback_scan_determinismE0ELb0ELb0ES3_PKS7_PS7_S7_ZZZN2at6native31launch_logcumsumexp_cuda_kernelERKNSE_10TensorBaseESI_lENKUlvE_clEvENKUlvE1_clEvEUlS7_S7_E_S7_EEDaPvRmT3_T4_T5_mT6_P12ihipStream_tbENKUlT_T0_E_clISt17integral_constantIbLb1EESY_IbLb0EEEEDaSU_SV_EUlSU_E0_NS1_11comp_targetILNS1_3genE0ELNS1_11target_archE4294967295ELNS1_3gpuE0ELNS1_3repE0EEENS1_30default_config_static_selectorELNS0_4arch9wavefront6targetE1EEEvT1_ ; -- Begin function _ZN7rocprim17ROCPRIM_400000_NS6detail17trampoline_kernelINS0_14default_configENS1_20scan_config_selectorIN3c107complexIdEEEEZZNS1_9scan_implILNS1_25lookback_scan_determinismE0ELb0ELb0ES3_PKS7_PS7_S7_ZZZN2at6native31launch_logcumsumexp_cuda_kernelERKNSE_10TensorBaseESI_lENKUlvE_clEvENKUlvE1_clEvEUlS7_S7_E_S7_EEDaPvRmT3_T4_T5_mT6_P12ihipStream_tbENKUlT_T0_E_clISt17integral_constantIbLb1EESY_IbLb0EEEEDaSU_SV_EUlSU_E0_NS1_11comp_targetILNS1_3genE0ELNS1_11target_archE4294967295ELNS1_3gpuE0ELNS1_3repE0EEENS1_30default_config_static_selectorELNS0_4arch9wavefront6targetE1EEEvT1_
	.p2align	8
	.type	_ZN7rocprim17ROCPRIM_400000_NS6detail17trampoline_kernelINS0_14default_configENS1_20scan_config_selectorIN3c107complexIdEEEEZZNS1_9scan_implILNS1_25lookback_scan_determinismE0ELb0ELb0ES3_PKS7_PS7_S7_ZZZN2at6native31launch_logcumsumexp_cuda_kernelERKNSE_10TensorBaseESI_lENKUlvE_clEvENKUlvE1_clEvEUlS7_S7_E_S7_EEDaPvRmT3_T4_T5_mT6_P12ihipStream_tbENKUlT_T0_E_clISt17integral_constantIbLb1EESY_IbLb0EEEEDaSU_SV_EUlSU_E0_NS1_11comp_targetILNS1_3genE0ELNS1_11target_archE4294967295ELNS1_3gpuE0ELNS1_3repE0EEENS1_30default_config_static_selectorELNS0_4arch9wavefront6targetE1EEEvT1_,@function
_ZN7rocprim17ROCPRIM_400000_NS6detail17trampoline_kernelINS0_14default_configENS1_20scan_config_selectorIN3c107complexIdEEEEZZNS1_9scan_implILNS1_25lookback_scan_determinismE0ELb0ELb0ES3_PKS7_PS7_S7_ZZZN2at6native31launch_logcumsumexp_cuda_kernelERKNSE_10TensorBaseESI_lENKUlvE_clEvENKUlvE1_clEvEUlS7_S7_E_S7_EEDaPvRmT3_T4_T5_mT6_P12ihipStream_tbENKUlT_T0_E_clISt17integral_constantIbLb1EESY_IbLb0EEEEDaSU_SV_EUlSU_E0_NS1_11comp_targetILNS1_3genE0ELNS1_11target_archE4294967295ELNS1_3gpuE0ELNS1_3repE0EEENS1_30default_config_static_selectorELNS0_4arch9wavefront6targetE1EEEvT1_: ; @_ZN7rocprim17ROCPRIM_400000_NS6detail17trampoline_kernelINS0_14default_configENS1_20scan_config_selectorIN3c107complexIdEEEEZZNS1_9scan_implILNS1_25lookback_scan_determinismE0ELb0ELb0ES3_PKS7_PS7_S7_ZZZN2at6native31launch_logcumsumexp_cuda_kernelERKNSE_10TensorBaseESI_lENKUlvE_clEvENKUlvE1_clEvEUlS7_S7_E_S7_EEDaPvRmT3_T4_T5_mT6_P12ihipStream_tbENKUlT_T0_E_clISt17integral_constantIbLb1EESY_IbLb0EEEEDaSU_SV_EUlSU_E0_NS1_11comp_targetILNS1_3genE0ELNS1_11target_archE4294967295ELNS1_3gpuE0ELNS1_3repE0EEENS1_30default_config_static_selectorELNS0_4arch9wavefront6targetE1EEEvT1_
; %bb.0:
	.section	.rodata,"a",@progbits
	.p2align	6, 0x0
	.amdhsa_kernel _ZN7rocprim17ROCPRIM_400000_NS6detail17trampoline_kernelINS0_14default_configENS1_20scan_config_selectorIN3c107complexIdEEEEZZNS1_9scan_implILNS1_25lookback_scan_determinismE0ELb0ELb0ES3_PKS7_PS7_S7_ZZZN2at6native31launch_logcumsumexp_cuda_kernelERKNSE_10TensorBaseESI_lENKUlvE_clEvENKUlvE1_clEvEUlS7_S7_E_S7_EEDaPvRmT3_T4_T5_mT6_P12ihipStream_tbENKUlT_T0_E_clISt17integral_constantIbLb1EESY_IbLb0EEEEDaSU_SV_EUlSU_E0_NS1_11comp_targetILNS1_3genE0ELNS1_11target_archE4294967295ELNS1_3gpuE0ELNS1_3repE0EEENS1_30default_config_static_selectorELNS0_4arch9wavefront6targetE1EEEvT1_
		.amdhsa_group_segment_fixed_size 0
		.amdhsa_private_segment_fixed_size 0
		.amdhsa_kernarg_size 48
		.amdhsa_user_sgpr_count 2
		.amdhsa_user_sgpr_dispatch_ptr 0
		.amdhsa_user_sgpr_queue_ptr 0
		.amdhsa_user_sgpr_kernarg_segment_ptr 1
		.amdhsa_user_sgpr_dispatch_id 0
		.amdhsa_user_sgpr_kernarg_preload_length 0
		.amdhsa_user_sgpr_kernarg_preload_offset 0
		.amdhsa_user_sgpr_private_segment_size 0
		.amdhsa_uses_dynamic_stack 0
		.amdhsa_enable_private_segment 0
		.amdhsa_system_sgpr_workgroup_id_x 1
		.amdhsa_system_sgpr_workgroup_id_y 0
		.amdhsa_system_sgpr_workgroup_id_z 0
		.amdhsa_system_sgpr_workgroup_info 0
		.amdhsa_system_vgpr_workitem_id 0
		.amdhsa_next_free_vgpr 1
		.amdhsa_next_free_sgpr 0
		.amdhsa_accum_offset 4
		.amdhsa_reserve_vcc 0
		.amdhsa_float_round_mode_32 0
		.amdhsa_float_round_mode_16_64 0
		.amdhsa_float_denorm_mode_32 3
		.amdhsa_float_denorm_mode_16_64 3
		.amdhsa_dx10_clamp 1
		.amdhsa_ieee_mode 1
		.amdhsa_fp16_overflow 0
		.amdhsa_tg_split 0
		.amdhsa_exception_fp_ieee_invalid_op 0
		.amdhsa_exception_fp_denorm_src 0
		.amdhsa_exception_fp_ieee_div_zero 0
		.amdhsa_exception_fp_ieee_overflow 0
		.amdhsa_exception_fp_ieee_underflow 0
		.amdhsa_exception_fp_ieee_inexact 0
		.amdhsa_exception_int_div_zero 0
	.end_amdhsa_kernel
	.section	.text._ZN7rocprim17ROCPRIM_400000_NS6detail17trampoline_kernelINS0_14default_configENS1_20scan_config_selectorIN3c107complexIdEEEEZZNS1_9scan_implILNS1_25lookback_scan_determinismE0ELb0ELb0ES3_PKS7_PS7_S7_ZZZN2at6native31launch_logcumsumexp_cuda_kernelERKNSE_10TensorBaseESI_lENKUlvE_clEvENKUlvE1_clEvEUlS7_S7_E_S7_EEDaPvRmT3_T4_T5_mT6_P12ihipStream_tbENKUlT_T0_E_clISt17integral_constantIbLb1EESY_IbLb0EEEEDaSU_SV_EUlSU_E0_NS1_11comp_targetILNS1_3genE0ELNS1_11target_archE4294967295ELNS1_3gpuE0ELNS1_3repE0EEENS1_30default_config_static_selectorELNS0_4arch9wavefront6targetE1EEEvT1_,"axG",@progbits,_ZN7rocprim17ROCPRIM_400000_NS6detail17trampoline_kernelINS0_14default_configENS1_20scan_config_selectorIN3c107complexIdEEEEZZNS1_9scan_implILNS1_25lookback_scan_determinismE0ELb0ELb0ES3_PKS7_PS7_S7_ZZZN2at6native31launch_logcumsumexp_cuda_kernelERKNSE_10TensorBaseESI_lENKUlvE_clEvENKUlvE1_clEvEUlS7_S7_E_S7_EEDaPvRmT3_T4_T5_mT6_P12ihipStream_tbENKUlT_T0_E_clISt17integral_constantIbLb1EESY_IbLb0EEEEDaSU_SV_EUlSU_E0_NS1_11comp_targetILNS1_3genE0ELNS1_11target_archE4294967295ELNS1_3gpuE0ELNS1_3repE0EEENS1_30default_config_static_selectorELNS0_4arch9wavefront6targetE1EEEvT1_,comdat
.Lfunc_end239:
	.size	_ZN7rocprim17ROCPRIM_400000_NS6detail17trampoline_kernelINS0_14default_configENS1_20scan_config_selectorIN3c107complexIdEEEEZZNS1_9scan_implILNS1_25lookback_scan_determinismE0ELb0ELb0ES3_PKS7_PS7_S7_ZZZN2at6native31launch_logcumsumexp_cuda_kernelERKNSE_10TensorBaseESI_lENKUlvE_clEvENKUlvE1_clEvEUlS7_S7_E_S7_EEDaPvRmT3_T4_T5_mT6_P12ihipStream_tbENKUlT_T0_E_clISt17integral_constantIbLb1EESY_IbLb0EEEEDaSU_SV_EUlSU_E0_NS1_11comp_targetILNS1_3genE0ELNS1_11target_archE4294967295ELNS1_3gpuE0ELNS1_3repE0EEENS1_30default_config_static_selectorELNS0_4arch9wavefront6targetE1EEEvT1_, .Lfunc_end239-_ZN7rocprim17ROCPRIM_400000_NS6detail17trampoline_kernelINS0_14default_configENS1_20scan_config_selectorIN3c107complexIdEEEEZZNS1_9scan_implILNS1_25lookback_scan_determinismE0ELb0ELb0ES3_PKS7_PS7_S7_ZZZN2at6native31launch_logcumsumexp_cuda_kernelERKNSE_10TensorBaseESI_lENKUlvE_clEvENKUlvE1_clEvEUlS7_S7_E_S7_EEDaPvRmT3_T4_T5_mT6_P12ihipStream_tbENKUlT_T0_E_clISt17integral_constantIbLb1EESY_IbLb0EEEEDaSU_SV_EUlSU_E0_NS1_11comp_targetILNS1_3genE0ELNS1_11target_archE4294967295ELNS1_3gpuE0ELNS1_3repE0EEENS1_30default_config_static_selectorELNS0_4arch9wavefront6targetE1EEEvT1_
                                        ; -- End function
	.section	.AMDGPU.csdata,"",@progbits
; Kernel info:
; codeLenInByte = 0
; NumSgprs: 6
; NumVgprs: 0
; NumAgprs: 0
; TotalNumVgprs: 0
; ScratchSize: 0
; MemoryBound: 0
; FloatMode: 240
; IeeeMode: 1
; LDSByteSize: 0 bytes/workgroup (compile time only)
; SGPRBlocks: 0
; VGPRBlocks: 0
; NumSGPRsForWavesPerEU: 6
; NumVGPRsForWavesPerEU: 1
; AccumOffset: 4
; Occupancy: 8
; WaveLimiterHint : 0
; COMPUTE_PGM_RSRC2:SCRATCH_EN: 0
; COMPUTE_PGM_RSRC2:USER_SGPR: 2
; COMPUTE_PGM_RSRC2:TRAP_HANDLER: 0
; COMPUTE_PGM_RSRC2:TGID_X_EN: 1
; COMPUTE_PGM_RSRC2:TGID_Y_EN: 0
; COMPUTE_PGM_RSRC2:TGID_Z_EN: 0
; COMPUTE_PGM_RSRC2:TIDIG_COMP_CNT: 0
; COMPUTE_PGM_RSRC3_GFX90A:ACCUM_OFFSET: 0
; COMPUTE_PGM_RSRC3_GFX90A:TG_SPLIT: 0
	.section	.text._ZN7rocprim17ROCPRIM_400000_NS6detail17trampoline_kernelINS0_14default_configENS1_20scan_config_selectorIN3c107complexIdEEEEZZNS1_9scan_implILNS1_25lookback_scan_determinismE0ELb0ELb0ES3_PKS7_PS7_S7_ZZZN2at6native31launch_logcumsumexp_cuda_kernelERKNSE_10TensorBaseESI_lENKUlvE_clEvENKUlvE1_clEvEUlS7_S7_E_S7_EEDaPvRmT3_T4_T5_mT6_P12ihipStream_tbENKUlT_T0_E_clISt17integral_constantIbLb1EESY_IbLb0EEEEDaSU_SV_EUlSU_E0_NS1_11comp_targetILNS1_3genE5ELNS1_11target_archE942ELNS1_3gpuE9ELNS1_3repE0EEENS1_30default_config_static_selectorELNS0_4arch9wavefront6targetE1EEEvT1_,"axG",@progbits,_ZN7rocprim17ROCPRIM_400000_NS6detail17trampoline_kernelINS0_14default_configENS1_20scan_config_selectorIN3c107complexIdEEEEZZNS1_9scan_implILNS1_25lookback_scan_determinismE0ELb0ELb0ES3_PKS7_PS7_S7_ZZZN2at6native31launch_logcumsumexp_cuda_kernelERKNSE_10TensorBaseESI_lENKUlvE_clEvENKUlvE1_clEvEUlS7_S7_E_S7_EEDaPvRmT3_T4_T5_mT6_P12ihipStream_tbENKUlT_T0_E_clISt17integral_constantIbLb1EESY_IbLb0EEEEDaSU_SV_EUlSU_E0_NS1_11comp_targetILNS1_3genE5ELNS1_11target_archE942ELNS1_3gpuE9ELNS1_3repE0EEENS1_30default_config_static_selectorELNS0_4arch9wavefront6targetE1EEEvT1_,comdat
	.globl	_ZN7rocprim17ROCPRIM_400000_NS6detail17trampoline_kernelINS0_14default_configENS1_20scan_config_selectorIN3c107complexIdEEEEZZNS1_9scan_implILNS1_25lookback_scan_determinismE0ELb0ELb0ES3_PKS7_PS7_S7_ZZZN2at6native31launch_logcumsumexp_cuda_kernelERKNSE_10TensorBaseESI_lENKUlvE_clEvENKUlvE1_clEvEUlS7_S7_E_S7_EEDaPvRmT3_T4_T5_mT6_P12ihipStream_tbENKUlT_T0_E_clISt17integral_constantIbLb1EESY_IbLb0EEEEDaSU_SV_EUlSU_E0_NS1_11comp_targetILNS1_3genE5ELNS1_11target_archE942ELNS1_3gpuE9ELNS1_3repE0EEENS1_30default_config_static_selectorELNS0_4arch9wavefront6targetE1EEEvT1_ ; -- Begin function _ZN7rocprim17ROCPRIM_400000_NS6detail17trampoline_kernelINS0_14default_configENS1_20scan_config_selectorIN3c107complexIdEEEEZZNS1_9scan_implILNS1_25lookback_scan_determinismE0ELb0ELb0ES3_PKS7_PS7_S7_ZZZN2at6native31launch_logcumsumexp_cuda_kernelERKNSE_10TensorBaseESI_lENKUlvE_clEvENKUlvE1_clEvEUlS7_S7_E_S7_EEDaPvRmT3_T4_T5_mT6_P12ihipStream_tbENKUlT_T0_E_clISt17integral_constantIbLb1EESY_IbLb0EEEEDaSU_SV_EUlSU_E0_NS1_11comp_targetILNS1_3genE5ELNS1_11target_archE942ELNS1_3gpuE9ELNS1_3repE0EEENS1_30default_config_static_selectorELNS0_4arch9wavefront6targetE1EEEvT1_
	.p2align	8
	.type	_ZN7rocprim17ROCPRIM_400000_NS6detail17trampoline_kernelINS0_14default_configENS1_20scan_config_selectorIN3c107complexIdEEEEZZNS1_9scan_implILNS1_25lookback_scan_determinismE0ELb0ELb0ES3_PKS7_PS7_S7_ZZZN2at6native31launch_logcumsumexp_cuda_kernelERKNSE_10TensorBaseESI_lENKUlvE_clEvENKUlvE1_clEvEUlS7_S7_E_S7_EEDaPvRmT3_T4_T5_mT6_P12ihipStream_tbENKUlT_T0_E_clISt17integral_constantIbLb1EESY_IbLb0EEEEDaSU_SV_EUlSU_E0_NS1_11comp_targetILNS1_3genE5ELNS1_11target_archE942ELNS1_3gpuE9ELNS1_3repE0EEENS1_30default_config_static_selectorELNS0_4arch9wavefront6targetE1EEEvT1_,@function
_ZN7rocprim17ROCPRIM_400000_NS6detail17trampoline_kernelINS0_14default_configENS1_20scan_config_selectorIN3c107complexIdEEEEZZNS1_9scan_implILNS1_25lookback_scan_determinismE0ELb0ELb0ES3_PKS7_PS7_S7_ZZZN2at6native31launch_logcumsumexp_cuda_kernelERKNSE_10TensorBaseESI_lENKUlvE_clEvENKUlvE1_clEvEUlS7_S7_E_S7_EEDaPvRmT3_T4_T5_mT6_P12ihipStream_tbENKUlT_T0_E_clISt17integral_constantIbLb1EESY_IbLb0EEEEDaSU_SV_EUlSU_E0_NS1_11comp_targetILNS1_3genE5ELNS1_11target_archE942ELNS1_3gpuE9ELNS1_3repE0EEENS1_30default_config_static_selectorELNS0_4arch9wavefront6targetE1EEEvT1_: ; @_ZN7rocprim17ROCPRIM_400000_NS6detail17trampoline_kernelINS0_14default_configENS1_20scan_config_selectorIN3c107complexIdEEEEZZNS1_9scan_implILNS1_25lookback_scan_determinismE0ELb0ELb0ES3_PKS7_PS7_S7_ZZZN2at6native31launch_logcumsumexp_cuda_kernelERKNSE_10TensorBaseESI_lENKUlvE_clEvENKUlvE1_clEvEUlS7_S7_E_S7_EEDaPvRmT3_T4_T5_mT6_P12ihipStream_tbENKUlT_T0_E_clISt17integral_constantIbLb1EESY_IbLb0EEEEDaSU_SV_EUlSU_E0_NS1_11comp_targetILNS1_3genE5ELNS1_11target_archE942ELNS1_3gpuE9ELNS1_3repE0EEENS1_30default_config_static_selectorELNS0_4arch9wavefront6targetE1EEEvT1_
; %bb.0:
	s_mov_b64 s[62:63], s[0:1]
	s_load_dwordx4 s[0:3], s[0:1], 0x0
	v_mov_b32_e32 v41, v0
	v_lshlrev_b32_e32 v164, 4, v41
	s_mov_b32 s32, 0
	s_waitcnt lgkmcnt(0)
	s_load_dwordx4 s[4:7], s[0:1], 0x0
	v_cmp_gt_u32_e64 s[34:35], s2, v41
	s_waitcnt lgkmcnt(0)
	v_mov_b64_e32 v[2:3], s[6:7]
	v_mov_b64_e32 v[0:1], s[4:5]
	s_and_saveexec_b64 s[8:9], s[34:35]
	s_cbranch_execz .LBB240_2
; %bb.1:
	global_load_dwordx4 v[0:3], v164, s[0:1]
.LBB240_2:
	s_or_b64 exec, exec, s[8:9]
	v_or_b32_e32 v8, 0x100, v41
	v_cmp_gt_u32_e64 s[36:37], s2, v8
	v_mov_b64_e32 v[6:7], s[6:7]
	v_mov_b64_e32 v[4:5], s[4:5]
	s_and_saveexec_b64 s[8:9], s[36:37]
	s_cbranch_execz .LBB240_4
; %bb.3:
	v_lshlrev_b32_e32 v4, 4, v8
	global_load_dwordx4 v[4:7], v4, s[0:1]
.LBB240_4:
	s_or_b64 exec, exec, s[8:9]
	v_or_b32_e32 v12, 0x200, v41
	v_cmp_gt_u32_e64 s[38:39], s2, v12
	v_mov_b64_e32 v[10:11], s[6:7]
	v_mov_b64_e32 v[8:9], s[4:5]
	s_and_saveexec_b64 s[8:9], s[38:39]
	s_cbranch_execz .LBB240_6
; %bb.5:
	v_lshlrev_b32_e32 v8, 4, v12
	global_load_dwordx4 v[8:11], v8, s[0:1]
.LBB240_6:
	;; [unrolled: 11-line block ×13, first 2 shown]
	s_or_b64 exec, exec, s[2:3]
	s_movk_i32 s0, 0xd0
	s_waitcnt vmcnt(0)
	ds_write_b128 v164, v[0:3]
	ds_write_b128 v164, v[4:7] offset:4096
	ds_write_b128 v164, v[8:11] offset:8192
	;; [unrolled: 1-line block ×13, first 2 shown]
	v_mad_u32_u24 v46, v41, s0, v164
	s_waitcnt lgkmcnt(0)
	s_barrier
	ds_read_b128 v[42:45], v46
	ds_read_b128 v[128:131], v46 offset:16
	ds_read_b128 v[124:127], v46 offset:32
	;; [unrolled: 1-line block ×13, first 2 shown]
	s_waitcnt lgkmcnt(13)
	v_mov_b32_e32 v0, v42
	v_mov_b32_e32 v1, v43
	;; [unrolled: 1-line block ×4, first 2 shown]
	s_waitcnt lgkmcnt(12)
	v_mov_b32_e32 v4, v128
	v_mov_b32_e32 v5, v129
	;; [unrolled: 1-line block ×4, first 2 shown]
	s_waitcnt lgkmcnt(0)
	s_barrier
	s_getpc_b64 s[64:65]
	s_add_u32 s64, s64, _ZZZZN2at6native31launch_logcumsumexp_cuda_kernelERKNS_10TensorBaseES3_lENKUlvE_clEvENKUlvE1_clEvENKUlN3c107complexIdEES8_E_clES8_S8_@rel32@lo+4
	s_addc_u32 s65, s65, _ZZZZN2at6native31launch_logcumsumexp_cuda_kernelERKNS_10TensorBaseES3_lENKUlvE_clEvENKUlvE1_clEvENKUlN3c107complexIdEES8_E_clES8_S8_@rel32@hi+12
	s_swappc_b64 s[30:31], s[64:65]
	v_mov_b32_e32 v4, v124
	v_mov_b32_e32 v5, v125
	v_mov_b32_e32 v6, v126
	v_mov_b32_e32 v7, v127
	v_mov_b32_e32 v52, v0
	v_mov_b32_e32 v53, v1
	v_mov_b32_e32 v54, v2
	v_mov_b32_e32 v55, v3
	s_swappc_b64 s[30:31], s[64:65]
	v_mov_b32_e32 v4, v116
	v_mov_b32_e32 v5, v117
	v_mov_b32_e32 v6, v118
	v_mov_b32_e32 v7, v119
	v_mov_b32_e32 v64, v0
	v_mov_b32_e32 v65, v1
	v_mov_b32_e32 v66, v2
	v_mov_b32_e32 v67, v3
	;; [unrolled: 9-line block ×12, first 2 shown]
	s_swappc_b64 s[30:31], s[64:65]
	v_mov_b32_e32 v152, v0
	v_mbcnt_lo_u32_b32 v0, -1, 0
	v_mbcnt_hi_u32_b32 v47, -1, v0
	v_mov_b32_e32 v153, v1
	v_mov_b32_e32 v154, v2
	;; [unrolled: 1-line block ×3, first 2 shown]
	v_and_b32_e32 v160, 15, v47
	v_mov_b32_dpp v4, v152 row_shr:1 row_mask:0xf bank_mask:0xf
	v_mov_b32_dpp v5, v153 row_shr:1 row_mask:0xf bank_mask:0xf
	;; [unrolled: 1-line block ×4, first 2 shown]
	v_cmp_ne_u32_e32 vcc, 0, v160
	v_mov_b64_e32 v[158:159], v[154:155]
	v_mov_b64_e32 v[156:157], v[152:153]
	v_mov_b32_e32 v0, v152
	s_and_saveexec_b64 s[66:67], vcc
	s_cbranch_execz .LBB240_30
; %bb.29:
	v_mov_b32_e32 v0, v4
	v_mov_b32_e32 v1, v5
	v_mov_b32_e32 v2, v6
	v_mov_b32_e32 v3, v7
	v_mov_b32_e32 v4, v152
	v_mov_b32_e32 v5, v153
	v_mov_b32_e32 v6, v154
	v_mov_b32_e32 v7, v155
	s_swappc_b64 s[30:31], s[64:65]
	v_mov_b32_e32 v156, v0
	v_mov_b32_e32 v157, v1
	;; [unrolled: 1-line block ×4, first 2 shown]
.LBB240_30:
	s_or_b64 exec, exec, s[66:67]
	v_mov_b32_dpp v4, v0 row_shr:2 row_mask:0xf bank_mask:0xf
	v_mov_b32_dpp v5, v1 row_shr:2 row_mask:0xf bank_mask:0xf
	v_mov_b32_dpp v6, v2 row_shr:2 row_mask:0xf bank_mask:0xf
	v_mov_b32_dpp v7, v3 row_shr:2 row_mask:0xf bank_mask:0xf
	v_cmp_lt_u32_e32 vcc, 1, v160
	s_and_saveexec_b64 s[64:65], vcc
	s_cbranch_execz .LBB240_32
; %bb.31:
	v_mov_b32_e32 v0, v4
	v_mov_b32_e32 v1, v5
	v_mov_b32_e32 v2, v6
	v_mov_b32_e32 v3, v7
	v_mov_b32_e32 v4, v156
	v_mov_b32_e32 v5, v157
	v_mov_b32_e32 v6, v158
	v_mov_b32_e32 v7, v159
	s_getpc_b64 s[0:1]
	s_add_u32 s0, s0, _ZZZZN2at6native31launch_logcumsumexp_cuda_kernelERKNS_10TensorBaseES3_lENKUlvE_clEvENKUlvE1_clEvENKUlN3c107complexIdEES8_E_clES8_S8_@rel32@lo+4
	s_addc_u32 s1, s1, _ZZZZN2at6native31launch_logcumsumexp_cuda_kernelERKNS_10TensorBaseES3_lENKUlvE_clEvENKUlvE1_clEvENKUlN3c107complexIdEES8_E_clES8_S8_@rel32@hi+12
	s_swappc_b64 s[30:31], s[0:1]
	v_mov_b64_e32 v[158:159], v[2:3]
	v_mov_b64_e32 v[156:157], v[0:1]
.LBB240_32:
	s_or_b64 exec, exec, s[64:65]
	v_mov_b32_dpp v4, v0 row_shr:4 row_mask:0xf bank_mask:0xf
	v_mov_b32_dpp v5, v1 row_shr:4 row_mask:0xf bank_mask:0xf
	v_mov_b32_dpp v6, v2 row_shr:4 row_mask:0xf bank_mask:0xf
	v_mov_b32_dpp v7, v3 row_shr:4 row_mask:0xf bank_mask:0xf
	v_cmp_lt_u32_e32 vcc, 3, v160
	s_and_saveexec_b64 s[64:65], vcc
	s_cbranch_execz .LBB240_34
; %bb.33:
	v_mov_b32_e32 v0, v4
	v_mov_b32_e32 v1, v5
	v_mov_b32_e32 v2, v6
	v_mov_b32_e32 v3, v7
	v_mov_b32_e32 v4, v156
	v_mov_b32_e32 v5, v157
	v_mov_b32_e32 v6, v158
	v_mov_b32_e32 v7, v159
	s_getpc_b64 s[0:1]
	s_add_u32 s0, s0, _ZZZZN2at6native31launch_logcumsumexp_cuda_kernelERKNS_10TensorBaseES3_lENKUlvE_clEvENKUlvE1_clEvENKUlN3c107complexIdEES8_E_clES8_S8_@rel32@lo+4
	s_addc_u32 s1, s1, _ZZZZN2at6native31launch_logcumsumexp_cuda_kernelERKNS_10TensorBaseES3_lENKUlvE_clEvENKUlvE1_clEvENKUlN3c107complexIdEES8_E_clES8_S8_@rel32@hi+12
	s_swappc_b64 s[30:31], s[0:1]
	v_mov_b64_e32 v[158:159], v[2:3]
	v_mov_b64_e32 v[156:157], v[0:1]
.LBB240_34:
	;; [unrolled: 24-line block ×3, first 2 shown]
	s_or_b64 exec, exec, s[64:65]
	v_and_b32_e32 v8, 16, v47
	v_mov_b32_dpp v4, v0 row_bcast:15 row_mask:0xf bank_mask:0xf
	v_mov_b32_dpp v5, v1 row_bcast:15 row_mask:0xf bank_mask:0xf
	;; [unrolled: 1-line block ×4, first 2 shown]
	v_cmp_ne_u32_e32 vcc, 0, v8
	s_and_saveexec_b64 s[64:65], vcc
	s_cbranch_execz .LBB240_38
; %bb.37:
	v_mov_b32_e32 v0, v4
	v_mov_b32_e32 v1, v5
	;; [unrolled: 1-line block ×8, first 2 shown]
	s_getpc_b64 s[0:1]
	s_add_u32 s0, s0, _ZZZZN2at6native31launch_logcumsumexp_cuda_kernelERKNS_10TensorBaseES3_lENKUlvE_clEvENKUlvE1_clEvENKUlN3c107complexIdEES8_E_clES8_S8_@rel32@lo+4
	s_addc_u32 s1, s1, _ZZZZN2at6native31launch_logcumsumexp_cuda_kernelERKNS_10TensorBaseES3_lENKUlvE_clEvENKUlvE1_clEvENKUlN3c107complexIdEES8_E_clES8_S8_@rel32@hi+12
	s_swappc_b64 s[30:31], s[0:1]
	v_mov_b32_e32 v156, v0
	v_mov_b32_e32 v157, v1
	;; [unrolled: 1-line block ×4, first 2 shown]
.LBB240_38:
	s_or_b64 exec, exec, s[64:65]
	v_mov_b32_dpp v0, v0 row_bcast:31 row_mask:0xf bank_mask:0xf
	v_mov_b32_dpp v1, v1 row_bcast:31 row_mask:0xf bank_mask:0xf
	v_mov_b32_dpp v2, v2 row_bcast:31 row_mask:0xf bank_mask:0xf
	v_mov_b32_dpp v3, v3 row_bcast:31 row_mask:0xf bank_mask:0xf
	v_cmp_lt_u32_e32 vcc, 31, v47
	s_and_saveexec_b64 s[64:65], vcc
	s_cbranch_execz .LBB240_40
; %bb.39:
	v_mov_b32_e32 v4, v156
	v_mov_b32_e32 v5, v157
	v_mov_b32_e32 v6, v158
	v_mov_b32_e32 v7, v159
	s_getpc_b64 s[0:1]
	s_add_u32 s0, s0, _ZZZZN2at6native31launch_logcumsumexp_cuda_kernelERKNS_10TensorBaseES3_lENKUlvE_clEvENKUlvE1_clEvENKUlN3c107complexIdEES8_E_clES8_S8_@rel32@lo+4
	s_addc_u32 s1, s1, _ZZZZN2at6native31launch_logcumsumexp_cuda_kernelERKNS_10TensorBaseES3_lENKUlvE_clEvENKUlvE1_clEvENKUlN3c107complexIdEES8_E_clES8_S8_@rel32@hi+12
	s_swappc_b64 s[30:31], s[0:1]
	v_mov_b32_e32 v156, v0
	v_mov_b32_e32 v157, v1
	;; [unrolled: 1-line block ×4, first 2 shown]
.LBB240_40:
	s_or_b64 exec, exec, s[64:65]
	v_or_b32_e32 v0, 63, v41
	v_lshrrev_b32_e32 v165, 6, v41
	v_cmp_eq_u32_e32 vcc, v0, v41
	s_and_saveexec_b64 s[0:1], vcc
	s_cbranch_execz .LBB240_42
; %bb.41:
	v_lshlrev_b32_e32 v0, 4, v165
	ds_write_b128 v0, v[156:159]
.LBB240_42:
	s_or_b64 exec, exec, s[0:1]
	v_cmp_gt_u32_e32 vcc, 4, v41
	s_waitcnt lgkmcnt(0)
	s_barrier
	s_and_saveexec_b64 s[64:65], vcc
	s_cbranch_execz .LBB240_48
; %bb.43:
	ds_read_b128 v[4:7], v164
	v_and_b32_e32 v160, 3, v47
	v_cmp_ne_u32_e32 vcc, 0, v160
	s_waitcnt lgkmcnt(0)
	v_mov_b32_dpp v0, v4 row_shr:1 row_mask:0xf bank_mask:0xf
	v_mov_b32_dpp v1, v5 row_shr:1 row_mask:0xf bank_mask:0xf
	v_mov_b32_dpp v2, v6 row_shr:1 row_mask:0xf bank_mask:0xf
	v_mov_b32_dpp v3, v7 row_shr:1 row_mask:0xf bank_mask:0xf
	s_and_saveexec_b64 s[66:67], vcc
	s_cbranch_execz .LBB240_45
; %bb.44:
	s_getpc_b64 s[0:1]
	s_add_u32 s0, s0, _ZZZZN2at6native31launch_logcumsumexp_cuda_kernelERKNS_10TensorBaseES3_lENKUlvE_clEvENKUlvE1_clEvENKUlN3c107complexIdEES8_E_clES8_S8_@rel32@lo+4
	s_addc_u32 s1, s1, _ZZZZN2at6native31launch_logcumsumexp_cuda_kernelERKNS_10TensorBaseES3_lENKUlvE_clEvENKUlvE1_clEvENKUlN3c107complexIdEES8_E_clES8_S8_@rel32@hi+12
	s_swappc_b64 s[30:31], s[0:1]
	v_mov_b32_e32 v4, v0
	v_mov_b32_e32 v5, v1
	;; [unrolled: 1-line block ×4, first 2 shown]
.LBB240_45:
	s_or_b64 exec, exec, s[66:67]
	v_mov_b32_dpp v0, v4 row_shr:2 row_mask:0xf bank_mask:0xf
	v_mov_b32_dpp v1, v5 row_shr:2 row_mask:0xf bank_mask:0xf
	;; [unrolled: 1-line block ×4, first 2 shown]
	v_cmp_lt_u32_e32 vcc, 1, v160
	s_and_saveexec_b64 s[66:67], vcc
	s_cbranch_execz .LBB240_47
; %bb.46:
	s_getpc_b64 s[0:1]
	s_add_u32 s0, s0, _ZZZZN2at6native31launch_logcumsumexp_cuda_kernelERKNS_10TensorBaseES3_lENKUlvE_clEvENKUlvE1_clEvENKUlN3c107complexIdEES8_E_clES8_S8_@rel32@lo+4
	s_addc_u32 s1, s1, _ZZZZN2at6native31launch_logcumsumexp_cuda_kernelERKNS_10TensorBaseES3_lENKUlvE_clEvENKUlvE1_clEvENKUlN3c107complexIdEES8_E_clES8_S8_@rel32@hi+12
	s_swappc_b64 s[30:31], s[0:1]
	v_mov_b32_e32 v4, v0
	v_mov_b32_e32 v5, v1
	;; [unrolled: 1-line block ×4, first 2 shown]
.LBB240_47:
	s_or_b64 exec, exec, s[66:67]
	ds_write_b128 v164, v[4:7]
.LBB240_48:
	s_or_b64 exec, exec, s[64:65]
	s_load_dwordx2 s[62:63], s[62:63], 0x28
	v_mov_b64_e32 v[162:163], 0
	v_cmp_lt_u32_e32 vcc, 63, v41
	v_mov_b64_e32 v[160:161], v[162:163]
	s_waitcnt lgkmcnt(0)
	s_barrier
	s_and_saveexec_b64 s[64:65], vcc
	s_cbranch_execz .LBB240_50
; %bb.49:
	v_lshl_add_u32 v0, v165, 4, -16
	ds_read_b128 v[160:163], v0
	v_mov_b32_e32 v4, v156
	v_mov_b32_e32 v5, v157
	;; [unrolled: 1-line block ×4, first 2 shown]
	s_waitcnt lgkmcnt(0)
	v_mov_b32_e32 v0, v160
	v_mov_b32_e32 v1, v161
	;; [unrolled: 1-line block ×4, first 2 shown]
	s_getpc_b64 s[0:1]
	s_add_u32 s0, s0, _ZZZZN2at6native31launch_logcumsumexp_cuda_kernelERKNS_10TensorBaseES3_lENKUlvE_clEvENKUlvE1_clEvENKUlN3c107complexIdEES8_E_clES8_S8_@rel32@lo+4
	s_addc_u32 s1, s1, _ZZZZN2at6native31launch_logcumsumexp_cuda_kernelERKNS_10TensorBaseES3_lENKUlvE_clEvENKUlvE1_clEvENKUlN3c107complexIdEES8_E_clES8_S8_@rel32@hi+12
	s_swappc_b64 s[30:31], s[0:1]
	v_mov_b32_e32 v156, v0
	v_mov_b32_e32 v157, v1
	;; [unrolled: 1-line block ×4, first 2 shown]
.LBB240_50:
	s_or_b64 exec, exec, s[64:65]
	v_add_u32_e32 v0, -1, v47
	v_and_b32_e32 v1, 64, v47
	v_cmp_lt_i32_e32 vcc, v0, v1
	s_nop 1
	v_cndmask_b32_e32 v0, v0, v47, vcc
	v_lshlrev_b32_e32 v3, 2, v0
	ds_bpermute_b32 v0, v3, v156
	ds_bpermute_b32 v1, v3, v157
	;; [unrolled: 1-line block ×4, first 2 shown]
	v_cmp_ne_u32_e32 vcc, 0, v41
	s_and_saveexec_b64 s[64:65], vcc
	s_cbranch_execz .LBB240_52
; %bb.51:
	v_cmp_eq_u32_e32 vcc, 0, v47
	v_mov_b32_e32 v4, v42
	v_mov_b32_e32 v5, v43
	s_waitcnt lgkmcnt(3)
	v_cndmask_b32_e32 v0, v0, v160, vcc
	s_waitcnt lgkmcnt(2)
	v_cndmask_b32_e32 v1, v1, v161, vcc
	;; [unrolled: 2-line block ×4, first 2 shown]
	v_mov_b32_e32 v6, v44
	v_mov_b32_e32 v7, v45
	s_getpc_b64 s[66:67]
	s_add_u32 s66, s66, _ZZZZN2at6native31launch_logcumsumexp_cuda_kernelERKNS_10TensorBaseES3_lENKUlvE_clEvENKUlvE1_clEvENKUlN3c107complexIdEES8_E_clES8_S8_@rel32@lo+4
	s_addc_u32 s67, s67, _ZZZZN2at6native31launch_logcumsumexp_cuda_kernelERKNS_10TensorBaseES3_lENKUlvE_clEvENKUlvE1_clEvENKUlN3c107complexIdEES8_E_clES8_S8_@rel32@hi+12
	s_swappc_b64 s[30:31], s[66:67]
	v_mov_b32_e32 v4, v128
	v_mov_b32_e32 v5, v129
	;; [unrolled: 1-line block ×8, first 2 shown]
	;;#ASMSTART
	;;#ASMEND
	s_swappc_b64 s[30:31], s[66:67]
	v_mov_b32_e32 v4, v124
	v_mov_b32_e32 v5, v125
	v_mov_b32_e32 v6, v126
	v_mov_b32_e32 v7, v127
	v_mov_b32_e32 v52, v0
	v_mov_b32_e32 v53, v1
	v_mov_b32_e32 v54, v2
	v_mov_b32_e32 v55, v3
	s_swappc_b64 s[30:31], s[66:67]
	v_mov_b32_e32 v4, v116
	v_mov_b32_e32 v5, v117
	v_mov_b32_e32 v6, v118
	v_mov_b32_e32 v7, v119
	v_mov_b32_e32 v64, v0
	v_mov_b32_e32 v65, v1
	v_mov_b32_e32 v66, v2
	v_mov_b32_e32 v67, v3
	;; [unrolled: 9-line block ×12, first 2 shown]
	s_swappc_b64 s[30:31], s[66:67]
	v_mov_b32_e32 v152, v0
	v_mov_b32_e32 v153, v1
	;; [unrolled: 1-line block ×4, first 2 shown]
.LBB240_52:
	s_or_b64 exec, exec, s[64:65]
	s_movk_i32 s0, 0xff30
	s_waitcnt lgkmcnt(3)
	v_mad_i32_i24 v0, v41, s0, v46
	s_waitcnt lgkmcnt(0)
	s_barrier
	ds_write_b128 v46, v[42:45]
	ds_write_b128 v46, v[52:55] offset:16
	ds_write_b128 v46, v[64:67] offset:32
	;; [unrolled: 1-line block ×13, first 2 shown]
	s_waitcnt lgkmcnt(0)
	s_barrier
	ds_read_b128 v[48:51], v0 offset:4096
	ds_read_b128 v[44:47], v0 offset:8192
	;; [unrolled: 1-line block ×13, first 2 shown]
	v_mov_b32_e32 v165, 0
	v_lshl_add_u64 v[52:53], s[62:63], 0, v[164:165]
	s_and_saveexec_b64 s[0:1], s[34:35]
	s_cbranch_execnz .LBB240_67
; %bb.53:
	s_or_b64 exec, exec, s[0:1]
	s_and_saveexec_b64 s[0:1], s[36:37]
	s_cbranch_execnz .LBB240_68
.LBB240_54:
	s_or_b64 exec, exec, s[0:1]
	s_and_saveexec_b64 s[0:1], s[38:39]
	s_cbranch_execnz .LBB240_69
.LBB240_55:
	s_or_b64 exec, exec, s[0:1]
	s_and_saveexec_b64 s[0:1], s[40:41]
	s_cbranch_execnz .LBB240_70
.LBB240_56:
	s_or_b64 exec, exec, s[0:1]
	s_and_saveexec_b64 s[0:1], s[42:43]
	s_cbranch_execnz .LBB240_71
.LBB240_57:
	s_or_b64 exec, exec, s[0:1]
	s_and_saveexec_b64 s[0:1], s[44:45]
	s_cbranch_execnz .LBB240_72
.LBB240_58:
	s_or_b64 exec, exec, s[0:1]
	s_and_saveexec_b64 s[0:1], s[46:47]
	s_cbranch_execnz .LBB240_73
.LBB240_59:
	s_or_b64 exec, exec, s[0:1]
	s_and_saveexec_b64 s[0:1], s[48:49]
	s_cbranch_execnz .LBB240_74
.LBB240_60:
	s_or_b64 exec, exec, s[0:1]
	s_and_saveexec_b64 s[0:1], s[50:51]
	s_cbranch_execnz .LBB240_75
.LBB240_61:
	s_or_b64 exec, exec, s[0:1]
	s_and_saveexec_b64 s[0:1], s[52:53]
	s_cbranch_execnz .LBB240_76
.LBB240_62:
	s_or_b64 exec, exec, s[0:1]
	s_and_saveexec_b64 s[0:1], s[54:55]
	s_cbranch_execnz .LBB240_77
.LBB240_63:
	s_or_b64 exec, exec, s[0:1]
	s_and_saveexec_b64 s[0:1], s[56:57]
	s_cbranch_execnz .LBB240_78
.LBB240_64:
	s_or_b64 exec, exec, s[0:1]
	s_and_saveexec_b64 s[0:1], s[58:59]
	s_cbranch_execnz .LBB240_79
.LBB240_65:
	s_or_b64 exec, exec, s[0:1]
	s_and_saveexec_b64 s[0:1], s[60:61]
	s_cbranch_execnz .LBB240_80
.LBB240_66:
	s_endpgm
.LBB240_67:
	ds_read_b128 v[54:57], v164
	s_waitcnt lgkmcnt(0)
	global_store_dwordx4 v[52:53], v[54:57], off
	s_or_b64 exec, exec, s[0:1]
	s_and_saveexec_b64 s[0:1], s[36:37]
	s_cbranch_execz .LBB240_54
.LBB240_68:
	v_add_co_u32_e32 v54, vcc, 0x1000, v52
	s_nop 1
	v_addc_co_u32_e32 v55, vcc, 0, v53, vcc
	s_waitcnt lgkmcnt(12)
	global_store_dwordx4 v[54:55], v[48:51], off
	s_or_b64 exec, exec, s[0:1]
	s_and_saveexec_b64 s[0:1], s[38:39]
	s_cbranch_execz .LBB240_55
.LBB240_69:
	s_waitcnt lgkmcnt(12)
	v_add_co_u32_e32 v48, vcc, 0x2000, v52
	s_nop 1
	v_addc_co_u32_e32 v49, vcc, 0, v53, vcc
	s_waitcnt lgkmcnt(11)
	global_store_dwordx4 v[48:49], v[44:47], off
	s_or_b64 exec, exec, s[0:1]
	s_and_saveexec_b64 s[0:1], s[40:41]
	s_cbranch_execz .LBB240_56
.LBB240_70:
	s_waitcnt lgkmcnt(11)
	v_add_co_u32_e32 v44, vcc, 0x3000, v52
	s_nop 1
	v_addc_co_u32_e32 v45, vcc, 0, v53, vcc
	s_waitcnt lgkmcnt(9)
	global_store_dwordx4 v[44:45], v[40:43], off
	s_or_b64 exec, exec, s[0:1]
	s_and_saveexec_b64 s[0:1], s[42:43]
	s_cbranch_execz .LBB240_57
.LBB240_71:
	s_waitcnt lgkmcnt(9)
	v_add_co_u32_e32 v40, vcc, 0x4000, v52
	s_nop 1
	v_addc_co_u32_e32 v41, vcc, 0, v53, vcc
	global_store_dwordx4 v[40:41], v[36:39], off
	s_or_b64 exec, exec, s[0:1]
	s_and_saveexec_b64 s[0:1], s[44:45]
	s_cbranch_execz .LBB240_58
.LBB240_72:
	s_waitcnt lgkmcnt(10)
	v_add_co_u32_e32 v36, vcc, 0x5000, v52
	s_nop 1
	v_addc_co_u32_e32 v37, vcc, 0, v53, vcc
	s_waitcnt lgkmcnt(8)
	global_store_dwordx4 v[36:37], v[32:35], off
	s_or_b64 exec, exec, s[0:1]
	s_and_saveexec_b64 s[0:1], s[46:47]
	s_cbranch_execz .LBB240_59
.LBB240_73:
	s_waitcnt lgkmcnt(8)
	v_add_co_u32_e32 v32, vcc, 0x6000, v52
	s_nop 1
	v_addc_co_u32_e32 v33, vcc, 0, v53, vcc
	s_waitcnt lgkmcnt(7)
	global_store_dwordx4 v[32:33], v[28:31], off
	s_or_b64 exec, exec, s[0:1]
	s_and_saveexec_b64 s[0:1], s[48:49]
	s_cbranch_execz .LBB240_60
.LBB240_74:
	s_waitcnt lgkmcnt(7)
	v_add_co_u32_e32 v28, vcc, 0x7000, v52
	s_nop 1
	v_addc_co_u32_e32 v29, vcc, 0, v53, vcc
	s_waitcnt lgkmcnt(6)
	global_store_dwordx4 v[28:29], v[24:27], off
	s_or_b64 exec, exec, s[0:1]
	s_and_saveexec_b64 s[0:1], s[50:51]
	s_cbranch_execz .LBB240_61
.LBB240_75:
	s_waitcnt lgkmcnt(6)
	v_add_co_u32_e32 v24, vcc, 0x8000, v52
	s_nop 1
	v_addc_co_u32_e32 v25, vcc, 0, v53, vcc
	s_waitcnt lgkmcnt(3)
	global_store_dwordx4 v[24:25], v[20:23], off
	s_or_b64 exec, exec, s[0:1]
	s_and_saveexec_b64 s[0:1], s[52:53]
	s_cbranch_execz .LBB240_62
.LBB240_76:
	s_waitcnt lgkmcnt(3)
	v_add_co_u32_e32 v20, vcc, 0x9000, v52
	s_nop 1
	v_addc_co_u32_e32 v21, vcc, 0, v53, vcc
	global_store_dwordx4 v[20:21], v[16:19], off
	s_or_b64 exec, exec, s[0:1]
	s_and_saveexec_b64 s[0:1], s[54:55]
	s_cbranch_execz .LBB240_63
.LBB240_77:
	s_waitcnt lgkmcnt(5)
	v_add_co_u32_e32 v16, vcc, 0xa000, v52
	s_nop 1
	v_addc_co_u32_e32 v17, vcc, 0, v53, vcc
	s_waitcnt lgkmcnt(4)
	global_store_dwordx4 v[16:17], v[12:15], off
	s_or_b64 exec, exec, s[0:1]
	s_and_saveexec_b64 s[0:1], s[56:57]
	s_cbranch_execz .LBB240_64
.LBB240_78:
	s_waitcnt lgkmcnt(4)
	v_add_co_u32_e32 v12, vcc, 0xb000, v52
	s_nop 1
	v_addc_co_u32_e32 v13, vcc, 0, v53, vcc
	s_waitcnt lgkmcnt(1)
	global_store_dwordx4 v[12:13], v[8:11], off
	s_or_b64 exec, exec, s[0:1]
	s_and_saveexec_b64 s[0:1], s[58:59]
	s_cbranch_execz .LBB240_65
.LBB240_79:
	s_waitcnt lgkmcnt(1)
	v_add_co_u32_e32 v8, vcc, 0xc000, v52
	s_nop 1
	v_addc_co_u32_e32 v9, vcc, 0, v53, vcc
	global_store_dwordx4 v[8:9], v[4:7], off
	s_or_b64 exec, exec, s[0:1]
	s_and_saveexec_b64 s[0:1], s[60:61]
	s_cbranch_execz .LBB240_66
.LBB240_80:
	s_waitcnt lgkmcnt(2)
	v_add_co_u32_e32 v4, vcc, 0xd000, v52
	s_nop 1
	v_addc_co_u32_e32 v5, vcc, 0, v53, vcc
	s_waitcnt lgkmcnt(0)
	global_store_dwordx4 v[4:5], v[0:3], off
	s_endpgm
	.section	.rodata,"a",@progbits
	.p2align	6, 0x0
	.amdhsa_kernel _ZN7rocprim17ROCPRIM_400000_NS6detail17trampoline_kernelINS0_14default_configENS1_20scan_config_selectorIN3c107complexIdEEEEZZNS1_9scan_implILNS1_25lookback_scan_determinismE0ELb0ELb0ES3_PKS7_PS7_S7_ZZZN2at6native31launch_logcumsumexp_cuda_kernelERKNSE_10TensorBaseESI_lENKUlvE_clEvENKUlvE1_clEvEUlS7_S7_E_S7_EEDaPvRmT3_T4_T5_mT6_P12ihipStream_tbENKUlT_T0_E_clISt17integral_constantIbLb1EESY_IbLb0EEEEDaSU_SV_EUlSU_E0_NS1_11comp_targetILNS1_3genE5ELNS1_11target_archE942ELNS1_3gpuE9ELNS1_3repE0EEENS1_30default_config_static_selectorELNS0_4arch9wavefront6targetE1EEEvT1_
		.amdhsa_group_segment_fixed_size 57344
		.amdhsa_private_segment_fixed_size 8
		.amdhsa_kernarg_size 48
		.amdhsa_user_sgpr_count 2
		.amdhsa_user_sgpr_dispatch_ptr 0
		.amdhsa_user_sgpr_queue_ptr 0
		.amdhsa_user_sgpr_kernarg_segment_ptr 1
		.amdhsa_user_sgpr_dispatch_id 0
		.amdhsa_user_sgpr_kernarg_preload_length 0
		.amdhsa_user_sgpr_kernarg_preload_offset 0
		.amdhsa_user_sgpr_private_segment_size 0
		.amdhsa_uses_dynamic_stack 0
		.amdhsa_enable_private_segment 1
		.amdhsa_system_sgpr_workgroup_id_x 1
		.amdhsa_system_sgpr_workgroup_id_y 0
		.amdhsa_system_sgpr_workgroup_id_z 0
		.amdhsa_system_sgpr_workgroup_info 0
		.amdhsa_system_vgpr_workitem_id 0
		.amdhsa_next_free_vgpr 166
		.amdhsa_next_free_sgpr 68
		.amdhsa_accum_offset 168
		.amdhsa_reserve_vcc 1
		.amdhsa_float_round_mode_32 0
		.amdhsa_float_round_mode_16_64 0
		.amdhsa_float_denorm_mode_32 3
		.amdhsa_float_denorm_mode_16_64 3
		.amdhsa_dx10_clamp 1
		.amdhsa_ieee_mode 1
		.amdhsa_fp16_overflow 0
		.amdhsa_tg_split 0
		.amdhsa_exception_fp_ieee_invalid_op 0
		.amdhsa_exception_fp_denorm_src 0
		.amdhsa_exception_fp_ieee_div_zero 0
		.amdhsa_exception_fp_ieee_overflow 0
		.amdhsa_exception_fp_ieee_underflow 0
		.amdhsa_exception_fp_ieee_inexact 0
		.amdhsa_exception_int_div_zero 0
	.end_amdhsa_kernel
	.section	.text._ZN7rocprim17ROCPRIM_400000_NS6detail17trampoline_kernelINS0_14default_configENS1_20scan_config_selectorIN3c107complexIdEEEEZZNS1_9scan_implILNS1_25lookback_scan_determinismE0ELb0ELb0ES3_PKS7_PS7_S7_ZZZN2at6native31launch_logcumsumexp_cuda_kernelERKNSE_10TensorBaseESI_lENKUlvE_clEvENKUlvE1_clEvEUlS7_S7_E_S7_EEDaPvRmT3_T4_T5_mT6_P12ihipStream_tbENKUlT_T0_E_clISt17integral_constantIbLb1EESY_IbLb0EEEEDaSU_SV_EUlSU_E0_NS1_11comp_targetILNS1_3genE5ELNS1_11target_archE942ELNS1_3gpuE9ELNS1_3repE0EEENS1_30default_config_static_selectorELNS0_4arch9wavefront6targetE1EEEvT1_,"axG",@progbits,_ZN7rocprim17ROCPRIM_400000_NS6detail17trampoline_kernelINS0_14default_configENS1_20scan_config_selectorIN3c107complexIdEEEEZZNS1_9scan_implILNS1_25lookback_scan_determinismE0ELb0ELb0ES3_PKS7_PS7_S7_ZZZN2at6native31launch_logcumsumexp_cuda_kernelERKNSE_10TensorBaseESI_lENKUlvE_clEvENKUlvE1_clEvEUlS7_S7_E_S7_EEDaPvRmT3_T4_T5_mT6_P12ihipStream_tbENKUlT_T0_E_clISt17integral_constantIbLb1EESY_IbLb0EEEEDaSU_SV_EUlSU_E0_NS1_11comp_targetILNS1_3genE5ELNS1_11target_archE942ELNS1_3gpuE9ELNS1_3repE0EEENS1_30default_config_static_selectorELNS0_4arch9wavefront6targetE1EEEvT1_,comdat
.Lfunc_end240:
	.size	_ZN7rocprim17ROCPRIM_400000_NS6detail17trampoline_kernelINS0_14default_configENS1_20scan_config_selectorIN3c107complexIdEEEEZZNS1_9scan_implILNS1_25lookback_scan_determinismE0ELb0ELb0ES3_PKS7_PS7_S7_ZZZN2at6native31launch_logcumsumexp_cuda_kernelERKNSE_10TensorBaseESI_lENKUlvE_clEvENKUlvE1_clEvEUlS7_S7_E_S7_EEDaPvRmT3_T4_T5_mT6_P12ihipStream_tbENKUlT_T0_E_clISt17integral_constantIbLb1EESY_IbLb0EEEEDaSU_SV_EUlSU_E0_NS1_11comp_targetILNS1_3genE5ELNS1_11target_archE942ELNS1_3gpuE9ELNS1_3repE0EEENS1_30default_config_static_selectorELNS0_4arch9wavefront6targetE1EEEvT1_, .Lfunc_end240-_ZN7rocprim17ROCPRIM_400000_NS6detail17trampoline_kernelINS0_14default_configENS1_20scan_config_selectorIN3c107complexIdEEEEZZNS1_9scan_implILNS1_25lookback_scan_determinismE0ELb0ELb0ES3_PKS7_PS7_S7_ZZZN2at6native31launch_logcumsumexp_cuda_kernelERKNSE_10TensorBaseESI_lENKUlvE_clEvENKUlvE1_clEvEUlS7_S7_E_S7_EEDaPvRmT3_T4_T5_mT6_P12ihipStream_tbENKUlT_T0_E_clISt17integral_constantIbLb1EESY_IbLb0EEEEDaSU_SV_EUlSU_E0_NS1_11comp_targetILNS1_3genE5ELNS1_11target_archE942ELNS1_3gpuE9ELNS1_3repE0EEENS1_30default_config_static_selectorELNS0_4arch9wavefront6targetE1EEEvT1_
                                        ; -- End function
	.section	.AMDGPU.csdata,"",@progbits
; Kernel info:
; codeLenInByte = 4196
; NumSgprs: 74
; NumVgprs: 166
; NumAgprs: 0
; TotalNumVgprs: 166
; ScratchSize: 8
; MemoryBound: 1
; FloatMode: 240
; IeeeMode: 1
; LDSByteSize: 57344 bytes/workgroup (compile time only)
; SGPRBlocks: 9
; VGPRBlocks: 20
; NumSGPRsForWavesPerEU: 74
; NumVGPRsForWavesPerEU: 166
; AccumOffset: 168
; Occupancy: 1
; WaveLimiterHint : 0
; COMPUTE_PGM_RSRC2:SCRATCH_EN: 1
; COMPUTE_PGM_RSRC2:USER_SGPR: 2
; COMPUTE_PGM_RSRC2:TRAP_HANDLER: 0
; COMPUTE_PGM_RSRC2:TGID_X_EN: 1
; COMPUTE_PGM_RSRC2:TGID_Y_EN: 0
; COMPUTE_PGM_RSRC2:TGID_Z_EN: 0
; COMPUTE_PGM_RSRC2:TIDIG_COMP_CNT: 0
; COMPUTE_PGM_RSRC3_GFX90A:ACCUM_OFFSET: 41
; COMPUTE_PGM_RSRC3_GFX90A:TG_SPLIT: 0
	.section	.text._ZN7rocprim17ROCPRIM_400000_NS6detail17trampoline_kernelINS0_14default_configENS1_20scan_config_selectorIN3c107complexIdEEEEZZNS1_9scan_implILNS1_25lookback_scan_determinismE0ELb0ELb0ES3_PKS7_PS7_S7_ZZZN2at6native31launch_logcumsumexp_cuda_kernelERKNSE_10TensorBaseESI_lENKUlvE_clEvENKUlvE1_clEvEUlS7_S7_E_S7_EEDaPvRmT3_T4_T5_mT6_P12ihipStream_tbENKUlT_T0_E_clISt17integral_constantIbLb1EESY_IbLb0EEEEDaSU_SV_EUlSU_E0_NS1_11comp_targetILNS1_3genE4ELNS1_11target_archE910ELNS1_3gpuE8ELNS1_3repE0EEENS1_30default_config_static_selectorELNS0_4arch9wavefront6targetE1EEEvT1_,"axG",@progbits,_ZN7rocprim17ROCPRIM_400000_NS6detail17trampoline_kernelINS0_14default_configENS1_20scan_config_selectorIN3c107complexIdEEEEZZNS1_9scan_implILNS1_25lookback_scan_determinismE0ELb0ELb0ES3_PKS7_PS7_S7_ZZZN2at6native31launch_logcumsumexp_cuda_kernelERKNSE_10TensorBaseESI_lENKUlvE_clEvENKUlvE1_clEvEUlS7_S7_E_S7_EEDaPvRmT3_T4_T5_mT6_P12ihipStream_tbENKUlT_T0_E_clISt17integral_constantIbLb1EESY_IbLb0EEEEDaSU_SV_EUlSU_E0_NS1_11comp_targetILNS1_3genE4ELNS1_11target_archE910ELNS1_3gpuE8ELNS1_3repE0EEENS1_30default_config_static_selectorELNS0_4arch9wavefront6targetE1EEEvT1_,comdat
	.globl	_ZN7rocprim17ROCPRIM_400000_NS6detail17trampoline_kernelINS0_14default_configENS1_20scan_config_selectorIN3c107complexIdEEEEZZNS1_9scan_implILNS1_25lookback_scan_determinismE0ELb0ELb0ES3_PKS7_PS7_S7_ZZZN2at6native31launch_logcumsumexp_cuda_kernelERKNSE_10TensorBaseESI_lENKUlvE_clEvENKUlvE1_clEvEUlS7_S7_E_S7_EEDaPvRmT3_T4_T5_mT6_P12ihipStream_tbENKUlT_T0_E_clISt17integral_constantIbLb1EESY_IbLb0EEEEDaSU_SV_EUlSU_E0_NS1_11comp_targetILNS1_3genE4ELNS1_11target_archE910ELNS1_3gpuE8ELNS1_3repE0EEENS1_30default_config_static_selectorELNS0_4arch9wavefront6targetE1EEEvT1_ ; -- Begin function _ZN7rocprim17ROCPRIM_400000_NS6detail17trampoline_kernelINS0_14default_configENS1_20scan_config_selectorIN3c107complexIdEEEEZZNS1_9scan_implILNS1_25lookback_scan_determinismE0ELb0ELb0ES3_PKS7_PS7_S7_ZZZN2at6native31launch_logcumsumexp_cuda_kernelERKNSE_10TensorBaseESI_lENKUlvE_clEvENKUlvE1_clEvEUlS7_S7_E_S7_EEDaPvRmT3_T4_T5_mT6_P12ihipStream_tbENKUlT_T0_E_clISt17integral_constantIbLb1EESY_IbLb0EEEEDaSU_SV_EUlSU_E0_NS1_11comp_targetILNS1_3genE4ELNS1_11target_archE910ELNS1_3gpuE8ELNS1_3repE0EEENS1_30default_config_static_selectorELNS0_4arch9wavefront6targetE1EEEvT1_
	.p2align	8
	.type	_ZN7rocprim17ROCPRIM_400000_NS6detail17trampoline_kernelINS0_14default_configENS1_20scan_config_selectorIN3c107complexIdEEEEZZNS1_9scan_implILNS1_25lookback_scan_determinismE0ELb0ELb0ES3_PKS7_PS7_S7_ZZZN2at6native31launch_logcumsumexp_cuda_kernelERKNSE_10TensorBaseESI_lENKUlvE_clEvENKUlvE1_clEvEUlS7_S7_E_S7_EEDaPvRmT3_T4_T5_mT6_P12ihipStream_tbENKUlT_T0_E_clISt17integral_constantIbLb1EESY_IbLb0EEEEDaSU_SV_EUlSU_E0_NS1_11comp_targetILNS1_3genE4ELNS1_11target_archE910ELNS1_3gpuE8ELNS1_3repE0EEENS1_30default_config_static_selectorELNS0_4arch9wavefront6targetE1EEEvT1_,@function
_ZN7rocprim17ROCPRIM_400000_NS6detail17trampoline_kernelINS0_14default_configENS1_20scan_config_selectorIN3c107complexIdEEEEZZNS1_9scan_implILNS1_25lookback_scan_determinismE0ELb0ELb0ES3_PKS7_PS7_S7_ZZZN2at6native31launch_logcumsumexp_cuda_kernelERKNSE_10TensorBaseESI_lENKUlvE_clEvENKUlvE1_clEvEUlS7_S7_E_S7_EEDaPvRmT3_T4_T5_mT6_P12ihipStream_tbENKUlT_T0_E_clISt17integral_constantIbLb1EESY_IbLb0EEEEDaSU_SV_EUlSU_E0_NS1_11comp_targetILNS1_3genE4ELNS1_11target_archE910ELNS1_3gpuE8ELNS1_3repE0EEENS1_30default_config_static_selectorELNS0_4arch9wavefront6targetE1EEEvT1_: ; @_ZN7rocprim17ROCPRIM_400000_NS6detail17trampoline_kernelINS0_14default_configENS1_20scan_config_selectorIN3c107complexIdEEEEZZNS1_9scan_implILNS1_25lookback_scan_determinismE0ELb0ELb0ES3_PKS7_PS7_S7_ZZZN2at6native31launch_logcumsumexp_cuda_kernelERKNSE_10TensorBaseESI_lENKUlvE_clEvENKUlvE1_clEvEUlS7_S7_E_S7_EEDaPvRmT3_T4_T5_mT6_P12ihipStream_tbENKUlT_T0_E_clISt17integral_constantIbLb1EESY_IbLb0EEEEDaSU_SV_EUlSU_E0_NS1_11comp_targetILNS1_3genE4ELNS1_11target_archE910ELNS1_3gpuE8ELNS1_3repE0EEENS1_30default_config_static_selectorELNS0_4arch9wavefront6targetE1EEEvT1_
; %bb.0:
	.section	.rodata,"a",@progbits
	.p2align	6, 0x0
	.amdhsa_kernel _ZN7rocprim17ROCPRIM_400000_NS6detail17trampoline_kernelINS0_14default_configENS1_20scan_config_selectorIN3c107complexIdEEEEZZNS1_9scan_implILNS1_25lookback_scan_determinismE0ELb0ELb0ES3_PKS7_PS7_S7_ZZZN2at6native31launch_logcumsumexp_cuda_kernelERKNSE_10TensorBaseESI_lENKUlvE_clEvENKUlvE1_clEvEUlS7_S7_E_S7_EEDaPvRmT3_T4_T5_mT6_P12ihipStream_tbENKUlT_T0_E_clISt17integral_constantIbLb1EESY_IbLb0EEEEDaSU_SV_EUlSU_E0_NS1_11comp_targetILNS1_3genE4ELNS1_11target_archE910ELNS1_3gpuE8ELNS1_3repE0EEENS1_30default_config_static_selectorELNS0_4arch9wavefront6targetE1EEEvT1_
		.amdhsa_group_segment_fixed_size 0
		.amdhsa_private_segment_fixed_size 0
		.amdhsa_kernarg_size 48
		.amdhsa_user_sgpr_count 2
		.amdhsa_user_sgpr_dispatch_ptr 0
		.amdhsa_user_sgpr_queue_ptr 0
		.amdhsa_user_sgpr_kernarg_segment_ptr 1
		.amdhsa_user_sgpr_dispatch_id 0
		.amdhsa_user_sgpr_kernarg_preload_length 0
		.amdhsa_user_sgpr_kernarg_preload_offset 0
		.amdhsa_user_sgpr_private_segment_size 0
		.amdhsa_uses_dynamic_stack 0
		.amdhsa_enable_private_segment 0
		.amdhsa_system_sgpr_workgroup_id_x 1
		.amdhsa_system_sgpr_workgroup_id_y 0
		.amdhsa_system_sgpr_workgroup_id_z 0
		.amdhsa_system_sgpr_workgroup_info 0
		.amdhsa_system_vgpr_workitem_id 0
		.amdhsa_next_free_vgpr 1
		.amdhsa_next_free_sgpr 0
		.amdhsa_accum_offset 4
		.amdhsa_reserve_vcc 0
		.amdhsa_float_round_mode_32 0
		.amdhsa_float_round_mode_16_64 0
		.amdhsa_float_denorm_mode_32 3
		.amdhsa_float_denorm_mode_16_64 3
		.amdhsa_dx10_clamp 1
		.amdhsa_ieee_mode 1
		.amdhsa_fp16_overflow 0
		.amdhsa_tg_split 0
		.amdhsa_exception_fp_ieee_invalid_op 0
		.amdhsa_exception_fp_denorm_src 0
		.amdhsa_exception_fp_ieee_div_zero 0
		.amdhsa_exception_fp_ieee_overflow 0
		.amdhsa_exception_fp_ieee_underflow 0
		.amdhsa_exception_fp_ieee_inexact 0
		.amdhsa_exception_int_div_zero 0
	.end_amdhsa_kernel
	.section	.text._ZN7rocprim17ROCPRIM_400000_NS6detail17trampoline_kernelINS0_14default_configENS1_20scan_config_selectorIN3c107complexIdEEEEZZNS1_9scan_implILNS1_25lookback_scan_determinismE0ELb0ELb0ES3_PKS7_PS7_S7_ZZZN2at6native31launch_logcumsumexp_cuda_kernelERKNSE_10TensorBaseESI_lENKUlvE_clEvENKUlvE1_clEvEUlS7_S7_E_S7_EEDaPvRmT3_T4_T5_mT6_P12ihipStream_tbENKUlT_T0_E_clISt17integral_constantIbLb1EESY_IbLb0EEEEDaSU_SV_EUlSU_E0_NS1_11comp_targetILNS1_3genE4ELNS1_11target_archE910ELNS1_3gpuE8ELNS1_3repE0EEENS1_30default_config_static_selectorELNS0_4arch9wavefront6targetE1EEEvT1_,"axG",@progbits,_ZN7rocprim17ROCPRIM_400000_NS6detail17trampoline_kernelINS0_14default_configENS1_20scan_config_selectorIN3c107complexIdEEEEZZNS1_9scan_implILNS1_25lookback_scan_determinismE0ELb0ELb0ES3_PKS7_PS7_S7_ZZZN2at6native31launch_logcumsumexp_cuda_kernelERKNSE_10TensorBaseESI_lENKUlvE_clEvENKUlvE1_clEvEUlS7_S7_E_S7_EEDaPvRmT3_T4_T5_mT6_P12ihipStream_tbENKUlT_T0_E_clISt17integral_constantIbLb1EESY_IbLb0EEEEDaSU_SV_EUlSU_E0_NS1_11comp_targetILNS1_3genE4ELNS1_11target_archE910ELNS1_3gpuE8ELNS1_3repE0EEENS1_30default_config_static_selectorELNS0_4arch9wavefront6targetE1EEEvT1_,comdat
.Lfunc_end241:
	.size	_ZN7rocprim17ROCPRIM_400000_NS6detail17trampoline_kernelINS0_14default_configENS1_20scan_config_selectorIN3c107complexIdEEEEZZNS1_9scan_implILNS1_25lookback_scan_determinismE0ELb0ELb0ES3_PKS7_PS7_S7_ZZZN2at6native31launch_logcumsumexp_cuda_kernelERKNSE_10TensorBaseESI_lENKUlvE_clEvENKUlvE1_clEvEUlS7_S7_E_S7_EEDaPvRmT3_T4_T5_mT6_P12ihipStream_tbENKUlT_T0_E_clISt17integral_constantIbLb1EESY_IbLb0EEEEDaSU_SV_EUlSU_E0_NS1_11comp_targetILNS1_3genE4ELNS1_11target_archE910ELNS1_3gpuE8ELNS1_3repE0EEENS1_30default_config_static_selectorELNS0_4arch9wavefront6targetE1EEEvT1_, .Lfunc_end241-_ZN7rocprim17ROCPRIM_400000_NS6detail17trampoline_kernelINS0_14default_configENS1_20scan_config_selectorIN3c107complexIdEEEEZZNS1_9scan_implILNS1_25lookback_scan_determinismE0ELb0ELb0ES3_PKS7_PS7_S7_ZZZN2at6native31launch_logcumsumexp_cuda_kernelERKNSE_10TensorBaseESI_lENKUlvE_clEvENKUlvE1_clEvEUlS7_S7_E_S7_EEDaPvRmT3_T4_T5_mT6_P12ihipStream_tbENKUlT_T0_E_clISt17integral_constantIbLb1EESY_IbLb0EEEEDaSU_SV_EUlSU_E0_NS1_11comp_targetILNS1_3genE4ELNS1_11target_archE910ELNS1_3gpuE8ELNS1_3repE0EEENS1_30default_config_static_selectorELNS0_4arch9wavefront6targetE1EEEvT1_
                                        ; -- End function
	.section	.AMDGPU.csdata,"",@progbits
; Kernel info:
; codeLenInByte = 0
; NumSgprs: 6
; NumVgprs: 0
; NumAgprs: 0
; TotalNumVgprs: 0
; ScratchSize: 0
; MemoryBound: 0
; FloatMode: 240
; IeeeMode: 1
; LDSByteSize: 0 bytes/workgroup (compile time only)
; SGPRBlocks: 0
; VGPRBlocks: 0
; NumSGPRsForWavesPerEU: 6
; NumVGPRsForWavesPerEU: 1
; AccumOffset: 4
; Occupancy: 8
; WaveLimiterHint : 0
; COMPUTE_PGM_RSRC2:SCRATCH_EN: 0
; COMPUTE_PGM_RSRC2:USER_SGPR: 2
; COMPUTE_PGM_RSRC2:TRAP_HANDLER: 0
; COMPUTE_PGM_RSRC2:TGID_X_EN: 1
; COMPUTE_PGM_RSRC2:TGID_Y_EN: 0
; COMPUTE_PGM_RSRC2:TGID_Z_EN: 0
; COMPUTE_PGM_RSRC2:TIDIG_COMP_CNT: 0
; COMPUTE_PGM_RSRC3_GFX90A:ACCUM_OFFSET: 0
; COMPUTE_PGM_RSRC3_GFX90A:TG_SPLIT: 0
	.section	.text._ZN7rocprim17ROCPRIM_400000_NS6detail17trampoline_kernelINS0_14default_configENS1_20scan_config_selectorIN3c107complexIdEEEEZZNS1_9scan_implILNS1_25lookback_scan_determinismE0ELb0ELb0ES3_PKS7_PS7_S7_ZZZN2at6native31launch_logcumsumexp_cuda_kernelERKNSE_10TensorBaseESI_lENKUlvE_clEvENKUlvE1_clEvEUlS7_S7_E_S7_EEDaPvRmT3_T4_T5_mT6_P12ihipStream_tbENKUlT_T0_E_clISt17integral_constantIbLb1EESY_IbLb0EEEEDaSU_SV_EUlSU_E0_NS1_11comp_targetILNS1_3genE3ELNS1_11target_archE908ELNS1_3gpuE7ELNS1_3repE0EEENS1_30default_config_static_selectorELNS0_4arch9wavefront6targetE1EEEvT1_,"axG",@progbits,_ZN7rocprim17ROCPRIM_400000_NS6detail17trampoline_kernelINS0_14default_configENS1_20scan_config_selectorIN3c107complexIdEEEEZZNS1_9scan_implILNS1_25lookback_scan_determinismE0ELb0ELb0ES3_PKS7_PS7_S7_ZZZN2at6native31launch_logcumsumexp_cuda_kernelERKNSE_10TensorBaseESI_lENKUlvE_clEvENKUlvE1_clEvEUlS7_S7_E_S7_EEDaPvRmT3_T4_T5_mT6_P12ihipStream_tbENKUlT_T0_E_clISt17integral_constantIbLb1EESY_IbLb0EEEEDaSU_SV_EUlSU_E0_NS1_11comp_targetILNS1_3genE3ELNS1_11target_archE908ELNS1_3gpuE7ELNS1_3repE0EEENS1_30default_config_static_selectorELNS0_4arch9wavefront6targetE1EEEvT1_,comdat
	.globl	_ZN7rocprim17ROCPRIM_400000_NS6detail17trampoline_kernelINS0_14default_configENS1_20scan_config_selectorIN3c107complexIdEEEEZZNS1_9scan_implILNS1_25lookback_scan_determinismE0ELb0ELb0ES3_PKS7_PS7_S7_ZZZN2at6native31launch_logcumsumexp_cuda_kernelERKNSE_10TensorBaseESI_lENKUlvE_clEvENKUlvE1_clEvEUlS7_S7_E_S7_EEDaPvRmT3_T4_T5_mT6_P12ihipStream_tbENKUlT_T0_E_clISt17integral_constantIbLb1EESY_IbLb0EEEEDaSU_SV_EUlSU_E0_NS1_11comp_targetILNS1_3genE3ELNS1_11target_archE908ELNS1_3gpuE7ELNS1_3repE0EEENS1_30default_config_static_selectorELNS0_4arch9wavefront6targetE1EEEvT1_ ; -- Begin function _ZN7rocprim17ROCPRIM_400000_NS6detail17trampoline_kernelINS0_14default_configENS1_20scan_config_selectorIN3c107complexIdEEEEZZNS1_9scan_implILNS1_25lookback_scan_determinismE0ELb0ELb0ES3_PKS7_PS7_S7_ZZZN2at6native31launch_logcumsumexp_cuda_kernelERKNSE_10TensorBaseESI_lENKUlvE_clEvENKUlvE1_clEvEUlS7_S7_E_S7_EEDaPvRmT3_T4_T5_mT6_P12ihipStream_tbENKUlT_T0_E_clISt17integral_constantIbLb1EESY_IbLb0EEEEDaSU_SV_EUlSU_E0_NS1_11comp_targetILNS1_3genE3ELNS1_11target_archE908ELNS1_3gpuE7ELNS1_3repE0EEENS1_30default_config_static_selectorELNS0_4arch9wavefront6targetE1EEEvT1_
	.p2align	8
	.type	_ZN7rocprim17ROCPRIM_400000_NS6detail17trampoline_kernelINS0_14default_configENS1_20scan_config_selectorIN3c107complexIdEEEEZZNS1_9scan_implILNS1_25lookback_scan_determinismE0ELb0ELb0ES3_PKS7_PS7_S7_ZZZN2at6native31launch_logcumsumexp_cuda_kernelERKNSE_10TensorBaseESI_lENKUlvE_clEvENKUlvE1_clEvEUlS7_S7_E_S7_EEDaPvRmT3_T4_T5_mT6_P12ihipStream_tbENKUlT_T0_E_clISt17integral_constantIbLb1EESY_IbLb0EEEEDaSU_SV_EUlSU_E0_NS1_11comp_targetILNS1_3genE3ELNS1_11target_archE908ELNS1_3gpuE7ELNS1_3repE0EEENS1_30default_config_static_selectorELNS0_4arch9wavefront6targetE1EEEvT1_,@function
_ZN7rocprim17ROCPRIM_400000_NS6detail17trampoline_kernelINS0_14default_configENS1_20scan_config_selectorIN3c107complexIdEEEEZZNS1_9scan_implILNS1_25lookback_scan_determinismE0ELb0ELb0ES3_PKS7_PS7_S7_ZZZN2at6native31launch_logcumsumexp_cuda_kernelERKNSE_10TensorBaseESI_lENKUlvE_clEvENKUlvE1_clEvEUlS7_S7_E_S7_EEDaPvRmT3_T4_T5_mT6_P12ihipStream_tbENKUlT_T0_E_clISt17integral_constantIbLb1EESY_IbLb0EEEEDaSU_SV_EUlSU_E0_NS1_11comp_targetILNS1_3genE3ELNS1_11target_archE908ELNS1_3gpuE7ELNS1_3repE0EEENS1_30default_config_static_selectorELNS0_4arch9wavefront6targetE1EEEvT1_: ; @_ZN7rocprim17ROCPRIM_400000_NS6detail17trampoline_kernelINS0_14default_configENS1_20scan_config_selectorIN3c107complexIdEEEEZZNS1_9scan_implILNS1_25lookback_scan_determinismE0ELb0ELb0ES3_PKS7_PS7_S7_ZZZN2at6native31launch_logcumsumexp_cuda_kernelERKNSE_10TensorBaseESI_lENKUlvE_clEvENKUlvE1_clEvEUlS7_S7_E_S7_EEDaPvRmT3_T4_T5_mT6_P12ihipStream_tbENKUlT_T0_E_clISt17integral_constantIbLb1EESY_IbLb0EEEEDaSU_SV_EUlSU_E0_NS1_11comp_targetILNS1_3genE3ELNS1_11target_archE908ELNS1_3gpuE7ELNS1_3repE0EEENS1_30default_config_static_selectorELNS0_4arch9wavefront6targetE1EEEvT1_
; %bb.0:
	.section	.rodata,"a",@progbits
	.p2align	6, 0x0
	.amdhsa_kernel _ZN7rocprim17ROCPRIM_400000_NS6detail17trampoline_kernelINS0_14default_configENS1_20scan_config_selectorIN3c107complexIdEEEEZZNS1_9scan_implILNS1_25lookback_scan_determinismE0ELb0ELb0ES3_PKS7_PS7_S7_ZZZN2at6native31launch_logcumsumexp_cuda_kernelERKNSE_10TensorBaseESI_lENKUlvE_clEvENKUlvE1_clEvEUlS7_S7_E_S7_EEDaPvRmT3_T4_T5_mT6_P12ihipStream_tbENKUlT_T0_E_clISt17integral_constantIbLb1EESY_IbLb0EEEEDaSU_SV_EUlSU_E0_NS1_11comp_targetILNS1_3genE3ELNS1_11target_archE908ELNS1_3gpuE7ELNS1_3repE0EEENS1_30default_config_static_selectorELNS0_4arch9wavefront6targetE1EEEvT1_
		.amdhsa_group_segment_fixed_size 0
		.amdhsa_private_segment_fixed_size 0
		.amdhsa_kernarg_size 48
		.amdhsa_user_sgpr_count 2
		.amdhsa_user_sgpr_dispatch_ptr 0
		.amdhsa_user_sgpr_queue_ptr 0
		.amdhsa_user_sgpr_kernarg_segment_ptr 1
		.amdhsa_user_sgpr_dispatch_id 0
		.amdhsa_user_sgpr_kernarg_preload_length 0
		.amdhsa_user_sgpr_kernarg_preload_offset 0
		.amdhsa_user_sgpr_private_segment_size 0
		.amdhsa_uses_dynamic_stack 0
		.amdhsa_enable_private_segment 0
		.amdhsa_system_sgpr_workgroup_id_x 1
		.amdhsa_system_sgpr_workgroup_id_y 0
		.amdhsa_system_sgpr_workgroup_id_z 0
		.amdhsa_system_sgpr_workgroup_info 0
		.amdhsa_system_vgpr_workitem_id 0
		.amdhsa_next_free_vgpr 1
		.amdhsa_next_free_sgpr 0
		.amdhsa_accum_offset 4
		.amdhsa_reserve_vcc 0
		.amdhsa_float_round_mode_32 0
		.amdhsa_float_round_mode_16_64 0
		.amdhsa_float_denorm_mode_32 3
		.amdhsa_float_denorm_mode_16_64 3
		.amdhsa_dx10_clamp 1
		.amdhsa_ieee_mode 1
		.amdhsa_fp16_overflow 0
		.amdhsa_tg_split 0
		.amdhsa_exception_fp_ieee_invalid_op 0
		.amdhsa_exception_fp_denorm_src 0
		.amdhsa_exception_fp_ieee_div_zero 0
		.amdhsa_exception_fp_ieee_overflow 0
		.amdhsa_exception_fp_ieee_underflow 0
		.amdhsa_exception_fp_ieee_inexact 0
		.amdhsa_exception_int_div_zero 0
	.end_amdhsa_kernel
	.section	.text._ZN7rocprim17ROCPRIM_400000_NS6detail17trampoline_kernelINS0_14default_configENS1_20scan_config_selectorIN3c107complexIdEEEEZZNS1_9scan_implILNS1_25lookback_scan_determinismE0ELb0ELb0ES3_PKS7_PS7_S7_ZZZN2at6native31launch_logcumsumexp_cuda_kernelERKNSE_10TensorBaseESI_lENKUlvE_clEvENKUlvE1_clEvEUlS7_S7_E_S7_EEDaPvRmT3_T4_T5_mT6_P12ihipStream_tbENKUlT_T0_E_clISt17integral_constantIbLb1EESY_IbLb0EEEEDaSU_SV_EUlSU_E0_NS1_11comp_targetILNS1_3genE3ELNS1_11target_archE908ELNS1_3gpuE7ELNS1_3repE0EEENS1_30default_config_static_selectorELNS0_4arch9wavefront6targetE1EEEvT1_,"axG",@progbits,_ZN7rocprim17ROCPRIM_400000_NS6detail17trampoline_kernelINS0_14default_configENS1_20scan_config_selectorIN3c107complexIdEEEEZZNS1_9scan_implILNS1_25lookback_scan_determinismE0ELb0ELb0ES3_PKS7_PS7_S7_ZZZN2at6native31launch_logcumsumexp_cuda_kernelERKNSE_10TensorBaseESI_lENKUlvE_clEvENKUlvE1_clEvEUlS7_S7_E_S7_EEDaPvRmT3_T4_T5_mT6_P12ihipStream_tbENKUlT_T0_E_clISt17integral_constantIbLb1EESY_IbLb0EEEEDaSU_SV_EUlSU_E0_NS1_11comp_targetILNS1_3genE3ELNS1_11target_archE908ELNS1_3gpuE7ELNS1_3repE0EEENS1_30default_config_static_selectorELNS0_4arch9wavefront6targetE1EEEvT1_,comdat
.Lfunc_end242:
	.size	_ZN7rocprim17ROCPRIM_400000_NS6detail17trampoline_kernelINS0_14default_configENS1_20scan_config_selectorIN3c107complexIdEEEEZZNS1_9scan_implILNS1_25lookback_scan_determinismE0ELb0ELb0ES3_PKS7_PS7_S7_ZZZN2at6native31launch_logcumsumexp_cuda_kernelERKNSE_10TensorBaseESI_lENKUlvE_clEvENKUlvE1_clEvEUlS7_S7_E_S7_EEDaPvRmT3_T4_T5_mT6_P12ihipStream_tbENKUlT_T0_E_clISt17integral_constantIbLb1EESY_IbLb0EEEEDaSU_SV_EUlSU_E0_NS1_11comp_targetILNS1_3genE3ELNS1_11target_archE908ELNS1_3gpuE7ELNS1_3repE0EEENS1_30default_config_static_selectorELNS0_4arch9wavefront6targetE1EEEvT1_, .Lfunc_end242-_ZN7rocprim17ROCPRIM_400000_NS6detail17trampoline_kernelINS0_14default_configENS1_20scan_config_selectorIN3c107complexIdEEEEZZNS1_9scan_implILNS1_25lookback_scan_determinismE0ELb0ELb0ES3_PKS7_PS7_S7_ZZZN2at6native31launch_logcumsumexp_cuda_kernelERKNSE_10TensorBaseESI_lENKUlvE_clEvENKUlvE1_clEvEUlS7_S7_E_S7_EEDaPvRmT3_T4_T5_mT6_P12ihipStream_tbENKUlT_T0_E_clISt17integral_constantIbLb1EESY_IbLb0EEEEDaSU_SV_EUlSU_E0_NS1_11comp_targetILNS1_3genE3ELNS1_11target_archE908ELNS1_3gpuE7ELNS1_3repE0EEENS1_30default_config_static_selectorELNS0_4arch9wavefront6targetE1EEEvT1_
                                        ; -- End function
	.section	.AMDGPU.csdata,"",@progbits
; Kernel info:
; codeLenInByte = 0
; NumSgprs: 6
; NumVgprs: 0
; NumAgprs: 0
; TotalNumVgprs: 0
; ScratchSize: 0
; MemoryBound: 0
; FloatMode: 240
; IeeeMode: 1
; LDSByteSize: 0 bytes/workgroup (compile time only)
; SGPRBlocks: 0
; VGPRBlocks: 0
; NumSGPRsForWavesPerEU: 6
; NumVGPRsForWavesPerEU: 1
; AccumOffset: 4
; Occupancy: 8
; WaveLimiterHint : 0
; COMPUTE_PGM_RSRC2:SCRATCH_EN: 0
; COMPUTE_PGM_RSRC2:USER_SGPR: 2
; COMPUTE_PGM_RSRC2:TRAP_HANDLER: 0
; COMPUTE_PGM_RSRC2:TGID_X_EN: 1
; COMPUTE_PGM_RSRC2:TGID_Y_EN: 0
; COMPUTE_PGM_RSRC2:TGID_Z_EN: 0
; COMPUTE_PGM_RSRC2:TIDIG_COMP_CNT: 0
; COMPUTE_PGM_RSRC3_GFX90A:ACCUM_OFFSET: 0
; COMPUTE_PGM_RSRC3_GFX90A:TG_SPLIT: 0
	.section	.text._ZN7rocprim17ROCPRIM_400000_NS6detail17trampoline_kernelINS0_14default_configENS1_20scan_config_selectorIN3c107complexIdEEEEZZNS1_9scan_implILNS1_25lookback_scan_determinismE0ELb0ELb0ES3_PKS7_PS7_S7_ZZZN2at6native31launch_logcumsumexp_cuda_kernelERKNSE_10TensorBaseESI_lENKUlvE_clEvENKUlvE1_clEvEUlS7_S7_E_S7_EEDaPvRmT3_T4_T5_mT6_P12ihipStream_tbENKUlT_T0_E_clISt17integral_constantIbLb1EESY_IbLb0EEEEDaSU_SV_EUlSU_E0_NS1_11comp_targetILNS1_3genE2ELNS1_11target_archE906ELNS1_3gpuE6ELNS1_3repE0EEENS1_30default_config_static_selectorELNS0_4arch9wavefront6targetE1EEEvT1_,"axG",@progbits,_ZN7rocprim17ROCPRIM_400000_NS6detail17trampoline_kernelINS0_14default_configENS1_20scan_config_selectorIN3c107complexIdEEEEZZNS1_9scan_implILNS1_25lookback_scan_determinismE0ELb0ELb0ES3_PKS7_PS7_S7_ZZZN2at6native31launch_logcumsumexp_cuda_kernelERKNSE_10TensorBaseESI_lENKUlvE_clEvENKUlvE1_clEvEUlS7_S7_E_S7_EEDaPvRmT3_T4_T5_mT6_P12ihipStream_tbENKUlT_T0_E_clISt17integral_constantIbLb1EESY_IbLb0EEEEDaSU_SV_EUlSU_E0_NS1_11comp_targetILNS1_3genE2ELNS1_11target_archE906ELNS1_3gpuE6ELNS1_3repE0EEENS1_30default_config_static_selectorELNS0_4arch9wavefront6targetE1EEEvT1_,comdat
	.globl	_ZN7rocprim17ROCPRIM_400000_NS6detail17trampoline_kernelINS0_14default_configENS1_20scan_config_selectorIN3c107complexIdEEEEZZNS1_9scan_implILNS1_25lookback_scan_determinismE0ELb0ELb0ES3_PKS7_PS7_S7_ZZZN2at6native31launch_logcumsumexp_cuda_kernelERKNSE_10TensorBaseESI_lENKUlvE_clEvENKUlvE1_clEvEUlS7_S7_E_S7_EEDaPvRmT3_T4_T5_mT6_P12ihipStream_tbENKUlT_T0_E_clISt17integral_constantIbLb1EESY_IbLb0EEEEDaSU_SV_EUlSU_E0_NS1_11comp_targetILNS1_3genE2ELNS1_11target_archE906ELNS1_3gpuE6ELNS1_3repE0EEENS1_30default_config_static_selectorELNS0_4arch9wavefront6targetE1EEEvT1_ ; -- Begin function _ZN7rocprim17ROCPRIM_400000_NS6detail17trampoline_kernelINS0_14default_configENS1_20scan_config_selectorIN3c107complexIdEEEEZZNS1_9scan_implILNS1_25lookback_scan_determinismE0ELb0ELb0ES3_PKS7_PS7_S7_ZZZN2at6native31launch_logcumsumexp_cuda_kernelERKNSE_10TensorBaseESI_lENKUlvE_clEvENKUlvE1_clEvEUlS7_S7_E_S7_EEDaPvRmT3_T4_T5_mT6_P12ihipStream_tbENKUlT_T0_E_clISt17integral_constantIbLb1EESY_IbLb0EEEEDaSU_SV_EUlSU_E0_NS1_11comp_targetILNS1_3genE2ELNS1_11target_archE906ELNS1_3gpuE6ELNS1_3repE0EEENS1_30default_config_static_selectorELNS0_4arch9wavefront6targetE1EEEvT1_
	.p2align	8
	.type	_ZN7rocprim17ROCPRIM_400000_NS6detail17trampoline_kernelINS0_14default_configENS1_20scan_config_selectorIN3c107complexIdEEEEZZNS1_9scan_implILNS1_25lookback_scan_determinismE0ELb0ELb0ES3_PKS7_PS7_S7_ZZZN2at6native31launch_logcumsumexp_cuda_kernelERKNSE_10TensorBaseESI_lENKUlvE_clEvENKUlvE1_clEvEUlS7_S7_E_S7_EEDaPvRmT3_T4_T5_mT6_P12ihipStream_tbENKUlT_T0_E_clISt17integral_constantIbLb1EESY_IbLb0EEEEDaSU_SV_EUlSU_E0_NS1_11comp_targetILNS1_3genE2ELNS1_11target_archE906ELNS1_3gpuE6ELNS1_3repE0EEENS1_30default_config_static_selectorELNS0_4arch9wavefront6targetE1EEEvT1_,@function
_ZN7rocprim17ROCPRIM_400000_NS6detail17trampoline_kernelINS0_14default_configENS1_20scan_config_selectorIN3c107complexIdEEEEZZNS1_9scan_implILNS1_25lookback_scan_determinismE0ELb0ELb0ES3_PKS7_PS7_S7_ZZZN2at6native31launch_logcumsumexp_cuda_kernelERKNSE_10TensorBaseESI_lENKUlvE_clEvENKUlvE1_clEvEUlS7_S7_E_S7_EEDaPvRmT3_T4_T5_mT6_P12ihipStream_tbENKUlT_T0_E_clISt17integral_constantIbLb1EESY_IbLb0EEEEDaSU_SV_EUlSU_E0_NS1_11comp_targetILNS1_3genE2ELNS1_11target_archE906ELNS1_3gpuE6ELNS1_3repE0EEENS1_30default_config_static_selectorELNS0_4arch9wavefront6targetE1EEEvT1_: ; @_ZN7rocprim17ROCPRIM_400000_NS6detail17trampoline_kernelINS0_14default_configENS1_20scan_config_selectorIN3c107complexIdEEEEZZNS1_9scan_implILNS1_25lookback_scan_determinismE0ELb0ELb0ES3_PKS7_PS7_S7_ZZZN2at6native31launch_logcumsumexp_cuda_kernelERKNSE_10TensorBaseESI_lENKUlvE_clEvENKUlvE1_clEvEUlS7_S7_E_S7_EEDaPvRmT3_T4_T5_mT6_P12ihipStream_tbENKUlT_T0_E_clISt17integral_constantIbLb1EESY_IbLb0EEEEDaSU_SV_EUlSU_E0_NS1_11comp_targetILNS1_3genE2ELNS1_11target_archE906ELNS1_3gpuE6ELNS1_3repE0EEENS1_30default_config_static_selectorELNS0_4arch9wavefront6targetE1EEEvT1_
; %bb.0:
	.section	.rodata,"a",@progbits
	.p2align	6, 0x0
	.amdhsa_kernel _ZN7rocprim17ROCPRIM_400000_NS6detail17trampoline_kernelINS0_14default_configENS1_20scan_config_selectorIN3c107complexIdEEEEZZNS1_9scan_implILNS1_25lookback_scan_determinismE0ELb0ELb0ES3_PKS7_PS7_S7_ZZZN2at6native31launch_logcumsumexp_cuda_kernelERKNSE_10TensorBaseESI_lENKUlvE_clEvENKUlvE1_clEvEUlS7_S7_E_S7_EEDaPvRmT3_T4_T5_mT6_P12ihipStream_tbENKUlT_T0_E_clISt17integral_constantIbLb1EESY_IbLb0EEEEDaSU_SV_EUlSU_E0_NS1_11comp_targetILNS1_3genE2ELNS1_11target_archE906ELNS1_3gpuE6ELNS1_3repE0EEENS1_30default_config_static_selectorELNS0_4arch9wavefront6targetE1EEEvT1_
		.amdhsa_group_segment_fixed_size 0
		.amdhsa_private_segment_fixed_size 0
		.amdhsa_kernarg_size 48
		.amdhsa_user_sgpr_count 2
		.amdhsa_user_sgpr_dispatch_ptr 0
		.amdhsa_user_sgpr_queue_ptr 0
		.amdhsa_user_sgpr_kernarg_segment_ptr 1
		.amdhsa_user_sgpr_dispatch_id 0
		.amdhsa_user_sgpr_kernarg_preload_length 0
		.amdhsa_user_sgpr_kernarg_preload_offset 0
		.amdhsa_user_sgpr_private_segment_size 0
		.amdhsa_uses_dynamic_stack 0
		.amdhsa_enable_private_segment 0
		.amdhsa_system_sgpr_workgroup_id_x 1
		.amdhsa_system_sgpr_workgroup_id_y 0
		.amdhsa_system_sgpr_workgroup_id_z 0
		.amdhsa_system_sgpr_workgroup_info 0
		.amdhsa_system_vgpr_workitem_id 0
		.amdhsa_next_free_vgpr 1
		.amdhsa_next_free_sgpr 0
		.amdhsa_accum_offset 4
		.amdhsa_reserve_vcc 0
		.amdhsa_float_round_mode_32 0
		.amdhsa_float_round_mode_16_64 0
		.amdhsa_float_denorm_mode_32 3
		.amdhsa_float_denorm_mode_16_64 3
		.amdhsa_dx10_clamp 1
		.amdhsa_ieee_mode 1
		.amdhsa_fp16_overflow 0
		.amdhsa_tg_split 0
		.amdhsa_exception_fp_ieee_invalid_op 0
		.amdhsa_exception_fp_denorm_src 0
		.amdhsa_exception_fp_ieee_div_zero 0
		.amdhsa_exception_fp_ieee_overflow 0
		.amdhsa_exception_fp_ieee_underflow 0
		.amdhsa_exception_fp_ieee_inexact 0
		.amdhsa_exception_int_div_zero 0
	.end_amdhsa_kernel
	.section	.text._ZN7rocprim17ROCPRIM_400000_NS6detail17trampoline_kernelINS0_14default_configENS1_20scan_config_selectorIN3c107complexIdEEEEZZNS1_9scan_implILNS1_25lookback_scan_determinismE0ELb0ELb0ES3_PKS7_PS7_S7_ZZZN2at6native31launch_logcumsumexp_cuda_kernelERKNSE_10TensorBaseESI_lENKUlvE_clEvENKUlvE1_clEvEUlS7_S7_E_S7_EEDaPvRmT3_T4_T5_mT6_P12ihipStream_tbENKUlT_T0_E_clISt17integral_constantIbLb1EESY_IbLb0EEEEDaSU_SV_EUlSU_E0_NS1_11comp_targetILNS1_3genE2ELNS1_11target_archE906ELNS1_3gpuE6ELNS1_3repE0EEENS1_30default_config_static_selectorELNS0_4arch9wavefront6targetE1EEEvT1_,"axG",@progbits,_ZN7rocprim17ROCPRIM_400000_NS6detail17trampoline_kernelINS0_14default_configENS1_20scan_config_selectorIN3c107complexIdEEEEZZNS1_9scan_implILNS1_25lookback_scan_determinismE0ELb0ELb0ES3_PKS7_PS7_S7_ZZZN2at6native31launch_logcumsumexp_cuda_kernelERKNSE_10TensorBaseESI_lENKUlvE_clEvENKUlvE1_clEvEUlS7_S7_E_S7_EEDaPvRmT3_T4_T5_mT6_P12ihipStream_tbENKUlT_T0_E_clISt17integral_constantIbLb1EESY_IbLb0EEEEDaSU_SV_EUlSU_E0_NS1_11comp_targetILNS1_3genE2ELNS1_11target_archE906ELNS1_3gpuE6ELNS1_3repE0EEENS1_30default_config_static_selectorELNS0_4arch9wavefront6targetE1EEEvT1_,comdat
.Lfunc_end243:
	.size	_ZN7rocprim17ROCPRIM_400000_NS6detail17trampoline_kernelINS0_14default_configENS1_20scan_config_selectorIN3c107complexIdEEEEZZNS1_9scan_implILNS1_25lookback_scan_determinismE0ELb0ELb0ES3_PKS7_PS7_S7_ZZZN2at6native31launch_logcumsumexp_cuda_kernelERKNSE_10TensorBaseESI_lENKUlvE_clEvENKUlvE1_clEvEUlS7_S7_E_S7_EEDaPvRmT3_T4_T5_mT6_P12ihipStream_tbENKUlT_T0_E_clISt17integral_constantIbLb1EESY_IbLb0EEEEDaSU_SV_EUlSU_E0_NS1_11comp_targetILNS1_3genE2ELNS1_11target_archE906ELNS1_3gpuE6ELNS1_3repE0EEENS1_30default_config_static_selectorELNS0_4arch9wavefront6targetE1EEEvT1_, .Lfunc_end243-_ZN7rocprim17ROCPRIM_400000_NS6detail17trampoline_kernelINS0_14default_configENS1_20scan_config_selectorIN3c107complexIdEEEEZZNS1_9scan_implILNS1_25lookback_scan_determinismE0ELb0ELb0ES3_PKS7_PS7_S7_ZZZN2at6native31launch_logcumsumexp_cuda_kernelERKNSE_10TensorBaseESI_lENKUlvE_clEvENKUlvE1_clEvEUlS7_S7_E_S7_EEDaPvRmT3_T4_T5_mT6_P12ihipStream_tbENKUlT_T0_E_clISt17integral_constantIbLb1EESY_IbLb0EEEEDaSU_SV_EUlSU_E0_NS1_11comp_targetILNS1_3genE2ELNS1_11target_archE906ELNS1_3gpuE6ELNS1_3repE0EEENS1_30default_config_static_selectorELNS0_4arch9wavefront6targetE1EEEvT1_
                                        ; -- End function
	.section	.AMDGPU.csdata,"",@progbits
; Kernel info:
; codeLenInByte = 0
; NumSgprs: 6
; NumVgprs: 0
; NumAgprs: 0
; TotalNumVgprs: 0
; ScratchSize: 0
; MemoryBound: 0
; FloatMode: 240
; IeeeMode: 1
; LDSByteSize: 0 bytes/workgroup (compile time only)
; SGPRBlocks: 0
; VGPRBlocks: 0
; NumSGPRsForWavesPerEU: 6
; NumVGPRsForWavesPerEU: 1
; AccumOffset: 4
; Occupancy: 8
; WaveLimiterHint : 0
; COMPUTE_PGM_RSRC2:SCRATCH_EN: 0
; COMPUTE_PGM_RSRC2:USER_SGPR: 2
; COMPUTE_PGM_RSRC2:TRAP_HANDLER: 0
; COMPUTE_PGM_RSRC2:TGID_X_EN: 1
; COMPUTE_PGM_RSRC2:TGID_Y_EN: 0
; COMPUTE_PGM_RSRC2:TGID_Z_EN: 0
; COMPUTE_PGM_RSRC2:TIDIG_COMP_CNT: 0
; COMPUTE_PGM_RSRC3_GFX90A:ACCUM_OFFSET: 0
; COMPUTE_PGM_RSRC3_GFX90A:TG_SPLIT: 0
	.section	.text._ZN7rocprim17ROCPRIM_400000_NS6detail17trampoline_kernelINS0_14default_configENS1_20scan_config_selectorIN3c107complexIdEEEEZZNS1_9scan_implILNS1_25lookback_scan_determinismE0ELb0ELb0ES3_PKS7_PS7_S7_ZZZN2at6native31launch_logcumsumexp_cuda_kernelERKNSE_10TensorBaseESI_lENKUlvE_clEvENKUlvE1_clEvEUlS7_S7_E_S7_EEDaPvRmT3_T4_T5_mT6_P12ihipStream_tbENKUlT_T0_E_clISt17integral_constantIbLb1EESY_IbLb0EEEEDaSU_SV_EUlSU_E0_NS1_11comp_targetILNS1_3genE10ELNS1_11target_archE1201ELNS1_3gpuE5ELNS1_3repE0EEENS1_30default_config_static_selectorELNS0_4arch9wavefront6targetE1EEEvT1_,"axG",@progbits,_ZN7rocprim17ROCPRIM_400000_NS6detail17trampoline_kernelINS0_14default_configENS1_20scan_config_selectorIN3c107complexIdEEEEZZNS1_9scan_implILNS1_25lookback_scan_determinismE0ELb0ELb0ES3_PKS7_PS7_S7_ZZZN2at6native31launch_logcumsumexp_cuda_kernelERKNSE_10TensorBaseESI_lENKUlvE_clEvENKUlvE1_clEvEUlS7_S7_E_S7_EEDaPvRmT3_T4_T5_mT6_P12ihipStream_tbENKUlT_T0_E_clISt17integral_constantIbLb1EESY_IbLb0EEEEDaSU_SV_EUlSU_E0_NS1_11comp_targetILNS1_3genE10ELNS1_11target_archE1201ELNS1_3gpuE5ELNS1_3repE0EEENS1_30default_config_static_selectorELNS0_4arch9wavefront6targetE1EEEvT1_,comdat
	.globl	_ZN7rocprim17ROCPRIM_400000_NS6detail17trampoline_kernelINS0_14default_configENS1_20scan_config_selectorIN3c107complexIdEEEEZZNS1_9scan_implILNS1_25lookback_scan_determinismE0ELb0ELb0ES3_PKS7_PS7_S7_ZZZN2at6native31launch_logcumsumexp_cuda_kernelERKNSE_10TensorBaseESI_lENKUlvE_clEvENKUlvE1_clEvEUlS7_S7_E_S7_EEDaPvRmT3_T4_T5_mT6_P12ihipStream_tbENKUlT_T0_E_clISt17integral_constantIbLb1EESY_IbLb0EEEEDaSU_SV_EUlSU_E0_NS1_11comp_targetILNS1_3genE10ELNS1_11target_archE1201ELNS1_3gpuE5ELNS1_3repE0EEENS1_30default_config_static_selectorELNS0_4arch9wavefront6targetE1EEEvT1_ ; -- Begin function _ZN7rocprim17ROCPRIM_400000_NS6detail17trampoline_kernelINS0_14default_configENS1_20scan_config_selectorIN3c107complexIdEEEEZZNS1_9scan_implILNS1_25lookback_scan_determinismE0ELb0ELb0ES3_PKS7_PS7_S7_ZZZN2at6native31launch_logcumsumexp_cuda_kernelERKNSE_10TensorBaseESI_lENKUlvE_clEvENKUlvE1_clEvEUlS7_S7_E_S7_EEDaPvRmT3_T4_T5_mT6_P12ihipStream_tbENKUlT_T0_E_clISt17integral_constantIbLb1EESY_IbLb0EEEEDaSU_SV_EUlSU_E0_NS1_11comp_targetILNS1_3genE10ELNS1_11target_archE1201ELNS1_3gpuE5ELNS1_3repE0EEENS1_30default_config_static_selectorELNS0_4arch9wavefront6targetE1EEEvT1_
	.p2align	8
	.type	_ZN7rocprim17ROCPRIM_400000_NS6detail17trampoline_kernelINS0_14default_configENS1_20scan_config_selectorIN3c107complexIdEEEEZZNS1_9scan_implILNS1_25lookback_scan_determinismE0ELb0ELb0ES3_PKS7_PS7_S7_ZZZN2at6native31launch_logcumsumexp_cuda_kernelERKNSE_10TensorBaseESI_lENKUlvE_clEvENKUlvE1_clEvEUlS7_S7_E_S7_EEDaPvRmT3_T4_T5_mT6_P12ihipStream_tbENKUlT_T0_E_clISt17integral_constantIbLb1EESY_IbLb0EEEEDaSU_SV_EUlSU_E0_NS1_11comp_targetILNS1_3genE10ELNS1_11target_archE1201ELNS1_3gpuE5ELNS1_3repE0EEENS1_30default_config_static_selectorELNS0_4arch9wavefront6targetE1EEEvT1_,@function
_ZN7rocprim17ROCPRIM_400000_NS6detail17trampoline_kernelINS0_14default_configENS1_20scan_config_selectorIN3c107complexIdEEEEZZNS1_9scan_implILNS1_25lookback_scan_determinismE0ELb0ELb0ES3_PKS7_PS7_S7_ZZZN2at6native31launch_logcumsumexp_cuda_kernelERKNSE_10TensorBaseESI_lENKUlvE_clEvENKUlvE1_clEvEUlS7_S7_E_S7_EEDaPvRmT3_T4_T5_mT6_P12ihipStream_tbENKUlT_T0_E_clISt17integral_constantIbLb1EESY_IbLb0EEEEDaSU_SV_EUlSU_E0_NS1_11comp_targetILNS1_3genE10ELNS1_11target_archE1201ELNS1_3gpuE5ELNS1_3repE0EEENS1_30default_config_static_selectorELNS0_4arch9wavefront6targetE1EEEvT1_: ; @_ZN7rocprim17ROCPRIM_400000_NS6detail17trampoline_kernelINS0_14default_configENS1_20scan_config_selectorIN3c107complexIdEEEEZZNS1_9scan_implILNS1_25lookback_scan_determinismE0ELb0ELb0ES3_PKS7_PS7_S7_ZZZN2at6native31launch_logcumsumexp_cuda_kernelERKNSE_10TensorBaseESI_lENKUlvE_clEvENKUlvE1_clEvEUlS7_S7_E_S7_EEDaPvRmT3_T4_T5_mT6_P12ihipStream_tbENKUlT_T0_E_clISt17integral_constantIbLb1EESY_IbLb0EEEEDaSU_SV_EUlSU_E0_NS1_11comp_targetILNS1_3genE10ELNS1_11target_archE1201ELNS1_3gpuE5ELNS1_3repE0EEENS1_30default_config_static_selectorELNS0_4arch9wavefront6targetE1EEEvT1_
; %bb.0:
	.section	.rodata,"a",@progbits
	.p2align	6, 0x0
	.amdhsa_kernel _ZN7rocprim17ROCPRIM_400000_NS6detail17trampoline_kernelINS0_14default_configENS1_20scan_config_selectorIN3c107complexIdEEEEZZNS1_9scan_implILNS1_25lookback_scan_determinismE0ELb0ELb0ES3_PKS7_PS7_S7_ZZZN2at6native31launch_logcumsumexp_cuda_kernelERKNSE_10TensorBaseESI_lENKUlvE_clEvENKUlvE1_clEvEUlS7_S7_E_S7_EEDaPvRmT3_T4_T5_mT6_P12ihipStream_tbENKUlT_T0_E_clISt17integral_constantIbLb1EESY_IbLb0EEEEDaSU_SV_EUlSU_E0_NS1_11comp_targetILNS1_3genE10ELNS1_11target_archE1201ELNS1_3gpuE5ELNS1_3repE0EEENS1_30default_config_static_selectorELNS0_4arch9wavefront6targetE1EEEvT1_
		.amdhsa_group_segment_fixed_size 0
		.amdhsa_private_segment_fixed_size 0
		.amdhsa_kernarg_size 48
		.amdhsa_user_sgpr_count 2
		.amdhsa_user_sgpr_dispatch_ptr 0
		.amdhsa_user_sgpr_queue_ptr 0
		.amdhsa_user_sgpr_kernarg_segment_ptr 1
		.amdhsa_user_sgpr_dispatch_id 0
		.amdhsa_user_sgpr_kernarg_preload_length 0
		.amdhsa_user_sgpr_kernarg_preload_offset 0
		.amdhsa_user_sgpr_private_segment_size 0
		.amdhsa_uses_dynamic_stack 0
		.amdhsa_enable_private_segment 0
		.amdhsa_system_sgpr_workgroup_id_x 1
		.amdhsa_system_sgpr_workgroup_id_y 0
		.amdhsa_system_sgpr_workgroup_id_z 0
		.amdhsa_system_sgpr_workgroup_info 0
		.amdhsa_system_vgpr_workitem_id 0
		.amdhsa_next_free_vgpr 1
		.amdhsa_next_free_sgpr 0
		.amdhsa_accum_offset 4
		.amdhsa_reserve_vcc 0
		.amdhsa_float_round_mode_32 0
		.amdhsa_float_round_mode_16_64 0
		.amdhsa_float_denorm_mode_32 3
		.amdhsa_float_denorm_mode_16_64 3
		.amdhsa_dx10_clamp 1
		.amdhsa_ieee_mode 1
		.amdhsa_fp16_overflow 0
		.amdhsa_tg_split 0
		.amdhsa_exception_fp_ieee_invalid_op 0
		.amdhsa_exception_fp_denorm_src 0
		.amdhsa_exception_fp_ieee_div_zero 0
		.amdhsa_exception_fp_ieee_overflow 0
		.amdhsa_exception_fp_ieee_underflow 0
		.amdhsa_exception_fp_ieee_inexact 0
		.amdhsa_exception_int_div_zero 0
	.end_amdhsa_kernel
	.section	.text._ZN7rocprim17ROCPRIM_400000_NS6detail17trampoline_kernelINS0_14default_configENS1_20scan_config_selectorIN3c107complexIdEEEEZZNS1_9scan_implILNS1_25lookback_scan_determinismE0ELb0ELb0ES3_PKS7_PS7_S7_ZZZN2at6native31launch_logcumsumexp_cuda_kernelERKNSE_10TensorBaseESI_lENKUlvE_clEvENKUlvE1_clEvEUlS7_S7_E_S7_EEDaPvRmT3_T4_T5_mT6_P12ihipStream_tbENKUlT_T0_E_clISt17integral_constantIbLb1EESY_IbLb0EEEEDaSU_SV_EUlSU_E0_NS1_11comp_targetILNS1_3genE10ELNS1_11target_archE1201ELNS1_3gpuE5ELNS1_3repE0EEENS1_30default_config_static_selectorELNS0_4arch9wavefront6targetE1EEEvT1_,"axG",@progbits,_ZN7rocprim17ROCPRIM_400000_NS6detail17trampoline_kernelINS0_14default_configENS1_20scan_config_selectorIN3c107complexIdEEEEZZNS1_9scan_implILNS1_25lookback_scan_determinismE0ELb0ELb0ES3_PKS7_PS7_S7_ZZZN2at6native31launch_logcumsumexp_cuda_kernelERKNSE_10TensorBaseESI_lENKUlvE_clEvENKUlvE1_clEvEUlS7_S7_E_S7_EEDaPvRmT3_T4_T5_mT6_P12ihipStream_tbENKUlT_T0_E_clISt17integral_constantIbLb1EESY_IbLb0EEEEDaSU_SV_EUlSU_E0_NS1_11comp_targetILNS1_3genE10ELNS1_11target_archE1201ELNS1_3gpuE5ELNS1_3repE0EEENS1_30default_config_static_selectorELNS0_4arch9wavefront6targetE1EEEvT1_,comdat
.Lfunc_end244:
	.size	_ZN7rocprim17ROCPRIM_400000_NS6detail17trampoline_kernelINS0_14default_configENS1_20scan_config_selectorIN3c107complexIdEEEEZZNS1_9scan_implILNS1_25lookback_scan_determinismE0ELb0ELb0ES3_PKS7_PS7_S7_ZZZN2at6native31launch_logcumsumexp_cuda_kernelERKNSE_10TensorBaseESI_lENKUlvE_clEvENKUlvE1_clEvEUlS7_S7_E_S7_EEDaPvRmT3_T4_T5_mT6_P12ihipStream_tbENKUlT_T0_E_clISt17integral_constantIbLb1EESY_IbLb0EEEEDaSU_SV_EUlSU_E0_NS1_11comp_targetILNS1_3genE10ELNS1_11target_archE1201ELNS1_3gpuE5ELNS1_3repE0EEENS1_30default_config_static_selectorELNS0_4arch9wavefront6targetE1EEEvT1_, .Lfunc_end244-_ZN7rocprim17ROCPRIM_400000_NS6detail17trampoline_kernelINS0_14default_configENS1_20scan_config_selectorIN3c107complexIdEEEEZZNS1_9scan_implILNS1_25lookback_scan_determinismE0ELb0ELb0ES3_PKS7_PS7_S7_ZZZN2at6native31launch_logcumsumexp_cuda_kernelERKNSE_10TensorBaseESI_lENKUlvE_clEvENKUlvE1_clEvEUlS7_S7_E_S7_EEDaPvRmT3_T4_T5_mT6_P12ihipStream_tbENKUlT_T0_E_clISt17integral_constantIbLb1EESY_IbLb0EEEEDaSU_SV_EUlSU_E0_NS1_11comp_targetILNS1_3genE10ELNS1_11target_archE1201ELNS1_3gpuE5ELNS1_3repE0EEENS1_30default_config_static_selectorELNS0_4arch9wavefront6targetE1EEEvT1_
                                        ; -- End function
	.section	.AMDGPU.csdata,"",@progbits
; Kernel info:
; codeLenInByte = 0
; NumSgprs: 6
; NumVgprs: 0
; NumAgprs: 0
; TotalNumVgprs: 0
; ScratchSize: 0
; MemoryBound: 0
; FloatMode: 240
; IeeeMode: 1
; LDSByteSize: 0 bytes/workgroup (compile time only)
; SGPRBlocks: 0
; VGPRBlocks: 0
; NumSGPRsForWavesPerEU: 6
; NumVGPRsForWavesPerEU: 1
; AccumOffset: 4
; Occupancy: 8
; WaveLimiterHint : 0
; COMPUTE_PGM_RSRC2:SCRATCH_EN: 0
; COMPUTE_PGM_RSRC2:USER_SGPR: 2
; COMPUTE_PGM_RSRC2:TRAP_HANDLER: 0
; COMPUTE_PGM_RSRC2:TGID_X_EN: 1
; COMPUTE_PGM_RSRC2:TGID_Y_EN: 0
; COMPUTE_PGM_RSRC2:TGID_Z_EN: 0
; COMPUTE_PGM_RSRC2:TIDIG_COMP_CNT: 0
; COMPUTE_PGM_RSRC3_GFX90A:ACCUM_OFFSET: 0
; COMPUTE_PGM_RSRC3_GFX90A:TG_SPLIT: 0
	.section	.text._ZN7rocprim17ROCPRIM_400000_NS6detail17trampoline_kernelINS0_14default_configENS1_20scan_config_selectorIN3c107complexIdEEEEZZNS1_9scan_implILNS1_25lookback_scan_determinismE0ELb0ELb0ES3_PKS7_PS7_S7_ZZZN2at6native31launch_logcumsumexp_cuda_kernelERKNSE_10TensorBaseESI_lENKUlvE_clEvENKUlvE1_clEvEUlS7_S7_E_S7_EEDaPvRmT3_T4_T5_mT6_P12ihipStream_tbENKUlT_T0_E_clISt17integral_constantIbLb1EESY_IbLb0EEEEDaSU_SV_EUlSU_E0_NS1_11comp_targetILNS1_3genE10ELNS1_11target_archE1200ELNS1_3gpuE4ELNS1_3repE0EEENS1_30default_config_static_selectorELNS0_4arch9wavefront6targetE1EEEvT1_,"axG",@progbits,_ZN7rocprim17ROCPRIM_400000_NS6detail17trampoline_kernelINS0_14default_configENS1_20scan_config_selectorIN3c107complexIdEEEEZZNS1_9scan_implILNS1_25lookback_scan_determinismE0ELb0ELb0ES3_PKS7_PS7_S7_ZZZN2at6native31launch_logcumsumexp_cuda_kernelERKNSE_10TensorBaseESI_lENKUlvE_clEvENKUlvE1_clEvEUlS7_S7_E_S7_EEDaPvRmT3_T4_T5_mT6_P12ihipStream_tbENKUlT_T0_E_clISt17integral_constantIbLb1EESY_IbLb0EEEEDaSU_SV_EUlSU_E0_NS1_11comp_targetILNS1_3genE10ELNS1_11target_archE1200ELNS1_3gpuE4ELNS1_3repE0EEENS1_30default_config_static_selectorELNS0_4arch9wavefront6targetE1EEEvT1_,comdat
	.globl	_ZN7rocprim17ROCPRIM_400000_NS6detail17trampoline_kernelINS0_14default_configENS1_20scan_config_selectorIN3c107complexIdEEEEZZNS1_9scan_implILNS1_25lookback_scan_determinismE0ELb0ELb0ES3_PKS7_PS7_S7_ZZZN2at6native31launch_logcumsumexp_cuda_kernelERKNSE_10TensorBaseESI_lENKUlvE_clEvENKUlvE1_clEvEUlS7_S7_E_S7_EEDaPvRmT3_T4_T5_mT6_P12ihipStream_tbENKUlT_T0_E_clISt17integral_constantIbLb1EESY_IbLb0EEEEDaSU_SV_EUlSU_E0_NS1_11comp_targetILNS1_3genE10ELNS1_11target_archE1200ELNS1_3gpuE4ELNS1_3repE0EEENS1_30default_config_static_selectorELNS0_4arch9wavefront6targetE1EEEvT1_ ; -- Begin function _ZN7rocprim17ROCPRIM_400000_NS6detail17trampoline_kernelINS0_14default_configENS1_20scan_config_selectorIN3c107complexIdEEEEZZNS1_9scan_implILNS1_25lookback_scan_determinismE0ELb0ELb0ES3_PKS7_PS7_S7_ZZZN2at6native31launch_logcumsumexp_cuda_kernelERKNSE_10TensorBaseESI_lENKUlvE_clEvENKUlvE1_clEvEUlS7_S7_E_S7_EEDaPvRmT3_T4_T5_mT6_P12ihipStream_tbENKUlT_T0_E_clISt17integral_constantIbLb1EESY_IbLb0EEEEDaSU_SV_EUlSU_E0_NS1_11comp_targetILNS1_3genE10ELNS1_11target_archE1200ELNS1_3gpuE4ELNS1_3repE0EEENS1_30default_config_static_selectorELNS0_4arch9wavefront6targetE1EEEvT1_
	.p2align	8
	.type	_ZN7rocprim17ROCPRIM_400000_NS6detail17trampoline_kernelINS0_14default_configENS1_20scan_config_selectorIN3c107complexIdEEEEZZNS1_9scan_implILNS1_25lookback_scan_determinismE0ELb0ELb0ES3_PKS7_PS7_S7_ZZZN2at6native31launch_logcumsumexp_cuda_kernelERKNSE_10TensorBaseESI_lENKUlvE_clEvENKUlvE1_clEvEUlS7_S7_E_S7_EEDaPvRmT3_T4_T5_mT6_P12ihipStream_tbENKUlT_T0_E_clISt17integral_constantIbLb1EESY_IbLb0EEEEDaSU_SV_EUlSU_E0_NS1_11comp_targetILNS1_3genE10ELNS1_11target_archE1200ELNS1_3gpuE4ELNS1_3repE0EEENS1_30default_config_static_selectorELNS0_4arch9wavefront6targetE1EEEvT1_,@function
_ZN7rocprim17ROCPRIM_400000_NS6detail17trampoline_kernelINS0_14default_configENS1_20scan_config_selectorIN3c107complexIdEEEEZZNS1_9scan_implILNS1_25lookback_scan_determinismE0ELb0ELb0ES3_PKS7_PS7_S7_ZZZN2at6native31launch_logcumsumexp_cuda_kernelERKNSE_10TensorBaseESI_lENKUlvE_clEvENKUlvE1_clEvEUlS7_S7_E_S7_EEDaPvRmT3_T4_T5_mT6_P12ihipStream_tbENKUlT_T0_E_clISt17integral_constantIbLb1EESY_IbLb0EEEEDaSU_SV_EUlSU_E0_NS1_11comp_targetILNS1_3genE10ELNS1_11target_archE1200ELNS1_3gpuE4ELNS1_3repE0EEENS1_30default_config_static_selectorELNS0_4arch9wavefront6targetE1EEEvT1_: ; @_ZN7rocprim17ROCPRIM_400000_NS6detail17trampoline_kernelINS0_14default_configENS1_20scan_config_selectorIN3c107complexIdEEEEZZNS1_9scan_implILNS1_25lookback_scan_determinismE0ELb0ELb0ES3_PKS7_PS7_S7_ZZZN2at6native31launch_logcumsumexp_cuda_kernelERKNSE_10TensorBaseESI_lENKUlvE_clEvENKUlvE1_clEvEUlS7_S7_E_S7_EEDaPvRmT3_T4_T5_mT6_P12ihipStream_tbENKUlT_T0_E_clISt17integral_constantIbLb1EESY_IbLb0EEEEDaSU_SV_EUlSU_E0_NS1_11comp_targetILNS1_3genE10ELNS1_11target_archE1200ELNS1_3gpuE4ELNS1_3repE0EEENS1_30default_config_static_selectorELNS0_4arch9wavefront6targetE1EEEvT1_
; %bb.0:
	.section	.rodata,"a",@progbits
	.p2align	6, 0x0
	.amdhsa_kernel _ZN7rocprim17ROCPRIM_400000_NS6detail17trampoline_kernelINS0_14default_configENS1_20scan_config_selectorIN3c107complexIdEEEEZZNS1_9scan_implILNS1_25lookback_scan_determinismE0ELb0ELb0ES3_PKS7_PS7_S7_ZZZN2at6native31launch_logcumsumexp_cuda_kernelERKNSE_10TensorBaseESI_lENKUlvE_clEvENKUlvE1_clEvEUlS7_S7_E_S7_EEDaPvRmT3_T4_T5_mT6_P12ihipStream_tbENKUlT_T0_E_clISt17integral_constantIbLb1EESY_IbLb0EEEEDaSU_SV_EUlSU_E0_NS1_11comp_targetILNS1_3genE10ELNS1_11target_archE1200ELNS1_3gpuE4ELNS1_3repE0EEENS1_30default_config_static_selectorELNS0_4arch9wavefront6targetE1EEEvT1_
		.amdhsa_group_segment_fixed_size 0
		.amdhsa_private_segment_fixed_size 0
		.amdhsa_kernarg_size 48
		.amdhsa_user_sgpr_count 2
		.amdhsa_user_sgpr_dispatch_ptr 0
		.amdhsa_user_sgpr_queue_ptr 0
		.amdhsa_user_sgpr_kernarg_segment_ptr 1
		.amdhsa_user_sgpr_dispatch_id 0
		.amdhsa_user_sgpr_kernarg_preload_length 0
		.amdhsa_user_sgpr_kernarg_preload_offset 0
		.amdhsa_user_sgpr_private_segment_size 0
		.amdhsa_uses_dynamic_stack 0
		.amdhsa_enable_private_segment 0
		.amdhsa_system_sgpr_workgroup_id_x 1
		.amdhsa_system_sgpr_workgroup_id_y 0
		.amdhsa_system_sgpr_workgroup_id_z 0
		.amdhsa_system_sgpr_workgroup_info 0
		.amdhsa_system_vgpr_workitem_id 0
		.amdhsa_next_free_vgpr 1
		.amdhsa_next_free_sgpr 0
		.amdhsa_accum_offset 4
		.amdhsa_reserve_vcc 0
		.amdhsa_float_round_mode_32 0
		.amdhsa_float_round_mode_16_64 0
		.amdhsa_float_denorm_mode_32 3
		.amdhsa_float_denorm_mode_16_64 3
		.amdhsa_dx10_clamp 1
		.amdhsa_ieee_mode 1
		.amdhsa_fp16_overflow 0
		.amdhsa_tg_split 0
		.amdhsa_exception_fp_ieee_invalid_op 0
		.amdhsa_exception_fp_denorm_src 0
		.amdhsa_exception_fp_ieee_div_zero 0
		.amdhsa_exception_fp_ieee_overflow 0
		.amdhsa_exception_fp_ieee_underflow 0
		.amdhsa_exception_fp_ieee_inexact 0
		.amdhsa_exception_int_div_zero 0
	.end_amdhsa_kernel
	.section	.text._ZN7rocprim17ROCPRIM_400000_NS6detail17trampoline_kernelINS0_14default_configENS1_20scan_config_selectorIN3c107complexIdEEEEZZNS1_9scan_implILNS1_25lookback_scan_determinismE0ELb0ELb0ES3_PKS7_PS7_S7_ZZZN2at6native31launch_logcumsumexp_cuda_kernelERKNSE_10TensorBaseESI_lENKUlvE_clEvENKUlvE1_clEvEUlS7_S7_E_S7_EEDaPvRmT3_T4_T5_mT6_P12ihipStream_tbENKUlT_T0_E_clISt17integral_constantIbLb1EESY_IbLb0EEEEDaSU_SV_EUlSU_E0_NS1_11comp_targetILNS1_3genE10ELNS1_11target_archE1200ELNS1_3gpuE4ELNS1_3repE0EEENS1_30default_config_static_selectorELNS0_4arch9wavefront6targetE1EEEvT1_,"axG",@progbits,_ZN7rocprim17ROCPRIM_400000_NS6detail17trampoline_kernelINS0_14default_configENS1_20scan_config_selectorIN3c107complexIdEEEEZZNS1_9scan_implILNS1_25lookback_scan_determinismE0ELb0ELb0ES3_PKS7_PS7_S7_ZZZN2at6native31launch_logcumsumexp_cuda_kernelERKNSE_10TensorBaseESI_lENKUlvE_clEvENKUlvE1_clEvEUlS7_S7_E_S7_EEDaPvRmT3_T4_T5_mT6_P12ihipStream_tbENKUlT_T0_E_clISt17integral_constantIbLb1EESY_IbLb0EEEEDaSU_SV_EUlSU_E0_NS1_11comp_targetILNS1_3genE10ELNS1_11target_archE1200ELNS1_3gpuE4ELNS1_3repE0EEENS1_30default_config_static_selectorELNS0_4arch9wavefront6targetE1EEEvT1_,comdat
.Lfunc_end245:
	.size	_ZN7rocprim17ROCPRIM_400000_NS6detail17trampoline_kernelINS0_14default_configENS1_20scan_config_selectorIN3c107complexIdEEEEZZNS1_9scan_implILNS1_25lookback_scan_determinismE0ELb0ELb0ES3_PKS7_PS7_S7_ZZZN2at6native31launch_logcumsumexp_cuda_kernelERKNSE_10TensorBaseESI_lENKUlvE_clEvENKUlvE1_clEvEUlS7_S7_E_S7_EEDaPvRmT3_T4_T5_mT6_P12ihipStream_tbENKUlT_T0_E_clISt17integral_constantIbLb1EESY_IbLb0EEEEDaSU_SV_EUlSU_E0_NS1_11comp_targetILNS1_3genE10ELNS1_11target_archE1200ELNS1_3gpuE4ELNS1_3repE0EEENS1_30default_config_static_selectorELNS0_4arch9wavefront6targetE1EEEvT1_, .Lfunc_end245-_ZN7rocprim17ROCPRIM_400000_NS6detail17trampoline_kernelINS0_14default_configENS1_20scan_config_selectorIN3c107complexIdEEEEZZNS1_9scan_implILNS1_25lookback_scan_determinismE0ELb0ELb0ES3_PKS7_PS7_S7_ZZZN2at6native31launch_logcumsumexp_cuda_kernelERKNSE_10TensorBaseESI_lENKUlvE_clEvENKUlvE1_clEvEUlS7_S7_E_S7_EEDaPvRmT3_T4_T5_mT6_P12ihipStream_tbENKUlT_T0_E_clISt17integral_constantIbLb1EESY_IbLb0EEEEDaSU_SV_EUlSU_E0_NS1_11comp_targetILNS1_3genE10ELNS1_11target_archE1200ELNS1_3gpuE4ELNS1_3repE0EEENS1_30default_config_static_selectorELNS0_4arch9wavefront6targetE1EEEvT1_
                                        ; -- End function
	.section	.AMDGPU.csdata,"",@progbits
; Kernel info:
; codeLenInByte = 0
; NumSgprs: 6
; NumVgprs: 0
; NumAgprs: 0
; TotalNumVgprs: 0
; ScratchSize: 0
; MemoryBound: 0
; FloatMode: 240
; IeeeMode: 1
; LDSByteSize: 0 bytes/workgroup (compile time only)
; SGPRBlocks: 0
; VGPRBlocks: 0
; NumSGPRsForWavesPerEU: 6
; NumVGPRsForWavesPerEU: 1
; AccumOffset: 4
; Occupancy: 8
; WaveLimiterHint : 0
; COMPUTE_PGM_RSRC2:SCRATCH_EN: 0
; COMPUTE_PGM_RSRC2:USER_SGPR: 2
; COMPUTE_PGM_RSRC2:TRAP_HANDLER: 0
; COMPUTE_PGM_RSRC2:TGID_X_EN: 1
; COMPUTE_PGM_RSRC2:TGID_Y_EN: 0
; COMPUTE_PGM_RSRC2:TGID_Z_EN: 0
; COMPUTE_PGM_RSRC2:TIDIG_COMP_CNT: 0
; COMPUTE_PGM_RSRC3_GFX90A:ACCUM_OFFSET: 0
; COMPUTE_PGM_RSRC3_GFX90A:TG_SPLIT: 0
	.section	.text._ZN7rocprim17ROCPRIM_400000_NS6detail17trampoline_kernelINS0_14default_configENS1_20scan_config_selectorIN3c107complexIdEEEEZZNS1_9scan_implILNS1_25lookback_scan_determinismE0ELb0ELb0ES3_PKS7_PS7_S7_ZZZN2at6native31launch_logcumsumexp_cuda_kernelERKNSE_10TensorBaseESI_lENKUlvE_clEvENKUlvE1_clEvEUlS7_S7_E_S7_EEDaPvRmT3_T4_T5_mT6_P12ihipStream_tbENKUlT_T0_E_clISt17integral_constantIbLb1EESY_IbLb0EEEEDaSU_SV_EUlSU_E0_NS1_11comp_targetILNS1_3genE9ELNS1_11target_archE1100ELNS1_3gpuE3ELNS1_3repE0EEENS1_30default_config_static_selectorELNS0_4arch9wavefront6targetE1EEEvT1_,"axG",@progbits,_ZN7rocprim17ROCPRIM_400000_NS6detail17trampoline_kernelINS0_14default_configENS1_20scan_config_selectorIN3c107complexIdEEEEZZNS1_9scan_implILNS1_25lookback_scan_determinismE0ELb0ELb0ES3_PKS7_PS7_S7_ZZZN2at6native31launch_logcumsumexp_cuda_kernelERKNSE_10TensorBaseESI_lENKUlvE_clEvENKUlvE1_clEvEUlS7_S7_E_S7_EEDaPvRmT3_T4_T5_mT6_P12ihipStream_tbENKUlT_T0_E_clISt17integral_constantIbLb1EESY_IbLb0EEEEDaSU_SV_EUlSU_E0_NS1_11comp_targetILNS1_3genE9ELNS1_11target_archE1100ELNS1_3gpuE3ELNS1_3repE0EEENS1_30default_config_static_selectorELNS0_4arch9wavefront6targetE1EEEvT1_,comdat
	.globl	_ZN7rocprim17ROCPRIM_400000_NS6detail17trampoline_kernelINS0_14default_configENS1_20scan_config_selectorIN3c107complexIdEEEEZZNS1_9scan_implILNS1_25lookback_scan_determinismE0ELb0ELb0ES3_PKS7_PS7_S7_ZZZN2at6native31launch_logcumsumexp_cuda_kernelERKNSE_10TensorBaseESI_lENKUlvE_clEvENKUlvE1_clEvEUlS7_S7_E_S7_EEDaPvRmT3_T4_T5_mT6_P12ihipStream_tbENKUlT_T0_E_clISt17integral_constantIbLb1EESY_IbLb0EEEEDaSU_SV_EUlSU_E0_NS1_11comp_targetILNS1_3genE9ELNS1_11target_archE1100ELNS1_3gpuE3ELNS1_3repE0EEENS1_30default_config_static_selectorELNS0_4arch9wavefront6targetE1EEEvT1_ ; -- Begin function _ZN7rocprim17ROCPRIM_400000_NS6detail17trampoline_kernelINS0_14default_configENS1_20scan_config_selectorIN3c107complexIdEEEEZZNS1_9scan_implILNS1_25lookback_scan_determinismE0ELb0ELb0ES3_PKS7_PS7_S7_ZZZN2at6native31launch_logcumsumexp_cuda_kernelERKNSE_10TensorBaseESI_lENKUlvE_clEvENKUlvE1_clEvEUlS7_S7_E_S7_EEDaPvRmT3_T4_T5_mT6_P12ihipStream_tbENKUlT_T0_E_clISt17integral_constantIbLb1EESY_IbLb0EEEEDaSU_SV_EUlSU_E0_NS1_11comp_targetILNS1_3genE9ELNS1_11target_archE1100ELNS1_3gpuE3ELNS1_3repE0EEENS1_30default_config_static_selectorELNS0_4arch9wavefront6targetE1EEEvT1_
	.p2align	8
	.type	_ZN7rocprim17ROCPRIM_400000_NS6detail17trampoline_kernelINS0_14default_configENS1_20scan_config_selectorIN3c107complexIdEEEEZZNS1_9scan_implILNS1_25lookback_scan_determinismE0ELb0ELb0ES3_PKS7_PS7_S7_ZZZN2at6native31launch_logcumsumexp_cuda_kernelERKNSE_10TensorBaseESI_lENKUlvE_clEvENKUlvE1_clEvEUlS7_S7_E_S7_EEDaPvRmT3_T4_T5_mT6_P12ihipStream_tbENKUlT_T0_E_clISt17integral_constantIbLb1EESY_IbLb0EEEEDaSU_SV_EUlSU_E0_NS1_11comp_targetILNS1_3genE9ELNS1_11target_archE1100ELNS1_3gpuE3ELNS1_3repE0EEENS1_30default_config_static_selectorELNS0_4arch9wavefront6targetE1EEEvT1_,@function
_ZN7rocprim17ROCPRIM_400000_NS6detail17trampoline_kernelINS0_14default_configENS1_20scan_config_selectorIN3c107complexIdEEEEZZNS1_9scan_implILNS1_25lookback_scan_determinismE0ELb0ELb0ES3_PKS7_PS7_S7_ZZZN2at6native31launch_logcumsumexp_cuda_kernelERKNSE_10TensorBaseESI_lENKUlvE_clEvENKUlvE1_clEvEUlS7_S7_E_S7_EEDaPvRmT3_T4_T5_mT6_P12ihipStream_tbENKUlT_T0_E_clISt17integral_constantIbLb1EESY_IbLb0EEEEDaSU_SV_EUlSU_E0_NS1_11comp_targetILNS1_3genE9ELNS1_11target_archE1100ELNS1_3gpuE3ELNS1_3repE0EEENS1_30default_config_static_selectorELNS0_4arch9wavefront6targetE1EEEvT1_: ; @_ZN7rocprim17ROCPRIM_400000_NS6detail17trampoline_kernelINS0_14default_configENS1_20scan_config_selectorIN3c107complexIdEEEEZZNS1_9scan_implILNS1_25lookback_scan_determinismE0ELb0ELb0ES3_PKS7_PS7_S7_ZZZN2at6native31launch_logcumsumexp_cuda_kernelERKNSE_10TensorBaseESI_lENKUlvE_clEvENKUlvE1_clEvEUlS7_S7_E_S7_EEDaPvRmT3_T4_T5_mT6_P12ihipStream_tbENKUlT_T0_E_clISt17integral_constantIbLb1EESY_IbLb0EEEEDaSU_SV_EUlSU_E0_NS1_11comp_targetILNS1_3genE9ELNS1_11target_archE1100ELNS1_3gpuE3ELNS1_3repE0EEENS1_30default_config_static_selectorELNS0_4arch9wavefront6targetE1EEEvT1_
; %bb.0:
	.section	.rodata,"a",@progbits
	.p2align	6, 0x0
	.amdhsa_kernel _ZN7rocprim17ROCPRIM_400000_NS6detail17trampoline_kernelINS0_14default_configENS1_20scan_config_selectorIN3c107complexIdEEEEZZNS1_9scan_implILNS1_25lookback_scan_determinismE0ELb0ELb0ES3_PKS7_PS7_S7_ZZZN2at6native31launch_logcumsumexp_cuda_kernelERKNSE_10TensorBaseESI_lENKUlvE_clEvENKUlvE1_clEvEUlS7_S7_E_S7_EEDaPvRmT3_T4_T5_mT6_P12ihipStream_tbENKUlT_T0_E_clISt17integral_constantIbLb1EESY_IbLb0EEEEDaSU_SV_EUlSU_E0_NS1_11comp_targetILNS1_3genE9ELNS1_11target_archE1100ELNS1_3gpuE3ELNS1_3repE0EEENS1_30default_config_static_selectorELNS0_4arch9wavefront6targetE1EEEvT1_
		.amdhsa_group_segment_fixed_size 0
		.amdhsa_private_segment_fixed_size 0
		.amdhsa_kernarg_size 48
		.amdhsa_user_sgpr_count 2
		.amdhsa_user_sgpr_dispatch_ptr 0
		.amdhsa_user_sgpr_queue_ptr 0
		.amdhsa_user_sgpr_kernarg_segment_ptr 1
		.amdhsa_user_sgpr_dispatch_id 0
		.amdhsa_user_sgpr_kernarg_preload_length 0
		.amdhsa_user_sgpr_kernarg_preload_offset 0
		.amdhsa_user_sgpr_private_segment_size 0
		.amdhsa_uses_dynamic_stack 0
		.amdhsa_enable_private_segment 0
		.amdhsa_system_sgpr_workgroup_id_x 1
		.amdhsa_system_sgpr_workgroup_id_y 0
		.amdhsa_system_sgpr_workgroup_id_z 0
		.amdhsa_system_sgpr_workgroup_info 0
		.amdhsa_system_vgpr_workitem_id 0
		.amdhsa_next_free_vgpr 1
		.amdhsa_next_free_sgpr 0
		.amdhsa_accum_offset 4
		.amdhsa_reserve_vcc 0
		.amdhsa_float_round_mode_32 0
		.amdhsa_float_round_mode_16_64 0
		.amdhsa_float_denorm_mode_32 3
		.amdhsa_float_denorm_mode_16_64 3
		.amdhsa_dx10_clamp 1
		.amdhsa_ieee_mode 1
		.amdhsa_fp16_overflow 0
		.amdhsa_tg_split 0
		.amdhsa_exception_fp_ieee_invalid_op 0
		.amdhsa_exception_fp_denorm_src 0
		.amdhsa_exception_fp_ieee_div_zero 0
		.amdhsa_exception_fp_ieee_overflow 0
		.amdhsa_exception_fp_ieee_underflow 0
		.amdhsa_exception_fp_ieee_inexact 0
		.amdhsa_exception_int_div_zero 0
	.end_amdhsa_kernel
	.section	.text._ZN7rocprim17ROCPRIM_400000_NS6detail17trampoline_kernelINS0_14default_configENS1_20scan_config_selectorIN3c107complexIdEEEEZZNS1_9scan_implILNS1_25lookback_scan_determinismE0ELb0ELb0ES3_PKS7_PS7_S7_ZZZN2at6native31launch_logcumsumexp_cuda_kernelERKNSE_10TensorBaseESI_lENKUlvE_clEvENKUlvE1_clEvEUlS7_S7_E_S7_EEDaPvRmT3_T4_T5_mT6_P12ihipStream_tbENKUlT_T0_E_clISt17integral_constantIbLb1EESY_IbLb0EEEEDaSU_SV_EUlSU_E0_NS1_11comp_targetILNS1_3genE9ELNS1_11target_archE1100ELNS1_3gpuE3ELNS1_3repE0EEENS1_30default_config_static_selectorELNS0_4arch9wavefront6targetE1EEEvT1_,"axG",@progbits,_ZN7rocprim17ROCPRIM_400000_NS6detail17trampoline_kernelINS0_14default_configENS1_20scan_config_selectorIN3c107complexIdEEEEZZNS1_9scan_implILNS1_25lookback_scan_determinismE0ELb0ELb0ES3_PKS7_PS7_S7_ZZZN2at6native31launch_logcumsumexp_cuda_kernelERKNSE_10TensorBaseESI_lENKUlvE_clEvENKUlvE1_clEvEUlS7_S7_E_S7_EEDaPvRmT3_T4_T5_mT6_P12ihipStream_tbENKUlT_T0_E_clISt17integral_constantIbLb1EESY_IbLb0EEEEDaSU_SV_EUlSU_E0_NS1_11comp_targetILNS1_3genE9ELNS1_11target_archE1100ELNS1_3gpuE3ELNS1_3repE0EEENS1_30default_config_static_selectorELNS0_4arch9wavefront6targetE1EEEvT1_,comdat
.Lfunc_end246:
	.size	_ZN7rocprim17ROCPRIM_400000_NS6detail17trampoline_kernelINS0_14default_configENS1_20scan_config_selectorIN3c107complexIdEEEEZZNS1_9scan_implILNS1_25lookback_scan_determinismE0ELb0ELb0ES3_PKS7_PS7_S7_ZZZN2at6native31launch_logcumsumexp_cuda_kernelERKNSE_10TensorBaseESI_lENKUlvE_clEvENKUlvE1_clEvEUlS7_S7_E_S7_EEDaPvRmT3_T4_T5_mT6_P12ihipStream_tbENKUlT_T0_E_clISt17integral_constantIbLb1EESY_IbLb0EEEEDaSU_SV_EUlSU_E0_NS1_11comp_targetILNS1_3genE9ELNS1_11target_archE1100ELNS1_3gpuE3ELNS1_3repE0EEENS1_30default_config_static_selectorELNS0_4arch9wavefront6targetE1EEEvT1_, .Lfunc_end246-_ZN7rocprim17ROCPRIM_400000_NS6detail17trampoline_kernelINS0_14default_configENS1_20scan_config_selectorIN3c107complexIdEEEEZZNS1_9scan_implILNS1_25lookback_scan_determinismE0ELb0ELb0ES3_PKS7_PS7_S7_ZZZN2at6native31launch_logcumsumexp_cuda_kernelERKNSE_10TensorBaseESI_lENKUlvE_clEvENKUlvE1_clEvEUlS7_S7_E_S7_EEDaPvRmT3_T4_T5_mT6_P12ihipStream_tbENKUlT_T0_E_clISt17integral_constantIbLb1EESY_IbLb0EEEEDaSU_SV_EUlSU_E0_NS1_11comp_targetILNS1_3genE9ELNS1_11target_archE1100ELNS1_3gpuE3ELNS1_3repE0EEENS1_30default_config_static_selectorELNS0_4arch9wavefront6targetE1EEEvT1_
                                        ; -- End function
	.section	.AMDGPU.csdata,"",@progbits
; Kernel info:
; codeLenInByte = 0
; NumSgprs: 6
; NumVgprs: 0
; NumAgprs: 0
; TotalNumVgprs: 0
; ScratchSize: 0
; MemoryBound: 0
; FloatMode: 240
; IeeeMode: 1
; LDSByteSize: 0 bytes/workgroup (compile time only)
; SGPRBlocks: 0
; VGPRBlocks: 0
; NumSGPRsForWavesPerEU: 6
; NumVGPRsForWavesPerEU: 1
; AccumOffset: 4
; Occupancy: 8
; WaveLimiterHint : 0
; COMPUTE_PGM_RSRC2:SCRATCH_EN: 0
; COMPUTE_PGM_RSRC2:USER_SGPR: 2
; COMPUTE_PGM_RSRC2:TRAP_HANDLER: 0
; COMPUTE_PGM_RSRC2:TGID_X_EN: 1
; COMPUTE_PGM_RSRC2:TGID_Y_EN: 0
; COMPUTE_PGM_RSRC2:TGID_Z_EN: 0
; COMPUTE_PGM_RSRC2:TIDIG_COMP_CNT: 0
; COMPUTE_PGM_RSRC3_GFX90A:ACCUM_OFFSET: 0
; COMPUTE_PGM_RSRC3_GFX90A:TG_SPLIT: 0
	.section	.text._ZN7rocprim17ROCPRIM_400000_NS6detail17trampoline_kernelINS0_14default_configENS1_20scan_config_selectorIN3c107complexIdEEEEZZNS1_9scan_implILNS1_25lookback_scan_determinismE0ELb0ELb0ES3_PKS7_PS7_S7_ZZZN2at6native31launch_logcumsumexp_cuda_kernelERKNSE_10TensorBaseESI_lENKUlvE_clEvENKUlvE1_clEvEUlS7_S7_E_S7_EEDaPvRmT3_T4_T5_mT6_P12ihipStream_tbENKUlT_T0_E_clISt17integral_constantIbLb1EESY_IbLb0EEEEDaSU_SV_EUlSU_E0_NS1_11comp_targetILNS1_3genE8ELNS1_11target_archE1030ELNS1_3gpuE2ELNS1_3repE0EEENS1_30default_config_static_selectorELNS0_4arch9wavefront6targetE1EEEvT1_,"axG",@progbits,_ZN7rocprim17ROCPRIM_400000_NS6detail17trampoline_kernelINS0_14default_configENS1_20scan_config_selectorIN3c107complexIdEEEEZZNS1_9scan_implILNS1_25lookback_scan_determinismE0ELb0ELb0ES3_PKS7_PS7_S7_ZZZN2at6native31launch_logcumsumexp_cuda_kernelERKNSE_10TensorBaseESI_lENKUlvE_clEvENKUlvE1_clEvEUlS7_S7_E_S7_EEDaPvRmT3_T4_T5_mT6_P12ihipStream_tbENKUlT_T0_E_clISt17integral_constantIbLb1EESY_IbLb0EEEEDaSU_SV_EUlSU_E0_NS1_11comp_targetILNS1_3genE8ELNS1_11target_archE1030ELNS1_3gpuE2ELNS1_3repE0EEENS1_30default_config_static_selectorELNS0_4arch9wavefront6targetE1EEEvT1_,comdat
	.globl	_ZN7rocprim17ROCPRIM_400000_NS6detail17trampoline_kernelINS0_14default_configENS1_20scan_config_selectorIN3c107complexIdEEEEZZNS1_9scan_implILNS1_25lookback_scan_determinismE0ELb0ELb0ES3_PKS7_PS7_S7_ZZZN2at6native31launch_logcumsumexp_cuda_kernelERKNSE_10TensorBaseESI_lENKUlvE_clEvENKUlvE1_clEvEUlS7_S7_E_S7_EEDaPvRmT3_T4_T5_mT6_P12ihipStream_tbENKUlT_T0_E_clISt17integral_constantIbLb1EESY_IbLb0EEEEDaSU_SV_EUlSU_E0_NS1_11comp_targetILNS1_3genE8ELNS1_11target_archE1030ELNS1_3gpuE2ELNS1_3repE0EEENS1_30default_config_static_selectorELNS0_4arch9wavefront6targetE1EEEvT1_ ; -- Begin function _ZN7rocprim17ROCPRIM_400000_NS6detail17trampoline_kernelINS0_14default_configENS1_20scan_config_selectorIN3c107complexIdEEEEZZNS1_9scan_implILNS1_25lookback_scan_determinismE0ELb0ELb0ES3_PKS7_PS7_S7_ZZZN2at6native31launch_logcumsumexp_cuda_kernelERKNSE_10TensorBaseESI_lENKUlvE_clEvENKUlvE1_clEvEUlS7_S7_E_S7_EEDaPvRmT3_T4_T5_mT6_P12ihipStream_tbENKUlT_T0_E_clISt17integral_constantIbLb1EESY_IbLb0EEEEDaSU_SV_EUlSU_E0_NS1_11comp_targetILNS1_3genE8ELNS1_11target_archE1030ELNS1_3gpuE2ELNS1_3repE0EEENS1_30default_config_static_selectorELNS0_4arch9wavefront6targetE1EEEvT1_
	.p2align	8
	.type	_ZN7rocprim17ROCPRIM_400000_NS6detail17trampoline_kernelINS0_14default_configENS1_20scan_config_selectorIN3c107complexIdEEEEZZNS1_9scan_implILNS1_25lookback_scan_determinismE0ELb0ELb0ES3_PKS7_PS7_S7_ZZZN2at6native31launch_logcumsumexp_cuda_kernelERKNSE_10TensorBaseESI_lENKUlvE_clEvENKUlvE1_clEvEUlS7_S7_E_S7_EEDaPvRmT3_T4_T5_mT6_P12ihipStream_tbENKUlT_T0_E_clISt17integral_constantIbLb1EESY_IbLb0EEEEDaSU_SV_EUlSU_E0_NS1_11comp_targetILNS1_3genE8ELNS1_11target_archE1030ELNS1_3gpuE2ELNS1_3repE0EEENS1_30default_config_static_selectorELNS0_4arch9wavefront6targetE1EEEvT1_,@function
_ZN7rocprim17ROCPRIM_400000_NS6detail17trampoline_kernelINS0_14default_configENS1_20scan_config_selectorIN3c107complexIdEEEEZZNS1_9scan_implILNS1_25lookback_scan_determinismE0ELb0ELb0ES3_PKS7_PS7_S7_ZZZN2at6native31launch_logcumsumexp_cuda_kernelERKNSE_10TensorBaseESI_lENKUlvE_clEvENKUlvE1_clEvEUlS7_S7_E_S7_EEDaPvRmT3_T4_T5_mT6_P12ihipStream_tbENKUlT_T0_E_clISt17integral_constantIbLb1EESY_IbLb0EEEEDaSU_SV_EUlSU_E0_NS1_11comp_targetILNS1_3genE8ELNS1_11target_archE1030ELNS1_3gpuE2ELNS1_3repE0EEENS1_30default_config_static_selectorELNS0_4arch9wavefront6targetE1EEEvT1_: ; @_ZN7rocprim17ROCPRIM_400000_NS6detail17trampoline_kernelINS0_14default_configENS1_20scan_config_selectorIN3c107complexIdEEEEZZNS1_9scan_implILNS1_25lookback_scan_determinismE0ELb0ELb0ES3_PKS7_PS7_S7_ZZZN2at6native31launch_logcumsumexp_cuda_kernelERKNSE_10TensorBaseESI_lENKUlvE_clEvENKUlvE1_clEvEUlS7_S7_E_S7_EEDaPvRmT3_T4_T5_mT6_P12ihipStream_tbENKUlT_T0_E_clISt17integral_constantIbLb1EESY_IbLb0EEEEDaSU_SV_EUlSU_E0_NS1_11comp_targetILNS1_3genE8ELNS1_11target_archE1030ELNS1_3gpuE2ELNS1_3repE0EEENS1_30default_config_static_selectorELNS0_4arch9wavefront6targetE1EEEvT1_
; %bb.0:
	.section	.rodata,"a",@progbits
	.p2align	6, 0x0
	.amdhsa_kernel _ZN7rocprim17ROCPRIM_400000_NS6detail17trampoline_kernelINS0_14default_configENS1_20scan_config_selectorIN3c107complexIdEEEEZZNS1_9scan_implILNS1_25lookback_scan_determinismE0ELb0ELb0ES3_PKS7_PS7_S7_ZZZN2at6native31launch_logcumsumexp_cuda_kernelERKNSE_10TensorBaseESI_lENKUlvE_clEvENKUlvE1_clEvEUlS7_S7_E_S7_EEDaPvRmT3_T4_T5_mT6_P12ihipStream_tbENKUlT_T0_E_clISt17integral_constantIbLb1EESY_IbLb0EEEEDaSU_SV_EUlSU_E0_NS1_11comp_targetILNS1_3genE8ELNS1_11target_archE1030ELNS1_3gpuE2ELNS1_3repE0EEENS1_30default_config_static_selectorELNS0_4arch9wavefront6targetE1EEEvT1_
		.amdhsa_group_segment_fixed_size 0
		.amdhsa_private_segment_fixed_size 0
		.amdhsa_kernarg_size 48
		.amdhsa_user_sgpr_count 2
		.amdhsa_user_sgpr_dispatch_ptr 0
		.amdhsa_user_sgpr_queue_ptr 0
		.amdhsa_user_sgpr_kernarg_segment_ptr 1
		.amdhsa_user_sgpr_dispatch_id 0
		.amdhsa_user_sgpr_kernarg_preload_length 0
		.amdhsa_user_sgpr_kernarg_preload_offset 0
		.amdhsa_user_sgpr_private_segment_size 0
		.amdhsa_uses_dynamic_stack 0
		.amdhsa_enable_private_segment 0
		.amdhsa_system_sgpr_workgroup_id_x 1
		.amdhsa_system_sgpr_workgroup_id_y 0
		.amdhsa_system_sgpr_workgroup_id_z 0
		.amdhsa_system_sgpr_workgroup_info 0
		.amdhsa_system_vgpr_workitem_id 0
		.amdhsa_next_free_vgpr 1
		.amdhsa_next_free_sgpr 0
		.amdhsa_accum_offset 4
		.amdhsa_reserve_vcc 0
		.amdhsa_float_round_mode_32 0
		.amdhsa_float_round_mode_16_64 0
		.amdhsa_float_denorm_mode_32 3
		.amdhsa_float_denorm_mode_16_64 3
		.amdhsa_dx10_clamp 1
		.amdhsa_ieee_mode 1
		.amdhsa_fp16_overflow 0
		.amdhsa_tg_split 0
		.amdhsa_exception_fp_ieee_invalid_op 0
		.amdhsa_exception_fp_denorm_src 0
		.amdhsa_exception_fp_ieee_div_zero 0
		.amdhsa_exception_fp_ieee_overflow 0
		.amdhsa_exception_fp_ieee_underflow 0
		.amdhsa_exception_fp_ieee_inexact 0
		.amdhsa_exception_int_div_zero 0
	.end_amdhsa_kernel
	.section	.text._ZN7rocprim17ROCPRIM_400000_NS6detail17trampoline_kernelINS0_14default_configENS1_20scan_config_selectorIN3c107complexIdEEEEZZNS1_9scan_implILNS1_25lookback_scan_determinismE0ELb0ELb0ES3_PKS7_PS7_S7_ZZZN2at6native31launch_logcumsumexp_cuda_kernelERKNSE_10TensorBaseESI_lENKUlvE_clEvENKUlvE1_clEvEUlS7_S7_E_S7_EEDaPvRmT3_T4_T5_mT6_P12ihipStream_tbENKUlT_T0_E_clISt17integral_constantIbLb1EESY_IbLb0EEEEDaSU_SV_EUlSU_E0_NS1_11comp_targetILNS1_3genE8ELNS1_11target_archE1030ELNS1_3gpuE2ELNS1_3repE0EEENS1_30default_config_static_selectorELNS0_4arch9wavefront6targetE1EEEvT1_,"axG",@progbits,_ZN7rocprim17ROCPRIM_400000_NS6detail17trampoline_kernelINS0_14default_configENS1_20scan_config_selectorIN3c107complexIdEEEEZZNS1_9scan_implILNS1_25lookback_scan_determinismE0ELb0ELb0ES3_PKS7_PS7_S7_ZZZN2at6native31launch_logcumsumexp_cuda_kernelERKNSE_10TensorBaseESI_lENKUlvE_clEvENKUlvE1_clEvEUlS7_S7_E_S7_EEDaPvRmT3_T4_T5_mT6_P12ihipStream_tbENKUlT_T0_E_clISt17integral_constantIbLb1EESY_IbLb0EEEEDaSU_SV_EUlSU_E0_NS1_11comp_targetILNS1_3genE8ELNS1_11target_archE1030ELNS1_3gpuE2ELNS1_3repE0EEENS1_30default_config_static_selectorELNS0_4arch9wavefront6targetE1EEEvT1_,comdat
.Lfunc_end247:
	.size	_ZN7rocprim17ROCPRIM_400000_NS6detail17trampoline_kernelINS0_14default_configENS1_20scan_config_selectorIN3c107complexIdEEEEZZNS1_9scan_implILNS1_25lookback_scan_determinismE0ELb0ELb0ES3_PKS7_PS7_S7_ZZZN2at6native31launch_logcumsumexp_cuda_kernelERKNSE_10TensorBaseESI_lENKUlvE_clEvENKUlvE1_clEvEUlS7_S7_E_S7_EEDaPvRmT3_T4_T5_mT6_P12ihipStream_tbENKUlT_T0_E_clISt17integral_constantIbLb1EESY_IbLb0EEEEDaSU_SV_EUlSU_E0_NS1_11comp_targetILNS1_3genE8ELNS1_11target_archE1030ELNS1_3gpuE2ELNS1_3repE0EEENS1_30default_config_static_selectorELNS0_4arch9wavefront6targetE1EEEvT1_, .Lfunc_end247-_ZN7rocprim17ROCPRIM_400000_NS6detail17trampoline_kernelINS0_14default_configENS1_20scan_config_selectorIN3c107complexIdEEEEZZNS1_9scan_implILNS1_25lookback_scan_determinismE0ELb0ELb0ES3_PKS7_PS7_S7_ZZZN2at6native31launch_logcumsumexp_cuda_kernelERKNSE_10TensorBaseESI_lENKUlvE_clEvENKUlvE1_clEvEUlS7_S7_E_S7_EEDaPvRmT3_T4_T5_mT6_P12ihipStream_tbENKUlT_T0_E_clISt17integral_constantIbLb1EESY_IbLb0EEEEDaSU_SV_EUlSU_E0_NS1_11comp_targetILNS1_3genE8ELNS1_11target_archE1030ELNS1_3gpuE2ELNS1_3repE0EEENS1_30default_config_static_selectorELNS0_4arch9wavefront6targetE1EEEvT1_
                                        ; -- End function
	.section	.AMDGPU.csdata,"",@progbits
; Kernel info:
; codeLenInByte = 0
; NumSgprs: 6
; NumVgprs: 0
; NumAgprs: 0
; TotalNumVgprs: 0
; ScratchSize: 0
; MemoryBound: 0
; FloatMode: 240
; IeeeMode: 1
; LDSByteSize: 0 bytes/workgroup (compile time only)
; SGPRBlocks: 0
; VGPRBlocks: 0
; NumSGPRsForWavesPerEU: 6
; NumVGPRsForWavesPerEU: 1
; AccumOffset: 4
; Occupancy: 8
; WaveLimiterHint : 0
; COMPUTE_PGM_RSRC2:SCRATCH_EN: 0
; COMPUTE_PGM_RSRC2:USER_SGPR: 2
; COMPUTE_PGM_RSRC2:TRAP_HANDLER: 0
; COMPUTE_PGM_RSRC2:TGID_X_EN: 1
; COMPUTE_PGM_RSRC2:TGID_Y_EN: 0
; COMPUTE_PGM_RSRC2:TGID_Z_EN: 0
; COMPUTE_PGM_RSRC2:TIDIG_COMP_CNT: 0
; COMPUTE_PGM_RSRC3_GFX90A:ACCUM_OFFSET: 0
; COMPUTE_PGM_RSRC3_GFX90A:TG_SPLIT: 0
	.section	.text._ZN7rocprim17ROCPRIM_400000_NS6detail31init_lookback_scan_state_kernelINS1_19lookback_scan_stateIN3c107complexIdEELb0ELb0EEENS1_16block_id_wrapperIjLb1EEEEEvT_jT0_jPNSA_10value_typeE,"axG",@progbits,_ZN7rocprim17ROCPRIM_400000_NS6detail31init_lookback_scan_state_kernelINS1_19lookback_scan_stateIN3c107complexIdEELb0ELb0EEENS1_16block_id_wrapperIjLb1EEEEEvT_jT0_jPNSA_10value_typeE,comdat
	.protected	_ZN7rocprim17ROCPRIM_400000_NS6detail31init_lookback_scan_state_kernelINS1_19lookback_scan_stateIN3c107complexIdEELb0ELb0EEENS1_16block_id_wrapperIjLb1EEEEEvT_jT0_jPNSA_10value_typeE ; -- Begin function _ZN7rocprim17ROCPRIM_400000_NS6detail31init_lookback_scan_state_kernelINS1_19lookback_scan_stateIN3c107complexIdEELb0ELb0EEENS1_16block_id_wrapperIjLb1EEEEEvT_jT0_jPNSA_10value_typeE
	.globl	_ZN7rocprim17ROCPRIM_400000_NS6detail31init_lookback_scan_state_kernelINS1_19lookback_scan_stateIN3c107complexIdEELb0ELb0EEENS1_16block_id_wrapperIjLb1EEEEEvT_jT0_jPNSA_10value_typeE
	.p2align	8
	.type	_ZN7rocprim17ROCPRIM_400000_NS6detail31init_lookback_scan_state_kernelINS1_19lookback_scan_stateIN3c107complexIdEELb0ELb0EEENS1_16block_id_wrapperIjLb1EEEEEvT_jT0_jPNSA_10value_typeE,@function
_ZN7rocprim17ROCPRIM_400000_NS6detail31init_lookback_scan_state_kernelINS1_19lookback_scan_stateIN3c107complexIdEELb0ELb0EEENS1_16block_id_wrapperIjLb1EEEEEvT_jT0_jPNSA_10value_typeE: ; @_ZN7rocprim17ROCPRIM_400000_NS6detail31init_lookback_scan_state_kernelINS1_19lookback_scan_stateIN3c107complexIdEELb0ELb0EEENS1_16block_id_wrapperIjLb1EEEEEvT_jT0_jPNSA_10value_typeE
; %bb.0:
	s_load_dword s3, s[0:1], 0x44
	s_load_dwordx2 s[10:11], s[0:1], 0x30
	s_load_dwordx2 s[8:9], s[0:1], 0x10
	s_load_dword s16, s[0:1], 0x18
	s_waitcnt lgkmcnt(0)
	s_and_b32 s3, s3, 0xffff
	s_mul_i32 s2, s2, s3
	s_cmp_eq_u64 s[10:11], 0
	v_add_u32_e32 v0, s2, v0
	s_cbranch_scc1 .LBB248_7
; %bb.1:
	s_load_dword s4, s[0:1], 0x28
	s_mov_b32 s13, 0
	s_waitcnt lgkmcnt(0)
	s_cmp_lt_u32 s4, s16
	s_cselect_b32 s2, s4, 0
	v_cmp_eq_u32_e32 vcc, s2, v0
	s_and_saveexec_b64 s[2:3], vcc
	s_cbranch_execz .LBB248_6
; %bb.2:
	s_add_i32 s12, s4, 64
	v_mov_b32_e32 v1, s12
	global_load_ubyte v1, v1, s[8:9] sc1
	s_load_dwordx4 s[4:7], s[0:1], 0x0
	s_add_u32 s14, s8, s12
	s_addc_u32 s15, s9, 0
	s_waitcnt vmcnt(0)
	v_cmp_ne_u16_e32 vcc, 0, v1
	v_readfirstlane_b32 s17, v1
	s_cbranch_vccnz .LBB248_5
; %bb.3:
	v_mov_b32_e32 v1, 0
.LBB248_4:                              ; =>This Inner Loop Header: Depth=1
	global_load_ubyte v2, v1, s[14:15] sc1
	s_waitcnt vmcnt(0)
	v_cmp_eq_u16_e32 vcc, 0, v2
	v_readfirstlane_b32 s17, v2
	s_cbranch_vccnz .LBB248_4
.LBB248_5:
	s_and_b32 s14, 0xffff, s17
	s_cmp_eq_u32 s14, 1
	s_waitcnt lgkmcnt(0)
	s_cselect_b32 s7, s5, s7
	s_cselect_b32 s6, s4, s6
	s_lshl_b64 s[4:5], s[12:13], 4
	s_add_u32 s4, s6, s4
	s_addc_u32 s5, s7, s5
	v_mov_b32_e32 v1, 0
	s_waitcnt vmcnt(0)
	global_load_dword v2, v1, s[4:5] sc1
	global_load_dword v3, v1, s[4:5] offset:4 sc1
	global_load_dword v4, v1, s[4:5] offset:8 sc1
	;; [unrolled: 1-line block ×3, first 2 shown]
	s_waitcnt vmcnt(0)
	global_store_dwordx4 v1, v[2:5], s[10:11]
.LBB248_6:
	s_or_b64 exec, exec, s[2:3]
.LBB248_7:
	v_cmp_eq_u32_e32 vcc, 0, v0
	s_and_saveexec_b64 s[2:3], vcc
	s_cbranch_execnz .LBB248_11
; %bb.8:
	s_or_b64 exec, exec, s[2:3]
	v_cmp_gt_u32_e32 vcc, s16, v0
	s_and_saveexec_b64 s[0:1], vcc
	s_cbranch_execnz .LBB248_12
.LBB248_9:
	s_or_b64 exec, exec, s[0:1]
	v_cmp_gt_u32_e32 vcc, 64, v0
	s_and_saveexec_b64 s[0:1], vcc
	s_cbranch_execnz .LBB248_13
.LBB248_10:
	s_endpgm
.LBB248_11:
	s_load_dwordx2 s[0:1], s[0:1], 0x20
	v_mov_b32_e32 v1, 0
	s_waitcnt lgkmcnt(0)
	global_store_dword v1, v1, s[0:1]
	s_or_b64 exec, exec, s[2:3]
	v_cmp_gt_u32_e32 vcc, s16, v0
	s_and_saveexec_b64 s[0:1], vcc
	s_cbranch_execz .LBB248_9
.LBB248_12:
	v_add_u32_e32 v1, 64, v0
	v_mov_b32_e32 v2, 0
	global_store_byte v1, v2, s[8:9]
	s_or_b64 exec, exec, s[0:1]
	v_cmp_gt_u32_e32 vcc, 64, v0
	s_and_saveexec_b64 s[0:1], vcc
	s_cbranch_execz .LBB248_10
.LBB248_13:
	v_mov_b32_e32 v1, 0xff
	global_store_byte v0, v1, s[8:9]
	s_endpgm
	.section	.rodata,"a",@progbits
	.p2align	6, 0x0
	.amdhsa_kernel _ZN7rocprim17ROCPRIM_400000_NS6detail31init_lookback_scan_state_kernelINS1_19lookback_scan_stateIN3c107complexIdEELb0ELb0EEENS1_16block_id_wrapperIjLb1EEEEEvT_jT0_jPNSA_10value_typeE
		.amdhsa_group_segment_fixed_size 0
		.amdhsa_private_segment_fixed_size 0
		.amdhsa_kernarg_size 312
		.amdhsa_user_sgpr_count 2
		.amdhsa_user_sgpr_dispatch_ptr 0
		.amdhsa_user_sgpr_queue_ptr 0
		.amdhsa_user_sgpr_kernarg_segment_ptr 1
		.amdhsa_user_sgpr_dispatch_id 0
		.amdhsa_user_sgpr_kernarg_preload_length 0
		.amdhsa_user_sgpr_kernarg_preload_offset 0
		.amdhsa_user_sgpr_private_segment_size 0
		.amdhsa_uses_dynamic_stack 0
		.amdhsa_enable_private_segment 0
		.amdhsa_system_sgpr_workgroup_id_x 1
		.amdhsa_system_sgpr_workgroup_id_y 0
		.amdhsa_system_sgpr_workgroup_id_z 0
		.amdhsa_system_sgpr_workgroup_info 0
		.amdhsa_system_vgpr_workitem_id 0
		.amdhsa_next_free_vgpr 6
		.amdhsa_next_free_sgpr 18
		.amdhsa_accum_offset 8
		.amdhsa_reserve_vcc 1
		.amdhsa_float_round_mode_32 0
		.amdhsa_float_round_mode_16_64 0
		.amdhsa_float_denorm_mode_32 3
		.amdhsa_float_denorm_mode_16_64 3
		.amdhsa_dx10_clamp 1
		.amdhsa_ieee_mode 1
		.amdhsa_fp16_overflow 0
		.amdhsa_tg_split 0
		.amdhsa_exception_fp_ieee_invalid_op 0
		.amdhsa_exception_fp_denorm_src 0
		.amdhsa_exception_fp_ieee_div_zero 0
		.amdhsa_exception_fp_ieee_overflow 0
		.amdhsa_exception_fp_ieee_underflow 0
		.amdhsa_exception_fp_ieee_inexact 0
		.amdhsa_exception_int_div_zero 0
	.end_amdhsa_kernel
	.section	.text._ZN7rocprim17ROCPRIM_400000_NS6detail31init_lookback_scan_state_kernelINS1_19lookback_scan_stateIN3c107complexIdEELb0ELb0EEENS1_16block_id_wrapperIjLb1EEEEEvT_jT0_jPNSA_10value_typeE,"axG",@progbits,_ZN7rocprim17ROCPRIM_400000_NS6detail31init_lookback_scan_state_kernelINS1_19lookback_scan_stateIN3c107complexIdEELb0ELb0EEENS1_16block_id_wrapperIjLb1EEEEEvT_jT0_jPNSA_10value_typeE,comdat
.Lfunc_end248:
	.size	_ZN7rocprim17ROCPRIM_400000_NS6detail31init_lookback_scan_state_kernelINS1_19lookback_scan_stateIN3c107complexIdEELb0ELb0EEENS1_16block_id_wrapperIjLb1EEEEEvT_jT0_jPNSA_10value_typeE, .Lfunc_end248-_ZN7rocprim17ROCPRIM_400000_NS6detail31init_lookback_scan_state_kernelINS1_19lookback_scan_stateIN3c107complexIdEELb0ELb0EEENS1_16block_id_wrapperIjLb1EEEEEvT_jT0_jPNSA_10value_typeE
                                        ; -- End function
	.section	.AMDGPU.csdata,"",@progbits
; Kernel info:
; codeLenInByte = 404
; NumSgprs: 24
; NumVgprs: 6
; NumAgprs: 0
; TotalNumVgprs: 6
; ScratchSize: 0
; MemoryBound: 0
; FloatMode: 240
; IeeeMode: 1
; LDSByteSize: 0 bytes/workgroup (compile time only)
; SGPRBlocks: 2
; VGPRBlocks: 0
; NumSGPRsForWavesPerEU: 24
; NumVGPRsForWavesPerEU: 6
; AccumOffset: 8
; Occupancy: 8
; WaveLimiterHint : 0
; COMPUTE_PGM_RSRC2:SCRATCH_EN: 0
; COMPUTE_PGM_RSRC2:USER_SGPR: 2
; COMPUTE_PGM_RSRC2:TRAP_HANDLER: 0
; COMPUTE_PGM_RSRC2:TGID_X_EN: 1
; COMPUTE_PGM_RSRC2:TGID_Y_EN: 0
; COMPUTE_PGM_RSRC2:TGID_Z_EN: 0
; COMPUTE_PGM_RSRC2:TIDIG_COMP_CNT: 0
; COMPUTE_PGM_RSRC3_GFX90A:ACCUM_OFFSET: 1
; COMPUTE_PGM_RSRC3_GFX90A:TG_SPLIT: 0
	.section	.text._ZN7rocprim17ROCPRIM_400000_NS6detail17trampoline_kernelINS0_14default_configENS1_20scan_config_selectorIN3c107complexIdEEEEZZNS1_9scan_implILNS1_25lookback_scan_determinismE0ELb0ELb0ES3_PKS7_PS7_S7_ZZZN2at6native31launch_logcumsumexp_cuda_kernelERKNSE_10TensorBaseESI_lENKUlvE_clEvENKUlvE1_clEvEUlS7_S7_E_S7_EEDaPvRmT3_T4_T5_mT6_P12ihipStream_tbENKUlT_T0_E_clISt17integral_constantIbLb0EESY_IbLb1EEEEDaSU_SV_EUlSU_E_NS1_11comp_targetILNS1_3genE0ELNS1_11target_archE4294967295ELNS1_3gpuE0ELNS1_3repE0EEENS1_30default_config_static_selectorELNS0_4arch9wavefront6targetE1EEEvT1_,"axG",@progbits,_ZN7rocprim17ROCPRIM_400000_NS6detail17trampoline_kernelINS0_14default_configENS1_20scan_config_selectorIN3c107complexIdEEEEZZNS1_9scan_implILNS1_25lookback_scan_determinismE0ELb0ELb0ES3_PKS7_PS7_S7_ZZZN2at6native31launch_logcumsumexp_cuda_kernelERKNSE_10TensorBaseESI_lENKUlvE_clEvENKUlvE1_clEvEUlS7_S7_E_S7_EEDaPvRmT3_T4_T5_mT6_P12ihipStream_tbENKUlT_T0_E_clISt17integral_constantIbLb0EESY_IbLb1EEEEDaSU_SV_EUlSU_E_NS1_11comp_targetILNS1_3genE0ELNS1_11target_archE4294967295ELNS1_3gpuE0ELNS1_3repE0EEENS1_30default_config_static_selectorELNS0_4arch9wavefront6targetE1EEEvT1_,comdat
	.globl	_ZN7rocprim17ROCPRIM_400000_NS6detail17trampoline_kernelINS0_14default_configENS1_20scan_config_selectorIN3c107complexIdEEEEZZNS1_9scan_implILNS1_25lookback_scan_determinismE0ELb0ELb0ES3_PKS7_PS7_S7_ZZZN2at6native31launch_logcumsumexp_cuda_kernelERKNSE_10TensorBaseESI_lENKUlvE_clEvENKUlvE1_clEvEUlS7_S7_E_S7_EEDaPvRmT3_T4_T5_mT6_P12ihipStream_tbENKUlT_T0_E_clISt17integral_constantIbLb0EESY_IbLb1EEEEDaSU_SV_EUlSU_E_NS1_11comp_targetILNS1_3genE0ELNS1_11target_archE4294967295ELNS1_3gpuE0ELNS1_3repE0EEENS1_30default_config_static_selectorELNS0_4arch9wavefront6targetE1EEEvT1_ ; -- Begin function _ZN7rocprim17ROCPRIM_400000_NS6detail17trampoline_kernelINS0_14default_configENS1_20scan_config_selectorIN3c107complexIdEEEEZZNS1_9scan_implILNS1_25lookback_scan_determinismE0ELb0ELb0ES3_PKS7_PS7_S7_ZZZN2at6native31launch_logcumsumexp_cuda_kernelERKNSE_10TensorBaseESI_lENKUlvE_clEvENKUlvE1_clEvEUlS7_S7_E_S7_EEDaPvRmT3_T4_T5_mT6_P12ihipStream_tbENKUlT_T0_E_clISt17integral_constantIbLb0EESY_IbLb1EEEEDaSU_SV_EUlSU_E_NS1_11comp_targetILNS1_3genE0ELNS1_11target_archE4294967295ELNS1_3gpuE0ELNS1_3repE0EEENS1_30default_config_static_selectorELNS0_4arch9wavefront6targetE1EEEvT1_
	.p2align	8
	.type	_ZN7rocprim17ROCPRIM_400000_NS6detail17trampoline_kernelINS0_14default_configENS1_20scan_config_selectorIN3c107complexIdEEEEZZNS1_9scan_implILNS1_25lookback_scan_determinismE0ELb0ELb0ES3_PKS7_PS7_S7_ZZZN2at6native31launch_logcumsumexp_cuda_kernelERKNSE_10TensorBaseESI_lENKUlvE_clEvENKUlvE1_clEvEUlS7_S7_E_S7_EEDaPvRmT3_T4_T5_mT6_P12ihipStream_tbENKUlT_T0_E_clISt17integral_constantIbLb0EESY_IbLb1EEEEDaSU_SV_EUlSU_E_NS1_11comp_targetILNS1_3genE0ELNS1_11target_archE4294967295ELNS1_3gpuE0ELNS1_3repE0EEENS1_30default_config_static_selectorELNS0_4arch9wavefront6targetE1EEEvT1_,@function
_ZN7rocprim17ROCPRIM_400000_NS6detail17trampoline_kernelINS0_14default_configENS1_20scan_config_selectorIN3c107complexIdEEEEZZNS1_9scan_implILNS1_25lookback_scan_determinismE0ELb0ELb0ES3_PKS7_PS7_S7_ZZZN2at6native31launch_logcumsumexp_cuda_kernelERKNSE_10TensorBaseESI_lENKUlvE_clEvENKUlvE1_clEvEUlS7_S7_E_S7_EEDaPvRmT3_T4_T5_mT6_P12ihipStream_tbENKUlT_T0_E_clISt17integral_constantIbLb0EESY_IbLb1EEEEDaSU_SV_EUlSU_E_NS1_11comp_targetILNS1_3genE0ELNS1_11target_archE4294967295ELNS1_3gpuE0ELNS1_3repE0EEENS1_30default_config_static_selectorELNS0_4arch9wavefront6targetE1EEEvT1_: ; @_ZN7rocprim17ROCPRIM_400000_NS6detail17trampoline_kernelINS0_14default_configENS1_20scan_config_selectorIN3c107complexIdEEEEZZNS1_9scan_implILNS1_25lookback_scan_determinismE0ELb0ELb0ES3_PKS7_PS7_S7_ZZZN2at6native31launch_logcumsumexp_cuda_kernelERKNSE_10TensorBaseESI_lENKUlvE_clEvENKUlvE1_clEvEUlS7_S7_E_S7_EEDaPvRmT3_T4_T5_mT6_P12ihipStream_tbENKUlT_T0_E_clISt17integral_constantIbLb0EESY_IbLb1EEEEDaSU_SV_EUlSU_E_NS1_11comp_targetILNS1_3genE0ELNS1_11target_archE4294967295ELNS1_3gpuE0ELNS1_3repE0EEENS1_30default_config_static_selectorELNS0_4arch9wavefront6targetE1EEEvT1_
; %bb.0:
	.section	.rodata,"a",@progbits
	.p2align	6, 0x0
	.amdhsa_kernel _ZN7rocprim17ROCPRIM_400000_NS6detail17trampoline_kernelINS0_14default_configENS1_20scan_config_selectorIN3c107complexIdEEEEZZNS1_9scan_implILNS1_25lookback_scan_determinismE0ELb0ELb0ES3_PKS7_PS7_S7_ZZZN2at6native31launch_logcumsumexp_cuda_kernelERKNSE_10TensorBaseESI_lENKUlvE_clEvENKUlvE1_clEvEUlS7_S7_E_S7_EEDaPvRmT3_T4_T5_mT6_P12ihipStream_tbENKUlT_T0_E_clISt17integral_constantIbLb0EESY_IbLb1EEEEDaSU_SV_EUlSU_E_NS1_11comp_targetILNS1_3genE0ELNS1_11target_archE4294967295ELNS1_3gpuE0ELNS1_3repE0EEENS1_30default_config_static_selectorELNS0_4arch9wavefront6targetE1EEEvT1_
		.amdhsa_group_segment_fixed_size 0
		.amdhsa_private_segment_fixed_size 0
		.amdhsa_kernarg_size 128
		.amdhsa_user_sgpr_count 2
		.amdhsa_user_sgpr_dispatch_ptr 0
		.amdhsa_user_sgpr_queue_ptr 0
		.amdhsa_user_sgpr_kernarg_segment_ptr 1
		.amdhsa_user_sgpr_dispatch_id 0
		.amdhsa_user_sgpr_kernarg_preload_length 0
		.amdhsa_user_sgpr_kernarg_preload_offset 0
		.amdhsa_user_sgpr_private_segment_size 0
		.amdhsa_uses_dynamic_stack 0
		.amdhsa_enable_private_segment 0
		.amdhsa_system_sgpr_workgroup_id_x 1
		.amdhsa_system_sgpr_workgroup_id_y 0
		.amdhsa_system_sgpr_workgroup_id_z 0
		.amdhsa_system_sgpr_workgroup_info 0
		.amdhsa_system_vgpr_workitem_id 0
		.amdhsa_next_free_vgpr 1
		.amdhsa_next_free_sgpr 0
		.amdhsa_accum_offset 4
		.amdhsa_reserve_vcc 0
		.amdhsa_float_round_mode_32 0
		.amdhsa_float_round_mode_16_64 0
		.amdhsa_float_denorm_mode_32 3
		.amdhsa_float_denorm_mode_16_64 3
		.amdhsa_dx10_clamp 1
		.amdhsa_ieee_mode 1
		.amdhsa_fp16_overflow 0
		.amdhsa_tg_split 0
		.amdhsa_exception_fp_ieee_invalid_op 0
		.amdhsa_exception_fp_denorm_src 0
		.amdhsa_exception_fp_ieee_div_zero 0
		.amdhsa_exception_fp_ieee_overflow 0
		.amdhsa_exception_fp_ieee_underflow 0
		.amdhsa_exception_fp_ieee_inexact 0
		.amdhsa_exception_int_div_zero 0
	.end_amdhsa_kernel
	.section	.text._ZN7rocprim17ROCPRIM_400000_NS6detail17trampoline_kernelINS0_14default_configENS1_20scan_config_selectorIN3c107complexIdEEEEZZNS1_9scan_implILNS1_25lookback_scan_determinismE0ELb0ELb0ES3_PKS7_PS7_S7_ZZZN2at6native31launch_logcumsumexp_cuda_kernelERKNSE_10TensorBaseESI_lENKUlvE_clEvENKUlvE1_clEvEUlS7_S7_E_S7_EEDaPvRmT3_T4_T5_mT6_P12ihipStream_tbENKUlT_T0_E_clISt17integral_constantIbLb0EESY_IbLb1EEEEDaSU_SV_EUlSU_E_NS1_11comp_targetILNS1_3genE0ELNS1_11target_archE4294967295ELNS1_3gpuE0ELNS1_3repE0EEENS1_30default_config_static_selectorELNS0_4arch9wavefront6targetE1EEEvT1_,"axG",@progbits,_ZN7rocprim17ROCPRIM_400000_NS6detail17trampoline_kernelINS0_14default_configENS1_20scan_config_selectorIN3c107complexIdEEEEZZNS1_9scan_implILNS1_25lookback_scan_determinismE0ELb0ELb0ES3_PKS7_PS7_S7_ZZZN2at6native31launch_logcumsumexp_cuda_kernelERKNSE_10TensorBaseESI_lENKUlvE_clEvENKUlvE1_clEvEUlS7_S7_E_S7_EEDaPvRmT3_T4_T5_mT6_P12ihipStream_tbENKUlT_T0_E_clISt17integral_constantIbLb0EESY_IbLb1EEEEDaSU_SV_EUlSU_E_NS1_11comp_targetILNS1_3genE0ELNS1_11target_archE4294967295ELNS1_3gpuE0ELNS1_3repE0EEENS1_30default_config_static_selectorELNS0_4arch9wavefront6targetE1EEEvT1_,comdat
.Lfunc_end249:
	.size	_ZN7rocprim17ROCPRIM_400000_NS6detail17trampoline_kernelINS0_14default_configENS1_20scan_config_selectorIN3c107complexIdEEEEZZNS1_9scan_implILNS1_25lookback_scan_determinismE0ELb0ELb0ES3_PKS7_PS7_S7_ZZZN2at6native31launch_logcumsumexp_cuda_kernelERKNSE_10TensorBaseESI_lENKUlvE_clEvENKUlvE1_clEvEUlS7_S7_E_S7_EEDaPvRmT3_T4_T5_mT6_P12ihipStream_tbENKUlT_T0_E_clISt17integral_constantIbLb0EESY_IbLb1EEEEDaSU_SV_EUlSU_E_NS1_11comp_targetILNS1_3genE0ELNS1_11target_archE4294967295ELNS1_3gpuE0ELNS1_3repE0EEENS1_30default_config_static_selectorELNS0_4arch9wavefront6targetE1EEEvT1_, .Lfunc_end249-_ZN7rocprim17ROCPRIM_400000_NS6detail17trampoline_kernelINS0_14default_configENS1_20scan_config_selectorIN3c107complexIdEEEEZZNS1_9scan_implILNS1_25lookback_scan_determinismE0ELb0ELb0ES3_PKS7_PS7_S7_ZZZN2at6native31launch_logcumsumexp_cuda_kernelERKNSE_10TensorBaseESI_lENKUlvE_clEvENKUlvE1_clEvEUlS7_S7_E_S7_EEDaPvRmT3_T4_T5_mT6_P12ihipStream_tbENKUlT_T0_E_clISt17integral_constantIbLb0EESY_IbLb1EEEEDaSU_SV_EUlSU_E_NS1_11comp_targetILNS1_3genE0ELNS1_11target_archE4294967295ELNS1_3gpuE0ELNS1_3repE0EEENS1_30default_config_static_selectorELNS0_4arch9wavefront6targetE1EEEvT1_
                                        ; -- End function
	.section	.AMDGPU.csdata,"",@progbits
; Kernel info:
; codeLenInByte = 0
; NumSgprs: 6
; NumVgprs: 0
; NumAgprs: 0
; TotalNumVgprs: 0
; ScratchSize: 0
; MemoryBound: 0
; FloatMode: 240
; IeeeMode: 1
; LDSByteSize: 0 bytes/workgroup (compile time only)
; SGPRBlocks: 0
; VGPRBlocks: 0
; NumSGPRsForWavesPerEU: 6
; NumVGPRsForWavesPerEU: 1
; AccumOffset: 4
; Occupancy: 8
; WaveLimiterHint : 0
; COMPUTE_PGM_RSRC2:SCRATCH_EN: 0
; COMPUTE_PGM_RSRC2:USER_SGPR: 2
; COMPUTE_PGM_RSRC2:TRAP_HANDLER: 0
; COMPUTE_PGM_RSRC2:TGID_X_EN: 1
; COMPUTE_PGM_RSRC2:TGID_Y_EN: 0
; COMPUTE_PGM_RSRC2:TGID_Z_EN: 0
; COMPUTE_PGM_RSRC2:TIDIG_COMP_CNT: 0
; COMPUTE_PGM_RSRC3_GFX90A:ACCUM_OFFSET: 0
; COMPUTE_PGM_RSRC3_GFX90A:TG_SPLIT: 0
	.section	.text._ZN7rocprim17ROCPRIM_400000_NS6detail17trampoline_kernelINS0_14default_configENS1_20scan_config_selectorIN3c107complexIdEEEEZZNS1_9scan_implILNS1_25lookback_scan_determinismE0ELb0ELb0ES3_PKS7_PS7_S7_ZZZN2at6native31launch_logcumsumexp_cuda_kernelERKNSE_10TensorBaseESI_lENKUlvE_clEvENKUlvE1_clEvEUlS7_S7_E_S7_EEDaPvRmT3_T4_T5_mT6_P12ihipStream_tbENKUlT_T0_E_clISt17integral_constantIbLb0EESY_IbLb1EEEEDaSU_SV_EUlSU_E_NS1_11comp_targetILNS1_3genE5ELNS1_11target_archE942ELNS1_3gpuE9ELNS1_3repE0EEENS1_30default_config_static_selectorELNS0_4arch9wavefront6targetE1EEEvT1_,"axG",@progbits,_ZN7rocprim17ROCPRIM_400000_NS6detail17trampoline_kernelINS0_14default_configENS1_20scan_config_selectorIN3c107complexIdEEEEZZNS1_9scan_implILNS1_25lookback_scan_determinismE0ELb0ELb0ES3_PKS7_PS7_S7_ZZZN2at6native31launch_logcumsumexp_cuda_kernelERKNSE_10TensorBaseESI_lENKUlvE_clEvENKUlvE1_clEvEUlS7_S7_E_S7_EEDaPvRmT3_T4_T5_mT6_P12ihipStream_tbENKUlT_T0_E_clISt17integral_constantIbLb0EESY_IbLb1EEEEDaSU_SV_EUlSU_E_NS1_11comp_targetILNS1_3genE5ELNS1_11target_archE942ELNS1_3gpuE9ELNS1_3repE0EEENS1_30default_config_static_selectorELNS0_4arch9wavefront6targetE1EEEvT1_,comdat
	.globl	_ZN7rocprim17ROCPRIM_400000_NS6detail17trampoline_kernelINS0_14default_configENS1_20scan_config_selectorIN3c107complexIdEEEEZZNS1_9scan_implILNS1_25lookback_scan_determinismE0ELb0ELb0ES3_PKS7_PS7_S7_ZZZN2at6native31launch_logcumsumexp_cuda_kernelERKNSE_10TensorBaseESI_lENKUlvE_clEvENKUlvE1_clEvEUlS7_S7_E_S7_EEDaPvRmT3_T4_T5_mT6_P12ihipStream_tbENKUlT_T0_E_clISt17integral_constantIbLb0EESY_IbLb1EEEEDaSU_SV_EUlSU_E_NS1_11comp_targetILNS1_3genE5ELNS1_11target_archE942ELNS1_3gpuE9ELNS1_3repE0EEENS1_30default_config_static_selectorELNS0_4arch9wavefront6targetE1EEEvT1_ ; -- Begin function _ZN7rocprim17ROCPRIM_400000_NS6detail17trampoline_kernelINS0_14default_configENS1_20scan_config_selectorIN3c107complexIdEEEEZZNS1_9scan_implILNS1_25lookback_scan_determinismE0ELb0ELb0ES3_PKS7_PS7_S7_ZZZN2at6native31launch_logcumsumexp_cuda_kernelERKNSE_10TensorBaseESI_lENKUlvE_clEvENKUlvE1_clEvEUlS7_S7_E_S7_EEDaPvRmT3_T4_T5_mT6_P12ihipStream_tbENKUlT_T0_E_clISt17integral_constantIbLb0EESY_IbLb1EEEEDaSU_SV_EUlSU_E_NS1_11comp_targetILNS1_3genE5ELNS1_11target_archE942ELNS1_3gpuE9ELNS1_3repE0EEENS1_30default_config_static_selectorELNS0_4arch9wavefront6targetE1EEEvT1_
	.p2align	8
	.type	_ZN7rocprim17ROCPRIM_400000_NS6detail17trampoline_kernelINS0_14default_configENS1_20scan_config_selectorIN3c107complexIdEEEEZZNS1_9scan_implILNS1_25lookback_scan_determinismE0ELb0ELb0ES3_PKS7_PS7_S7_ZZZN2at6native31launch_logcumsumexp_cuda_kernelERKNSE_10TensorBaseESI_lENKUlvE_clEvENKUlvE1_clEvEUlS7_S7_E_S7_EEDaPvRmT3_T4_T5_mT6_P12ihipStream_tbENKUlT_T0_E_clISt17integral_constantIbLb0EESY_IbLb1EEEEDaSU_SV_EUlSU_E_NS1_11comp_targetILNS1_3genE5ELNS1_11target_archE942ELNS1_3gpuE9ELNS1_3repE0EEENS1_30default_config_static_selectorELNS0_4arch9wavefront6targetE1EEEvT1_,@function
_ZN7rocprim17ROCPRIM_400000_NS6detail17trampoline_kernelINS0_14default_configENS1_20scan_config_selectorIN3c107complexIdEEEEZZNS1_9scan_implILNS1_25lookback_scan_determinismE0ELb0ELb0ES3_PKS7_PS7_S7_ZZZN2at6native31launch_logcumsumexp_cuda_kernelERKNSE_10TensorBaseESI_lENKUlvE_clEvENKUlvE1_clEvEUlS7_S7_E_S7_EEDaPvRmT3_T4_T5_mT6_P12ihipStream_tbENKUlT_T0_E_clISt17integral_constantIbLb0EESY_IbLb1EEEEDaSU_SV_EUlSU_E_NS1_11comp_targetILNS1_3genE5ELNS1_11target_archE942ELNS1_3gpuE9ELNS1_3repE0EEENS1_30default_config_static_selectorELNS0_4arch9wavefront6targetE1EEEvT1_: ; @_ZN7rocprim17ROCPRIM_400000_NS6detail17trampoline_kernelINS0_14default_configENS1_20scan_config_selectorIN3c107complexIdEEEEZZNS1_9scan_implILNS1_25lookback_scan_determinismE0ELb0ELb0ES3_PKS7_PS7_S7_ZZZN2at6native31launch_logcumsumexp_cuda_kernelERKNSE_10TensorBaseESI_lENKUlvE_clEvENKUlvE1_clEvEUlS7_S7_E_S7_EEDaPvRmT3_T4_T5_mT6_P12ihipStream_tbENKUlT_T0_E_clISt17integral_constantIbLb0EESY_IbLb1EEEEDaSU_SV_EUlSU_E_NS1_11comp_targetILNS1_3genE5ELNS1_11target_archE942ELNS1_3gpuE9ELNS1_3repE0EEENS1_30default_config_static_selectorELNS0_4arch9wavefront6targetE1EEEvT1_
; %bb.0:
	s_load_dwordx4 s[60:63], s[0:1], 0x38
	s_load_dwordx2 s[64:65], s[0:1], 0x48
	v_mov_b32_e32 v46, v0
	v_cmp_ne_u32_e64 s[34:35], 0, v46
	v_cmp_eq_u32_e64 s[36:37], 0, v46
	s_mov_b32 s32, 0
	s_and_saveexec_b64 s[2:3], s[36:37]
	s_cbranch_execz .LBB250_4
; %bb.1:
	s_mov_b64 s[6:7], exec
	v_mbcnt_lo_u32_b32 v0, s6, 0
	v_mbcnt_hi_u32_b32 v0, s7, v0
	v_cmp_eq_u32_e32 vcc, 0, v0
                                        ; implicit-def: $vgpr1
	s_and_saveexec_b64 s[4:5], vcc
	s_cbranch_execz .LBB250_3
; %bb.2:
	s_load_dwordx2 s[8:9], s[0:1], 0x78
	s_bcnt1_i32_b64 s6, s[6:7]
	v_mov_b32_e32 v1, 0
	v_mov_b32_e32 v2, s6
	s_waitcnt lgkmcnt(0)
	global_atomic_add v1, v1, v2, s[8:9] sc0
.LBB250_3:
	s_or_b64 exec, exec, s[4:5]
	s_waitcnt vmcnt(0)
	v_readfirstlane_b32 s4, v1
	v_mov_b32_e32 v1, 0
	s_nop 0
	v_add_u32_e32 v0, s4, v0
	ds_write_b32 v1, v0
.LBB250_4:
	s_or_b64 exec, exec, s[2:3]
	s_load_dwordx8 s[52:59], s[0:1], 0x0
	s_load_dword s2, s[0:1], 0x50
	s_load_dwordx8 s[44:51], s[0:1], 0x58
	v_mov_b32_e32 v165, 0
	s_waitcnt lgkmcnt(0)
	s_barrier
	ds_read_b32 v0, v165
	s_lshl_b64 s[42:43], s[54:55], 4
	s_add_u32 s3, s52, s42
	s_addc_u32 s4, s53, s43
	s_add_i32 s2, s2, -1
	s_mul_i32 s5, s2, 0xe00
	s_sub_u32 s33, s58, s5
	s_waitcnt lgkmcnt(0)
	v_readfirstlane_b32 s67, v0
	s_subb_u32 s66, s59, 0
	s_mov_b32 s1, 0
	s_mul_i32 s0, s67, 0xe00
	s_cmp_lg_u32 s67, s2
	s_cselect_b64 s[52:53], -1, 0
	s_lshl_b64 s[54:55], s[0:1], 4
	s_add_u32 s2, s3, s54
	s_addc_u32 s3, s4, s55
	s_mov_b64 s[0:1], -1
	s_and_b64 vcc, exec, s[52:53]
	v_lshlrev_b32_e32 v164, 4, v46
	s_barrier
	s_cbranch_vccz .LBB250_6
; %bb.5:
	v_lshl_add_u64 v[44:45], s[2:3], 0, v[164:165]
	v_add_co_u32_e32 v12, vcc, 0x1000, v44
	global_load_dwordx4 v[0:3], v164, s[2:3]
	s_nop 0
	v_addc_co_u32_e32 v13, vcc, 0, v45, vcc
	v_add_co_u32_e32 v14, vcc, 0x2000, v44
	s_mov_b64 s[0:1], 0
	s_nop 0
	v_addc_co_u32_e32 v15, vcc, 0, v45, vcc
	v_add_co_u32_e32 v20, vcc, 0x3000, v44
	global_load_dwordx4 v[4:7], v[12:13], off
	global_load_dwordx4 v[8:11], v[14:15], off
	v_addc_co_u32_e32 v21, vcc, 0, v45, vcc
	v_add_co_u32_e32 v22, vcc, 0x4000, v44
	s_nop 1
	v_addc_co_u32_e32 v23, vcc, 0, v45, vcc
	v_add_co_u32_e32 v28, vcc, 0x5000, v44
	global_load_dwordx4 v[12:15], v[20:21], off
	global_load_dwordx4 v[16:19], v[22:23], off
	v_addc_co_u32_e32 v29, vcc, 0, v45, vcc
	v_add_co_u32_e32 v30, vcc, 0x6000, v44
	;; [unrolled: 7-line block ×5, first 2 shown]
	s_nop 1
	v_addc_co_u32_e32 v59, vcc, 0, v45, vcc
	global_load_dwordx4 v[48:51], v[56:57], off
	global_load_dwordx4 v[52:55], v[58:59], off
	v_add_co_u32_e32 v44, vcc, 0xd000, v44
	s_nop 1
	v_addc_co_u32_e32 v45, vcc, 0, v45, vcc
	global_load_dwordx4 v[56:59], v[44:45], off
	s_waitcnt vmcnt(13)
	ds_write_b128 v164, v[0:3]
	s_waitcnt vmcnt(12)
	ds_write_b128 v164, v[4:7] offset:4096
	s_waitcnt vmcnt(11)
	ds_write_b128 v164, v[8:11] offset:8192
	;; [unrolled: 2-line block ×13, first 2 shown]
	s_waitcnt lgkmcnt(0)
	s_barrier
.LBB250_6:
	s_andn2_b64 vcc, exec, s[0:1]
	v_cmp_gt_u32_e64 s[0:1], s33, v46
	s_cbranch_vccnz .LBB250_36
; %bb.7:
	v_mov_b32_e32 v0, 0
	global_load_dwordx4 v[0:3], v0, s[2:3]
	s_waitcnt vmcnt(0)
	v_mov_b64_e32 v[6:7], v[2:3]
	v_mov_b64_e32 v[4:5], v[0:1]
	s_and_saveexec_b64 s[4:5], s[0:1]
	s_cbranch_execz .LBB250_9
; %bb.8:
	global_load_dwordx4 v[4:7], v164, s[2:3]
.LBB250_9:
	s_or_b64 exec, exec, s[4:5]
	v_or_b32_e32 v12, 0x100, v46
	v_cmp_gt_u32_e32 vcc, s33, v12
	v_mov_b64_e32 v[10:11], v[2:3]
	v_mov_b64_e32 v[8:9], v[0:1]
	s_and_saveexec_b64 s[0:1], vcc
	s_cbranch_execz .LBB250_11
; %bb.10:
	v_lshlrev_b32_e32 v8, 4, v12
	global_load_dwordx4 v[8:11], v8, s[2:3]
.LBB250_11:
	s_or_b64 exec, exec, s[0:1]
	v_or_b32_e32 v16, 0x200, v46
	v_cmp_gt_u32_e32 vcc, s33, v16
	v_mov_b64_e32 v[14:15], v[2:3]
	v_mov_b64_e32 v[12:13], v[0:1]
	s_and_saveexec_b64 s[0:1], vcc
	s_cbranch_execz .LBB250_13
; %bb.12:
	v_lshlrev_b32_e32 v12, 4, v16
	global_load_dwordx4 v[12:15], v12, s[2:3]
.LBB250_13:
	;; [unrolled: 11-line block ×12, first 2 shown]
	s_or_b64 exec, exec, s[0:1]
	v_or_b32_e32 v44, 0xd00, v46
	v_cmp_gt_u32_e32 vcc, s33, v44
	s_and_saveexec_b64 s[0:1], vcc
	s_cbranch_execz .LBB250_35
; %bb.34:
	v_lshlrev_b32_e32 v0, 4, v44
	global_load_dwordx4 v[0:3], v0, s[2:3]
.LBB250_35:
	s_or_b64 exec, exec, s[0:1]
	s_waitcnt vmcnt(0)
	ds_write_b128 v164, v[4:7]
	ds_write_b128 v164, v[8:11] offset:4096
	ds_write_b128 v164, v[12:15] offset:8192
	;; [unrolled: 1-line block ×13, first 2 shown]
	s_waitcnt lgkmcnt(0)
	s_barrier
.LBB250_36:
	v_mul_u32_u24_e32 v166, 14, v46
	v_lshlrev_b32_e32 v41, 4, v166
	ds_read_b128 v[42:45], v41
	ds_read_b128 v[100:103], v41 offset:16
	ds_read_b128 v[96:99], v41 offset:32
	;; [unrolled: 1-line block ×13, first 2 shown]
	s_cmp_lg_u32 s67, 0
	s_waitcnt lgkmcnt(0)
	s_barrier
	s_cbranch_scc0 .LBB250_105
; %bb.37:
	v_mov_b32_e32 v0, v42
	v_mov_b32_e32 v1, v43
	;; [unrolled: 1-line block ×8, first 2 shown]
	s_getpc_b64 s[38:39]
	s_add_u32 s38, s38, _ZZZZN2at6native31launch_logcumsumexp_cuda_kernelERKNS_10TensorBaseES3_lENKUlvE_clEvENKUlvE1_clEvENKUlN3c107complexIdEES8_E_clES8_S8_@rel32@lo+4
	s_addc_u32 s39, s39, _ZZZZN2at6native31launch_logcumsumexp_cuda_kernelERKNS_10TensorBaseES3_lENKUlvE_clEvENKUlvE1_clEvENKUlN3c107complexIdEES8_E_clES8_S8_@rel32@hi+12
	s_swappc_b64 s[30:31], s[38:39]
	v_mov_b32_e32 v4, v96
	v_mov_b32_e32 v5, v97
	v_mov_b32_e32 v6, v98
	v_mov_b32_e32 v7, v99
	s_swappc_b64 s[30:31], s[38:39]
	v_mov_b32_e32 v4, v92
	v_mov_b32_e32 v5, v93
	v_mov_b32_e32 v6, v94
	v_mov_b32_e32 v7, v95
	;; [unrolled: 5-line block ×12, first 2 shown]
	s_swappc_b64 s[30:31], s[38:39]
	v_mov_b32_e32 v108, v0
	v_mbcnt_lo_u32_b32 v0, -1, 0
	v_mbcnt_hi_u32_b32 v112, -1, v0
	v_mov_b32_e32 v109, v1
	v_mov_b32_e32 v110, v2
	;; [unrolled: 1-line block ×3, first 2 shown]
	v_and_b32_e32 v47, 15, v112
	v_mov_b32_dpp v0, v108 row_shr:1 row_mask:0xf bank_mask:0xf
	v_mov_b32_dpp v1, v109 row_shr:1 row_mask:0xf bank_mask:0xf
	;; [unrolled: 1-line block ×4, first 2 shown]
	v_cmp_ne_u32_e32 vcc, 0, v47
	s_and_saveexec_b64 s[40:41], vcc
	s_cbranch_execz .LBB250_39
; %bb.38:
	v_mov_b32_e32 v4, v108
	v_mov_b32_e32 v5, v109
	v_mov_b32_e32 v6, v110
	v_mov_b32_e32 v7, v111
	s_swappc_b64 s[30:31], s[38:39]
	v_mov_b32_e32 v108, v0
	v_mov_b32_e32 v109, v1
	;; [unrolled: 1-line block ×4, first 2 shown]
.LBB250_39:
	s_or_b64 exec, exec, s[40:41]
	v_mov_b32_dpp v0, v108 row_shr:2 row_mask:0xf bank_mask:0xf
	v_mov_b32_dpp v1, v109 row_shr:2 row_mask:0xf bank_mask:0xf
	v_mov_b32_dpp v2, v110 row_shr:2 row_mask:0xf bank_mask:0xf
	v_mov_b32_dpp v3, v111 row_shr:2 row_mask:0xf bank_mask:0xf
	v_cmp_lt_u32_e32 vcc, 1, v47
	s_and_saveexec_b64 s[38:39], vcc
	s_cbranch_execz .LBB250_41
; %bb.40:
	v_mov_b32_e32 v4, v108
	v_mov_b32_e32 v5, v109
	v_mov_b32_e32 v6, v110
	v_mov_b32_e32 v7, v111
	s_getpc_b64 s[0:1]
	s_add_u32 s0, s0, _ZZZZN2at6native31launch_logcumsumexp_cuda_kernelERKNS_10TensorBaseES3_lENKUlvE_clEvENKUlvE1_clEvENKUlN3c107complexIdEES8_E_clES8_S8_@rel32@lo+4
	s_addc_u32 s1, s1, _ZZZZN2at6native31launch_logcumsumexp_cuda_kernelERKNS_10TensorBaseES3_lENKUlvE_clEvENKUlvE1_clEvENKUlN3c107complexIdEES8_E_clES8_S8_@rel32@hi+12
	s_swappc_b64 s[30:31], s[0:1]
	v_mov_b32_e32 v108, v0
	v_mov_b32_e32 v109, v1
	v_mov_b32_e32 v110, v2
	v_mov_b32_e32 v111, v3
.LBB250_41:
	s_or_b64 exec, exec, s[38:39]
	v_mov_b32_dpp v0, v108 row_shr:4 row_mask:0xf bank_mask:0xf
	v_mov_b32_dpp v1, v109 row_shr:4 row_mask:0xf bank_mask:0xf
	v_mov_b32_dpp v2, v110 row_shr:4 row_mask:0xf bank_mask:0xf
	v_mov_b32_dpp v3, v111 row_shr:4 row_mask:0xf bank_mask:0xf
	v_cmp_lt_u32_e32 vcc, 3, v47
	s_and_saveexec_b64 s[38:39], vcc
	s_cbranch_execz .LBB250_43
; %bb.42:
	v_mov_b32_e32 v4, v108
	v_mov_b32_e32 v5, v109
	v_mov_b32_e32 v6, v110
	v_mov_b32_e32 v7, v111
	s_getpc_b64 s[0:1]
	s_add_u32 s0, s0, _ZZZZN2at6native31launch_logcumsumexp_cuda_kernelERKNS_10TensorBaseES3_lENKUlvE_clEvENKUlvE1_clEvENKUlN3c107complexIdEES8_E_clES8_S8_@rel32@lo+4
	s_addc_u32 s1, s1, _ZZZZN2at6native31launch_logcumsumexp_cuda_kernelERKNS_10TensorBaseES3_lENKUlvE_clEvENKUlvE1_clEvENKUlN3c107complexIdEES8_E_clES8_S8_@rel32@hi+12
	s_swappc_b64 s[30:31], s[0:1]
	v_mov_b32_e32 v108, v0
	v_mov_b32_e32 v109, v1
	v_mov_b32_e32 v110, v2
	v_mov_b32_e32 v111, v3
.LBB250_43:
	;; [unrolled: 22-line block ×3, first 2 shown]
	s_or_b64 exec, exec, s[38:39]
	v_and_b32_e32 v4, 16, v112
	v_mov_b32_dpp v0, v108 row_bcast:15 row_mask:0xf bank_mask:0xf
	v_mov_b32_dpp v1, v109 row_bcast:15 row_mask:0xf bank_mask:0xf
	;; [unrolled: 1-line block ×4, first 2 shown]
	v_cmp_ne_u32_e32 vcc, 0, v4
	s_and_saveexec_b64 s[38:39], vcc
	s_cbranch_execz .LBB250_47
; %bb.46:
	v_mov_b32_e32 v4, v108
	v_mov_b32_e32 v5, v109
	;; [unrolled: 1-line block ×4, first 2 shown]
	s_getpc_b64 s[0:1]
	s_add_u32 s0, s0, _ZZZZN2at6native31launch_logcumsumexp_cuda_kernelERKNS_10TensorBaseES3_lENKUlvE_clEvENKUlvE1_clEvENKUlN3c107complexIdEES8_E_clES8_S8_@rel32@lo+4
	s_addc_u32 s1, s1, _ZZZZN2at6native31launch_logcumsumexp_cuda_kernelERKNS_10TensorBaseES3_lENKUlvE_clEvENKUlvE1_clEvENKUlN3c107complexIdEES8_E_clES8_S8_@rel32@hi+12
	s_swappc_b64 s[30:31], s[0:1]
	v_mov_b32_e32 v108, v0
	v_mov_b32_e32 v109, v1
	;; [unrolled: 1-line block ×4, first 2 shown]
.LBB250_47:
	s_or_b64 exec, exec, s[38:39]
	v_mov_b32_dpp v0, v108 row_bcast:31 row_mask:0xf bank_mask:0xf
	v_mov_b32_dpp v1, v109 row_bcast:31 row_mask:0xf bank_mask:0xf
	;; [unrolled: 1-line block ×4, first 2 shown]
	v_cmp_lt_u32_e32 vcc, 31, v112
	s_and_saveexec_b64 s[38:39], vcc
	s_cbranch_execz .LBB250_49
; %bb.48:
	v_mov_b32_e32 v4, v108
	v_mov_b32_e32 v5, v109
	;; [unrolled: 1-line block ×4, first 2 shown]
	s_getpc_b64 s[0:1]
	s_add_u32 s0, s0, _ZZZZN2at6native31launch_logcumsumexp_cuda_kernelERKNS_10TensorBaseES3_lENKUlvE_clEvENKUlvE1_clEvENKUlN3c107complexIdEES8_E_clES8_S8_@rel32@lo+4
	s_addc_u32 s1, s1, _ZZZZN2at6native31launch_logcumsumexp_cuda_kernelERKNS_10TensorBaseES3_lENKUlvE_clEvENKUlvE1_clEvENKUlN3c107complexIdEES8_E_clES8_S8_@rel32@hi+12
	s_swappc_b64 s[30:31], s[0:1]
	v_mov_b32_e32 v108, v0
	v_mov_b32_e32 v109, v1
	;; [unrolled: 1-line block ×4, first 2 shown]
.LBB250_49:
	s_or_b64 exec, exec, s[38:39]
	v_or_b32_e32 v0, 63, v46
	v_lshrrev_b32_e32 v47, 6, v46
	v_cmp_eq_u32_e32 vcc, v0, v46
	s_and_saveexec_b64 s[0:1], vcc
	s_cbranch_execz .LBB250_51
; %bb.50:
	v_lshlrev_b32_e32 v0, 4, v47
	ds_write_b128 v0, v[108:111]
.LBB250_51:
	s_or_b64 exec, exec, s[0:1]
	v_cmp_gt_u32_e32 vcc, 4, v46
	s_waitcnt lgkmcnt(0)
	s_barrier
	s_and_saveexec_b64 s[38:39], vcc
	s_cbranch_execz .LBB250_57
; %bb.52:
	ds_read_b128 v[4:7], v164
	v_and_b32_e32 v104, 3, v112
	v_cmp_ne_u32_e32 vcc, 0, v104
	s_waitcnt lgkmcnt(0)
	v_mov_b32_dpp v0, v4 row_shr:1 row_mask:0xf bank_mask:0xf
	v_mov_b32_dpp v1, v5 row_shr:1 row_mask:0xf bank_mask:0xf
	v_mov_b32_dpp v2, v6 row_shr:1 row_mask:0xf bank_mask:0xf
	v_mov_b32_dpp v3, v7 row_shr:1 row_mask:0xf bank_mask:0xf
	s_and_saveexec_b64 s[40:41], vcc
	s_cbranch_execz .LBB250_54
; %bb.53:
	s_getpc_b64 s[0:1]
	s_add_u32 s0, s0, _ZZZZN2at6native31launch_logcumsumexp_cuda_kernelERKNS_10TensorBaseES3_lENKUlvE_clEvENKUlvE1_clEvENKUlN3c107complexIdEES8_E_clES8_S8_@rel32@lo+4
	s_addc_u32 s1, s1, _ZZZZN2at6native31launch_logcumsumexp_cuda_kernelERKNS_10TensorBaseES3_lENKUlvE_clEvENKUlvE1_clEvENKUlN3c107complexIdEES8_E_clES8_S8_@rel32@hi+12
	s_swappc_b64 s[30:31], s[0:1]
	v_mov_b32_e32 v4, v0
	v_mov_b32_e32 v5, v1
	;; [unrolled: 1-line block ×4, first 2 shown]
.LBB250_54:
	s_or_b64 exec, exec, s[40:41]
	v_mov_b32_dpp v0, v4 row_shr:2 row_mask:0xf bank_mask:0xf
	v_mov_b32_dpp v1, v5 row_shr:2 row_mask:0xf bank_mask:0xf
	;; [unrolled: 1-line block ×4, first 2 shown]
	v_cmp_lt_u32_e32 vcc, 1, v104
	s_and_saveexec_b64 s[40:41], vcc
	s_cbranch_execz .LBB250_56
; %bb.55:
	s_getpc_b64 s[0:1]
	s_add_u32 s0, s0, _ZZZZN2at6native31launch_logcumsumexp_cuda_kernelERKNS_10TensorBaseES3_lENKUlvE_clEvENKUlvE1_clEvENKUlN3c107complexIdEES8_E_clES8_S8_@rel32@lo+4
	s_addc_u32 s1, s1, _ZZZZN2at6native31launch_logcumsumexp_cuda_kernelERKNS_10TensorBaseES3_lENKUlvE_clEvENKUlvE1_clEvENKUlN3c107complexIdEES8_E_clES8_S8_@rel32@hi+12
	s_swappc_b64 s[30:31], s[0:1]
	v_mov_b32_e32 v4, v0
	v_mov_b32_e32 v5, v1
	;; [unrolled: 1-line block ×4, first 2 shown]
.LBB250_56:
	s_or_b64 exec, exec, s[40:41]
	ds_write_b128 v164, v[4:7]
.LBB250_57:
	s_or_b64 exec, exec, s[38:39]
	v_mov_b64_e32 v[106:107], 0
	v_cmp_gt_u32_e64 s[40:41], 64, v46
	v_cmp_lt_u32_e32 vcc, 63, v46
	v_mov_b64_e32 v[104:105], v[106:107]
	s_waitcnt lgkmcnt(0)
	s_barrier
	s_and_saveexec_b64 s[38:39], vcc
	s_cbranch_execz .LBB250_59
; %bb.58:
	v_lshl_add_u32 v0, v47, 4, -16
	ds_read_b128 v[104:107], v0
	v_mov_b32_e32 v4, v108
	v_mov_b32_e32 v5, v109
	;; [unrolled: 1-line block ×4, first 2 shown]
	s_waitcnt lgkmcnt(0)
	v_mov_b32_e32 v0, v104
	v_mov_b32_e32 v1, v105
	;; [unrolled: 1-line block ×4, first 2 shown]
	s_getpc_b64 s[0:1]
	s_add_u32 s0, s0, _ZZZZN2at6native31launch_logcumsumexp_cuda_kernelERKNS_10TensorBaseES3_lENKUlvE_clEvENKUlvE1_clEvENKUlN3c107complexIdEES8_E_clES8_S8_@rel32@lo+4
	s_addc_u32 s1, s1, _ZZZZN2at6native31launch_logcumsumexp_cuda_kernelERKNS_10TensorBaseES3_lENKUlvE_clEvENKUlvE1_clEvENKUlN3c107complexIdEES8_E_clES8_S8_@rel32@hi+12
	s_swappc_b64 s[30:31], s[0:1]
	v_mov_b32_e32 v108, v0
	v_mov_b32_e32 v109, v1
	;; [unrolled: 1-line block ×4, first 2 shown]
.LBB250_59:
	s_or_b64 exec, exec, s[38:39]
	v_add_u32_e32 v0, -1, v112
	v_and_b32_e32 v1, 64, v112
	v_cmp_lt_i32_e32 vcc, v0, v1
	v_cmp_eq_u32_e64 s[38:39], 0, v112
	s_nop 0
	v_cndmask_b32_e32 v0, v0, v112, vcc
	v_lshlrev_b32_e32 v0, 2, v0
	ds_bpermute_b32 v47, v0, v108
	ds_bpermute_b32 v120, v0, v109
	;; [unrolled: 1-line block ×4, first 2 shown]
	s_and_saveexec_b64 s[58:59], s[40:41]
	s_cbranch_execz .LBB250_102
; %bb.60:
	v_mov_b32_e32 v1, 0
	ds_read_b128 v[108:111], v1 offset:48
	s_and_saveexec_b64 s[0:1], s[38:39]
	s_cbranch_execz .LBB250_62
; %bb.61:
	s_add_i32 s2, s67, 64
	s_mov_b32 s3, 0
	s_lshl_b64 s[4:5], s[2:3], 4
	s_add_u32 s4, s60, s4
	s_addc_u32 s5, s61, s5
	v_mov_b32_e32 v0, s2
	v_mov_b32_e32 v2, 1
	s_waitcnt lgkmcnt(0)
	global_store_dword v1, v108, s[4:5] sc1
	global_store_dword v1, v109, s[4:5] offset:4 sc1
	global_store_dword v1, v110, s[4:5] offset:8 sc1
	;; [unrolled: 1-line block ×3, first 2 shown]
	s_waitcnt vmcnt(0)
	global_store_byte v0, v2, s[64:65] sc1
.LBB250_62:
	s_or_b64 exec, exec, s[0:1]
	v_xad_u32 v116, v112, -1, s67
	v_add_u32_e32 v0, 64, v116
	global_load_ubyte v123, v0, s[64:65] sc1
	s_waitcnt vmcnt(0)
	v_cmp_eq_u16_e32 vcc, 0, v123
	s_and_saveexec_b64 s[0:1], vcc
	s_cbranch_execz .LBB250_66
; %bb.63:
	v_lshl_add_u64 v[2:3], s[64:65], 0, v[0:1]
	s_mov_b64 s[2:3], 0
.LBB250_64:                             ; =>This Inner Loop Header: Depth=1
	global_load_ubyte v123, v[2:3], off sc1
	s_waitcnt vmcnt(0)
	v_cmp_ne_u16_e32 vcc, 0, v123
	s_or_b64 s[2:3], vcc, s[2:3]
	s_andn2_b64 exec, exec, s[2:3]
	s_cbranch_execnz .LBB250_64
; %bb.65:
	s_or_b64 exec, exec, s[2:3]
.LBB250_66:
	s_or_b64 exec, exec, s[0:1]
	v_mov_b32_e32 v2, s63
	v_mov_b32_e32 v3, s61
	v_cmp_eq_u16_e32 vcc, 1, v123
	v_mov_b32_e32 v4, s60
	s_waitcnt vmcnt(0)
	v_cndmask_b32_e32 v3, v2, v3, vcc
	v_mov_b32_e32 v2, s62
	v_cndmask_b32_e32 v2, v2, v4, vcc
	v_lshl_add_u64 v[0:1], v[0:1], 4, v[2:3]
	s_waitcnt lgkmcnt(0)
	global_load_dword v4, v[0:1], off sc1
	global_load_dword v5, v[0:1], off offset:4 sc1
	global_load_dword v6, v[0:1], off offset:8 sc1
	;; [unrolled: 1-line block ×3, first 2 shown]
	v_cmp_eq_u16_e32 vcc, 2, v123
	v_lshlrev_b64 v[118:119], v112, -1
	v_and_b32_e32 v124, 63, v112
	v_and_b32_e32 v0, vcc_hi, v119
	v_and_b32_e32 v8, vcc_lo, v118
	v_cmp_ne_u32_e32 vcc, 63, v124
	v_or_b32_e32 v0, 0x80000000, v0
	v_ffbl_b32_e32 v9, v0
	v_addc_co_u32_e32 v1, vcc, 0, v112, vcc
	v_lshlrev_b32_e32 v125, 2, v1
	v_add_u32_e32 v9, 32, v9
	v_ffbl_b32_e32 v8, v8
	v_min_u32_e32 v113, v8, v9
	v_cmp_lt_u32_e32 vcc, v124, v113
	s_waitcnt vmcnt(3)
	ds_bpermute_b32 v0, v125, v4
	s_waitcnt vmcnt(2)
	ds_bpermute_b32 v1, v125, v5
	;; [unrolled: 2-line block ×4, first 2 shown]
	s_and_saveexec_b64 s[40:41], vcc
	s_cbranch_execz .LBB250_68
; %bb.67:
	s_getpc_b64 s[0:1]
	s_add_u32 s0, s0, _ZZZZN2at6native31launch_logcumsumexp_cuda_kernelERKNS_10TensorBaseES3_lENKUlvE_clEvENKUlvE1_clEvENKUlN3c107complexIdEES8_E_clES8_S8_@rel32@lo+4
	s_addc_u32 s1, s1, _ZZZZN2at6native31launch_logcumsumexp_cuda_kernelERKNS_10TensorBaseES3_lENKUlvE_clEvENKUlvE1_clEvENKUlN3c107complexIdEES8_E_clES8_S8_@rel32@hi+12
	s_swappc_b64 s[30:31], s[0:1]
	v_mov_b32_e32 v4, v0
	v_mov_b32_e32 v5, v1
	v_mov_b32_e32 v6, v2
	v_mov_b32_e32 v7, v3
.LBB250_68:
	s_or_b64 exec, exec, s[40:41]
	v_cmp_gt_u32_e32 vcc, 62, v124
	v_add_u32_e32 v127, 2, v124
	s_waitcnt lgkmcnt(3)
	v_cndmask_b32_e64 v0, 0, 1, vcc
	v_lshlrev_b32_e32 v0, 1, v0
	v_add_lshl_u32 v126, v0, v112, 2
	ds_bpermute_b32 v0, v126, v4
	s_waitcnt lgkmcnt(3)
	ds_bpermute_b32 v1, v126, v5
	s_waitcnt lgkmcnt(3)
	ds_bpermute_b32 v2, v126, v6
	s_waitcnt lgkmcnt(3)
	ds_bpermute_b32 v3, v126, v7
	v_cmp_le_u32_e32 vcc, v127, v113
	s_and_saveexec_b64 s[40:41], vcc
	s_cbranch_execz .LBB250_70
; %bb.69:
	s_getpc_b64 s[0:1]
	s_add_u32 s0, s0, _ZZZZN2at6native31launch_logcumsumexp_cuda_kernelERKNS_10TensorBaseES3_lENKUlvE_clEvENKUlvE1_clEvENKUlN3c107complexIdEES8_E_clES8_S8_@rel32@lo+4
	s_addc_u32 s1, s1, _ZZZZN2at6native31launch_logcumsumexp_cuda_kernelERKNS_10TensorBaseES3_lENKUlvE_clEvENKUlvE1_clEvENKUlN3c107complexIdEES8_E_clES8_S8_@rel32@hi+12
	s_swappc_b64 s[30:31], s[0:1]
	v_mov_b32_e32 v4, v0
	v_mov_b32_e32 v5, v1
	v_mov_b32_e32 v6, v2
	v_mov_b32_e32 v7, v3
.LBB250_70:
	s_or_b64 exec, exec, s[40:41]
	v_cmp_gt_u32_e32 vcc, 60, v124
	v_add_u32_e32 v129, 4, v124
	s_waitcnt lgkmcnt(3)
	v_cndmask_b32_e64 v0, 0, 1, vcc
	v_lshlrev_b32_e32 v0, 2, v0
	v_add_lshl_u32 v128, v0, v112, 2
	ds_bpermute_b32 v0, v128, v4
	s_waitcnt lgkmcnt(3)
	ds_bpermute_b32 v1, v128, v5
	s_waitcnt lgkmcnt(3)
	ds_bpermute_b32 v2, v128, v6
	s_waitcnt lgkmcnt(3)
	ds_bpermute_b32 v3, v128, v7
	v_cmp_le_u32_e32 vcc, v129, v113
	;; [unrolled: 27-line block ×5, first 2 shown]
	s_and_saveexec_b64 s[40:41], vcc
	s_cbranch_execz .LBB250_78
; %bb.77:
	s_getpc_b64 s[0:1]
	s_add_u32 s0, s0, _ZZZZN2at6native31launch_logcumsumexp_cuda_kernelERKNS_10TensorBaseES3_lENKUlvE_clEvENKUlvE1_clEvENKUlN3c107complexIdEES8_E_clES8_S8_@rel32@lo+4
	s_addc_u32 s1, s1, _ZZZZN2at6native31launch_logcumsumexp_cuda_kernelERKNS_10TensorBaseES3_lENKUlvE_clEvENKUlvE1_clEvENKUlN3c107complexIdEES8_E_clES8_S8_@rel32@hi+12
	s_swappc_b64 s[30:31], s[0:1]
	v_mov_b32_e32 v4, v0
	v_mov_b32_e32 v5, v1
	;; [unrolled: 1-line block ×4, first 2 shown]
.LBB250_78:
	s_or_b64 exec, exec, s[40:41]
	v_mov_b32_e32 v117, 0
	v_mov_b32_e32 v136, 2
	s_branch .LBB250_80
.LBB250_79:                             ;   in Loop: Header=BB250_80 Depth=1
	s_or_b64 exec, exec, s[40:41]
	s_waitcnt lgkmcnt(3)
	v_mov_b32_e32 v0, v4
	s_waitcnt lgkmcnt(2)
	v_mov_b32_e32 v1, v5
	;; [unrolled: 2-line block ×4, first 2 shown]
	v_mov_b32_e32 v4, v112
	v_mov_b32_e32 v5, v113
	;; [unrolled: 1-line block ×4, first 2 shown]
	v_subrev_u32_e32 v116, 64, v116
	s_getpc_b64 s[0:1]
	s_add_u32 s0, s0, _ZZZZN2at6native31launch_logcumsumexp_cuda_kernelERKNS_10TensorBaseES3_lENKUlvE_clEvENKUlvE1_clEvENKUlN3c107complexIdEES8_E_clES8_S8_@rel32@lo+4
	s_addc_u32 s1, s1, _ZZZZN2at6native31launch_logcumsumexp_cuda_kernelERKNS_10TensorBaseES3_lENKUlvE_clEvENKUlvE1_clEvENKUlN3c107complexIdEES8_E_clES8_S8_@rel32@hi+12
	s_swappc_b64 s[30:31], s[0:1]
	v_mov_b32_e32 v4, v0
	v_mov_b32_e32 v5, v1
	;; [unrolled: 1-line block ×4, first 2 shown]
.LBB250_80:                             ; =>This Loop Header: Depth=1
                                        ;     Child Loop BB250_83 Depth 2
	v_cmp_ne_u16_sdwa s[0:1], v123, v136 src0_sel:BYTE_0 src1_sel:DWORD
	v_mov_b64_e32 v[114:115], v[6:7]
	v_mov_b64_e32 v[112:113], v[4:5]
	s_waitcnt lgkmcnt(3)
	v_cndmask_b32_e64 v0, 0, 1, s[0:1]
	;;#ASMSTART
	;;#ASMEND
	s_nop 0
	v_cmp_ne_u32_e32 vcc, 0, v0
	s_cmp_lg_u64 vcc, exec
	s_cbranch_scc1 .LBB250_97
; %bb.81:                               ;   in Loop: Header=BB250_80 Depth=1
	global_load_ubyte v123, v116, s[64:65] sc1
	s_waitcnt vmcnt(0)
	v_cmp_eq_u16_e32 vcc, 0, v123
	s_and_saveexec_b64 s[0:1], vcc
	s_cbranch_execz .LBB250_85
; %bb.82:                               ;   in Loop: Header=BB250_80 Depth=1
	s_waitcnt lgkmcnt(2)
	v_lshl_add_u64 v[0:1], s[64:65], 0, v[116:117]
	s_mov_b64 s[2:3], 0
.LBB250_83:                             ;   Parent Loop BB250_80 Depth=1
                                        ; =>  This Inner Loop Header: Depth=2
	global_load_ubyte v123, v[0:1], off sc1
	s_waitcnt vmcnt(0)
	v_cmp_ne_u16_e32 vcc, 0, v123
	s_or_b64 s[2:3], vcc, s[2:3]
	s_andn2_b64 exec, exec, s[2:3]
	s_cbranch_execnz .LBB250_83
; %bb.84:                               ;   in Loop: Header=BB250_80 Depth=1
	s_or_b64 exec, exec, s[2:3]
.LBB250_85:                             ;   in Loop: Header=BB250_80 Depth=1
	s_or_b64 exec, exec, s[0:1]
	v_mov_b32_e32 v0, s63
	s_waitcnt lgkmcnt(2)
	v_mov_b32_e32 v1, s61
	v_cmp_eq_u16_e32 vcc, 1, v123
	s_waitcnt lgkmcnt(1)
	v_mov_b32_e32 v2, s60
	s_waitcnt vmcnt(0)
	v_cndmask_b32_e32 v1, v0, v1, vcc
	v_mov_b32_e32 v0, s62
	v_cndmask_b32_e32 v0, v0, v2, vcc
	v_lshl_add_u64 v[0:1], v[116:117], 4, v[0:1]
	s_waitcnt lgkmcnt(0)
	global_load_dword v4, v[0:1], off sc1
	global_load_dword v5, v[0:1], off offset:4 sc1
	global_load_dword v6, v[0:1], off offset:8 sc1
	;; [unrolled: 1-line block ×3, first 2 shown]
	v_cmp_eq_u16_e32 vcc, 2, v123
	s_waitcnt vmcnt(2)
	ds_bpermute_b32 v1, v125, v5
	v_and_b32_e32 v0, vcc_hi, v119
	v_or_b32_e32 v0, 0x80000000, v0
	v_ffbl_b32_e32 v9, v0
	ds_bpermute_b32 v0, v125, v4
	s_waitcnt vmcnt(1)
	ds_bpermute_b32 v2, v125, v6
	s_waitcnt vmcnt(0)
	ds_bpermute_b32 v3, v125, v7
	v_and_b32_e32 v8, vcc_lo, v118
	v_add_u32_e32 v9, 32, v9
	v_ffbl_b32_e32 v8, v8
	v_min_u32_e32 v137, v8, v9
	v_cmp_lt_u32_e32 vcc, v124, v137
	s_and_saveexec_b64 s[40:41], vcc
	s_cbranch_execz .LBB250_87
; %bb.86:                               ;   in Loop: Header=BB250_80 Depth=1
	s_getpc_b64 s[0:1]
	s_add_u32 s0, s0, _ZZZZN2at6native31launch_logcumsumexp_cuda_kernelERKNS_10TensorBaseES3_lENKUlvE_clEvENKUlvE1_clEvENKUlN3c107complexIdEES8_E_clES8_S8_@rel32@lo+4
	s_addc_u32 s1, s1, _ZZZZN2at6native31launch_logcumsumexp_cuda_kernelERKNS_10TensorBaseES3_lENKUlvE_clEvENKUlvE1_clEvENKUlN3c107complexIdEES8_E_clES8_S8_@rel32@hi+12
	s_swappc_b64 s[30:31], s[0:1]
	v_mov_b32_e32 v4, v0
	v_mov_b32_e32 v5, v1
	;; [unrolled: 1-line block ×4, first 2 shown]
.LBB250_87:                             ;   in Loop: Header=BB250_80 Depth=1
	s_or_b64 exec, exec, s[40:41]
	s_waitcnt lgkmcnt(2)
	ds_bpermute_b32 v0, v126, v4
	ds_bpermute_b32 v1, v126, v5
	s_waitcnt lgkmcnt(3)
	ds_bpermute_b32 v2, v126, v6
	s_waitcnt lgkmcnt(3)
	ds_bpermute_b32 v3, v126, v7
	v_cmp_le_u32_e32 vcc, v127, v137
	s_and_saveexec_b64 s[40:41], vcc
	s_cbranch_execz .LBB250_89
; %bb.88:                               ;   in Loop: Header=BB250_80 Depth=1
	s_getpc_b64 s[0:1]
	s_add_u32 s0, s0, _ZZZZN2at6native31launch_logcumsumexp_cuda_kernelERKNS_10TensorBaseES3_lENKUlvE_clEvENKUlvE1_clEvENKUlN3c107complexIdEES8_E_clES8_S8_@rel32@lo+4
	s_addc_u32 s1, s1, _ZZZZN2at6native31launch_logcumsumexp_cuda_kernelERKNS_10TensorBaseES3_lENKUlvE_clEvENKUlvE1_clEvENKUlN3c107complexIdEES8_E_clES8_S8_@rel32@hi+12
	s_swappc_b64 s[30:31], s[0:1]
	v_mov_b32_e32 v4, v0
	v_mov_b32_e32 v5, v1
	v_mov_b32_e32 v6, v2
	v_mov_b32_e32 v7, v3
.LBB250_89:                             ;   in Loop: Header=BB250_80 Depth=1
	s_or_b64 exec, exec, s[40:41]
	s_waitcnt lgkmcnt(3)
	ds_bpermute_b32 v0, v128, v4
	s_waitcnt lgkmcnt(3)
	ds_bpermute_b32 v1, v128, v5
	s_waitcnt lgkmcnt(3)
	ds_bpermute_b32 v2, v128, v6
	s_waitcnt lgkmcnt(3)
	ds_bpermute_b32 v3, v128, v7
	v_cmp_le_u32_e32 vcc, v129, v137
	s_and_saveexec_b64 s[40:41], vcc
	s_cbranch_execz .LBB250_91
; %bb.90:                               ;   in Loop: Header=BB250_80 Depth=1
	s_getpc_b64 s[0:1]
	s_add_u32 s0, s0, _ZZZZN2at6native31launch_logcumsumexp_cuda_kernelERKNS_10TensorBaseES3_lENKUlvE_clEvENKUlvE1_clEvENKUlN3c107complexIdEES8_E_clES8_S8_@rel32@lo+4
	s_addc_u32 s1, s1, _ZZZZN2at6native31launch_logcumsumexp_cuda_kernelERKNS_10TensorBaseES3_lENKUlvE_clEvENKUlvE1_clEvENKUlN3c107complexIdEES8_E_clES8_S8_@rel32@hi+12
	s_swappc_b64 s[30:31], s[0:1]
	v_mov_b32_e32 v4, v0
	v_mov_b32_e32 v5, v1
	v_mov_b32_e32 v6, v2
	v_mov_b32_e32 v7, v3
.LBB250_91:                             ;   in Loop: Header=BB250_80 Depth=1
	s_or_b64 exec, exec, s[40:41]
	s_waitcnt lgkmcnt(3)
	ds_bpermute_b32 v0, v130, v4
	s_waitcnt lgkmcnt(3)
	;; [unrolled: 22-line block ×4, first 2 shown]
	ds_bpermute_b32 v1, v134, v5
	s_waitcnt lgkmcnt(3)
	ds_bpermute_b32 v2, v134, v6
	s_waitcnt lgkmcnt(3)
	ds_bpermute_b32 v3, v134, v7
	v_cmp_le_u32_e32 vcc, v135, v137
	s_and_saveexec_b64 s[40:41], vcc
	s_cbranch_execz .LBB250_79
; %bb.96:                               ;   in Loop: Header=BB250_80 Depth=1
	s_getpc_b64 s[0:1]
	s_add_u32 s0, s0, _ZZZZN2at6native31launch_logcumsumexp_cuda_kernelERKNS_10TensorBaseES3_lENKUlvE_clEvENKUlvE1_clEvENKUlN3c107complexIdEES8_E_clES8_S8_@rel32@lo+4
	s_addc_u32 s1, s1, _ZZZZN2at6native31launch_logcumsumexp_cuda_kernelERKNS_10TensorBaseES3_lENKUlvE_clEvENKUlvE1_clEvENKUlN3c107complexIdEES8_E_clES8_S8_@rel32@hi+12
	s_swappc_b64 s[30:31], s[0:1]
	v_mov_b32_e32 v4, v0
	v_mov_b32_e32 v5, v1
	;; [unrolled: 1-line block ×4, first 2 shown]
	s_branch .LBB250_79
.LBB250_97:                             ;   in Loop: Header=BB250_80 Depth=1
                                        ; implicit-def: $vgpr6_vgpr7
                                        ; implicit-def: $vgpr4_vgpr5
                                        ; implicit-def: $vgpr123
	s_cbranch_execz .LBB250_80
; %bb.98:
	s_and_saveexec_b64 s[40:41], s[38:39]
	s_cbranch_execz .LBB250_100
; %bb.99:
	v_mov_b32_e32 v0, v112
	s_waitcnt lgkmcnt(2)
	v_mov_b32_e32 v1, v113
	s_waitcnt lgkmcnt(1)
	v_mov_b32_e32 v2, v114
	s_waitcnt lgkmcnt(0)
	v_mov_b32_e32 v3, v115
	v_mov_b32_e32 v4, v108
	;; [unrolled: 1-line block ×5, first 2 shown]
	s_getpc_b64 s[0:1]
	s_add_u32 s0, s0, _ZZZZN2at6native31launch_logcumsumexp_cuda_kernelERKNS_10TensorBaseES3_lENKUlvE_clEvENKUlvE1_clEvENKUlN3c107complexIdEES8_E_clES8_S8_@rel32@lo+4
	s_addc_u32 s1, s1, _ZZZZN2at6native31launch_logcumsumexp_cuda_kernelERKNS_10TensorBaseES3_lENKUlvE_clEvENKUlvE1_clEvENKUlN3c107complexIdEES8_E_clES8_S8_@rel32@hi+12
	s_swappc_b64 s[30:31], s[0:1]
	s_add_i32 s0, s67, 64
	s_mov_b32 s1, 0
	s_lshl_b64 s[2:3], s[0:1], 4
	s_add_u32 s2, s62, s2
	s_addc_u32 s3, s63, s3
	v_mov_b32_e32 v4, 0
	global_store_dword v4, v0, s[2:3] sc1
	global_store_dword v4, v1, s[2:3] offset:4 sc1
	global_store_dword v4, v2, s[2:3] offset:8 sc1
	;; [unrolled: 1-line block ×3, first 2 shown]
	v_mov_b32_e32 v0, s0
	v_mov_b32_e32 v1, 2
	s_waitcnt vmcnt(0)
	global_store_byte v0, v1, s[64:65] sc1
.LBB250_100:
	s_or_b64 exec, exec, s[40:41]
	s_and_b64 exec, exec, s[36:37]
	s_cbranch_execz .LBB250_102
; %bb.101:
	v_mov_b32_e32 v0, 0
	ds_write_b128 v0, v[112:115] offset:48
.LBB250_102:
	s_or_b64 exec, exec, s[58:59]
	v_mov_b32_e32 v0, 0
	s_waitcnt lgkmcnt(0)
	s_barrier
	ds_read_b128 v[108:111], v0 offset:48
	v_mov_b64_e32 v[6:7], v[44:45]
	v_mov_b64_e32 v[4:5], v[42:43]
	s_and_saveexec_b64 s[40:41], s[34:35]
	s_cbranch_execz .LBB250_104
; %bb.103:
	v_cndmask_b32_e64 v2, v121, v106, s[38:39]
	v_cndmask_b32_e64 v3, v122, v107, s[38:39]
	v_cndmask_b32_e64 v0, v47, v104, s[38:39]
	v_cndmask_b32_e64 v1, v120, v105, s[38:39]
	v_mov_b32_e32 v4, v42
	v_mov_b32_e32 v5, v43
	;; [unrolled: 1-line block ×4, first 2 shown]
	s_getpc_b64 s[0:1]
	s_add_u32 s0, s0, _ZZZZN2at6native31launch_logcumsumexp_cuda_kernelERKNS_10TensorBaseES3_lENKUlvE_clEvENKUlvE1_clEvENKUlN3c107complexIdEES8_E_clES8_S8_@rel32@lo+4
	s_addc_u32 s1, s1, _ZZZZN2at6native31launch_logcumsumexp_cuda_kernelERKNS_10TensorBaseES3_lENKUlvE_clEvENKUlvE1_clEvENKUlN3c107complexIdEES8_E_clES8_S8_@rel32@hi+12
	s_swappc_b64 s[30:31], s[0:1]
	v_mov_b32_e32 v4, v0
	v_mov_b32_e32 v5, v1
	;; [unrolled: 1-line block ×4, first 2 shown]
.LBB250_104:
	s_or_b64 exec, exec, s[40:41]
	s_waitcnt lgkmcnt(0)
	v_mov_b32_e32 v0, v108
	v_mov_b32_e32 v1, v109
	;; [unrolled: 1-line block ×4, first 2 shown]
	s_getpc_b64 s[38:39]
	s_add_u32 s38, s38, _ZZZZN2at6native31launch_logcumsumexp_cuda_kernelERKNS_10TensorBaseES3_lENKUlvE_clEvENKUlvE1_clEvENKUlN3c107complexIdEES8_E_clES8_S8_@rel32@lo+4
	s_addc_u32 s39, s39, _ZZZZN2at6native31launch_logcumsumexp_cuda_kernelERKNS_10TensorBaseES3_lENKUlvE_clEvENKUlvE1_clEvENKUlN3c107complexIdEES8_E_clES8_S8_@rel32@hi+12
	s_swappc_b64 s[30:31], s[38:39]
	v_mov_b32_e32 v4, v100
	v_mov_b32_e32 v5, v101
	v_mov_b32_e32 v6, v102
	v_mov_b32_e32 v7, v103
	v_mov_b32_e32 v156, v0
	v_mov_b32_e32 v157, v1
	v_mov_b32_e32 v158, v2
	v_mov_b32_e32 v159, v3
	s_swappc_b64 s[30:31], s[38:39]
	v_mov_b32_e32 v4, v96
	v_mov_b32_e32 v5, v97
	v_mov_b32_e32 v6, v98
	v_mov_b32_e32 v7, v99
	v_mov_b32_e32 v104, v0
	v_mov_b32_e32 v105, v1
	v_mov_b32_e32 v106, v2
	v_mov_b32_e32 v107, v3
	;; [unrolled: 9-line block ×13, first 2 shown]
	s_swappc_b64 s[30:31], s[38:39]
	v_mov_b32_e32 v152, v0
	v_mov_b32_e32 v153, v1
	;; [unrolled: 1-line block ×4, first 2 shown]
	s_branch .LBB250_135
.LBB250_105:
                                        ; implicit-def: $vgpr156_vgpr157
                                        ; implicit-def: $vgpr104_vgpr105
                                        ; implicit-def: $vgpr108_vgpr109
                                        ; implicit-def: $vgpr112_vgpr113
                                        ; implicit-def: $vgpr116_vgpr117
                                        ; implicit-def: $vgpr120_vgpr121
                                        ; implicit-def: $vgpr124_vgpr125
                                        ; implicit-def: $vgpr128_vgpr129
                                        ; implicit-def: $vgpr132_vgpr133
                                        ; implicit-def: $vgpr136_vgpr137
                                        ; implicit-def: $vgpr140_vgpr141
                                        ; implicit-def: $vgpr144_vgpr145
                                        ; implicit-def: $vgpr148_vgpr149
                                        ; implicit-def: $vgpr152_vgpr153
	s_cbranch_execz .LBB250_135
; %bb.106:
	s_cmp_lg_u64 s[48:49], 0
	s_cselect_b64 s[0:1], -1, 0
	s_and_b64 s[0:1], s[36:37], s[0:1]
	s_and_saveexec_b64 s[36:37], s[0:1]
	s_cbranch_execz .LBB250_108
; %bb.107:
	v_mov_b32_e32 v0, 0
	global_load_dwordx4 v[0:3], v0, s[44:45]
	v_mov_b32_e32 v4, v42
	v_mov_b32_e32 v5, v43
	;; [unrolled: 1-line block ×4, first 2 shown]
	s_getpc_b64 s[0:1]
	s_add_u32 s0, s0, _ZZZZN2at6native31launch_logcumsumexp_cuda_kernelERKNS_10TensorBaseES3_lENKUlvE_clEvENKUlvE1_clEvENKUlN3c107complexIdEES8_E_clES8_S8_@rel32@lo+4
	s_addc_u32 s1, s1, _ZZZZN2at6native31launch_logcumsumexp_cuda_kernelERKNS_10TensorBaseES3_lENKUlvE_clEvENKUlvE1_clEvENKUlN3c107complexIdEES8_E_clES8_S8_@rel32@hi+12
	s_swappc_b64 s[30:31], s[0:1]
	v_mov_b32_e32 v42, v0
	v_mov_b32_e32 v43, v1
	;; [unrolled: 1-line block ×4, first 2 shown]
.LBB250_108:
	s_or_b64 exec, exec, s[36:37]
	v_mov_b32_e32 v0, v42
	v_mov_b32_e32 v1, v43
	;; [unrolled: 1-line block ×8, first 2 shown]
	s_getpc_b64 s[36:37]
	s_add_u32 s36, s36, _ZZZZN2at6native31launch_logcumsumexp_cuda_kernelERKNS_10TensorBaseES3_lENKUlvE_clEvENKUlvE1_clEvENKUlN3c107complexIdEES8_E_clES8_S8_@rel32@lo+4
	s_addc_u32 s37, s37, _ZZZZN2at6native31launch_logcumsumexp_cuda_kernelERKNS_10TensorBaseES3_lENKUlvE_clEvENKUlvE1_clEvENKUlN3c107complexIdEES8_E_clES8_S8_@rel32@hi+12
	s_swappc_b64 s[30:31], s[36:37]
	v_mov_b32_e32 v4, v96
	v_mov_b32_e32 v5, v97
	v_mov_b32_e32 v6, v98
	v_mov_b32_e32 v7, v99
	v_mov_b32_e32 v104, v0
	v_mov_b32_e32 v105, v1
	v_mov_b32_e32 v106, v2
	v_mov_b32_e32 v107, v3
	s_swappc_b64 s[30:31], s[36:37]
	v_mov_b32_e32 v4, v92
	v_mov_b32_e32 v5, v93
	v_mov_b32_e32 v6, v94
	v_mov_b32_e32 v7, v95
	v_mov_b32_e32 v108, v0
	v_mov_b32_e32 v109, v1
	v_mov_b32_e32 v110, v2
	v_mov_b32_e32 v111, v3
	;; [unrolled: 9-line block ×12, first 2 shown]
	s_swappc_b64 s[30:31], s[36:37]
	v_mov_b32_e32 v152, v0
	v_mbcnt_lo_u32_b32 v0, -1, 0
	v_mbcnt_hi_u32_b32 v47, -1, v0
	v_mov_b32_e32 v153, v1
	v_mov_b32_e32 v154, v2
	;; [unrolled: 1-line block ×3, first 2 shown]
	v_and_b32_e32 v160, 15, v47
	v_mov_b32_dpp v4, v152 row_shr:1 row_mask:0xf bank_mask:0xf
	v_mov_b32_dpp v5, v153 row_shr:1 row_mask:0xf bank_mask:0xf
	;; [unrolled: 1-line block ×4, first 2 shown]
	v_cmp_ne_u32_e32 vcc, 0, v160
	v_mov_b64_e32 v[158:159], v[154:155]
	v_mov_b64_e32 v[156:157], v[152:153]
	v_mov_b32_e32 v0, v152
	s_and_saveexec_b64 s[38:39], vcc
	s_cbranch_execz .LBB250_110
; %bb.109:
	v_mov_b32_e32 v0, v4
	v_mov_b32_e32 v1, v5
	v_mov_b32_e32 v2, v6
	v_mov_b32_e32 v3, v7
	v_mov_b32_e32 v4, v152
	v_mov_b32_e32 v5, v153
	v_mov_b32_e32 v6, v154
	v_mov_b32_e32 v7, v155
	s_swappc_b64 s[30:31], s[36:37]
	v_mov_b32_e32 v156, v0
	v_mov_b32_e32 v157, v1
	;; [unrolled: 1-line block ×4, first 2 shown]
.LBB250_110:
	s_or_b64 exec, exec, s[38:39]
	v_mov_b32_dpp v4, v0 row_shr:2 row_mask:0xf bank_mask:0xf
	v_mov_b32_dpp v5, v1 row_shr:2 row_mask:0xf bank_mask:0xf
	v_mov_b32_dpp v6, v2 row_shr:2 row_mask:0xf bank_mask:0xf
	v_mov_b32_dpp v7, v3 row_shr:2 row_mask:0xf bank_mask:0xf
	v_cmp_lt_u32_e32 vcc, 1, v160
	s_and_saveexec_b64 s[36:37], vcc
	s_cbranch_execz .LBB250_112
; %bb.111:
	v_mov_b32_e32 v0, v4
	v_mov_b32_e32 v1, v5
	v_mov_b32_e32 v2, v6
	v_mov_b32_e32 v3, v7
	v_mov_b32_e32 v4, v156
	v_mov_b32_e32 v5, v157
	v_mov_b32_e32 v6, v158
	v_mov_b32_e32 v7, v159
	s_getpc_b64 s[0:1]
	s_add_u32 s0, s0, _ZZZZN2at6native31launch_logcumsumexp_cuda_kernelERKNS_10TensorBaseES3_lENKUlvE_clEvENKUlvE1_clEvENKUlN3c107complexIdEES8_E_clES8_S8_@rel32@lo+4
	s_addc_u32 s1, s1, _ZZZZN2at6native31launch_logcumsumexp_cuda_kernelERKNS_10TensorBaseES3_lENKUlvE_clEvENKUlvE1_clEvENKUlN3c107complexIdEES8_E_clES8_S8_@rel32@hi+12
	s_swappc_b64 s[30:31], s[0:1]
	v_mov_b64_e32 v[158:159], v[2:3]
	v_mov_b64_e32 v[156:157], v[0:1]
.LBB250_112:
	s_or_b64 exec, exec, s[36:37]
	v_mov_b32_dpp v4, v0 row_shr:4 row_mask:0xf bank_mask:0xf
	v_mov_b32_dpp v5, v1 row_shr:4 row_mask:0xf bank_mask:0xf
	v_mov_b32_dpp v6, v2 row_shr:4 row_mask:0xf bank_mask:0xf
	v_mov_b32_dpp v7, v3 row_shr:4 row_mask:0xf bank_mask:0xf
	v_cmp_lt_u32_e32 vcc, 3, v160
	s_and_saveexec_b64 s[36:37], vcc
	s_cbranch_execz .LBB250_114
; %bb.113:
	v_mov_b32_e32 v0, v4
	v_mov_b32_e32 v1, v5
	v_mov_b32_e32 v2, v6
	v_mov_b32_e32 v3, v7
	v_mov_b32_e32 v4, v156
	v_mov_b32_e32 v5, v157
	v_mov_b32_e32 v6, v158
	v_mov_b32_e32 v7, v159
	s_getpc_b64 s[0:1]
	s_add_u32 s0, s0, _ZZZZN2at6native31launch_logcumsumexp_cuda_kernelERKNS_10TensorBaseES3_lENKUlvE_clEvENKUlvE1_clEvENKUlN3c107complexIdEES8_E_clES8_S8_@rel32@lo+4
	s_addc_u32 s1, s1, _ZZZZN2at6native31launch_logcumsumexp_cuda_kernelERKNS_10TensorBaseES3_lENKUlvE_clEvENKUlvE1_clEvENKUlN3c107complexIdEES8_E_clES8_S8_@rel32@hi+12
	s_swappc_b64 s[30:31], s[0:1]
	v_mov_b64_e32 v[158:159], v[2:3]
	v_mov_b64_e32 v[156:157], v[0:1]
.LBB250_114:
	;; [unrolled: 24-line block ×3, first 2 shown]
	s_or_b64 exec, exec, s[36:37]
	v_and_b32_e32 v8, 16, v47
	v_mov_b32_dpp v4, v0 row_bcast:15 row_mask:0xf bank_mask:0xf
	v_mov_b32_dpp v5, v1 row_bcast:15 row_mask:0xf bank_mask:0xf
	;; [unrolled: 1-line block ×4, first 2 shown]
	v_cmp_ne_u32_e32 vcc, 0, v8
	s_and_saveexec_b64 s[36:37], vcc
	s_cbranch_execz .LBB250_118
; %bb.117:
	v_mov_b32_e32 v0, v4
	v_mov_b32_e32 v1, v5
	;; [unrolled: 1-line block ×8, first 2 shown]
	s_getpc_b64 s[0:1]
	s_add_u32 s0, s0, _ZZZZN2at6native31launch_logcumsumexp_cuda_kernelERKNS_10TensorBaseES3_lENKUlvE_clEvENKUlvE1_clEvENKUlN3c107complexIdEES8_E_clES8_S8_@rel32@lo+4
	s_addc_u32 s1, s1, _ZZZZN2at6native31launch_logcumsumexp_cuda_kernelERKNS_10TensorBaseES3_lENKUlvE_clEvENKUlvE1_clEvENKUlN3c107complexIdEES8_E_clES8_S8_@rel32@hi+12
	s_swappc_b64 s[30:31], s[0:1]
	v_mov_b32_e32 v156, v0
	v_mov_b32_e32 v157, v1
	;; [unrolled: 1-line block ×4, first 2 shown]
.LBB250_118:
	s_or_b64 exec, exec, s[36:37]
	v_mov_b32_dpp v0, v0 row_bcast:31 row_mask:0xf bank_mask:0xf
	v_mov_b32_dpp v1, v1 row_bcast:31 row_mask:0xf bank_mask:0xf
	;; [unrolled: 1-line block ×4, first 2 shown]
	v_cmp_lt_u32_e32 vcc, 31, v47
	s_and_saveexec_b64 s[36:37], vcc
	s_cbranch_execz .LBB250_120
; %bb.119:
	v_mov_b32_e32 v4, v156
	v_mov_b32_e32 v5, v157
	;; [unrolled: 1-line block ×4, first 2 shown]
	s_getpc_b64 s[0:1]
	s_add_u32 s0, s0, _ZZZZN2at6native31launch_logcumsumexp_cuda_kernelERKNS_10TensorBaseES3_lENKUlvE_clEvENKUlvE1_clEvENKUlN3c107complexIdEES8_E_clES8_S8_@rel32@lo+4
	s_addc_u32 s1, s1, _ZZZZN2at6native31launch_logcumsumexp_cuda_kernelERKNS_10TensorBaseES3_lENKUlvE_clEvENKUlvE1_clEvENKUlN3c107complexIdEES8_E_clES8_S8_@rel32@hi+12
	s_swappc_b64 s[30:31], s[0:1]
	v_mov_b32_e32 v156, v0
	v_mov_b32_e32 v157, v1
	;; [unrolled: 1-line block ×4, first 2 shown]
.LBB250_120:
	s_or_b64 exec, exec, s[36:37]
	v_or_b32_e32 v0, 63, v46
	v_lshrrev_b32_e32 v165, 6, v46
	v_cmp_eq_u32_e32 vcc, v0, v46
	s_and_saveexec_b64 s[0:1], vcc
	s_cbranch_execz .LBB250_122
; %bb.121:
	v_lshlrev_b32_e32 v0, 4, v165
	ds_write_b128 v0, v[156:159]
.LBB250_122:
	s_or_b64 exec, exec, s[0:1]
	v_cmp_gt_u32_e32 vcc, 4, v46
	s_waitcnt lgkmcnt(0)
	s_barrier
	s_and_saveexec_b64 s[36:37], vcc
	s_cbranch_execz .LBB250_128
; %bb.123:
	s_movk_i32 s0, 0xff30
	v_mad_i32_i24 v0, v46, s0, v41
	ds_read_b128 v[4:7], v0
	v_and_b32_e32 v160, 3, v47
	v_cmp_ne_u32_e32 vcc, 0, v160
	s_waitcnt lgkmcnt(0)
	v_mov_b32_dpp v0, v4 row_shr:1 row_mask:0xf bank_mask:0xf
	v_mov_b32_dpp v1, v5 row_shr:1 row_mask:0xf bank_mask:0xf
	;; [unrolled: 1-line block ×4, first 2 shown]
	s_and_saveexec_b64 s[38:39], vcc
	s_cbranch_execz .LBB250_125
; %bb.124:
	s_getpc_b64 s[0:1]
	s_add_u32 s0, s0, _ZZZZN2at6native31launch_logcumsumexp_cuda_kernelERKNS_10TensorBaseES3_lENKUlvE_clEvENKUlvE1_clEvENKUlN3c107complexIdEES8_E_clES8_S8_@rel32@lo+4
	s_addc_u32 s1, s1, _ZZZZN2at6native31launch_logcumsumexp_cuda_kernelERKNS_10TensorBaseES3_lENKUlvE_clEvENKUlvE1_clEvENKUlN3c107complexIdEES8_E_clES8_S8_@rel32@hi+12
	s_swappc_b64 s[30:31], s[0:1]
	v_mov_b32_e32 v4, v0
	v_mov_b32_e32 v5, v1
	v_mov_b32_e32 v6, v2
	v_mov_b32_e32 v7, v3
.LBB250_125:
	s_or_b64 exec, exec, s[38:39]
	v_mul_i32_i24_e32 v161, 0xffffff30, v46
	v_mov_b32_dpp v0, v4 row_shr:2 row_mask:0xf bank_mask:0xf
	v_mov_b32_dpp v1, v5 row_shr:2 row_mask:0xf bank_mask:0xf
	;; [unrolled: 1-line block ×4, first 2 shown]
	v_cmp_lt_u32_e32 vcc, 1, v160
	s_and_saveexec_b64 s[38:39], vcc
	s_cbranch_execz .LBB250_127
; %bb.126:
	s_getpc_b64 s[0:1]
	s_add_u32 s0, s0, _ZZZZN2at6native31launch_logcumsumexp_cuda_kernelERKNS_10TensorBaseES3_lENKUlvE_clEvENKUlvE1_clEvENKUlN3c107complexIdEES8_E_clES8_S8_@rel32@lo+4
	s_addc_u32 s1, s1, _ZZZZN2at6native31launch_logcumsumexp_cuda_kernelERKNS_10TensorBaseES3_lENKUlvE_clEvENKUlvE1_clEvENKUlN3c107complexIdEES8_E_clES8_S8_@rel32@hi+12
	s_swappc_b64 s[30:31], s[0:1]
	v_mov_b32_e32 v4, v0
	v_mov_b32_e32 v5, v1
	v_mov_b32_e32 v6, v2
	v_mov_b32_e32 v7, v3
.LBB250_127:
	s_or_b64 exec, exec, s[38:39]
	v_add_u32_e32 v0, v41, v161
	ds_write_b128 v0, v[4:7]
.LBB250_128:
	s_or_b64 exec, exec, s[36:37]
	v_mov_b64_e32 v[162:163], 0
	v_cmp_lt_u32_e32 vcc, 63, v46
	v_mov_b64_e32 v[160:161], v[162:163]
	s_waitcnt lgkmcnt(0)
	s_barrier
	s_and_saveexec_b64 s[36:37], vcc
	s_cbranch_execz .LBB250_130
; %bb.129:
	v_lshl_add_u32 v0, v165, 4, -16
	ds_read_b128 v[160:163], v0
	v_mov_b32_e32 v4, v156
	v_mov_b32_e32 v5, v157
	;; [unrolled: 1-line block ×4, first 2 shown]
	s_waitcnt lgkmcnt(0)
	v_mov_b32_e32 v0, v160
	v_mov_b32_e32 v1, v161
	;; [unrolled: 1-line block ×4, first 2 shown]
	s_getpc_b64 s[0:1]
	s_add_u32 s0, s0, _ZZZZN2at6native31launch_logcumsumexp_cuda_kernelERKNS_10TensorBaseES3_lENKUlvE_clEvENKUlvE1_clEvENKUlN3c107complexIdEES8_E_clES8_S8_@rel32@lo+4
	s_addc_u32 s1, s1, _ZZZZN2at6native31launch_logcumsumexp_cuda_kernelERKNS_10TensorBaseES3_lENKUlvE_clEvENKUlvE1_clEvENKUlN3c107complexIdEES8_E_clES8_S8_@rel32@hi+12
	s_swappc_b64 s[30:31], s[0:1]
	v_mov_b32_e32 v156, v0
	v_mov_b32_e32 v157, v1
	;; [unrolled: 1-line block ×4, first 2 shown]
.LBB250_130:
	s_or_b64 exec, exec, s[36:37]
	v_add_u32_e32 v0, -1, v47
	v_and_b32_e32 v1, 64, v47
	v_cmp_lt_i32_e32 vcc, v0, v1
	s_nop 1
	v_cndmask_b32_e32 v0, v0, v47, vcc
	v_lshlrev_b32_e32 v3, 2, v0
	ds_bpermute_b32 v0, v3, v156
	ds_bpermute_b32 v1, v3, v157
	;; [unrolled: 1-line block ×4, first 2 shown]
	s_and_saveexec_b64 s[36:37], s[34:35]
	s_cbranch_execz .LBB250_132
; %bb.131:
	v_cmp_eq_u32_e32 vcc, 0, v47
	v_mov_b32_e32 v4, v42
	v_mov_b32_e32 v5, v43
	s_waitcnt lgkmcnt(3)
	v_cndmask_b32_e32 v0, v0, v160, vcc
	s_waitcnt lgkmcnt(2)
	v_cndmask_b32_e32 v1, v1, v161, vcc
	;; [unrolled: 2-line block ×4, first 2 shown]
	v_mov_b32_e32 v6, v44
	v_mov_b32_e32 v7, v45
	s_getpc_b64 s[34:35]
	s_add_u32 s34, s34, _ZZZZN2at6native31launch_logcumsumexp_cuda_kernelERKNS_10TensorBaseES3_lENKUlvE_clEvENKUlvE1_clEvENKUlN3c107complexIdEES8_E_clES8_S8_@rel32@lo+4
	s_addc_u32 s35, s35, _ZZZZN2at6native31launch_logcumsumexp_cuda_kernelERKNS_10TensorBaseES3_lENKUlvE_clEvENKUlvE1_clEvENKUlN3c107complexIdEES8_E_clES8_S8_@rel32@hi+12
	s_swappc_b64 s[30:31], s[34:35]
	v_mov_b32_e32 v4, v100
	v_mov_b32_e32 v5, v101
	;; [unrolled: 1-line block ×8, first 2 shown]
	;;#ASMSTART
	;;#ASMEND
	s_swappc_b64 s[30:31], s[34:35]
	v_mov_b32_e32 v4, v96
	v_mov_b32_e32 v5, v97
	v_mov_b32_e32 v6, v98
	v_mov_b32_e32 v7, v99
	v_mov_b32_e32 v104, v0
	v_mov_b32_e32 v105, v1
	v_mov_b32_e32 v106, v2
	v_mov_b32_e32 v107, v3
	s_swappc_b64 s[30:31], s[34:35]
	v_mov_b32_e32 v4, v92
	v_mov_b32_e32 v5, v93
	v_mov_b32_e32 v6, v94
	v_mov_b32_e32 v7, v95
	v_mov_b32_e32 v108, v0
	v_mov_b32_e32 v109, v1
	v_mov_b32_e32 v110, v2
	v_mov_b32_e32 v111, v3
	;; [unrolled: 9-line block ×12, first 2 shown]
	s_swappc_b64 s[30:31], s[34:35]
	v_mov_b32_e32 v152, v0
	v_mov_b32_e32 v153, v1
	;; [unrolled: 1-line block ×4, first 2 shown]
.LBB250_132:
	s_or_b64 exec, exec, s[36:37]
	s_movk_i32 s0, 0xff
	v_cmp_eq_u32_e32 vcc, s0, v46
	s_and_saveexec_b64 s[0:1], vcc
	s_cbranch_execz .LBB250_134
; %bb.133:
	s_waitcnt lgkmcnt(3)
	v_mov_b32_e32 v0, 0
	s_waitcnt lgkmcnt(2)
	v_mov_b32_e32 v1, 2
	global_store_dword v0, v152, s[62:63] offset:1024 sc1
	global_store_dword v0, v153, s[62:63] offset:1028 sc1
	;; [unrolled: 1-line block ×4, first 2 shown]
	s_waitcnt vmcnt(0) lgkmcnt(0)
	global_store_byte v0, v1, s[64:65] offset:64 sc1
.LBB250_134:
	s_or_b64 exec, exec, s[0:1]
	v_mov_b64_e32 v[156:157], v[42:43]
	v_mov_b64_e32 v[158:159], v[44:45]
.LBB250_135:
	s_add_u32 s0, s56, s42
	s_addc_u32 s1, s57, s43
	s_add_u32 s0, s0, s54
	s_addc_u32 s1, s1, s55
	s_mov_b64 s[2:3], -1
	s_and_b64 vcc, exec, s[52:53]
	s_waitcnt lgkmcnt(0)
	s_barrier
	s_cbranch_vccz .LBB250_137
; %bb.136:
	v_mov_b32_e32 v165, 0
	ds_write_b128 v41, v[156:159]
	ds_write_b128 v41, v[104:107] offset:16
	ds_write_b128 v41, v[108:111] offset:32
	;; [unrolled: 1-line block ×13, first 2 shown]
	s_waitcnt lgkmcnt(0)
	s_barrier
	ds_read_b128 v[0:3], v164
	ds_read_b128 v[4:7], v164 offset:4096
	ds_read_b128 v[8:11], v164 offset:8192
	;; [unrolled: 1-line block ×13, first 2 shown]
	v_lshl_add_u64 v[60:61], s[0:1], 0, v[164:165]
	s_movk_i32 s2, 0x2000
	s_waitcnt lgkmcnt(13)
	global_store_dwordx4 v164, v[0:3], s[0:1]
	s_nop 1
	v_add_co_u32_e32 v0, vcc, s2, v60
	s_movk_i32 s2, 0x4000
	s_nop 0
	v_addc_co_u32_e32 v1, vcc, 0, v61, vcc
	s_waitcnt lgkmcnt(12)
	global_store_dwordx4 v[0:1], v[4:7], off offset:-4096
	s_waitcnt lgkmcnt(11)
	global_store_dwordx4 v[0:1], v[8:11], off
	v_add_co_u32_e32 v0, vcc, s2, v60
	s_movk_i32 s2, 0x6000
	s_nop 0
	v_addc_co_u32_e32 v1, vcc, 0, v61, vcc
	s_waitcnt lgkmcnt(10)
	global_store_dwordx4 v[0:1], v[12:15], off offset:-4096
	s_waitcnt lgkmcnt(9)
	global_store_dwordx4 v[0:1], v[16:19], off
	v_add_co_u32_e32 v0, vcc, s2, v60
	s_mov_b32 s2, 0x8000
	s_nop 0
	v_addc_co_u32_e32 v1, vcc, 0, v61, vcc
	s_waitcnt lgkmcnt(8)
	global_store_dwordx4 v[0:1], v[20:23], off offset:-4096
	s_waitcnt lgkmcnt(7)
	global_store_dwordx4 v[0:1], v[24:27], off
	v_add_co_u32_e32 v0, vcc, s2, v60
	s_mov_b32 s2, 0xa000
	s_nop 0
	v_addc_co_u32_e32 v1, vcc, 0, v61, vcc
	s_waitcnt lgkmcnt(6)
	global_store_dwordx4 v[0:1], v[28:31], off offset:-4096
	s_waitcnt lgkmcnt(5)
	global_store_dwordx4 v[0:1], v[32:35], off
	v_add_co_u32_e32 v0, vcc, s2, v60
	s_mov_b64 s[2:3], 0
	s_nop 0
	v_addc_co_u32_e32 v1, vcc, 0, v61, vcc
	s_waitcnt lgkmcnt(4)
	global_store_dwordx4 v[0:1], v[36:39], off offset:-4096
	s_waitcnt lgkmcnt(3)
	global_store_dwordx4 v[0:1], v[42:45], off
	v_add_co_u32_e32 v0, vcc, 0xb000, v60
	s_nop 1
	v_addc_co_u32_e32 v1, vcc, 0, v61, vcc
	s_waitcnt lgkmcnt(2)
	global_store_dwordx4 v[0:1], v[48:51], off
	v_add_co_u32_e32 v0, vcc, 0xc000, v60
	s_nop 1
	v_addc_co_u32_e32 v1, vcc, 0, v61, vcc
	;; [unrolled: 5-line block ×3, first 2 shown]
	s_waitcnt lgkmcnt(0)
	global_store_dwordx4 v[0:1], v[56:59], off
.LBB250_137:
	s_andn2_b64 vcc, exec, s[2:3]
	s_cbranch_vccnz .LBB250_217
; %bb.138:
	ds_write_b128 v41, v[156:159]
	ds_write_b128 v41, v[104:107] offset:16
	ds_write_b128 v41, v[108:111] offset:32
	;; [unrolled: 1-line block ×13, first 2 shown]
	s_waitcnt lgkmcnt(0)
	s_barrier
	ds_read_b128 v[4:7], v164
	ds_read_b128 v[0:3], v164 offset:4096
	ds_read_b128 v[8:11], v164 offset:8192
	;; [unrolled: 1-line block ×13, first 2 shown]
	v_mov_b32_e32 v165, 0
	v_lshl_add_u64 v[44:45], s[0:1], 0, v[164:165]
	v_cmp_gt_u32_e32 vcc, s33, v46
	s_and_saveexec_b64 s[0:1], vcc
	s_cbranch_execz .LBB250_140
; %bb.139:
	s_waitcnt lgkmcnt(13)
	global_store_dwordx4 v[44:45], v[4:7], off
.LBB250_140:
	s_or_b64 exec, exec, s[0:1]
	v_or_b32_e32 v47, 0x100, v46
	v_cmp_gt_u32_e32 vcc, s33, v47
	s_and_saveexec_b64 s[0:1], vcc
	s_cbranch_execz .LBB250_142
; %bb.141:
	v_add_co_u32_e32 v60, vcc, 0x1000, v44
	s_nop 1
	v_addc_co_u32_e32 v61, vcc, 0, v45, vcc
	s_waitcnt lgkmcnt(12)
	global_store_dwordx4 v[60:61], v[0:3], off
.LBB250_142:
	s_or_b64 exec, exec, s[0:1]
	v_or_b32_e32 v47, 0x200, v46
	v_cmp_gt_u32_e32 vcc, s33, v47
	s_and_saveexec_b64 s[0:1], vcc
	s_cbranch_execz .LBB250_144
; %bb.143:
	v_add_co_u32_e32 v60, vcc, 0x2000, v44
	s_nop 1
	v_addc_co_u32_e32 v61, vcc, 0, v45, vcc
	s_waitcnt lgkmcnt(11)
	global_store_dwordx4 v[60:61], v[8:11], off
.LBB250_144:
	;; [unrolled: 12-line block ×13, first 2 shown]
	s_or_b64 exec, exec, s[0:1]
	v_cmp_lt_u64_e64 s[0:1], s[50:51], 2
	s_and_b64 vcc, exec, s[0:1]
	s_cbranch_vccnz .LBB250_217
; %bb.167:
	s_add_u32 s0, s33, -1
	s_addc_u32 s1, s66, -1
	s_add_u32 s2, 0, 0x49240800
	s_addc_u32 s3, 0, 50
	s_add_i32 s3, s3, 0x12492460
	s_mul_hi_u32 s7, s2, -14
	s_sub_i32 s7, s7, s2
	s_mul_i32 s8, s3, -14
	s_mul_i32 s4, s2, -14
	s_add_i32 s7, s7, s8
	s_mul_hi_u32 s5, s3, s4
	s_mul_i32 s6, s3, s4
	s_mul_i32 s9, s2, s7
	s_mul_hi_u32 s4, s2, s4
	s_mul_hi_u32 s8, s2, s7
	s_add_u32 s4, s4, s9
	s_addc_u32 s8, 0, s8
	s_add_u32 s4, s4, s6
	s_mul_hi_u32 s9, s3, s7
	s_addc_u32 s4, s8, s5
	s_addc_u32 s5, s9, 0
	s_mul_i32 s6, s3, s7
	s_add_u32 s4, s4, s6
	v_mov_b32_e32 v44, s4
	s_addc_u32 s5, 0, s5
	v_add_co_u32_e32 v44, vcc, s2, v44
	s_cmp_lg_u64 vcc, 0
	s_addc_u32 s2, s3, s5
	v_readfirstlane_b32 s5, v44
	s_mul_i32 s4, s0, s2
	s_mul_hi_u32 s6, s0, s5
	s_mul_hi_u32 s3, s0, s2
	s_add_u32 s4, s6, s4
	s_addc_u32 s3, 0, s3
	s_mul_hi_u32 s7, s1, s5
	s_mul_i32 s5, s1, s5
	s_add_u32 s4, s4, s5
	s_mul_hi_u32 s6, s1, s2
	s_addc_u32 s3, s3, s7
	s_addc_u32 s4, s6, 0
	s_mul_i32 s2, s1, s2
	s_add_u32 s2, s3, s2
	s_addc_u32 s3, 0, s4
	s_add_u32 s4, s2, 1
	s_addc_u32 s5, s3, 0
	s_add_u32 s6, s2, 2
	s_mul_i32 s8, s3, 14
	s_mul_hi_u32 s9, s2, 14
	s_addc_u32 s7, s3, 0
	s_add_i32 s9, s9, s8
	s_mul_i32 s8, s2, 14
	v_mov_b32_e32 v44, s8
	v_sub_co_u32_e32 v44, vcc, s0, v44
	s_cmp_lg_u64 vcc, 0
	s_subb_u32 s8, s1, s9
	v_subrev_co_u32_e32 v45, vcc, 14, v44
	s_cmp_lg_u64 vcc, 0
	s_subb_u32 s9, s8, 0
	v_readfirstlane_b32 s10, v45
	s_cmp_gt_u32 s10, 13
	s_cselect_b32 s10, -1, 0
	s_cmp_eq_u32 s9, 0
	s_cselect_b32 s9, s10, -1
	s_cmp_lg_u32 s9, 0
	s_cselect_b32 s4, s6, s4
	v_readfirstlane_b32 s6, v44
	s_cselect_b32 s5, s7, s5
	s_cmp_gt_u32 s6, 13
	s_cselect_b32 s6, -1, 0
	s_cmp_eq_u32 s8, 0
	s_cselect_b32 s6, s6, -1
	s_cmp_lg_u32 s6, 0
	v_mov_b32_e32 v47, v165
	s_cselect_b32 s3, s5, s3
	s_cselect_b32 s2, s4, s2
	v_cmp_eq_u64_e32 vcc, s[2:3], v[46:47]
	s_and_saveexec_b64 s[2:3], vcc
	s_cbranch_execz .LBB250_217
; %bb.168:
	v_mul_hi_u32_u24_e32 v45, 14, v46
	v_mov_b32_e32 v46, s1
	v_sub_co_u32_e32 v44, vcc, s0, v166
	s_nop 1
	v_subb_co_u32_e32 v45, vcc, v46, v45, vcc
	v_cmp_lt_i64_e32 vcc, 6, v[44:45]
	s_and_saveexec_b64 s[0:1], vcc
	s_xor_b64 s[0:1], exec, s[0:1]
	s_cbranch_execz .LBB250_194
; %bb.169:
	v_cmp_lt_i64_e32 vcc, 9, v[44:45]
	s_and_saveexec_b64 s[2:3], vcc
	s_xor_b64 s[2:3], exec, s[2:3]
	s_cbranch_execz .LBB250_183
; %bb.170:
	;; [unrolled: 5-line block ×4, first 2 shown]
	s_waitcnt lgkmcnt(12)
	v_mov_b32_e32 v0, 0
	s_waitcnt lgkmcnt(0)
	global_store_dwordx4 v0, v[56:59], s[46:47]
                                        ; implicit-def: $vgpr52_vgpr53_vgpr54_vgpr55
.LBB250_173:
	s_andn2_saveexec_b64 s[6:7], s[6:7]
	s_cbranch_execz .LBB250_175
; %bb.174:
	s_waitcnt lgkmcnt(12)
	v_mov_b32_e32 v0, 0
	s_waitcnt lgkmcnt(1)
	global_store_dwordx4 v0, v[52:55], s[46:47]
.LBB250_175:
	s_or_b64 exec, exec, s[6:7]
                                        ; implicit-def: $vgpr24_vgpr25_vgpr26_vgpr27
                                        ; implicit-def: $vgpr44_vgpr45
                                        ; implicit-def: $vgpr48_vgpr49_vgpr50_vgpr51
.LBB250_176:
	s_andn2_saveexec_b64 s[4:5], s[4:5]
	s_cbranch_execz .LBB250_182
; %bb.177:
	v_cmp_lt_i64_e32 vcc, 10, v[44:45]
	s_and_saveexec_b64 s[6:7], vcc
	s_xor_b64 s[6:7], exec, s[6:7]
	s_cbranch_execz .LBB250_179
; %bb.178:
	s_waitcnt lgkmcnt(12)
	v_mov_b32_e32 v0, 0
	s_waitcnt lgkmcnt(2)
	global_store_dwordx4 v0, v[48:51], s[46:47]
                                        ; implicit-def: $vgpr24_vgpr25_vgpr26_vgpr27
.LBB250_179:
	s_andn2_saveexec_b64 s[6:7], s[6:7]
	s_cbranch_execz .LBB250_181
; %bb.180:
	s_waitcnt lgkmcnt(12)
	v_mov_b32_e32 v0, 0
	s_waitcnt lgkmcnt(3)
	global_store_dwordx4 v0, v[24:27], s[46:47]
.LBB250_181:
	s_or_b64 exec, exec, s[6:7]
.LBB250_182:
	s_or_b64 exec, exec, s[4:5]
                                        ; implicit-def: $vgpr36_vgpr37_vgpr38_vgpr39
                                        ; implicit-def: $vgpr44_vgpr45
                                        ; implicit-def: $vgpr28_vgpr29_vgpr30_vgpr31
                                        ; implicit-def: $vgpr40_vgpr41_vgpr42_vgpr43
.LBB250_183:
	s_andn2_saveexec_b64 s[2:3], s[2:3]
	s_cbranch_execz .LBB250_193
; %bb.184:
	v_cmp_lt_i64_e32 vcc, 7, v[44:45]
	s_and_saveexec_b64 s[4:5], vcc
	s_xor_b64 s[4:5], exec, s[4:5]
	s_cbranch_execz .LBB250_190
; %bb.185:
	v_cmp_lt_i64_e32 vcc, 8, v[44:45]
	s_and_saveexec_b64 s[6:7], vcc
	s_xor_b64 s[6:7], exec, s[6:7]
	s_cbranch_execz .LBB250_187
; %bb.186:
	s_waitcnt lgkmcnt(12)
	v_mov_b32_e32 v0, 0
	s_waitcnt lgkmcnt(4)
	global_store_dwordx4 v0, v[40:43], s[46:47]
                                        ; implicit-def: $vgpr28_vgpr29_vgpr30_vgpr31
.LBB250_187:
	s_andn2_saveexec_b64 s[6:7], s[6:7]
	s_cbranch_execz .LBB250_189
; %bb.188:
	s_waitcnt lgkmcnt(12)
	v_mov_b32_e32 v0, 0
	s_waitcnt lgkmcnt(5)
	global_store_dwordx4 v0, v[28:31], s[46:47]
.LBB250_189:
	s_or_b64 exec, exec, s[6:7]
                                        ; implicit-def: $vgpr36_vgpr37_vgpr38_vgpr39
.LBB250_190:
	s_andn2_saveexec_b64 s[4:5], s[4:5]
	s_cbranch_execz .LBB250_192
; %bb.191:
	s_waitcnt lgkmcnt(12)
	v_mov_b32_e32 v0, 0
	s_waitcnt lgkmcnt(6)
	global_store_dwordx4 v0, v[36:39], s[46:47]
.LBB250_192:
	s_or_b64 exec, exec, s[4:5]
.LBB250_193:
	s_or_b64 exec, exec, s[2:3]
                                        ; implicit-def: $vgpr44_vgpr45
                                        ; implicit-def: $vgpr20_vgpr21_vgpr22_vgpr23
                                        ; implicit-def: $vgpr0_vgpr1_vgpr2_vgpr3
                                        ; implicit-def: $vgpr8_vgpr9_vgpr10_vgpr11
                                        ; implicit-def: $vgpr4_vgpr5_vgpr6_vgpr7
                                        ; implicit-def: $vgpr16_vgpr17_vgpr18_vgpr19
                                        ; implicit-def: $vgpr12_vgpr13_vgpr14_vgpr15
                                        ; implicit-def: $vgpr32_vgpr33_vgpr34_vgpr35
.LBB250_194:
	s_andn2_saveexec_b64 s[0:1], s[0:1]
	s_cbranch_execz .LBB250_217
; %bb.195:
	v_cmp_lt_i64_e32 vcc, 3, v[44:45]
	s_and_saveexec_b64 s[0:1], vcc
	s_xor_b64 s[0:1], exec, s[0:1]
	s_cbranch_execz .LBB250_205
; %bb.196:
	v_cmp_lt_i64_e32 vcc, 4, v[44:45]
	s_and_saveexec_b64 s[2:3], vcc
	s_xor_b64 s[2:3], exec, s[2:3]
	;; [unrolled: 5-line block ×3, first 2 shown]
	s_cbranch_execz .LBB250_199
; %bb.198:
	s_waitcnt lgkmcnt(12)
	v_mov_b32_e32 v0, 0
	s_waitcnt lgkmcnt(7)
	global_store_dwordx4 v0, v[32:35], s[46:47]
                                        ; implicit-def: $vgpr16_vgpr17_vgpr18_vgpr19
.LBB250_199:
	s_andn2_saveexec_b64 s[4:5], s[4:5]
	s_cbranch_execz .LBB250_201
; %bb.200:
	s_waitcnt lgkmcnt(12)
	v_mov_b32_e32 v0, 0
	s_waitcnt lgkmcnt(8)
	global_store_dwordx4 v0, v[16:19], s[46:47]
.LBB250_201:
	s_or_b64 exec, exec, s[4:5]
                                        ; implicit-def: $vgpr20_vgpr21_vgpr22_vgpr23
.LBB250_202:
	s_andn2_saveexec_b64 s[2:3], s[2:3]
	s_cbranch_execz .LBB250_204
; %bb.203:
	s_waitcnt lgkmcnt(12)
	v_mov_b32_e32 v0, 0
	s_waitcnt lgkmcnt(9)
	global_store_dwordx4 v0, v[20:23], s[46:47]
.LBB250_204:
	s_or_b64 exec, exec, s[2:3]
                                        ; implicit-def: $vgpr44_vgpr45
                                        ; implicit-def: $vgpr0_vgpr1_vgpr2_vgpr3
                                        ; implicit-def: $vgpr8_vgpr9_vgpr10_vgpr11
                                        ; implicit-def: $vgpr4_vgpr5_vgpr6_vgpr7
                                        ; implicit-def: $vgpr12_vgpr13_vgpr14_vgpr15
.LBB250_205:
	s_andn2_saveexec_b64 s[0:1], s[0:1]
	s_cbranch_execz .LBB250_217
; %bb.206:
	v_cmp_lt_i64_e32 vcc, 1, v[44:45]
	s_and_saveexec_b64 s[0:1], vcc
	s_xor_b64 s[0:1], exec, s[0:1]
	s_cbranch_execz .LBB250_212
; %bb.207:
	v_cmp_lt_i64_e32 vcc, 2, v[44:45]
	s_and_saveexec_b64 s[2:3], vcc
	s_xor_b64 s[2:3], exec, s[2:3]
	s_cbranch_execz .LBB250_209
; %bb.208:
	s_waitcnt lgkmcnt(12)
	v_mov_b32_e32 v0, 0
	s_waitcnt lgkmcnt(10)
	global_store_dwordx4 v0, v[12:15], s[46:47]
                                        ; implicit-def: $vgpr8_vgpr9_vgpr10_vgpr11
.LBB250_209:
	s_andn2_saveexec_b64 s[2:3], s[2:3]
	s_cbranch_execz .LBB250_211
; %bb.210:
	s_waitcnt lgkmcnt(12)
	v_mov_b32_e32 v0, 0
	s_waitcnt lgkmcnt(11)
	global_store_dwordx4 v0, v[8:11], s[46:47]
.LBB250_211:
	s_or_b64 exec, exec, s[2:3]
                                        ; implicit-def: $vgpr0_vgpr1_vgpr2_vgpr3
                                        ; implicit-def: $vgpr44_vgpr45
                                        ; implicit-def: $vgpr4_vgpr5_vgpr6_vgpr7
.LBB250_212:
	s_andn2_saveexec_b64 s[0:1], s[0:1]
	s_cbranch_execz .LBB250_217
; %bb.213:
	v_cmp_ne_u64_e32 vcc, 1, v[44:45]
	s_and_saveexec_b64 s[0:1], vcc
	s_xor_b64 s[0:1], exec, s[0:1]
	s_cbranch_execz .LBB250_215
; %bb.214:
	s_waitcnt lgkmcnt(12)
	v_mov_b32_e32 v0, 0
	global_store_dwordx4 v0, v[4:7], s[46:47]
                                        ; implicit-def: $vgpr0_vgpr1_vgpr2_vgpr3
.LBB250_215:
	s_andn2_saveexec_b64 s[0:1], s[0:1]
	s_cbranch_execz .LBB250_217
; %bb.216:
	s_waitcnt lgkmcnt(13)
	v_mov_b32_e32 v4, 0
	s_waitcnt lgkmcnt(12)
	global_store_dwordx4 v4, v[0:3], s[46:47]
.LBB250_217:
	s_endpgm
	.section	.rodata,"a",@progbits
	.p2align	6, 0x0
	.amdhsa_kernel _ZN7rocprim17ROCPRIM_400000_NS6detail17trampoline_kernelINS0_14default_configENS1_20scan_config_selectorIN3c107complexIdEEEEZZNS1_9scan_implILNS1_25lookback_scan_determinismE0ELb0ELb0ES3_PKS7_PS7_S7_ZZZN2at6native31launch_logcumsumexp_cuda_kernelERKNSE_10TensorBaseESI_lENKUlvE_clEvENKUlvE1_clEvEUlS7_S7_E_S7_EEDaPvRmT3_T4_T5_mT6_P12ihipStream_tbENKUlT_T0_E_clISt17integral_constantIbLb0EESY_IbLb1EEEEDaSU_SV_EUlSU_E_NS1_11comp_targetILNS1_3genE5ELNS1_11target_archE942ELNS1_3gpuE9ELNS1_3repE0EEENS1_30default_config_static_selectorELNS0_4arch9wavefront6targetE1EEEvT1_
		.amdhsa_group_segment_fixed_size 57344
		.amdhsa_private_segment_fixed_size 8
		.amdhsa_kernarg_size 128
		.amdhsa_user_sgpr_count 2
		.amdhsa_user_sgpr_dispatch_ptr 0
		.amdhsa_user_sgpr_queue_ptr 0
		.amdhsa_user_sgpr_kernarg_segment_ptr 1
		.amdhsa_user_sgpr_dispatch_id 0
		.amdhsa_user_sgpr_kernarg_preload_length 0
		.amdhsa_user_sgpr_kernarg_preload_offset 0
		.amdhsa_user_sgpr_private_segment_size 0
		.amdhsa_uses_dynamic_stack 0
		.amdhsa_enable_private_segment 1
		.amdhsa_system_sgpr_workgroup_id_x 1
		.amdhsa_system_sgpr_workgroup_id_y 0
		.amdhsa_system_sgpr_workgroup_id_z 0
		.amdhsa_system_sgpr_workgroup_info 0
		.amdhsa_system_vgpr_workitem_id 0
		.amdhsa_next_free_vgpr 167
		.amdhsa_next_free_sgpr 68
		.amdhsa_accum_offset 168
		.amdhsa_reserve_vcc 1
		.amdhsa_float_round_mode_32 0
		.amdhsa_float_round_mode_16_64 0
		.amdhsa_float_denorm_mode_32 3
		.amdhsa_float_denorm_mode_16_64 3
		.amdhsa_dx10_clamp 1
		.amdhsa_ieee_mode 1
		.amdhsa_fp16_overflow 0
		.amdhsa_tg_split 0
		.amdhsa_exception_fp_ieee_invalid_op 0
		.amdhsa_exception_fp_denorm_src 0
		.amdhsa_exception_fp_ieee_div_zero 0
		.amdhsa_exception_fp_ieee_overflow 0
		.amdhsa_exception_fp_ieee_underflow 0
		.amdhsa_exception_fp_ieee_inexact 0
		.amdhsa_exception_int_div_zero 0
	.end_amdhsa_kernel
	.section	.text._ZN7rocprim17ROCPRIM_400000_NS6detail17trampoline_kernelINS0_14default_configENS1_20scan_config_selectorIN3c107complexIdEEEEZZNS1_9scan_implILNS1_25lookback_scan_determinismE0ELb0ELb0ES3_PKS7_PS7_S7_ZZZN2at6native31launch_logcumsumexp_cuda_kernelERKNSE_10TensorBaseESI_lENKUlvE_clEvENKUlvE1_clEvEUlS7_S7_E_S7_EEDaPvRmT3_T4_T5_mT6_P12ihipStream_tbENKUlT_T0_E_clISt17integral_constantIbLb0EESY_IbLb1EEEEDaSU_SV_EUlSU_E_NS1_11comp_targetILNS1_3genE5ELNS1_11target_archE942ELNS1_3gpuE9ELNS1_3repE0EEENS1_30default_config_static_selectorELNS0_4arch9wavefront6targetE1EEEvT1_,"axG",@progbits,_ZN7rocprim17ROCPRIM_400000_NS6detail17trampoline_kernelINS0_14default_configENS1_20scan_config_selectorIN3c107complexIdEEEEZZNS1_9scan_implILNS1_25lookback_scan_determinismE0ELb0ELb0ES3_PKS7_PS7_S7_ZZZN2at6native31launch_logcumsumexp_cuda_kernelERKNSE_10TensorBaseESI_lENKUlvE_clEvENKUlvE1_clEvEUlS7_S7_E_S7_EEDaPvRmT3_T4_T5_mT6_P12ihipStream_tbENKUlT_T0_E_clISt17integral_constantIbLb0EESY_IbLb1EEEEDaSU_SV_EUlSU_E_NS1_11comp_targetILNS1_3genE5ELNS1_11target_archE942ELNS1_3gpuE9ELNS1_3repE0EEENS1_30default_config_static_selectorELNS0_4arch9wavefront6targetE1EEEvT1_,comdat
.Lfunc_end250:
	.size	_ZN7rocprim17ROCPRIM_400000_NS6detail17trampoline_kernelINS0_14default_configENS1_20scan_config_selectorIN3c107complexIdEEEEZZNS1_9scan_implILNS1_25lookback_scan_determinismE0ELb0ELb0ES3_PKS7_PS7_S7_ZZZN2at6native31launch_logcumsumexp_cuda_kernelERKNSE_10TensorBaseESI_lENKUlvE_clEvENKUlvE1_clEvEUlS7_S7_E_S7_EEDaPvRmT3_T4_T5_mT6_P12ihipStream_tbENKUlT_T0_E_clISt17integral_constantIbLb0EESY_IbLb1EEEEDaSU_SV_EUlSU_E_NS1_11comp_targetILNS1_3genE5ELNS1_11target_archE942ELNS1_3gpuE9ELNS1_3repE0EEENS1_30default_config_static_selectorELNS0_4arch9wavefront6targetE1EEEvT1_, .Lfunc_end250-_ZN7rocprim17ROCPRIM_400000_NS6detail17trampoline_kernelINS0_14default_configENS1_20scan_config_selectorIN3c107complexIdEEEEZZNS1_9scan_implILNS1_25lookback_scan_determinismE0ELb0ELb0ES3_PKS7_PS7_S7_ZZZN2at6native31launch_logcumsumexp_cuda_kernelERKNSE_10TensorBaseESI_lENKUlvE_clEvENKUlvE1_clEvEUlS7_S7_E_S7_EEDaPvRmT3_T4_T5_mT6_P12ihipStream_tbENKUlT_T0_E_clISt17integral_constantIbLb0EESY_IbLb1EEEEDaSU_SV_EUlSU_E_NS1_11comp_targetILNS1_3genE5ELNS1_11target_archE942ELNS1_3gpuE9ELNS1_3repE0EEENS1_30default_config_static_selectorELNS0_4arch9wavefront6targetE1EEEvT1_
                                        ; -- End function
	.section	.AMDGPU.csdata,"",@progbits
; Kernel info:
; codeLenInByte = 10904
; NumSgprs: 74
; NumVgprs: 167
; NumAgprs: 0
; TotalNumVgprs: 167
; ScratchSize: 8
; MemoryBound: 1
; FloatMode: 240
; IeeeMode: 1
; LDSByteSize: 57344 bytes/workgroup (compile time only)
; SGPRBlocks: 9
; VGPRBlocks: 20
; NumSGPRsForWavesPerEU: 74
; NumVGPRsForWavesPerEU: 167
; AccumOffset: 168
; Occupancy: 1
; WaveLimiterHint : 1
; COMPUTE_PGM_RSRC2:SCRATCH_EN: 1
; COMPUTE_PGM_RSRC2:USER_SGPR: 2
; COMPUTE_PGM_RSRC2:TRAP_HANDLER: 0
; COMPUTE_PGM_RSRC2:TGID_X_EN: 1
; COMPUTE_PGM_RSRC2:TGID_Y_EN: 0
; COMPUTE_PGM_RSRC2:TGID_Z_EN: 0
; COMPUTE_PGM_RSRC2:TIDIG_COMP_CNT: 0
; COMPUTE_PGM_RSRC3_GFX90A:ACCUM_OFFSET: 41
; COMPUTE_PGM_RSRC3_GFX90A:TG_SPLIT: 0
	.section	.text._ZN7rocprim17ROCPRIM_400000_NS6detail17trampoline_kernelINS0_14default_configENS1_20scan_config_selectorIN3c107complexIdEEEEZZNS1_9scan_implILNS1_25lookback_scan_determinismE0ELb0ELb0ES3_PKS7_PS7_S7_ZZZN2at6native31launch_logcumsumexp_cuda_kernelERKNSE_10TensorBaseESI_lENKUlvE_clEvENKUlvE1_clEvEUlS7_S7_E_S7_EEDaPvRmT3_T4_T5_mT6_P12ihipStream_tbENKUlT_T0_E_clISt17integral_constantIbLb0EESY_IbLb1EEEEDaSU_SV_EUlSU_E_NS1_11comp_targetILNS1_3genE4ELNS1_11target_archE910ELNS1_3gpuE8ELNS1_3repE0EEENS1_30default_config_static_selectorELNS0_4arch9wavefront6targetE1EEEvT1_,"axG",@progbits,_ZN7rocprim17ROCPRIM_400000_NS6detail17trampoline_kernelINS0_14default_configENS1_20scan_config_selectorIN3c107complexIdEEEEZZNS1_9scan_implILNS1_25lookback_scan_determinismE0ELb0ELb0ES3_PKS7_PS7_S7_ZZZN2at6native31launch_logcumsumexp_cuda_kernelERKNSE_10TensorBaseESI_lENKUlvE_clEvENKUlvE1_clEvEUlS7_S7_E_S7_EEDaPvRmT3_T4_T5_mT6_P12ihipStream_tbENKUlT_T0_E_clISt17integral_constantIbLb0EESY_IbLb1EEEEDaSU_SV_EUlSU_E_NS1_11comp_targetILNS1_3genE4ELNS1_11target_archE910ELNS1_3gpuE8ELNS1_3repE0EEENS1_30default_config_static_selectorELNS0_4arch9wavefront6targetE1EEEvT1_,comdat
	.globl	_ZN7rocprim17ROCPRIM_400000_NS6detail17trampoline_kernelINS0_14default_configENS1_20scan_config_selectorIN3c107complexIdEEEEZZNS1_9scan_implILNS1_25lookback_scan_determinismE0ELb0ELb0ES3_PKS7_PS7_S7_ZZZN2at6native31launch_logcumsumexp_cuda_kernelERKNSE_10TensorBaseESI_lENKUlvE_clEvENKUlvE1_clEvEUlS7_S7_E_S7_EEDaPvRmT3_T4_T5_mT6_P12ihipStream_tbENKUlT_T0_E_clISt17integral_constantIbLb0EESY_IbLb1EEEEDaSU_SV_EUlSU_E_NS1_11comp_targetILNS1_3genE4ELNS1_11target_archE910ELNS1_3gpuE8ELNS1_3repE0EEENS1_30default_config_static_selectorELNS0_4arch9wavefront6targetE1EEEvT1_ ; -- Begin function _ZN7rocprim17ROCPRIM_400000_NS6detail17trampoline_kernelINS0_14default_configENS1_20scan_config_selectorIN3c107complexIdEEEEZZNS1_9scan_implILNS1_25lookback_scan_determinismE0ELb0ELb0ES3_PKS7_PS7_S7_ZZZN2at6native31launch_logcumsumexp_cuda_kernelERKNSE_10TensorBaseESI_lENKUlvE_clEvENKUlvE1_clEvEUlS7_S7_E_S7_EEDaPvRmT3_T4_T5_mT6_P12ihipStream_tbENKUlT_T0_E_clISt17integral_constantIbLb0EESY_IbLb1EEEEDaSU_SV_EUlSU_E_NS1_11comp_targetILNS1_3genE4ELNS1_11target_archE910ELNS1_3gpuE8ELNS1_3repE0EEENS1_30default_config_static_selectorELNS0_4arch9wavefront6targetE1EEEvT1_
	.p2align	8
	.type	_ZN7rocprim17ROCPRIM_400000_NS6detail17trampoline_kernelINS0_14default_configENS1_20scan_config_selectorIN3c107complexIdEEEEZZNS1_9scan_implILNS1_25lookback_scan_determinismE0ELb0ELb0ES3_PKS7_PS7_S7_ZZZN2at6native31launch_logcumsumexp_cuda_kernelERKNSE_10TensorBaseESI_lENKUlvE_clEvENKUlvE1_clEvEUlS7_S7_E_S7_EEDaPvRmT3_T4_T5_mT6_P12ihipStream_tbENKUlT_T0_E_clISt17integral_constantIbLb0EESY_IbLb1EEEEDaSU_SV_EUlSU_E_NS1_11comp_targetILNS1_3genE4ELNS1_11target_archE910ELNS1_3gpuE8ELNS1_3repE0EEENS1_30default_config_static_selectorELNS0_4arch9wavefront6targetE1EEEvT1_,@function
_ZN7rocprim17ROCPRIM_400000_NS6detail17trampoline_kernelINS0_14default_configENS1_20scan_config_selectorIN3c107complexIdEEEEZZNS1_9scan_implILNS1_25lookback_scan_determinismE0ELb0ELb0ES3_PKS7_PS7_S7_ZZZN2at6native31launch_logcumsumexp_cuda_kernelERKNSE_10TensorBaseESI_lENKUlvE_clEvENKUlvE1_clEvEUlS7_S7_E_S7_EEDaPvRmT3_T4_T5_mT6_P12ihipStream_tbENKUlT_T0_E_clISt17integral_constantIbLb0EESY_IbLb1EEEEDaSU_SV_EUlSU_E_NS1_11comp_targetILNS1_3genE4ELNS1_11target_archE910ELNS1_3gpuE8ELNS1_3repE0EEENS1_30default_config_static_selectorELNS0_4arch9wavefront6targetE1EEEvT1_: ; @_ZN7rocprim17ROCPRIM_400000_NS6detail17trampoline_kernelINS0_14default_configENS1_20scan_config_selectorIN3c107complexIdEEEEZZNS1_9scan_implILNS1_25lookback_scan_determinismE0ELb0ELb0ES3_PKS7_PS7_S7_ZZZN2at6native31launch_logcumsumexp_cuda_kernelERKNSE_10TensorBaseESI_lENKUlvE_clEvENKUlvE1_clEvEUlS7_S7_E_S7_EEDaPvRmT3_T4_T5_mT6_P12ihipStream_tbENKUlT_T0_E_clISt17integral_constantIbLb0EESY_IbLb1EEEEDaSU_SV_EUlSU_E_NS1_11comp_targetILNS1_3genE4ELNS1_11target_archE910ELNS1_3gpuE8ELNS1_3repE0EEENS1_30default_config_static_selectorELNS0_4arch9wavefront6targetE1EEEvT1_
; %bb.0:
	.section	.rodata,"a",@progbits
	.p2align	6, 0x0
	.amdhsa_kernel _ZN7rocprim17ROCPRIM_400000_NS6detail17trampoline_kernelINS0_14default_configENS1_20scan_config_selectorIN3c107complexIdEEEEZZNS1_9scan_implILNS1_25lookback_scan_determinismE0ELb0ELb0ES3_PKS7_PS7_S7_ZZZN2at6native31launch_logcumsumexp_cuda_kernelERKNSE_10TensorBaseESI_lENKUlvE_clEvENKUlvE1_clEvEUlS7_S7_E_S7_EEDaPvRmT3_T4_T5_mT6_P12ihipStream_tbENKUlT_T0_E_clISt17integral_constantIbLb0EESY_IbLb1EEEEDaSU_SV_EUlSU_E_NS1_11comp_targetILNS1_3genE4ELNS1_11target_archE910ELNS1_3gpuE8ELNS1_3repE0EEENS1_30default_config_static_selectorELNS0_4arch9wavefront6targetE1EEEvT1_
		.amdhsa_group_segment_fixed_size 0
		.amdhsa_private_segment_fixed_size 0
		.amdhsa_kernarg_size 128
		.amdhsa_user_sgpr_count 2
		.amdhsa_user_sgpr_dispatch_ptr 0
		.amdhsa_user_sgpr_queue_ptr 0
		.amdhsa_user_sgpr_kernarg_segment_ptr 1
		.amdhsa_user_sgpr_dispatch_id 0
		.amdhsa_user_sgpr_kernarg_preload_length 0
		.amdhsa_user_sgpr_kernarg_preload_offset 0
		.amdhsa_user_sgpr_private_segment_size 0
		.amdhsa_uses_dynamic_stack 0
		.amdhsa_enable_private_segment 0
		.amdhsa_system_sgpr_workgroup_id_x 1
		.amdhsa_system_sgpr_workgroup_id_y 0
		.amdhsa_system_sgpr_workgroup_id_z 0
		.amdhsa_system_sgpr_workgroup_info 0
		.amdhsa_system_vgpr_workitem_id 0
		.amdhsa_next_free_vgpr 1
		.amdhsa_next_free_sgpr 0
		.amdhsa_accum_offset 4
		.amdhsa_reserve_vcc 0
		.amdhsa_float_round_mode_32 0
		.amdhsa_float_round_mode_16_64 0
		.amdhsa_float_denorm_mode_32 3
		.amdhsa_float_denorm_mode_16_64 3
		.amdhsa_dx10_clamp 1
		.amdhsa_ieee_mode 1
		.amdhsa_fp16_overflow 0
		.amdhsa_tg_split 0
		.amdhsa_exception_fp_ieee_invalid_op 0
		.amdhsa_exception_fp_denorm_src 0
		.amdhsa_exception_fp_ieee_div_zero 0
		.amdhsa_exception_fp_ieee_overflow 0
		.amdhsa_exception_fp_ieee_underflow 0
		.amdhsa_exception_fp_ieee_inexact 0
		.amdhsa_exception_int_div_zero 0
	.end_amdhsa_kernel
	.section	.text._ZN7rocprim17ROCPRIM_400000_NS6detail17trampoline_kernelINS0_14default_configENS1_20scan_config_selectorIN3c107complexIdEEEEZZNS1_9scan_implILNS1_25lookback_scan_determinismE0ELb0ELb0ES3_PKS7_PS7_S7_ZZZN2at6native31launch_logcumsumexp_cuda_kernelERKNSE_10TensorBaseESI_lENKUlvE_clEvENKUlvE1_clEvEUlS7_S7_E_S7_EEDaPvRmT3_T4_T5_mT6_P12ihipStream_tbENKUlT_T0_E_clISt17integral_constantIbLb0EESY_IbLb1EEEEDaSU_SV_EUlSU_E_NS1_11comp_targetILNS1_3genE4ELNS1_11target_archE910ELNS1_3gpuE8ELNS1_3repE0EEENS1_30default_config_static_selectorELNS0_4arch9wavefront6targetE1EEEvT1_,"axG",@progbits,_ZN7rocprim17ROCPRIM_400000_NS6detail17trampoline_kernelINS0_14default_configENS1_20scan_config_selectorIN3c107complexIdEEEEZZNS1_9scan_implILNS1_25lookback_scan_determinismE0ELb0ELb0ES3_PKS7_PS7_S7_ZZZN2at6native31launch_logcumsumexp_cuda_kernelERKNSE_10TensorBaseESI_lENKUlvE_clEvENKUlvE1_clEvEUlS7_S7_E_S7_EEDaPvRmT3_T4_T5_mT6_P12ihipStream_tbENKUlT_T0_E_clISt17integral_constantIbLb0EESY_IbLb1EEEEDaSU_SV_EUlSU_E_NS1_11comp_targetILNS1_3genE4ELNS1_11target_archE910ELNS1_3gpuE8ELNS1_3repE0EEENS1_30default_config_static_selectorELNS0_4arch9wavefront6targetE1EEEvT1_,comdat
.Lfunc_end251:
	.size	_ZN7rocprim17ROCPRIM_400000_NS6detail17trampoline_kernelINS0_14default_configENS1_20scan_config_selectorIN3c107complexIdEEEEZZNS1_9scan_implILNS1_25lookback_scan_determinismE0ELb0ELb0ES3_PKS7_PS7_S7_ZZZN2at6native31launch_logcumsumexp_cuda_kernelERKNSE_10TensorBaseESI_lENKUlvE_clEvENKUlvE1_clEvEUlS7_S7_E_S7_EEDaPvRmT3_T4_T5_mT6_P12ihipStream_tbENKUlT_T0_E_clISt17integral_constantIbLb0EESY_IbLb1EEEEDaSU_SV_EUlSU_E_NS1_11comp_targetILNS1_3genE4ELNS1_11target_archE910ELNS1_3gpuE8ELNS1_3repE0EEENS1_30default_config_static_selectorELNS0_4arch9wavefront6targetE1EEEvT1_, .Lfunc_end251-_ZN7rocprim17ROCPRIM_400000_NS6detail17trampoline_kernelINS0_14default_configENS1_20scan_config_selectorIN3c107complexIdEEEEZZNS1_9scan_implILNS1_25lookback_scan_determinismE0ELb0ELb0ES3_PKS7_PS7_S7_ZZZN2at6native31launch_logcumsumexp_cuda_kernelERKNSE_10TensorBaseESI_lENKUlvE_clEvENKUlvE1_clEvEUlS7_S7_E_S7_EEDaPvRmT3_T4_T5_mT6_P12ihipStream_tbENKUlT_T0_E_clISt17integral_constantIbLb0EESY_IbLb1EEEEDaSU_SV_EUlSU_E_NS1_11comp_targetILNS1_3genE4ELNS1_11target_archE910ELNS1_3gpuE8ELNS1_3repE0EEENS1_30default_config_static_selectorELNS0_4arch9wavefront6targetE1EEEvT1_
                                        ; -- End function
	.section	.AMDGPU.csdata,"",@progbits
; Kernel info:
; codeLenInByte = 0
; NumSgprs: 6
; NumVgprs: 0
; NumAgprs: 0
; TotalNumVgprs: 0
; ScratchSize: 0
; MemoryBound: 0
; FloatMode: 240
; IeeeMode: 1
; LDSByteSize: 0 bytes/workgroup (compile time only)
; SGPRBlocks: 0
; VGPRBlocks: 0
; NumSGPRsForWavesPerEU: 6
; NumVGPRsForWavesPerEU: 1
; AccumOffset: 4
; Occupancy: 8
; WaveLimiterHint : 0
; COMPUTE_PGM_RSRC2:SCRATCH_EN: 0
; COMPUTE_PGM_RSRC2:USER_SGPR: 2
; COMPUTE_PGM_RSRC2:TRAP_HANDLER: 0
; COMPUTE_PGM_RSRC2:TGID_X_EN: 1
; COMPUTE_PGM_RSRC2:TGID_Y_EN: 0
; COMPUTE_PGM_RSRC2:TGID_Z_EN: 0
; COMPUTE_PGM_RSRC2:TIDIG_COMP_CNT: 0
; COMPUTE_PGM_RSRC3_GFX90A:ACCUM_OFFSET: 0
; COMPUTE_PGM_RSRC3_GFX90A:TG_SPLIT: 0
	.section	.text._ZN7rocprim17ROCPRIM_400000_NS6detail17trampoline_kernelINS0_14default_configENS1_20scan_config_selectorIN3c107complexIdEEEEZZNS1_9scan_implILNS1_25lookback_scan_determinismE0ELb0ELb0ES3_PKS7_PS7_S7_ZZZN2at6native31launch_logcumsumexp_cuda_kernelERKNSE_10TensorBaseESI_lENKUlvE_clEvENKUlvE1_clEvEUlS7_S7_E_S7_EEDaPvRmT3_T4_T5_mT6_P12ihipStream_tbENKUlT_T0_E_clISt17integral_constantIbLb0EESY_IbLb1EEEEDaSU_SV_EUlSU_E_NS1_11comp_targetILNS1_3genE3ELNS1_11target_archE908ELNS1_3gpuE7ELNS1_3repE0EEENS1_30default_config_static_selectorELNS0_4arch9wavefront6targetE1EEEvT1_,"axG",@progbits,_ZN7rocprim17ROCPRIM_400000_NS6detail17trampoline_kernelINS0_14default_configENS1_20scan_config_selectorIN3c107complexIdEEEEZZNS1_9scan_implILNS1_25lookback_scan_determinismE0ELb0ELb0ES3_PKS7_PS7_S7_ZZZN2at6native31launch_logcumsumexp_cuda_kernelERKNSE_10TensorBaseESI_lENKUlvE_clEvENKUlvE1_clEvEUlS7_S7_E_S7_EEDaPvRmT3_T4_T5_mT6_P12ihipStream_tbENKUlT_T0_E_clISt17integral_constantIbLb0EESY_IbLb1EEEEDaSU_SV_EUlSU_E_NS1_11comp_targetILNS1_3genE3ELNS1_11target_archE908ELNS1_3gpuE7ELNS1_3repE0EEENS1_30default_config_static_selectorELNS0_4arch9wavefront6targetE1EEEvT1_,comdat
	.globl	_ZN7rocprim17ROCPRIM_400000_NS6detail17trampoline_kernelINS0_14default_configENS1_20scan_config_selectorIN3c107complexIdEEEEZZNS1_9scan_implILNS1_25lookback_scan_determinismE0ELb0ELb0ES3_PKS7_PS7_S7_ZZZN2at6native31launch_logcumsumexp_cuda_kernelERKNSE_10TensorBaseESI_lENKUlvE_clEvENKUlvE1_clEvEUlS7_S7_E_S7_EEDaPvRmT3_T4_T5_mT6_P12ihipStream_tbENKUlT_T0_E_clISt17integral_constantIbLb0EESY_IbLb1EEEEDaSU_SV_EUlSU_E_NS1_11comp_targetILNS1_3genE3ELNS1_11target_archE908ELNS1_3gpuE7ELNS1_3repE0EEENS1_30default_config_static_selectorELNS0_4arch9wavefront6targetE1EEEvT1_ ; -- Begin function _ZN7rocprim17ROCPRIM_400000_NS6detail17trampoline_kernelINS0_14default_configENS1_20scan_config_selectorIN3c107complexIdEEEEZZNS1_9scan_implILNS1_25lookback_scan_determinismE0ELb0ELb0ES3_PKS7_PS7_S7_ZZZN2at6native31launch_logcumsumexp_cuda_kernelERKNSE_10TensorBaseESI_lENKUlvE_clEvENKUlvE1_clEvEUlS7_S7_E_S7_EEDaPvRmT3_T4_T5_mT6_P12ihipStream_tbENKUlT_T0_E_clISt17integral_constantIbLb0EESY_IbLb1EEEEDaSU_SV_EUlSU_E_NS1_11comp_targetILNS1_3genE3ELNS1_11target_archE908ELNS1_3gpuE7ELNS1_3repE0EEENS1_30default_config_static_selectorELNS0_4arch9wavefront6targetE1EEEvT1_
	.p2align	8
	.type	_ZN7rocprim17ROCPRIM_400000_NS6detail17trampoline_kernelINS0_14default_configENS1_20scan_config_selectorIN3c107complexIdEEEEZZNS1_9scan_implILNS1_25lookback_scan_determinismE0ELb0ELb0ES3_PKS7_PS7_S7_ZZZN2at6native31launch_logcumsumexp_cuda_kernelERKNSE_10TensorBaseESI_lENKUlvE_clEvENKUlvE1_clEvEUlS7_S7_E_S7_EEDaPvRmT3_T4_T5_mT6_P12ihipStream_tbENKUlT_T0_E_clISt17integral_constantIbLb0EESY_IbLb1EEEEDaSU_SV_EUlSU_E_NS1_11comp_targetILNS1_3genE3ELNS1_11target_archE908ELNS1_3gpuE7ELNS1_3repE0EEENS1_30default_config_static_selectorELNS0_4arch9wavefront6targetE1EEEvT1_,@function
_ZN7rocprim17ROCPRIM_400000_NS6detail17trampoline_kernelINS0_14default_configENS1_20scan_config_selectorIN3c107complexIdEEEEZZNS1_9scan_implILNS1_25lookback_scan_determinismE0ELb0ELb0ES3_PKS7_PS7_S7_ZZZN2at6native31launch_logcumsumexp_cuda_kernelERKNSE_10TensorBaseESI_lENKUlvE_clEvENKUlvE1_clEvEUlS7_S7_E_S7_EEDaPvRmT3_T4_T5_mT6_P12ihipStream_tbENKUlT_T0_E_clISt17integral_constantIbLb0EESY_IbLb1EEEEDaSU_SV_EUlSU_E_NS1_11comp_targetILNS1_3genE3ELNS1_11target_archE908ELNS1_3gpuE7ELNS1_3repE0EEENS1_30default_config_static_selectorELNS0_4arch9wavefront6targetE1EEEvT1_: ; @_ZN7rocprim17ROCPRIM_400000_NS6detail17trampoline_kernelINS0_14default_configENS1_20scan_config_selectorIN3c107complexIdEEEEZZNS1_9scan_implILNS1_25lookback_scan_determinismE0ELb0ELb0ES3_PKS7_PS7_S7_ZZZN2at6native31launch_logcumsumexp_cuda_kernelERKNSE_10TensorBaseESI_lENKUlvE_clEvENKUlvE1_clEvEUlS7_S7_E_S7_EEDaPvRmT3_T4_T5_mT6_P12ihipStream_tbENKUlT_T0_E_clISt17integral_constantIbLb0EESY_IbLb1EEEEDaSU_SV_EUlSU_E_NS1_11comp_targetILNS1_3genE3ELNS1_11target_archE908ELNS1_3gpuE7ELNS1_3repE0EEENS1_30default_config_static_selectorELNS0_4arch9wavefront6targetE1EEEvT1_
; %bb.0:
	.section	.rodata,"a",@progbits
	.p2align	6, 0x0
	.amdhsa_kernel _ZN7rocprim17ROCPRIM_400000_NS6detail17trampoline_kernelINS0_14default_configENS1_20scan_config_selectorIN3c107complexIdEEEEZZNS1_9scan_implILNS1_25lookback_scan_determinismE0ELb0ELb0ES3_PKS7_PS7_S7_ZZZN2at6native31launch_logcumsumexp_cuda_kernelERKNSE_10TensorBaseESI_lENKUlvE_clEvENKUlvE1_clEvEUlS7_S7_E_S7_EEDaPvRmT3_T4_T5_mT6_P12ihipStream_tbENKUlT_T0_E_clISt17integral_constantIbLb0EESY_IbLb1EEEEDaSU_SV_EUlSU_E_NS1_11comp_targetILNS1_3genE3ELNS1_11target_archE908ELNS1_3gpuE7ELNS1_3repE0EEENS1_30default_config_static_selectorELNS0_4arch9wavefront6targetE1EEEvT1_
		.amdhsa_group_segment_fixed_size 0
		.amdhsa_private_segment_fixed_size 0
		.amdhsa_kernarg_size 128
		.amdhsa_user_sgpr_count 2
		.amdhsa_user_sgpr_dispatch_ptr 0
		.amdhsa_user_sgpr_queue_ptr 0
		.amdhsa_user_sgpr_kernarg_segment_ptr 1
		.amdhsa_user_sgpr_dispatch_id 0
		.amdhsa_user_sgpr_kernarg_preload_length 0
		.amdhsa_user_sgpr_kernarg_preload_offset 0
		.amdhsa_user_sgpr_private_segment_size 0
		.amdhsa_uses_dynamic_stack 0
		.amdhsa_enable_private_segment 0
		.amdhsa_system_sgpr_workgroup_id_x 1
		.amdhsa_system_sgpr_workgroup_id_y 0
		.amdhsa_system_sgpr_workgroup_id_z 0
		.amdhsa_system_sgpr_workgroup_info 0
		.amdhsa_system_vgpr_workitem_id 0
		.amdhsa_next_free_vgpr 1
		.amdhsa_next_free_sgpr 0
		.amdhsa_accum_offset 4
		.amdhsa_reserve_vcc 0
		.amdhsa_float_round_mode_32 0
		.amdhsa_float_round_mode_16_64 0
		.amdhsa_float_denorm_mode_32 3
		.amdhsa_float_denorm_mode_16_64 3
		.amdhsa_dx10_clamp 1
		.amdhsa_ieee_mode 1
		.amdhsa_fp16_overflow 0
		.amdhsa_tg_split 0
		.amdhsa_exception_fp_ieee_invalid_op 0
		.amdhsa_exception_fp_denorm_src 0
		.amdhsa_exception_fp_ieee_div_zero 0
		.amdhsa_exception_fp_ieee_overflow 0
		.amdhsa_exception_fp_ieee_underflow 0
		.amdhsa_exception_fp_ieee_inexact 0
		.amdhsa_exception_int_div_zero 0
	.end_amdhsa_kernel
	.section	.text._ZN7rocprim17ROCPRIM_400000_NS6detail17trampoline_kernelINS0_14default_configENS1_20scan_config_selectorIN3c107complexIdEEEEZZNS1_9scan_implILNS1_25lookback_scan_determinismE0ELb0ELb0ES3_PKS7_PS7_S7_ZZZN2at6native31launch_logcumsumexp_cuda_kernelERKNSE_10TensorBaseESI_lENKUlvE_clEvENKUlvE1_clEvEUlS7_S7_E_S7_EEDaPvRmT3_T4_T5_mT6_P12ihipStream_tbENKUlT_T0_E_clISt17integral_constantIbLb0EESY_IbLb1EEEEDaSU_SV_EUlSU_E_NS1_11comp_targetILNS1_3genE3ELNS1_11target_archE908ELNS1_3gpuE7ELNS1_3repE0EEENS1_30default_config_static_selectorELNS0_4arch9wavefront6targetE1EEEvT1_,"axG",@progbits,_ZN7rocprim17ROCPRIM_400000_NS6detail17trampoline_kernelINS0_14default_configENS1_20scan_config_selectorIN3c107complexIdEEEEZZNS1_9scan_implILNS1_25lookback_scan_determinismE0ELb0ELb0ES3_PKS7_PS7_S7_ZZZN2at6native31launch_logcumsumexp_cuda_kernelERKNSE_10TensorBaseESI_lENKUlvE_clEvENKUlvE1_clEvEUlS7_S7_E_S7_EEDaPvRmT3_T4_T5_mT6_P12ihipStream_tbENKUlT_T0_E_clISt17integral_constantIbLb0EESY_IbLb1EEEEDaSU_SV_EUlSU_E_NS1_11comp_targetILNS1_3genE3ELNS1_11target_archE908ELNS1_3gpuE7ELNS1_3repE0EEENS1_30default_config_static_selectorELNS0_4arch9wavefront6targetE1EEEvT1_,comdat
.Lfunc_end252:
	.size	_ZN7rocprim17ROCPRIM_400000_NS6detail17trampoline_kernelINS0_14default_configENS1_20scan_config_selectorIN3c107complexIdEEEEZZNS1_9scan_implILNS1_25lookback_scan_determinismE0ELb0ELb0ES3_PKS7_PS7_S7_ZZZN2at6native31launch_logcumsumexp_cuda_kernelERKNSE_10TensorBaseESI_lENKUlvE_clEvENKUlvE1_clEvEUlS7_S7_E_S7_EEDaPvRmT3_T4_T5_mT6_P12ihipStream_tbENKUlT_T0_E_clISt17integral_constantIbLb0EESY_IbLb1EEEEDaSU_SV_EUlSU_E_NS1_11comp_targetILNS1_3genE3ELNS1_11target_archE908ELNS1_3gpuE7ELNS1_3repE0EEENS1_30default_config_static_selectorELNS0_4arch9wavefront6targetE1EEEvT1_, .Lfunc_end252-_ZN7rocprim17ROCPRIM_400000_NS6detail17trampoline_kernelINS0_14default_configENS1_20scan_config_selectorIN3c107complexIdEEEEZZNS1_9scan_implILNS1_25lookback_scan_determinismE0ELb0ELb0ES3_PKS7_PS7_S7_ZZZN2at6native31launch_logcumsumexp_cuda_kernelERKNSE_10TensorBaseESI_lENKUlvE_clEvENKUlvE1_clEvEUlS7_S7_E_S7_EEDaPvRmT3_T4_T5_mT6_P12ihipStream_tbENKUlT_T0_E_clISt17integral_constantIbLb0EESY_IbLb1EEEEDaSU_SV_EUlSU_E_NS1_11comp_targetILNS1_3genE3ELNS1_11target_archE908ELNS1_3gpuE7ELNS1_3repE0EEENS1_30default_config_static_selectorELNS0_4arch9wavefront6targetE1EEEvT1_
                                        ; -- End function
	.section	.AMDGPU.csdata,"",@progbits
; Kernel info:
; codeLenInByte = 0
; NumSgprs: 6
; NumVgprs: 0
; NumAgprs: 0
; TotalNumVgprs: 0
; ScratchSize: 0
; MemoryBound: 0
; FloatMode: 240
; IeeeMode: 1
; LDSByteSize: 0 bytes/workgroup (compile time only)
; SGPRBlocks: 0
; VGPRBlocks: 0
; NumSGPRsForWavesPerEU: 6
; NumVGPRsForWavesPerEU: 1
; AccumOffset: 4
; Occupancy: 8
; WaveLimiterHint : 0
; COMPUTE_PGM_RSRC2:SCRATCH_EN: 0
; COMPUTE_PGM_RSRC2:USER_SGPR: 2
; COMPUTE_PGM_RSRC2:TRAP_HANDLER: 0
; COMPUTE_PGM_RSRC2:TGID_X_EN: 1
; COMPUTE_PGM_RSRC2:TGID_Y_EN: 0
; COMPUTE_PGM_RSRC2:TGID_Z_EN: 0
; COMPUTE_PGM_RSRC2:TIDIG_COMP_CNT: 0
; COMPUTE_PGM_RSRC3_GFX90A:ACCUM_OFFSET: 0
; COMPUTE_PGM_RSRC3_GFX90A:TG_SPLIT: 0
	.section	.text._ZN7rocprim17ROCPRIM_400000_NS6detail17trampoline_kernelINS0_14default_configENS1_20scan_config_selectorIN3c107complexIdEEEEZZNS1_9scan_implILNS1_25lookback_scan_determinismE0ELb0ELb0ES3_PKS7_PS7_S7_ZZZN2at6native31launch_logcumsumexp_cuda_kernelERKNSE_10TensorBaseESI_lENKUlvE_clEvENKUlvE1_clEvEUlS7_S7_E_S7_EEDaPvRmT3_T4_T5_mT6_P12ihipStream_tbENKUlT_T0_E_clISt17integral_constantIbLb0EESY_IbLb1EEEEDaSU_SV_EUlSU_E_NS1_11comp_targetILNS1_3genE2ELNS1_11target_archE906ELNS1_3gpuE6ELNS1_3repE0EEENS1_30default_config_static_selectorELNS0_4arch9wavefront6targetE1EEEvT1_,"axG",@progbits,_ZN7rocprim17ROCPRIM_400000_NS6detail17trampoline_kernelINS0_14default_configENS1_20scan_config_selectorIN3c107complexIdEEEEZZNS1_9scan_implILNS1_25lookback_scan_determinismE0ELb0ELb0ES3_PKS7_PS7_S7_ZZZN2at6native31launch_logcumsumexp_cuda_kernelERKNSE_10TensorBaseESI_lENKUlvE_clEvENKUlvE1_clEvEUlS7_S7_E_S7_EEDaPvRmT3_T4_T5_mT6_P12ihipStream_tbENKUlT_T0_E_clISt17integral_constantIbLb0EESY_IbLb1EEEEDaSU_SV_EUlSU_E_NS1_11comp_targetILNS1_3genE2ELNS1_11target_archE906ELNS1_3gpuE6ELNS1_3repE0EEENS1_30default_config_static_selectorELNS0_4arch9wavefront6targetE1EEEvT1_,comdat
	.globl	_ZN7rocprim17ROCPRIM_400000_NS6detail17trampoline_kernelINS0_14default_configENS1_20scan_config_selectorIN3c107complexIdEEEEZZNS1_9scan_implILNS1_25lookback_scan_determinismE0ELb0ELb0ES3_PKS7_PS7_S7_ZZZN2at6native31launch_logcumsumexp_cuda_kernelERKNSE_10TensorBaseESI_lENKUlvE_clEvENKUlvE1_clEvEUlS7_S7_E_S7_EEDaPvRmT3_T4_T5_mT6_P12ihipStream_tbENKUlT_T0_E_clISt17integral_constantIbLb0EESY_IbLb1EEEEDaSU_SV_EUlSU_E_NS1_11comp_targetILNS1_3genE2ELNS1_11target_archE906ELNS1_3gpuE6ELNS1_3repE0EEENS1_30default_config_static_selectorELNS0_4arch9wavefront6targetE1EEEvT1_ ; -- Begin function _ZN7rocprim17ROCPRIM_400000_NS6detail17trampoline_kernelINS0_14default_configENS1_20scan_config_selectorIN3c107complexIdEEEEZZNS1_9scan_implILNS1_25lookback_scan_determinismE0ELb0ELb0ES3_PKS7_PS7_S7_ZZZN2at6native31launch_logcumsumexp_cuda_kernelERKNSE_10TensorBaseESI_lENKUlvE_clEvENKUlvE1_clEvEUlS7_S7_E_S7_EEDaPvRmT3_T4_T5_mT6_P12ihipStream_tbENKUlT_T0_E_clISt17integral_constantIbLb0EESY_IbLb1EEEEDaSU_SV_EUlSU_E_NS1_11comp_targetILNS1_3genE2ELNS1_11target_archE906ELNS1_3gpuE6ELNS1_3repE0EEENS1_30default_config_static_selectorELNS0_4arch9wavefront6targetE1EEEvT1_
	.p2align	8
	.type	_ZN7rocprim17ROCPRIM_400000_NS6detail17trampoline_kernelINS0_14default_configENS1_20scan_config_selectorIN3c107complexIdEEEEZZNS1_9scan_implILNS1_25lookback_scan_determinismE0ELb0ELb0ES3_PKS7_PS7_S7_ZZZN2at6native31launch_logcumsumexp_cuda_kernelERKNSE_10TensorBaseESI_lENKUlvE_clEvENKUlvE1_clEvEUlS7_S7_E_S7_EEDaPvRmT3_T4_T5_mT6_P12ihipStream_tbENKUlT_T0_E_clISt17integral_constantIbLb0EESY_IbLb1EEEEDaSU_SV_EUlSU_E_NS1_11comp_targetILNS1_3genE2ELNS1_11target_archE906ELNS1_3gpuE6ELNS1_3repE0EEENS1_30default_config_static_selectorELNS0_4arch9wavefront6targetE1EEEvT1_,@function
_ZN7rocprim17ROCPRIM_400000_NS6detail17trampoline_kernelINS0_14default_configENS1_20scan_config_selectorIN3c107complexIdEEEEZZNS1_9scan_implILNS1_25lookback_scan_determinismE0ELb0ELb0ES3_PKS7_PS7_S7_ZZZN2at6native31launch_logcumsumexp_cuda_kernelERKNSE_10TensorBaseESI_lENKUlvE_clEvENKUlvE1_clEvEUlS7_S7_E_S7_EEDaPvRmT3_T4_T5_mT6_P12ihipStream_tbENKUlT_T0_E_clISt17integral_constantIbLb0EESY_IbLb1EEEEDaSU_SV_EUlSU_E_NS1_11comp_targetILNS1_3genE2ELNS1_11target_archE906ELNS1_3gpuE6ELNS1_3repE0EEENS1_30default_config_static_selectorELNS0_4arch9wavefront6targetE1EEEvT1_: ; @_ZN7rocprim17ROCPRIM_400000_NS6detail17trampoline_kernelINS0_14default_configENS1_20scan_config_selectorIN3c107complexIdEEEEZZNS1_9scan_implILNS1_25lookback_scan_determinismE0ELb0ELb0ES3_PKS7_PS7_S7_ZZZN2at6native31launch_logcumsumexp_cuda_kernelERKNSE_10TensorBaseESI_lENKUlvE_clEvENKUlvE1_clEvEUlS7_S7_E_S7_EEDaPvRmT3_T4_T5_mT6_P12ihipStream_tbENKUlT_T0_E_clISt17integral_constantIbLb0EESY_IbLb1EEEEDaSU_SV_EUlSU_E_NS1_11comp_targetILNS1_3genE2ELNS1_11target_archE906ELNS1_3gpuE6ELNS1_3repE0EEENS1_30default_config_static_selectorELNS0_4arch9wavefront6targetE1EEEvT1_
; %bb.0:
	.section	.rodata,"a",@progbits
	.p2align	6, 0x0
	.amdhsa_kernel _ZN7rocprim17ROCPRIM_400000_NS6detail17trampoline_kernelINS0_14default_configENS1_20scan_config_selectorIN3c107complexIdEEEEZZNS1_9scan_implILNS1_25lookback_scan_determinismE0ELb0ELb0ES3_PKS7_PS7_S7_ZZZN2at6native31launch_logcumsumexp_cuda_kernelERKNSE_10TensorBaseESI_lENKUlvE_clEvENKUlvE1_clEvEUlS7_S7_E_S7_EEDaPvRmT3_T4_T5_mT6_P12ihipStream_tbENKUlT_T0_E_clISt17integral_constantIbLb0EESY_IbLb1EEEEDaSU_SV_EUlSU_E_NS1_11comp_targetILNS1_3genE2ELNS1_11target_archE906ELNS1_3gpuE6ELNS1_3repE0EEENS1_30default_config_static_selectorELNS0_4arch9wavefront6targetE1EEEvT1_
		.amdhsa_group_segment_fixed_size 0
		.amdhsa_private_segment_fixed_size 0
		.amdhsa_kernarg_size 128
		.amdhsa_user_sgpr_count 2
		.amdhsa_user_sgpr_dispatch_ptr 0
		.amdhsa_user_sgpr_queue_ptr 0
		.amdhsa_user_sgpr_kernarg_segment_ptr 1
		.amdhsa_user_sgpr_dispatch_id 0
		.amdhsa_user_sgpr_kernarg_preload_length 0
		.amdhsa_user_sgpr_kernarg_preload_offset 0
		.amdhsa_user_sgpr_private_segment_size 0
		.amdhsa_uses_dynamic_stack 0
		.amdhsa_enable_private_segment 0
		.amdhsa_system_sgpr_workgroup_id_x 1
		.amdhsa_system_sgpr_workgroup_id_y 0
		.amdhsa_system_sgpr_workgroup_id_z 0
		.amdhsa_system_sgpr_workgroup_info 0
		.amdhsa_system_vgpr_workitem_id 0
		.amdhsa_next_free_vgpr 1
		.amdhsa_next_free_sgpr 0
		.amdhsa_accum_offset 4
		.amdhsa_reserve_vcc 0
		.amdhsa_float_round_mode_32 0
		.amdhsa_float_round_mode_16_64 0
		.amdhsa_float_denorm_mode_32 3
		.amdhsa_float_denorm_mode_16_64 3
		.amdhsa_dx10_clamp 1
		.amdhsa_ieee_mode 1
		.amdhsa_fp16_overflow 0
		.amdhsa_tg_split 0
		.amdhsa_exception_fp_ieee_invalid_op 0
		.amdhsa_exception_fp_denorm_src 0
		.amdhsa_exception_fp_ieee_div_zero 0
		.amdhsa_exception_fp_ieee_overflow 0
		.amdhsa_exception_fp_ieee_underflow 0
		.amdhsa_exception_fp_ieee_inexact 0
		.amdhsa_exception_int_div_zero 0
	.end_amdhsa_kernel
	.section	.text._ZN7rocprim17ROCPRIM_400000_NS6detail17trampoline_kernelINS0_14default_configENS1_20scan_config_selectorIN3c107complexIdEEEEZZNS1_9scan_implILNS1_25lookback_scan_determinismE0ELb0ELb0ES3_PKS7_PS7_S7_ZZZN2at6native31launch_logcumsumexp_cuda_kernelERKNSE_10TensorBaseESI_lENKUlvE_clEvENKUlvE1_clEvEUlS7_S7_E_S7_EEDaPvRmT3_T4_T5_mT6_P12ihipStream_tbENKUlT_T0_E_clISt17integral_constantIbLb0EESY_IbLb1EEEEDaSU_SV_EUlSU_E_NS1_11comp_targetILNS1_3genE2ELNS1_11target_archE906ELNS1_3gpuE6ELNS1_3repE0EEENS1_30default_config_static_selectorELNS0_4arch9wavefront6targetE1EEEvT1_,"axG",@progbits,_ZN7rocprim17ROCPRIM_400000_NS6detail17trampoline_kernelINS0_14default_configENS1_20scan_config_selectorIN3c107complexIdEEEEZZNS1_9scan_implILNS1_25lookback_scan_determinismE0ELb0ELb0ES3_PKS7_PS7_S7_ZZZN2at6native31launch_logcumsumexp_cuda_kernelERKNSE_10TensorBaseESI_lENKUlvE_clEvENKUlvE1_clEvEUlS7_S7_E_S7_EEDaPvRmT3_T4_T5_mT6_P12ihipStream_tbENKUlT_T0_E_clISt17integral_constantIbLb0EESY_IbLb1EEEEDaSU_SV_EUlSU_E_NS1_11comp_targetILNS1_3genE2ELNS1_11target_archE906ELNS1_3gpuE6ELNS1_3repE0EEENS1_30default_config_static_selectorELNS0_4arch9wavefront6targetE1EEEvT1_,comdat
.Lfunc_end253:
	.size	_ZN7rocprim17ROCPRIM_400000_NS6detail17trampoline_kernelINS0_14default_configENS1_20scan_config_selectorIN3c107complexIdEEEEZZNS1_9scan_implILNS1_25lookback_scan_determinismE0ELb0ELb0ES3_PKS7_PS7_S7_ZZZN2at6native31launch_logcumsumexp_cuda_kernelERKNSE_10TensorBaseESI_lENKUlvE_clEvENKUlvE1_clEvEUlS7_S7_E_S7_EEDaPvRmT3_T4_T5_mT6_P12ihipStream_tbENKUlT_T0_E_clISt17integral_constantIbLb0EESY_IbLb1EEEEDaSU_SV_EUlSU_E_NS1_11comp_targetILNS1_3genE2ELNS1_11target_archE906ELNS1_3gpuE6ELNS1_3repE0EEENS1_30default_config_static_selectorELNS0_4arch9wavefront6targetE1EEEvT1_, .Lfunc_end253-_ZN7rocprim17ROCPRIM_400000_NS6detail17trampoline_kernelINS0_14default_configENS1_20scan_config_selectorIN3c107complexIdEEEEZZNS1_9scan_implILNS1_25lookback_scan_determinismE0ELb0ELb0ES3_PKS7_PS7_S7_ZZZN2at6native31launch_logcumsumexp_cuda_kernelERKNSE_10TensorBaseESI_lENKUlvE_clEvENKUlvE1_clEvEUlS7_S7_E_S7_EEDaPvRmT3_T4_T5_mT6_P12ihipStream_tbENKUlT_T0_E_clISt17integral_constantIbLb0EESY_IbLb1EEEEDaSU_SV_EUlSU_E_NS1_11comp_targetILNS1_3genE2ELNS1_11target_archE906ELNS1_3gpuE6ELNS1_3repE0EEENS1_30default_config_static_selectorELNS0_4arch9wavefront6targetE1EEEvT1_
                                        ; -- End function
	.section	.AMDGPU.csdata,"",@progbits
; Kernel info:
; codeLenInByte = 0
; NumSgprs: 6
; NumVgprs: 0
; NumAgprs: 0
; TotalNumVgprs: 0
; ScratchSize: 0
; MemoryBound: 0
; FloatMode: 240
; IeeeMode: 1
; LDSByteSize: 0 bytes/workgroup (compile time only)
; SGPRBlocks: 0
; VGPRBlocks: 0
; NumSGPRsForWavesPerEU: 6
; NumVGPRsForWavesPerEU: 1
; AccumOffset: 4
; Occupancy: 8
; WaveLimiterHint : 0
; COMPUTE_PGM_RSRC2:SCRATCH_EN: 0
; COMPUTE_PGM_RSRC2:USER_SGPR: 2
; COMPUTE_PGM_RSRC2:TRAP_HANDLER: 0
; COMPUTE_PGM_RSRC2:TGID_X_EN: 1
; COMPUTE_PGM_RSRC2:TGID_Y_EN: 0
; COMPUTE_PGM_RSRC2:TGID_Z_EN: 0
; COMPUTE_PGM_RSRC2:TIDIG_COMP_CNT: 0
; COMPUTE_PGM_RSRC3_GFX90A:ACCUM_OFFSET: 0
; COMPUTE_PGM_RSRC3_GFX90A:TG_SPLIT: 0
	.section	.text._ZN7rocprim17ROCPRIM_400000_NS6detail17trampoline_kernelINS0_14default_configENS1_20scan_config_selectorIN3c107complexIdEEEEZZNS1_9scan_implILNS1_25lookback_scan_determinismE0ELb0ELb0ES3_PKS7_PS7_S7_ZZZN2at6native31launch_logcumsumexp_cuda_kernelERKNSE_10TensorBaseESI_lENKUlvE_clEvENKUlvE1_clEvEUlS7_S7_E_S7_EEDaPvRmT3_T4_T5_mT6_P12ihipStream_tbENKUlT_T0_E_clISt17integral_constantIbLb0EESY_IbLb1EEEEDaSU_SV_EUlSU_E_NS1_11comp_targetILNS1_3genE10ELNS1_11target_archE1201ELNS1_3gpuE5ELNS1_3repE0EEENS1_30default_config_static_selectorELNS0_4arch9wavefront6targetE1EEEvT1_,"axG",@progbits,_ZN7rocprim17ROCPRIM_400000_NS6detail17trampoline_kernelINS0_14default_configENS1_20scan_config_selectorIN3c107complexIdEEEEZZNS1_9scan_implILNS1_25lookback_scan_determinismE0ELb0ELb0ES3_PKS7_PS7_S7_ZZZN2at6native31launch_logcumsumexp_cuda_kernelERKNSE_10TensorBaseESI_lENKUlvE_clEvENKUlvE1_clEvEUlS7_S7_E_S7_EEDaPvRmT3_T4_T5_mT6_P12ihipStream_tbENKUlT_T0_E_clISt17integral_constantIbLb0EESY_IbLb1EEEEDaSU_SV_EUlSU_E_NS1_11comp_targetILNS1_3genE10ELNS1_11target_archE1201ELNS1_3gpuE5ELNS1_3repE0EEENS1_30default_config_static_selectorELNS0_4arch9wavefront6targetE1EEEvT1_,comdat
	.globl	_ZN7rocprim17ROCPRIM_400000_NS6detail17trampoline_kernelINS0_14default_configENS1_20scan_config_selectorIN3c107complexIdEEEEZZNS1_9scan_implILNS1_25lookback_scan_determinismE0ELb0ELb0ES3_PKS7_PS7_S7_ZZZN2at6native31launch_logcumsumexp_cuda_kernelERKNSE_10TensorBaseESI_lENKUlvE_clEvENKUlvE1_clEvEUlS7_S7_E_S7_EEDaPvRmT3_T4_T5_mT6_P12ihipStream_tbENKUlT_T0_E_clISt17integral_constantIbLb0EESY_IbLb1EEEEDaSU_SV_EUlSU_E_NS1_11comp_targetILNS1_3genE10ELNS1_11target_archE1201ELNS1_3gpuE5ELNS1_3repE0EEENS1_30default_config_static_selectorELNS0_4arch9wavefront6targetE1EEEvT1_ ; -- Begin function _ZN7rocprim17ROCPRIM_400000_NS6detail17trampoline_kernelINS0_14default_configENS1_20scan_config_selectorIN3c107complexIdEEEEZZNS1_9scan_implILNS1_25lookback_scan_determinismE0ELb0ELb0ES3_PKS7_PS7_S7_ZZZN2at6native31launch_logcumsumexp_cuda_kernelERKNSE_10TensorBaseESI_lENKUlvE_clEvENKUlvE1_clEvEUlS7_S7_E_S7_EEDaPvRmT3_T4_T5_mT6_P12ihipStream_tbENKUlT_T0_E_clISt17integral_constantIbLb0EESY_IbLb1EEEEDaSU_SV_EUlSU_E_NS1_11comp_targetILNS1_3genE10ELNS1_11target_archE1201ELNS1_3gpuE5ELNS1_3repE0EEENS1_30default_config_static_selectorELNS0_4arch9wavefront6targetE1EEEvT1_
	.p2align	8
	.type	_ZN7rocprim17ROCPRIM_400000_NS6detail17trampoline_kernelINS0_14default_configENS1_20scan_config_selectorIN3c107complexIdEEEEZZNS1_9scan_implILNS1_25lookback_scan_determinismE0ELb0ELb0ES3_PKS7_PS7_S7_ZZZN2at6native31launch_logcumsumexp_cuda_kernelERKNSE_10TensorBaseESI_lENKUlvE_clEvENKUlvE1_clEvEUlS7_S7_E_S7_EEDaPvRmT3_T4_T5_mT6_P12ihipStream_tbENKUlT_T0_E_clISt17integral_constantIbLb0EESY_IbLb1EEEEDaSU_SV_EUlSU_E_NS1_11comp_targetILNS1_3genE10ELNS1_11target_archE1201ELNS1_3gpuE5ELNS1_3repE0EEENS1_30default_config_static_selectorELNS0_4arch9wavefront6targetE1EEEvT1_,@function
_ZN7rocprim17ROCPRIM_400000_NS6detail17trampoline_kernelINS0_14default_configENS1_20scan_config_selectorIN3c107complexIdEEEEZZNS1_9scan_implILNS1_25lookback_scan_determinismE0ELb0ELb0ES3_PKS7_PS7_S7_ZZZN2at6native31launch_logcumsumexp_cuda_kernelERKNSE_10TensorBaseESI_lENKUlvE_clEvENKUlvE1_clEvEUlS7_S7_E_S7_EEDaPvRmT3_T4_T5_mT6_P12ihipStream_tbENKUlT_T0_E_clISt17integral_constantIbLb0EESY_IbLb1EEEEDaSU_SV_EUlSU_E_NS1_11comp_targetILNS1_3genE10ELNS1_11target_archE1201ELNS1_3gpuE5ELNS1_3repE0EEENS1_30default_config_static_selectorELNS0_4arch9wavefront6targetE1EEEvT1_: ; @_ZN7rocprim17ROCPRIM_400000_NS6detail17trampoline_kernelINS0_14default_configENS1_20scan_config_selectorIN3c107complexIdEEEEZZNS1_9scan_implILNS1_25lookback_scan_determinismE0ELb0ELb0ES3_PKS7_PS7_S7_ZZZN2at6native31launch_logcumsumexp_cuda_kernelERKNSE_10TensorBaseESI_lENKUlvE_clEvENKUlvE1_clEvEUlS7_S7_E_S7_EEDaPvRmT3_T4_T5_mT6_P12ihipStream_tbENKUlT_T0_E_clISt17integral_constantIbLb0EESY_IbLb1EEEEDaSU_SV_EUlSU_E_NS1_11comp_targetILNS1_3genE10ELNS1_11target_archE1201ELNS1_3gpuE5ELNS1_3repE0EEENS1_30default_config_static_selectorELNS0_4arch9wavefront6targetE1EEEvT1_
; %bb.0:
	.section	.rodata,"a",@progbits
	.p2align	6, 0x0
	.amdhsa_kernel _ZN7rocprim17ROCPRIM_400000_NS6detail17trampoline_kernelINS0_14default_configENS1_20scan_config_selectorIN3c107complexIdEEEEZZNS1_9scan_implILNS1_25lookback_scan_determinismE0ELb0ELb0ES3_PKS7_PS7_S7_ZZZN2at6native31launch_logcumsumexp_cuda_kernelERKNSE_10TensorBaseESI_lENKUlvE_clEvENKUlvE1_clEvEUlS7_S7_E_S7_EEDaPvRmT3_T4_T5_mT6_P12ihipStream_tbENKUlT_T0_E_clISt17integral_constantIbLb0EESY_IbLb1EEEEDaSU_SV_EUlSU_E_NS1_11comp_targetILNS1_3genE10ELNS1_11target_archE1201ELNS1_3gpuE5ELNS1_3repE0EEENS1_30default_config_static_selectorELNS0_4arch9wavefront6targetE1EEEvT1_
		.amdhsa_group_segment_fixed_size 0
		.amdhsa_private_segment_fixed_size 0
		.amdhsa_kernarg_size 128
		.amdhsa_user_sgpr_count 2
		.amdhsa_user_sgpr_dispatch_ptr 0
		.amdhsa_user_sgpr_queue_ptr 0
		.amdhsa_user_sgpr_kernarg_segment_ptr 1
		.amdhsa_user_sgpr_dispatch_id 0
		.amdhsa_user_sgpr_kernarg_preload_length 0
		.amdhsa_user_sgpr_kernarg_preload_offset 0
		.amdhsa_user_sgpr_private_segment_size 0
		.amdhsa_uses_dynamic_stack 0
		.amdhsa_enable_private_segment 0
		.amdhsa_system_sgpr_workgroup_id_x 1
		.amdhsa_system_sgpr_workgroup_id_y 0
		.amdhsa_system_sgpr_workgroup_id_z 0
		.amdhsa_system_sgpr_workgroup_info 0
		.amdhsa_system_vgpr_workitem_id 0
		.amdhsa_next_free_vgpr 1
		.amdhsa_next_free_sgpr 0
		.amdhsa_accum_offset 4
		.amdhsa_reserve_vcc 0
		.amdhsa_float_round_mode_32 0
		.amdhsa_float_round_mode_16_64 0
		.amdhsa_float_denorm_mode_32 3
		.amdhsa_float_denorm_mode_16_64 3
		.amdhsa_dx10_clamp 1
		.amdhsa_ieee_mode 1
		.amdhsa_fp16_overflow 0
		.amdhsa_tg_split 0
		.amdhsa_exception_fp_ieee_invalid_op 0
		.amdhsa_exception_fp_denorm_src 0
		.amdhsa_exception_fp_ieee_div_zero 0
		.amdhsa_exception_fp_ieee_overflow 0
		.amdhsa_exception_fp_ieee_underflow 0
		.amdhsa_exception_fp_ieee_inexact 0
		.amdhsa_exception_int_div_zero 0
	.end_amdhsa_kernel
	.section	.text._ZN7rocprim17ROCPRIM_400000_NS6detail17trampoline_kernelINS0_14default_configENS1_20scan_config_selectorIN3c107complexIdEEEEZZNS1_9scan_implILNS1_25lookback_scan_determinismE0ELb0ELb0ES3_PKS7_PS7_S7_ZZZN2at6native31launch_logcumsumexp_cuda_kernelERKNSE_10TensorBaseESI_lENKUlvE_clEvENKUlvE1_clEvEUlS7_S7_E_S7_EEDaPvRmT3_T4_T5_mT6_P12ihipStream_tbENKUlT_T0_E_clISt17integral_constantIbLb0EESY_IbLb1EEEEDaSU_SV_EUlSU_E_NS1_11comp_targetILNS1_3genE10ELNS1_11target_archE1201ELNS1_3gpuE5ELNS1_3repE0EEENS1_30default_config_static_selectorELNS0_4arch9wavefront6targetE1EEEvT1_,"axG",@progbits,_ZN7rocprim17ROCPRIM_400000_NS6detail17trampoline_kernelINS0_14default_configENS1_20scan_config_selectorIN3c107complexIdEEEEZZNS1_9scan_implILNS1_25lookback_scan_determinismE0ELb0ELb0ES3_PKS7_PS7_S7_ZZZN2at6native31launch_logcumsumexp_cuda_kernelERKNSE_10TensorBaseESI_lENKUlvE_clEvENKUlvE1_clEvEUlS7_S7_E_S7_EEDaPvRmT3_T4_T5_mT6_P12ihipStream_tbENKUlT_T0_E_clISt17integral_constantIbLb0EESY_IbLb1EEEEDaSU_SV_EUlSU_E_NS1_11comp_targetILNS1_3genE10ELNS1_11target_archE1201ELNS1_3gpuE5ELNS1_3repE0EEENS1_30default_config_static_selectorELNS0_4arch9wavefront6targetE1EEEvT1_,comdat
.Lfunc_end254:
	.size	_ZN7rocprim17ROCPRIM_400000_NS6detail17trampoline_kernelINS0_14default_configENS1_20scan_config_selectorIN3c107complexIdEEEEZZNS1_9scan_implILNS1_25lookback_scan_determinismE0ELb0ELb0ES3_PKS7_PS7_S7_ZZZN2at6native31launch_logcumsumexp_cuda_kernelERKNSE_10TensorBaseESI_lENKUlvE_clEvENKUlvE1_clEvEUlS7_S7_E_S7_EEDaPvRmT3_T4_T5_mT6_P12ihipStream_tbENKUlT_T0_E_clISt17integral_constantIbLb0EESY_IbLb1EEEEDaSU_SV_EUlSU_E_NS1_11comp_targetILNS1_3genE10ELNS1_11target_archE1201ELNS1_3gpuE5ELNS1_3repE0EEENS1_30default_config_static_selectorELNS0_4arch9wavefront6targetE1EEEvT1_, .Lfunc_end254-_ZN7rocprim17ROCPRIM_400000_NS6detail17trampoline_kernelINS0_14default_configENS1_20scan_config_selectorIN3c107complexIdEEEEZZNS1_9scan_implILNS1_25lookback_scan_determinismE0ELb0ELb0ES3_PKS7_PS7_S7_ZZZN2at6native31launch_logcumsumexp_cuda_kernelERKNSE_10TensorBaseESI_lENKUlvE_clEvENKUlvE1_clEvEUlS7_S7_E_S7_EEDaPvRmT3_T4_T5_mT6_P12ihipStream_tbENKUlT_T0_E_clISt17integral_constantIbLb0EESY_IbLb1EEEEDaSU_SV_EUlSU_E_NS1_11comp_targetILNS1_3genE10ELNS1_11target_archE1201ELNS1_3gpuE5ELNS1_3repE0EEENS1_30default_config_static_selectorELNS0_4arch9wavefront6targetE1EEEvT1_
                                        ; -- End function
	.section	.AMDGPU.csdata,"",@progbits
; Kernel info:
; codeLenInByte = 0
; NumSgprs: 6
; NumVgprs: 0
; NumAgprs: 0
; TotalNumVgprs: 0
; ScratchSize: 0
; MemoryBound: 0
; FloatMode: 240
; IeeeMode: 1
; LDSByteSize: 0 bytes/workgroup (compile time only)
; SGPRBlocks: 0
; VGPRBlocks: 0
; NumSGPRsForWavesPerEU: 6
; NumVGPRsForWavesPerEU: 1
; AccumOffset: 4
; Occupancy: 8
; WaveLimiterHint : 0
; COMPUTE_PGM_RSRC2:SCRATCH_EN: 0
; COMPUTE_PGM_RSRC2:USER_SGPR: 2
; COMPUTE_PGM_RSRC2:TRAP_HANDLER: 0
; COMPUTE_PGM_RSRC2:TGID_X_EN: 1
; COMPUTE_PGM_RSRC2:TGID_Y_EN: 0
; COMPUTE_PGM_RSRC2:TGID_Z_EN: 0
; COMPUTE_PGM_RSRC2:TIDIG_COMP_CNT: 0
; COMPUTE_PGM_RSRC3_GFX90A:ACCUM_OFFSET: 0
; COMPUTE_PGM_RSRC3_GFX90A:TG_SPLIT: 0
	.section	.text._ZN7rocprim17ROCPRIM_400000_NS6detail17trampoline_kernelINS0_14default_configENS1_20scan_config_selectorIN3c107complexIdEEEEZZNS1_9scan_implILNS1_25lookback_scan_determinismE0ELb0ELb0ES3_PKS7_PS7_S7_ZZZN2at6native31launch_logcumsumexp_cuda_kernelERKNSE_10TensorBaseESI_lENKUlvE_clEvENKUlvE1_clEvEUlS7_S7_E_S7_EEDaPvRmT3_T4_T5_mT6_P12ihipStream_tbENKUlT_T0_E_clISt17integral_constantIbLb0EESY_IbLb1EEEEDaSU_SV_EUlSU_E_NS1_11comp_targetILNS1_3genE10ELNS1_11target_archE1200ELNS1_3gpuE4ELNS1_3repE0EEENS1_30default_config_static_selectorELNS0_4arch9wavefront6targetE1EEEvT1_,"axG",@progbits,_ZN7rocprim17ROCPRIM_400000_NS6detail17trampoline_kernelINS0_14default_configENS1_20scan_config_selectorIN3c107complexIdEEEEZZNS1_9scan_implILNS1_25lookback_scan_determinismE0ELb0ELb0ES3_PKS7_PS7_S7_ZZZN2at6native31launch_logcumsumexp_cuda_kernelERKNSE_10TensorBaseESI_lENKUlvE_clEvENKUlvE1_clEvEUlS7_S7_E_S7_EEDaPvRmT3_T4_T5_mT6_P12ihipStream_tbENKUlT_T0_E_clISt17integral_constantIbLb0EESY_IbLb1EEEEDaSU_SV_EUlSU_E_NS1_11comp_targetILNS1_3genE10ELNS1_11target_archE1200ELNS1_3gpuE4ELNS1_3repE0EEENS1_30default_config_static_selectorELNS0_4arch9wavefront6targetE1EEEvT1_,comdat
	.globl	_ZN7rocprim17ROCPRIM_400000_NS6detail17trampoline_kernelINS0_14default_configENS1_20scan_config_selectorIN3c107complexIdEEEEZZNS1_9scan_implILNS1_25lookback_scan_determinismE0ELb0ELb0ES3_PKS7_PS7_S7_ZZZN2at6native31launch_logcumsumexp_cuda_kernelERKNSE_10TensorBaseESI_lENKUlvE_clEvENKUlvE1_clEvEUlS7_S7_E_S7_EEDaPvRmT3_T4_T5_mT6_P12ihipStream_tbENKUlT_T0_E_clISt17integral_constantIbLb0EESY_IbLb1EEEEDaSU_SV_EUlSU_E_NS1_11comp_targetILNS1_3genE10ELNS1_11target_archE1200ELNS1_3gpuE4ELNS1_3repE0EEENS1_30default_config_static_selectorELNS0_4arch9wavefront6targetE1EEEvT1_ ; -- Begin function _ZN7rocprim17ROCPRIM_400000_NS6detail17trampoline_kernelINS0_14default_configENS1_20scan_config_selectorIN3c107complexIdEEEEZZNS1_9scan_implILNS1_25lookback_scan_determinismE0ELb0ELb0ES3_PKS7_PS7_S7_ZZZN2at6native31launch_logcumsumexp_cuda_kernelERKNSE_10TensorBaseESI_lENKUlvE_clEvENKUlvE1_clEvEUlS7_S7_E_S7_EEDaPvRmT3_T4_T5_mT6_P12ihipStream_tbENKUlT_T0_E_clISt17integral_constantIbLb0EESY_IbLb1EEEEDaSU_SV_EUlSU_E_NS1_11comp_targetILNS1_3genE10ELNS1_11target_archE1200ELNS1_3gpuE4ELNS1_3repE0EEENS1_30default_config_static_selectorELNS0_4arch9wavefront6targetE1EEEvT1_
	.p2align	8
	.type	_ZN7rocprim17ROCPRIM_400000_NS6detail17trampoline_kernelINS0_14default_configENS1_20scan_config_selectorIN3c107complexIdEEEEZZNS1_9scan_implILNS1_25lookback_scan_determinismE0ELb0ELb0ES3_PKS7_PS7_S7_ZZZN2at6native31launch_logcumsumexp_cuda_kernelERKNSE_10TensorBaseESI_lENKUlvE_clEvENKUlvE1_clEvEUlS7_S7_E_S7_EEDaPvRmT3_T4_T5_mT6_P12ihipStream_tbENKUlT_T0_E_clISt17integral_constantIbLb0EESY_IbLb1EEEEDaSU_SV_EUlSU_E_NS1_11comp_targetILNS1_3genE10ELNS1_11target_archE1200ELNS1_3gpuE4ELNS1_3repE0EEENS1_30default_config_static_selectorELNS0_4arch9wavefront6targetE1EEEvT1_,@function
_ZN7rocprim17ROCPRIM_400000_NS6detail17trampoline_kernelINS0_14default_configENS1_20scan_config_selectorIN3c107complexIdEEEEZZNS1_9scan_implILNS1_25lookback_scan_determinismE0ELb0ELb0ES3_PKS7_PS7_S7_ZZZN2at6native31launch_logcumsumexp_cuda_kernelERKNSE_10TensorBaseESI_lENKUlvE_clEvENKUlvE1_clEvEUlS7_S7_E_S7_EEDaPvRmT3_T4_T5_mT6_P12ihipStream_tbENKUlT_T0_E_clISt17integral_constantIbLb0EESY_IbLb1EEEEDaSU_SV_EUlSU_E_NS1_11comp_targetILNS1_3genE10ELNS1_11target_archE1200ELNS1_3gpuE4ELNS1_3repE0EEENS1_30default_config_static_selectorELNS0_4arch9wavefront6targetE1EEEvT1_: ; @_ZN7rocprim17ROCPRIM_400000_NS6detail17trampoline_kernelINS0_14default_configENS1_20scan_config_selectorIN3c107complexIdEEEEZZNS1_9scan_implILNS1_25lookback_scan_determinismE0ELb0ELb0ES3_PKS7_PS7_S7_ZZZN2at6native31launch_logcumsumexp_cuda_kernelERKNSE_10TensorBaseESI_lENKUlvE_clEvENKUlvE1_clEvEUlS7_S7_E_S7_EEDaPvRmT3_T4_T5_mT6_P12ihipStream_tbENKUlT_T0_E_clISt17integral_constantIbLb0EESY_IbLb1EEEEDaSU_SV_EUlSU_E_NS1_11comp_targetILNS1_3genE10ELNS1_11target_archE1200ELNS1_3gpuE4ELNS1_3repE0EEENS1_30default_config_static_selectorELNS0_4arch9wavefront6targetE1EEEvT1_
; %bb.0:
	.section	.rodata,"a",@progbits
	.p2align	6, 0x0
	.amdhsa_kernel _ZN7rocprim17ROCPRIM_400000_NS6detail17trampoline_kernelINS0_14default_configENS1_20scan_config_selectorIN3c107complexIdEEEEZZNS1_9scan_implILNS1_25lookback_scan_determinismE0ELb0ELb0ES3_PKS7_PS7_S7_ZZZN2at6native31launch_logcumsumexp_cuda_kernelERKNSE_10TensorBaseESI_lENKUlvE_clEvENKUlvE1_clEvEUlS7_S7_E_S7_EEDaPvRmT3_T4_T5_mT6_P12ihipStream_tbENKUlT_T0_E_clISt17integral_constantIbLb0EESY_IbLb1EEEEDaSU_SV_EUlSU_E_NS1_11comp_targetILNS1_3genE10ELNS1_11target_archE1200ELNS1_3gpuE4ELNS1_3repE0EEENS1_30default_config_static_selectorELNS0_4arch9wavefront6targetE1EEEvT1_
		.amdhsa_group_segment_fixed_size 0
		.amdhsa_private_segment_fixed_size 0
		.amdhsa_kernarg_size 128
		.amdhsa_user_sgpr_count 2
		.amdhsa_user_sgpr_dispatch_ptr 0
		.amdhsa_user_sgpr_queue_ptr 0
		.amdhsa_user_sgpr_kernarg_segment_ptr 1
		.amdhsa_user_sgpr_dispatch_id 0
		.amdhsa_user_sgpr_kernarg_preload_length 0
		.amdhsa_user_sgpr_kernarg_preload_offset 0
		.amdhsa_user_sgpr_private_segment_size 0
		.amdhsa_uses_dynamic_stack 0
		.amdhsa_enable_private_segment 0
		.amdhsa_system_sgpr_workgroup_id_x 1
		.amdhsa_system_sgpr_workgroup_id_y 0
		.amdhsa_system_sgpr_workgroup_id_z 0
		.amdhsa_system_sgpr_workgroup_info 0
		.amdhsa_system_vgpr_workitem_id 0
		.amdhsa_next_free_vgpr 1
		.amdhsa_next_free_sgpr 0
		.amdhsa_accum_offset 4
		.amdhsa_reserve_vcc 0
		.amdhsa_float_round_mode_32 0
		.amdhsa_float_round_mode_16_64 0
		.amdhsa_float_denorm_mode_32 3
		.amdhsa_float_denorm_mode_16_64 3
		.amdhsa_dx10_clamp 1
		.amdhsa_ieee_mode 1
		.amdhsa_fp16_overflow 0
		.amdhsa_tg_split 0
		.amdhsa_exception_fp_ieee_invalid_op 0
		.amdhsa_exception_fp_denorm_src 0
		.amdhsa_exception_fp_ieee_div_zero 0
		.amdhsa_exception_fp_ieee_overflow 0
		.amdhsa_exception_fp_ieee_underflow 0
		.amdhsa_exception_fp_ieee_inexact 0
		.amdhsa_exception_int_div_zero 0
	.end_amdhsa_kernel
	.section	.text._ZN7rocprim17ROCPRIM_400000_NS6detail17trampoline_kernelINS0_14default_configENS1_20scan_config_selectorIN3c107complexIdEEEEZZNS1_9scan_implILNS1_25lookback_scan_determinismE0ELb0ELb0ES3_PKS7_PS7_S7_ZZZN2at6native31launch_logcumsumexp_cuda_kernelERKNSE_10TensorBaseESI_lENKUlvE_clEvENKUlvE1_clEvEUlS7_S7_E_S7_EEDaPvRmT3_T4_T5_mT6_P12ihipStream_tbENKUlT_T0_E_clISt17integral_constantIbLb0EESY_IbLb1EEEEDaSU_SV_EUlSU_E_NS1_11comp_targetILNS1_3genE10ELNS1_11target_archE1200ELNS1_3gpuE4ELNS1_3repE0EEENS1_30default_config_static_selectorELNS0_4arch9wavefront6targetE1EEEvT1_,"axG",@progbits,_ZN7rocprim17ROCPRIM_400000_NS6detail17trampoline_kernelINS0_14default_configENS1_20scan_config_selectorIN3c107complexIdEEEEZZNS1_9scan_implILNS1_25lookback_scan_determinismE0ELb0ELb0ES3_PKS7_PS7_S7_ZZZN2at6native31launch_logcumsumexp_cuda_kernelERKNSE_10TensorBaseESI_lENKUlvE_clEvENKUlvE1_clEvEUlS7_S7_E_S7_EEDaPvRmT3_T4_T5_mT6_P12ihipStream_tbENKUlT_T0_E_clISt17integral_constantIbLb0EESY_IbLb1EEEEDaSU_SV_EUlSU_E_NS1_11comp_targetILNS1_3genE10ELNS1_11target_archE1200ELNS1_3gpuE4ELNS1_3repE0EEENS1_30default_config_static_selectorELNS0_4arch9wavefront6targetE1EEEvT1_,comdat
.Lfunc_end255:
	.size	_ZN7rocprim17ROCPRIM_400000_NS6detail17trampoline_kernelINS0_14default_configENS1_20scan_config_selectorIN3c107complexIdEEEEZZNS1_9scan_implILNS1_25lookback_scan_determinismE0ELb0ELb0ES3_PKS7_PS7_S7_ZZZN2at6native31launch_logcumsumexp_cuda_kernelERKNSE_10TensorBaseESI_lENKUlvE_clEvENKUlvE1_clEvEUlS7_S7_E_S7_EEDaPvRmT3_T4_T5_mT6_P12ihipStream_tbENKUlT_T0_E_clISt17integral_constantIbLb0EESY_IbLb1EEEEDaSU_SV_EUlSU_E_NS1_11comp_targetILNS1_3genE10ELNS1_11target_archE1200ELNS1_3gpuE4ELNS1_3repE0EEENS1_30default_config_static_selectorELNS0_4arch9wavefront6targetE1EEEvT1_, .Lfunc_end255-_ZN7rocprim17ROCPRIM_400000_NS6detail17trampoline_kernelINS0_14default_configENS1_20scan_config_selectorIN3c107complexIdEEEEZZNS1_9scan_implILNS1_25lookback_scan_determinismE0ELb0ELb0ES3_PKS7_PS7_S7_ZZZN2at6native31launch_logcumsumexp_cuda_kernelERKNSE_10TensorBaseESI_lENKUlvE_clEvENKUlvE1_clEvEUlS7_S7_E_S7_EEDaPvRmT3_T4_T5_mT6_P12ihipStream_tbENKUlT_T0_E_clISt17integral_constantIbLb0EESY_IbLb1EEEEDaSU_SV_EUlSU_E_NS1_11comp_targetILNS1_3genE10ELNS1_11target_archE1200ELNS1_3gpuE4ELNS1_3repE0EEENS1_30default_config_static_selectorELNS0_4arch9wavefront6targetE1EEEvT1_
                                        ; -- End function
	.section	.AMDGPU.csdata,"",@progbits
; Kernel info:
; codeLenInByte = 0
; NumSgprs: 6
; NumVgprs: 0
; NumAgprs: 0
; TotalNumVgprs: 0
; ScratchSize: 0
; MemoryBound: 0
; FloatMode: 240
; IeeeMode: 1
; LDSByteSize: 0 bytes/workgroup (compile time only)
; SGPRBlocks: 0
; VGPRBlocks: 0
; NumSGPRsForWavesPerEU: 6
; NumVGPRsForWavesPerEU: 1
; AccumOffset: 4
; Occupancy: 8
; WaveLimiterHint : 0
; COMPUTE_PGM_RSRC2:SCRATCH_EN: 0
; COMPUTE_PGM_RSRC2:USER_SGPR: 2
; COMPUTE_PGM_RSRC2:TRAP_HANDLER: 0
; COMPUTE_PGM_RSRC2:TGID_X_EN: 1
; COMPUTE_PGM_RSRC2:TGID_Y_EN: 0
; COMPUTE_PGM_RSRC2:TGID_Z_EN: 0
; COMPUTE_PGM_RSRC2:TIDIG_COMP_CNT: 0
; COMPUTE_PGM_RSRC3_GFX90A:ACCUM_OFFSET: 0
; COMPUTE_PGM_RSRC3_GFX90A:TG_SPLIT: 0
	.section	.text._ZN7rocprim17ROCPRIM_400000_NS6detail17trampoline_kernelINS0_14default_configENS1_20scan_config_selectorIN3c107complexIdEEEEZZNS1_9scan_implILNS1_25lookback_scan_determinismE0ELb0ELb0ES3_PKS7_PS7_S7_ZZZN2at6native31launch_logcumsumexp_cuda_kernelERKNSE_10TensorBaseESI_lENKUlvE_clEvENKUlvE1_clEvEUlS7_S7_E_S7_EEDaPvRmT3_T4_T5_mT6_P12ihipStream_tbENKUlT_T0_E_clISt17integral_constantIbLb0EESY_IbLb1EEEEDaSU_SV_EUlSU_E_NS1_11comp_targetILNS1_3genE9ELNS1_11target_archE1100ELNS1_3gpuE3ELNS1_3repE0EEENS1_30default_config_static_selectorELNS0_4arch9wavefront6targetE1EEEvT1_,"axG",@progbits,_ZN7rocprim17ROCPRIM_400000_NS6detail17trampoline_kernelINS0_14default_configENS1_20scan_config_selectorIN3c107complexIdEEEEZZNS1_9scan_implILNS1_25lookback_scan_determinismE0ELb0ELb0ES3_PKS7_PS7_S7_ZZZN2at6native31launch_logcumsumexp_cuda_kernelERKNSE_10TensorBaseESI_lENKUlvE_clEvENKUlvE1_clEvEUlS7_S7_E_S7_EEDaPvRmT3_T4_T5_mT6_P12ihipStream_tbENKUlT_T0_E_clISt17integral_constantIbLb0EESY_IbLb1EEEEDaSU_SV_EUlSU_E_NS1_11comp_targetILNS1_3genE9ELNS1_11target_archE1100ELNS1_3gpuE3ELNS1_3repE0EEENS1_30default_config_static_selectorELNS0_4arch9wavefront6targetE1EEEvT1_,comdat
	.globl	_ZN7rocprim17ROCPRIM_400000_NS6detail17trampoline_kernelINS0_14default_configENS1_20scan_config_selectorIN3c107complexIdEEEEZZNS1_9scan_implILNS1_25lookback_scan_determinismE0ELb0ELb0ES3_PKS7_PS7_S7_ZZZN2at6native31launch_logcumsumexp_cuda_kernelERKNSE_10TensorBaseESI_lENKUlvE_clEvENKUlvE1_clEvEUlS7_S7_E_S7_EEDaPvRmT3_T4_T5_mT6_P12ihipStream_tbENKUlT_T0_E_clISt17integral_constantIbLb0EESY_IbLb1EEEEDaSU_SV_EUlSU_E_NS1_11comp_targetILNS1_3genE9ELNS1_11target_archE1100ELNS1_3gpuE3ELNS1_3repE0EEENS1_30default_config_static_selectorELNS0_4arch9wavefront6targetE1EEEvT1_ ; -- Begin function _ZN7rocprim17ROCPRIM_400000_NS6detail17trampoline_kernelINS0_14default_configENS1_20scan_config_selectorIN3c107complexIdEEEEZZNS1_9scan_implILNS1_25lookback_scan_determinismE0ELb0ELb0ES3_PKS7_PS7_S7_ZZZN2at6native31launch_logcumsumexp_cuda_kernelERKNSE_10TensorBaseESI_lENKUlvE_clEvENKUlvE1_clEvEUlS7_S7_E_S7_EEDaPvRmT3_T4_T5_mT6_P12ihipStream_tbENKUlT_T0_E_clISt17integral_constantIbLb0EESY_IbLb1EEEEDaSU_SV_EUlSU_E_NS1_11comp_targetILNS1_3genE9ELNS1_11target_archE1100ELNS1_3gpuE3ELNS1_3repE0EEENS1_30default_config_static_selectorELNS0_4arch9wavefront6targetE1EEEvT1_
	.p2align	8
	.type	_ZN7rocprim17ROCPRIM_400000_NS6detail17trampoline_kernelINS0_14default_configENS1_20scan_config_selectorIN3c107complexIdEEEEZZNS1_9scan_implILNS1_25lookback_scan_determinismE0ELb0ELb0ES3_PKS7_PS7_S7_ZZZN2at6native31launch_logcumsumexp_cuda_kernelERKNSE_10TensorBaseESI_lENKUlvE_clEvENKUlvE1_clEvEUlS7_S7_E_S7_EEDaPvRmT3_T4_T5_mT6_P12ihipStream_tbENKUlT_T0_E_clISt17integral_constantIbLb0EESY_IbLb1EEEEDaSU_SV_EUlSU_E_NS1_11comp_targetILNS1_3genE9ELNS1_11target_archE1100ELNS1_3gpuE3ELNS1_3repE0EEENS1_30default_config_static_selectorELNS0_4arch9wavefront6targetE1EEEvT1_,@function
_ZN7rocprim17ROCPRIM_400000_NS6detail17trampoline_kernelINS0_14default_configENS1_20scan_config_selectorIN3c107complexIdEEEEZZNS1_9scan_implILNS1_25lookback_scan_determinismE0ELb0ELb0ES3_PKS7_PS7_S7_ZZZN2at6native31launch_logcumsumexp_cuda_kernelERKNSE_10TensorBaseESI_lENKUlvE_clEvENKUlvE1_clEvEUlS7_S7_E_S7_EEDaPvRmT3_T4_T5_mT6_P12ihipStream_tbENKUlT_T0_E_clISt17integral_constantIbLb0EESY_IbLb1EEEEDaSU_SV_EUlSU_E_NS1_11comp_targetILNS1_3genE9ELNS1_11target_archE1100ELNS1_3gpuE3ELNS1_3repE0EEENS1_30default_config_static_selectorELNS0_4arch9wavefront6targetE1EEEvT1_: ; @_ZN7rocprim17ROCPRIM_400000_NS6detail17trampoline_kernelINS0_14default_configENS1_20scan_config_selectorIN3c107complexIdEEEEZZNS1_9scan_implILNS1_25lookback_scan_determinismE0ELb0ELb0ES3_PKS7_PS7_S7_ZZZN2at6native31launch_logcumsumexp_cuda_kernelERKNSE_10TensorBaseESI_lENKUlvE_clEvENKUlvE1_clEvEUlS7_S7_E_S7_EEDaPvRmT3_T4_T5_mT6_P12ihipStream_tbENKUlT_T0_E_clISt17integral_constantIbLb0EESY_IbLb1EEEEDaSU_SV_EUlSU_E_NS1_11comp_targetILNS1_3genE9ELNS1_11target_archE1100ELNS1_3gpuE3ELNS1_3repE0EEENS1_30default_config_static_selectorELNS0_4arch9wavefront6targetE1EEEvT1_
; %bb.0:
	.section	.rodata,"a",@progbits
	.p2align	6, 0x0
	.amdhsa_kernel _ZN7rocprim17ROCPRIM_400000_NS6detail17trampoline_kernelINS0_14default_configENS1_20scan_config_selectorIN3c107complexIdEEEEZZNS1_9scan_implILNS1_25lookback_scan_determinismE0ELb0ELb0ES3_PKS7_PS7_S7_ZZZN2at6native31launch_logcumsumexp_cuda_kernelERKNSE_10TensorBaseESI_lENKUlvE_clEvENKUlvE1_clEvEUlS7_S7_E_S7_EEDaPvRmT3_T4_T5_mT6_P12ihipStream_tbENKUlT_T0_E_clISt17integral_constantIbLb0EESY_IbLb1EEEEDaSU_SV_EUlSU_E_NS1_11comp_targetILNS1_3genE9ELNS1_11target_archE1100ELNS1_3gpuE3ELNS1_3repE0EEENS1_30default_config_static_selectorELNS0_4arch9wavefront6targetE1EEEvT1_
		.amdhsa_group_segment_fixed_size 0
		.amdhsa_private_segment_fixed_size 0
		.amdhsa_kernarg_size 128
		.amdhsa_user_sgpr_count 2
		.amdhsa_user_sgpr_dispatch_ptr 0
		.amdhsa_user_sgpr_queue_ptr 0
		.amdhsa_user_sgpr_kernarg_segment_ptr 1
		.amdhsa_user_sgpr_dispatch_id 0
		.amdhsa_user_sgpr_kernarg_preload_length 0
		.amdhsa_user_sgpr_kernarg_preload_offset 0
		.amdhsa_user_sgpr_private_segment_size 0
		.amdhsa_uses_dynamic_stack 0
		.amdhsa_enable_private_segment 0
		.amdhsa_system_sgpr_workgroup_id_x 1
		.amdhsa_system_sgpr_workgroup_id_y 0
		.amdhsa_system_sgpr_workgroup_id_z 0
		.amdhsa_system_sgpr_workgroup_info 0
		.amdhsa_system_vgpr_workitem_id 0
		.amdhsa_next_free_vgpr 1
		.amdhsa_next_free_sgpr 0
		.amdhsa_accum_offset 4
		.amdhsa_reserve_vcc 0
		.amdhsa_float_round_mode_32 0
		.amdhsa_float_round_mode_16_64 0
		.amdhsa_float_denorm_mode_32 3
		.amdhsa_float_denorm_mode_16_64 3
		.amdhsa_dx10_clamp 1
		.amdhsa_ieee_mode 1
		.amdhsa_fp16_overflow 0
		.amdhsa_tg_split 0
		.amdhsa_exception_fp_ieee_invalid_op 0
		.amdhsa_exception_fp_denorm_src 0
		.amdhsa_exception_fp_ieee_div_zero 0
		.amdhsa_exception_fp_ieee_overflow 0
		.amdhsa_exception_fp_ieee_underflow 0
		.amdhsa_exception_fp_ieee_inexact 0
		.amdhsa_exception_int_div_zero 0
	.end_amdhsa_kernel
	.section	.text._ZN7rocprim17ROCPRIM_400000_NS6detail17trampoline_kernelINS0_14default_configENS1_20scan_config_selectorIN3c107complexIdEEEEZZNS1_9scan_implILNS1_25lookback_scan_determinismE0ELb0ELb0ES3_PKS7_PS7_S7_ZZZN2at6native31launch_logcumsumexp_cuda_kernelERKNSE_10TensorBaseESI_lENKUlvE_clEvENKUlvE1_clEvEUlS7_S7_E_S7_EEDaPvRmT3_T4_T5_mT6_P12ihipStream_tbENKUlT_T0_E_clISt17integral_constantIbLb0EESY_IbLb1EEEEDaSU_SV_EUlSU_E_NS1_11comp_targetILNS1_3genE9ELNS1_11target_archE1100ELNS1_3gpuE3ELNS1_3repE0EEENS1_30default_config_static_selectorELNS0_4arch9wavefront6targetE1EEEvT1_,"axG",@progbits,_ZN7rocprim17ROCPRIM_400000_NS6detail17trampoline_kernelINS0_14default_configENS1_20scan_config_selectorIN3c107complexIdEEEEZZNS1_9scan_implILNS1_25lookback_scan_determinismE0ELb0ELb0ES3_PKS7_PS7_S7_ZZZN2at6native31launch_logcumsumexp_cuda_kernelERKNSE_10TensorBaseESI_lENKUlvE_clEvENKUlvE1_clEvEUlS7_S7_E_S7_EEDaPvRmT3_T4_T5_mT6_P12ihipStream_tbENKUlT_T0_E_clISt17integral_constantIbLb0EESY_IbLb1EEEEDaSU_SV_EUlSU_E_NS1_11comp_targetILNS1_3genE9ELNS1_11target_archE1100ELNS1_3gpuE3ELNS1_3repE0EEENS1_30default_config_static_selectorELNS0_4arch9wavefront6targetE1EEEvT1_,comdat
.Lfunc_end256:
	.size	_ZN7rocprim17ROCPRIM_400000_NS6detail17trampoline_kernelINS0_14default_configENS1_20scan_config_selectorIN3c107complexIdEEEEZZNS1_9scan_implILNS1_25lookback_scan_determinismE0ELb0ELb0ES3_PKS7_PS7_S7_ZZZN2at6native31launch_logcumsumexp_cuda_kernelERKNSE_10TensorBaseESI_lENKUlvE_clEvENKUlvE1_clEvEUlS7_S7_E_S7_EEDaPvRmT3_T4_T5_mT6_P12ihipStream_tbENKUlT_T0_E_clISt17integral_constantIbLb0EESY_IbLb1EEEEDaSU_SV_EUlSU_E_NS1_11comp_targetILNS1_3genE9ELNS1_11target_archE1100ELNS1_3gpuE3ELNS1_3repE0EEENS1_30default_config_static_selectorELNS0_4arch9wavefront6targetE1EEEvT1_, .Lfunc_end256-_ZN7rocprim17ROCPRIM_400000_NS6detail17trampoline_kernelINS0_14default_configENS1_20scan_config_selectorIN3c107complexIdEEEEZZNS1_9scan_implILNS1_25lookback_scan_determinismE0ELb0ELb0ES3_PKS7_PS7_S7_ZZZN2at6native31launch_logcumsumexp_cuda_kernelERKNSE_10TensorBaseESI_lENKUlvE_clEvENKUlvE1_clEvEUlS7_S7_E_S7_EEDaPvRmT3_T4_T5_mT6_P12ihipStream_tbENKUlT_T0_E_clISt17integral_constantIbLb0EESY_IbLb1EEEEDaSU_SV_EUlSU_E_NS1_11comp_targetILNS1_3genE9ELNS1_11target_archE1100ELNS1_3gpuE3ELNS1_3repE0EEENS1_30default_config_static_selectorELNS0_4arch9wavefront6targetE1EEEvT1_
                                        ; -- End function
	.section	.AMDGPU.csdata,"",@progbits
; Kernel info:
; codeLenInByte = 0
; NumSgprs: 6
; NumVgprs: 0
; NumAgprs: 0
; TotalNumVgprs: 0
; ScratchSize: 0
; MemoryBound: 0
; FloatMode: 240
; IeeeMode: 1
; LDSByteSize: 0 bytes/workgroup (compile time only)
; SGPRBlocks: 0
; VGPRBlocks: 0
; NumSGPRsForWavesPerEU: 6
; NumVGPRsForWavesPerEU: 1
; AccumOffset: 4
; Occupancy: 8
; WaveLimiterHint : 0
; COMPUTE_PGM_RSRC2:SCRATCH_EN: 0
; COMPUTE_PGM_RSRC2:USER_SGPR: 2
; COMPUTE_PGM_RSRC2:TRAP_HANDLER: 0
; COMPUTE_PGM_RSRC2:TGID_X_EN: 1
; COMPUTE_PGM_RSRC2:TGID_Y_EN: 0
; COMPUTE_PGM_RSRC2:TGID_Z_EN: 0
; COMPUTE_PGM_RSRC2:TIDIG_COMP_CNT: 0
; COMPUTE_PGM_RSRC3_GFX90A:ACCUM_OFFSET: 0
; COMPUTE_PGM_RSRC3_GFX90A:TG_SPLIT: 0
	.section	.text._ZN7rocprim17ROCPRIM_400000_NS6detail17trampoline_kernelINS0_14default_configENS1_20scan_config_selectorIN3c107complexIdEEEEZZNS1_9scan_implILNS1_25lookback_scan_determinismE0ELb0ELb0ES3_PKS7_PS7_S7_ZZZN2at6native31launch_logcumsumexp_cuda_kernelERKNSE_10TensorBaseESI_lENKUlvE_clEvENKUlvE1_clEvEUlS7_S7_E_S7_EEDaPvRmT3_T4_T5_mT6_P12ihipStream_tbENKUlT_T0_E_clISt17integral_constantIbLb0EESY_IbLb1EEEEDaSU_SV_EUlSU_E_NS1_11comp_targetILNS1_3genE8ELNS1_11target_archE1030ELNS1_3gpuE2ELNS1_3repE0EEENS1_30default_config_static_selectorELNS0_4arch9wavefront6targetE1EEEvT1_,"axG",@progbits,_ZN7rocprim17ROCPRIM_400000_NS6detail17trampoline_kernelINS0_14default_configENS1_20scan_config_selectorIN3c107complexIdEEEEZZNS1_9scan_implILNS1_25lookback_scan_determinismE0ELb0ELb0ES3_PKS7_PS7_S7_ZZZN2at6native31launch_logcumsumexp_cuda_kernelERKNSE_10TensorBaseESI_lENKUlvE_clEvENKUlvE1_clEvEUlS7_S7_E_S7_EEDaPvRmT3_T4_T5_mT6_P12ihipStream_tbENKUlT_T0_E_clISt17integral_constantIbLb0EESY_IbLb1EEEEDaSU_SV_EUlSU_E_NS1_11comp_targetILNS1_3genE8ELNS1_11target_archE1030ELNS1_3gpuE2ELNS1_3repE0EEENS1_30default_config_static_selectorELNS0_4arch9wavefront6targetE1EEEvT1_,comdat
	.globl	_ZN7rocprim17ROCPRIM_400000_NS6detail17trampoline_kernelINS0_14default_configENS1_20scan_config_selectorIN3c107complexIdEEEEZZNS1_9scan_implILNS1_25lookback_scan_determinismE0ELb0ELb0ES3_PKS7_PS7_S7_ZZZN2at6native31launch_logcumsumexp_cuda_kernelERKNSE_10TensorBaseESI_lENKUlvE_clEvENKUlvE1_clEvEUlS7_S7_E_S7_EEDaPvRmT3_T4_T5_mT6_P12ihipStream_tbENKUlT_T0_E_clISt17integral_constantIbLb0EESY_IbLb1EEEEDaSU_SV_EUlSU_E_NS1_11comp_targetILNS1_3genE8ELNS1_11target_archE1030ELNS1_3gpuE2ELNS1_3repE0EEENS1_30default_config_static_selectorELNS0_4arch9wavefront6targetE1EEEvT1_ ; -- Begin function _ZN7rocprim17ROCPRIM_400000_NS6detail17trampoline_kernelINS0_14default_configENS1_20scan_config_selectorIN3c107complexIdEEEEZZNS1_9scan_implILNS1_25lookback_scan_determinismE0ELb0ELb0ES3_PKS7_PS7_S7_ZZZN2at6native31launch_logcumsumexp_cuda_kernelERKNSE_10TensorBaseESI_lENKUlvE_clEvENKUlvE1_clEvEUlS7_S7_E_S7_EEDaPvRmT3_T4_T5_mT6_P12ihipStream_tbENKUlT_T0_E_clISt17integral_constantIbLb0EESY_IbLb1EEEEDaSU_SV_EUlSU_E_NS1_11comp_targetILNS1_3genE8ELNS1_11target_archE1030ELNS1_3gpuE2ELNS1_3repE0EEENS1_30default_config_static_selectorELNS0_4arch9wavefront6targetE1EEEvT1_
	.p2align	8
	.type	_ZN7rocprim17ROCPRIM_400000_NS6detail17trampoline_kernelINS0_14default_configENS1_20scan_config_selectorIN3c107complexIdEEEEZZNS1_9scan_implILNS1_25lookback_scan_determinismE0ELb0ELb0ES3_PKS7_PS7_S7_ZZZN2at6native31launch_logcumsumexp_cuda_kernelERKNSE_10TensorBaseESI_lENKUlvE_clEvENKUlvE1_clEvEUlS7_S7_E_S7_EEDaPvRmT3_T4_T5_mT6_P12ihipStream_tbENKUlT_T0_E_clISt17integral_constantIbLb0EESY_IbLb1EEEEDaSU_SV_EUlSU_E_NS1_11comp_targetILNS1_3genE8ELNS1_11target_archE1030ELNS1_3gpuE2ELNS1_3repE0EEENS1_30default_config_static_selectorELNS0_4arch9wavefront6targetE1EEEvT1_,@function
_ZN7rocprim17ROCPRIM_400000_NS6detail17trampoline_kernelINS0_14default_configENS1_20scan_config_selectorIN3c107complexIdEEEEZZNS1_9scan_implILNS1_25lookback_scan_determinismE0ELb0ELb0ES3_PKS7_PS7_S7_ZZZN2at6native31launch_logcumsumexp_cuda_kernelERKNSE_10TensorBaseESI_lENKUlvE_clEvENKUlvE1_clEvEUlS7_S7_E_S7_EEDaPvRmT3_T4_T5_mT6_P12ihipStream_tbENKUlT_T0_E_clISt17integral_constantIbLb0EESY_IbLb1EEEEDaSU_SV_EUlSU_E_NS1_11comp_targetILNS1_3genE8ELNS1_11target_archE1030ELNS1_3gpuE2ELNS1_3repE0EEENS1_30default_config_static_selectorELNS0_4arch9wavefront6targetE1EEEvT1_: ; @_ZN7rocprim17ROCPRIM_400000_NS6detail17trampoline_kernelINS0_14default_configENS1_20scan_config_selectorIN3c107complexIdEEEEZZNS1_9scan_implILNS1_25lookback_scan_determinismE0ELb0ELb0ES3_PKS7_PS7_S7_ZZZN2at6native31launch_logcumsumexp_cuda_kernelERKNSE_10TensorBaseESI_lENKUlvE_clEvENKUlvE1_clEvEUlS7_S7_E_S7_EEDaPvRmT3_T4_T5_mT6_P12ihipStream_tbENKUlT_T0_E_clISt17integral_constantIbLb0EESY_IbLb1EEEEDaSU_SV_EUlSU_E_NS1_11comp_targetILNS1_3genE8ELNS1_11target_archE1030ELNS1_3gpuE2ELNS1_3repE0EEENS1_30default_config_static_selectorELNS0_4arch9wavefront6targetE1EEEvT1_
; %bb.0:
	.section	.rodata,"a",@progbits
	.p2align	6, 0x0
	.amdhsa_kernel _ZN7rocprim17ROCPRIM_400000_NS6detail17trampoline_kernelINS0_14default_configENS1_20scan_config_selectorIN3c107complexIdEEEEZZNS1_9scan_implILNS1_25lookback_scan_determinismE0ELb0ELb0ES3_PKS7_PS7_S7_ZZZN2at6native31launch_logcumsumexp_cuda_kernelERKNSE_10TensorBaseESI_lENKUlvE_clEvENKUlvE1_clEvEUlS7_S7_E_S7_EEDaPvRmT3_T4_T5_mT6_P12ihipStream_tbENKUlT_T0_E_clISt17integral_constantIbLb0EESY_IbLb1EEEEDaSU_SV_EUlSU_E_NS1_11comp_targetILNS1_3genE8ELNS1_11target_archE1030ELNS1_3gpuE2ELNS1_3repE0EEENS1_30default_config_static_selectorELNS0_4arch9wavefront6targetE1EEEvT1_
		.amdhsa_group_segment_fixed_size 0
		.amdhsa_private_segment_fixed_size 0
		.amdhsa_kernarg_size 128
		.amdhsa_user_sgpr_count 2
		.amdhsa_user_sgpr_dispatch_ptr 0
		.amdhsa_user_sgpr_queue_ptr 0
		.amdhsa_user_sgpr_kernarg_segment_ptr 1
		.amdhsa_user_sgpr_dispatch_id 0
		.amdhsa_user_sgpr_kernarg_preload_length 0
		.amdhsa_user_sgpr_kernarg_preload_offset 0
		.amdhsa_user_sgpr_private_segment_size 0
		.amdhsa_uses_dynamic_stack 0
		.amdhsa_enable_private_segment 0
		.amdhsa_system_sgpr_workgroup_id_x 1
		.amdhsa_system_sgpr_workgroup_id_y 0
		.amdhsa_system_sgpr_workgroup_id_z 0
		.amdhsa_system_sgpr_workgroup_info 0
		.amdhsa_system_vgpr_workitem_id 0
		.amdhsa_next_free_vgpr 1
		.amdhsa_next_free_sgpr 0
		.amdhsa_accum_offset 4
		.amdhsa_reserve_vcc 0
		.amdhsa_float_round_mode_32 0
		.amdhsa_float_round_mode_16_64 0
		.amdhsa_float_denorm_mode_32 3
		.amdhsa_float_denorm_mode_16_64 3
		.amdhsa_dx10_clamp 1
		.amdhsa_ieee_mode 1
		.amdhsa_fp16_overflow 0
		.amdhsa_tg_split 0
		.amdhsa_exception_fp_ieee_invalid_op 0
		.amdhsa_exception_fp_denorm_src 0
		.amdhsa_exception_fp_ieee_div_zero 0
		.amdhsa_exception_fp_ieee_overflow 0
		.amdhsa_exception_fp_ieee_underflow 0
		.amdhsa_exception_fp_ieee_inexact 0
		.amdhsa_exception_int_div_zero 0
	.end_amdhsa_kernel
	.section	.text._ZN7rocprim17ROCPRIM_400000_NS6detail17trampoline_kernelINS0_14default_configENS1_20scan_config_selectorIN3c107complexIdEEEEZZNS1_9scan_implILNS1_25lookback_scan_determinismE0ELb0ELb0ES3_PKS7_PS7_S7_ZZZN2at6native31launch_logcumsumexp_cuda_kernelERKNSE_10TensorBaseESI_lENKUlvE_clEvENKUlvE1_clEvEUlS7_S7_E_S7_EEDaPvRmT3_T4_T5_mT6_P12ihipStream_tbENKUlT_T0_E_clISt17integral_constantIbLb0EESY_IbLb1EEEEDaSU_SV_EUlSU_E_NS1_11comp_targetILNS1_3genE8ELNS1_11target_archE1030ELNS1_3gpuE2ELNS1_3repE0EEENS1_30default_config_static_selectorELNS0_4arch9wavefront6targetE1EEEvT1_,"axG",@progbits,_ZN7rocprim17ROCPRIM_400000_NS6detail17trampoline_kernelINS0_14default_configENS1_20scan_config_selectorIN3c107complexIdEEEEZZNS1_9scan_implILNS1_25lookback_scan_determinismE0ELb0ELb0ES3_PKS7_PS7_S7_ZZZN2at6native31launch_logcumsumexp_cuda_kernelERKNSE_10TensorBaseESI_lENKUlvE_clEvENKUlvE1_clEvEUlS7_S7_E_S7_EEDaPvRmT3_T4_T5_mT6_P12ihipStream_tbENKUlT_T0_E_clISt17integral_constantIbLb0EESY_IbLb1EEEEDaSU_SV_EUlSU_E_NS1_11comp_targetILNS1_3genE8ELNS1_11target_archE1030ELNS1_3gpuE2ELNS1_3repE0EEENS1_30default_config_static_selectorELNS0_4arch9wavefront6targetE1EEEvT1_,comdat
.Lfunc_end257:
	.size	_ZN7rocprim17ROCPRIM_400000_NS6detail17trampoline_kernelINS0_14default_configENS1_20scan_config_selectorIN3c107complexIdEEEEZZNS1_9scan_implILNS1_25lookback_scan_determinismE0ELb0ELb0ES3_PKS7_PS7_S7_ZZZN2at6native31launch_logcumsumexp_cuda_kernelERKNSE_10TensorBaseESI_lENKUlvE_clEvENKUlvE1_clEvEUlS7_S7_E_S7_EEDaPvRmT3_T4_T5_mT6_P12ihipStream_tbENKUlT_T0_E_clISt17integral_constantIbLb0EESY_IbLb1EEEEDaSU_SV_EUlSU_E_NS1_11comp_targetILNS1_3genE8ELNS1_11target_archE1030ELNS1_3gpuE2ELNS1_3repE0EEENS1_30default_config_static_selectorELNS0_4arch9wavefront6targetE1EEEvT1_, .Lfunc_end257-_ZN7rocprim17ROCPRIM_400000_NS6detail17trampoline_kernelINS0_14default_configENS1_20scan_config_selectorIN3c107complexIdEEEEZZNS1_9scan_implILNS1_25lookback_scan_determinismE0ELb0ELb0ES3_PKS7_PS7_S7_ZZZN2at6native31launch_logcumsumexp_cuda_kernelERKNSE_10TensorBaseESI_lENKUlvE_clEvENKUlvE1_clEvEUlS7_S7_E_S7_EEDaPvRmT3_T4_T5_mT6_P12ihipStream_tbENKUlT_T0_E_clISt17integral_constantIbLb0EESY_IbLb1EEEEDaSU_SV_EUlSU_E_NS1_11comp_targetILNS1_3genE8ELNS1_11target_archE1030ELNS1_3gpuE2ELNS1_3repE0EEENS1_30default_config_static_selectorELNS0_4arch9wavefront6targetE1EEEvT1_
                                        ; -- End function
	.section	.AMDGPU.csdata,"",@progbits
; Kernel info:
; codeLenInByte = 0
; NumSgprs: 6
; NumVgprs: 0
; NumAgprs: 0
; TotalNumVgprs: 0
; ScratchSize: 0
; MemoryBound: 0
; FloatMode: 240
; IeeeMode: 1
; LDSByteSize: 0 bytes/workgroup (compile time only)
; SGPRBlocks: 0
; VGPRBlocks: 0
; NumSGPRsForWavesPerEU: 6
; NumVGPRsForWavesPerEU: 1
; AccumOffset: 4
; Occupancy: 8
; WaveLimiterHint : 0
; COMPUTE_PGM_RSRC2:SCRATCH_EN: 0
; COMPUTE_PGM_RSRC2:USER_SGPR: 2
; COMPUTE_PGM_RSRC2:TRAP_HANDLER: 0
; COMPUTE_PGM_RSRC2:TGID_X_EN: 1
; COMPUTE_PGM_RSRC2:TGID_Y_EN: 0
; COMPUTE_PGM_RSRC2:TGID_Z_EN: 0
; COMPUTE_PGM_RSRC2:TIDIG_COMP_CNT: 0
; COMPUTE_PGM_RSRC3_GFX90A:ACCUM_OFFSET: 0
; COMPUTE_PGM_RSRC3_GFX90A:TG_SPLIT: 0
	.section	.text._ZN7rocprim17ROCPRIM_400000_NS6detail17trampoline_kernelINS0_14default_configENS1_20scan_config_selectorIN3c107complexIdEEEEZZNS1_9scan_implILNS1_25lookback_scan_determinismE0ELb0ELb0ES3_PKS7_PS7_S7_ZZZN2at6native31launch_logcumsumexp_cuda_kernelERKNSE_10TensorBaseESI_lENKUlvE_clEvENKUlvE1_clEvEUlS7_S7_E_S7_EEDaPvRmT3_T4_T5_mT6_P12ihipStream_tbENKUlT_T0_E_clISt17integral_constantIbLb0EESY_IbLb1EEEEDaSU_SV_EUlSU_E0_NS1_11comp_targetILNS1_3genE0ELNS1_11target_archE4294967295ELNS1_3gpuE0ELNS1_3repE0EEENS1_30default_config_static_selectorELNS0_4arch9wavefront6targetE1EEEvT1_,"axG",@progbits,_ZN7rocprim17ROCPRIM_400000_NS6detail17trampoline_kernelINS0_14default_configENS1_20scan_config_selectorIN3c107complexIdEEEEZZNS1_9scan_implILNS1_25lookback_scan_determinismE0ELb0ELb0ES3_PKS7_PS7_S7_ZZZN2at6native31launch_logcumsumexp_cuda_kernelERKNSE_10TensorBaseESI_lENKUlvE_clEvENKUlvE1_clEvEUlS7_S7_E_S7_EEDaPvRmT3_T4_T5_mT6_P12ihipStream_tbENKUlT_T0_E_clISt17integral_constantIbLb0EESY_IbLb1EEEEDaSU_SV_EUlSU_E0_NS1_11comp_targetILNS1_3genE0ELNS1_11target_archE4294967295ELNS1_3gpuE0ELNS1_3repE0EEENS1_30default_config_static_selectorELNS0_4arch9wavefront6targetE1EEEvT1_,comdat
	.globl	_ZN7rocprim17ROCPRIM_400000_NS6detail17trampoline_kernelINS0_14default_configENS1_20scan_config_selectorIN3c107complexIdEEEEZZNS1_9scan_implILNS1_25lookback_scan_determinismE0ELb0ELb0ES3_PKS7_PS7_S7_ZZZN2at6native31launch_logcumsumexp_cuda_kernelERKNSE_10TensorBaseESI_lENKUlvE_clEvENKUlvE1_clEvEUlS7_S7_E_S7_EEDaPvRmT3_T4_T5_mT6_P12ihipStream_tbENKUlT_T0_E_clISt17integral_constantIbLb0EESY_IbLb1EEEEDaSU_SV_EUlSU_E0_NS1_11comp_targetILNS1_3genE0ELNS1_11target_archE4294967295ELNS1_3gpuE0ELNS1_3repE0EEENS1_30default_config_static_selectorELNS0_4arch9wavefront6targetE1EEEvT1_ ; -- Begin function _ZN7rocprim17ROCPRIM_400000_NS6detail17trampoline_kernelINS0_14default_configENS1_20scan_config_selectorIN3c107complexIdEEEEZZNS1_9scan_implILNS1_25lookback_scan_determinismE0ELb0ELb0ES3_PKS7_PS7_S7_ZZZN2at6native31launch_logcumsumexp_cuda_kernelERKNSE_10TensorBaseESI_lENKUlvE_clEvENKUlvE1_clEvEUlS7_S7_E_S7_EEDaPvRmT3_T4_T5_mT6_P12ihipStream_tbENKUlT_T0_E_clISt17integral_constantIbLb0EESY_IbLb1EEEEDaSU_SV_EUlSU_E0_NS1_11comp_targetILNS1_3genE0ELNS1_11target_archE4294967295ELNS1_3gpuE0ELNS1_3repE0EEENS1_30default_config_static_selectorELNS0_4arch9wavefront6targetE1EEEvT1_
	.p2align	8
	.type	_ZN7rocprim17ROCPRIM_400000_NS6detail17trampoline_kernelINS0_14default_configENS1_20scan_config_selectorIN3c107complexIdEEEEZZNS1_9scan_implILNS1_25lookback_scan_determinismE0ELb0ELb0ES3_PKS7_PS7_S7_ZZZN2at6native31launch_logcumsumexp_cuda_kernelERKNSE_10TensorBaseESI_lENKUlvE_clEvENKUlvE1_clEvEUlS7_S7_E_S7_EEDaPvRmT3_T4_T5_mT6_P12ihipStream_tbENKUlT_T0_E_clISt17integral_constantIbLb0EESY_IbLb1EEEEDaSU_SV_EUlSU_E0_NS1_11comp_targetILNS1_3genE0ELNS1_11target_archE4294967295ELNS1_3gpuE0ELNS1_3repE0EEENS1_30default_config_static_selectorELNS0_4arch9wavefront6targetE1EEEvT1_,@function
_ZN7rocprim17ROCPRIM_400000_NS6detail17trampoline_kernelINS0_14default_configENS1_20scan_config_selectorIN3c107complexIdEEEEZZNS1_9scan_implILNS1_25lookback_scan_determinismE0ELb0ELb0ES3_PKS7_PS7_S7_ZZZN2at6native31launch_logcumsumexp_cuda_kernelERKNSE_10TensorBaseESI_lENKUlvE_clEvENKUlvE1_clEvEUlS7_S7_E_S7_EEDaPvRmT3_T4_T5_mT6_P12ihipStream_tbENKUlT_T0_E_clISt17integral_constantIbLb0EESY_IbLb1EEEEDaSU_SV_EUlSU_E0_NS1_11comp_targetILNS1_3genE0ELNS1_11target_archE4294967295ELNS1_3gpuE0ELNS1_3repE0EEENS1_30default_config_static_selectorELNS0_4arch9wavefront6targetE1EEEvT1_: ; @_ZN7rocprim17ROCPRIM_400000_NS6detail17trampoline_kernelINS0_14default_configENS1_20scan_config_selectorIN3c107complexIdEEEEZZNS1_9scan_implILNS1_25lookback_scan_determinismE0ELb0ELb0ES3_PKS7_PS7_S7_ZZZN2at6native31launch_logcumsumexp_cuda_kernelERKNSE_10TensorBaseESI_lENKUlvE_clEvENKUlvE1_clEvEUlS7_S7_E_S7_EEDaPvRmT3_T4_T5_mT6_P12ihipStream_tbENKUlT_T0_E_clISt17integral_constantIbLb0EESY_IbLb1EEEEDaSU_SV_EUlSU_E0_NS1_11comp_targetILNS1_3genE0ELNS1_11target_archE4294967295ELNS1_3gpuE0ELNS1_3repE0EEENS1_30default_config_static_selectorELNS0_4arch9wavefront6targetE1EEEvT1_
; %bb.0:
	.section	.rodata,"a",@progbits
	.p2align	6, 0x0
	.amdhsa_kernel _ZN7rocprim17ROCPRIM_400000_NS6detail17trampoline_kernelINS0_14default_configENS1_20scan_config_selectorIN3c107complexIdEEEEZZNS1_9scan_implILNS1_25lookback_scan_determinismE0ELb0ELb0ES3_PKS7_PS7_S7_ZZZN2at6native31launch_logcumsumexp_cuda_kernelERKNSE_10TensorBaseESI_lENKUlvE_clEvENKUlvE1_clEvEUlS7_S7_E_S7_EEDaPvRmT3_T4_T5_mT6_P12ihipStream_tbENKUlT_T0_E_clISt17integral_constantIbLb0EESY_IbLb1EEEEDaSU_SV_EUlSU_E0_NS1_11comp_targetILNS1_3genE0ELNS1_11target_archE4294967295ELNS1_3gpuE0ELNS1_3repE0EEENS1_30default_config_static_selectorELNS0_4arch9wavefront6targetE1EEEvT1_
		.amdhsa_group_segment_fixed_size 0
		.amdhsa_private_segment_fixed_size 0
		.amdhsa_kernarg_size 48
		.amdhsa_user_sgpr_count 2
		.amdhsa_user_sgpr_dispatch_ptr 0
		.amdhsa_user_sgpr_queue_ptr 0
		.amdhsa_user_sgpr_kernarg_segment_ptr 1
		.amdhsa_user_sgpr_dispatch_id 0
		.amdhsa_user_sgpr_kernarg_preload_length 0
		.amdhsa_user_sgpr_kernarg_preload_offset 0
		.amdhsa_user_sgpr_private_segment_size 0
		.amdhsa_uses_dynamic_stack 0
		.amdhsa_enable_private_segment 0
		.amdhsa_system_sgpr_workgroup_id_x 1
		.amdhsa_system_sgpr_workgroup_id_y 0
		.amdhsa_system_sgpr_workgroup_id_z 0
		.amdhsa_system_sgpr_workgroup_info 0
		.amdhsa_system_vgpr_workitem_id 0
		.amdhsa_next_free_vgpr 1
		.amdhsa_next_free_sgpr 0
		.amdhsa_accum_offset 4
		.amdhsa_reserve_vcc 0
		.amdhsa_float_round_mode_32 0
		.amdhsa_float_round_mode_16_64 0
		.amdhsa_float_denorm_mode_32 3
		.amdhsa_float_denorm_mode_16_64 3
		.amdhsa_dx10_clamp 1
		.amdhsa_ieee_mode 1
		.amdhsa_fp16_overflow 0
		.amdhsa_tg_split 0
		.amdhsa_exception_fp_ieee_invalid_op 0
		.amdhsa_exception_fp_denorm_src 0
		.amdhsa_exception_fp_ieee_div_zero 0
		.amdhsa_exception_fp_ieee_overflow 0
		.amdhsa_exception_fp_ieee_underflow 0
		.amdhsa_exception_fp_ieee_inexact 0
		.amdhsa_exception_int_div_zero 0
	.end_amdhsa_kernel
	.section	.text._ZN7rocprim17ROCPRIM_400000_NS6detail17trampoline_kernelINS0_14default_configENS1_20scan_config_selectorIN3c107complexIdEEEEZZNS1_9scan_implILNS1_25lookback_scan_determinismE0ELb0ELb0ES3_PKS7_PS7_S7_ZZZN2at6native31launch_logcumsumexp_cuda_kernelERKNSE_10TensorBaseESI_lENKUlvE_clEvENKUlvE1_clEvEUlS7_S7_E_S7_EEDaPvRmT3_T4_T5_mT6_P12ihipStream_tbENKUlT_T0_E_clISt17integral_constantIbLb0EESY_IbLb1EEEEDaSU_SV_EUlSU_E0_NS1_11comp_targetILNS1_3genE0ELNS1_11target_archE4294967295ELNS1_3gpuE0ELNS1_3repE0EEENS1_30default_config_static_selectorELNS0_4arch9wavefront6targetE1EEEvT1_,"axG",@progbits,_ZN7rocprim17ROCPRIM_400000_NS6detail17trampoline_kernelINS0_14default_configENS1_20scan_config_selectorIN3c107complexIdEEEEZZNS1_9scan_implILNS1_25lookback_scan_determinismE0ELb0ELb0ES3_PKS7_PS7_S7_ZZZN2at6native31launch_logcumsumexp_cuda_kernelERKNSE_10TensorBaseESI_lENKUlvE_clEvENKUlvE1_clEvEUlS7_S7_E_S7_EEDaPvRmT3_T4_T5_mT6_P12ihipStream_tbENKUlT_T0_E_clISt17integral_constantIbLb0EESY_IbLb1EEEEDaSU_SV_EUlSU_E0_NS1_11comp_targetILNS1_3genE0ELNS1_11target_archE4294967295ELNS1_3gpuE0ELNS1_3repE0EEENS1_30default_config_static_selectorELNS0_4arch9wavefront6targetE1EEEvT1_,comdat
.Lfunc_end258:
	.size	_ZN7rocprim17ROCPRIM_400000_NS6detail17trampoline_kernelINS0_14default_configENS1_20scan_config_selectorIN3c107complexIdEEEEZZNS1_9scan_implILNS1_25lookback_scan_determinismE0ELb0ELb0ES3_PKS7_PS7_S7_ZZZN2at6native31launch_logcumsumexp_cuda_kernelERKNSE_10TensorBaseESI_lENKUlvE_clEvENKUlvE1_clEvEUlS7_S7_E_S7_EEDaPvRmT3_T4_T5_mT6_P12ihipStream_tbENKUlT_T0_E_clISt17integral_constantIbLb0EESY_IbLb1EEEEDaSU_SV_EUlSU_E0_NS1_11comp_targetILNS1_3genE0ELNS1_11target_archE4294967295ELNS1_3gpuE0ELNS1_3repE0EEENS1_30default_config_static_selectorELNS0_4arch9wavefront6targetE1EEEvT1_, .Lfunc_end258-_ZN7rocprim17ROCPRIM_400000_NS6detail17trampoline_kernelINS0_14default_configENS1_20scan_config_selectorIN3c107complexIdEEEEZZNS1_9scan_implILNS1_25lookback_scan_determinismE0ELb0ELb0ES3_PKS7_PS7_S7_ZZZN2at6native31launch_logcumsumexp_cuda_kernelERKNSE_10TensorBaseESI_lENKUlvE_clEvENKUlvE1_clEvEUlS7_S7_E_S7_EEDaPvRmT3_T4_T5_mT6_P12ihipStream_tbENKUlT_T0_E_clISt17integral_constantIbLb0EESY_IbLb1EEEEDaSU_SV_EUlSU_E0_NS1_11comp_targetILNS1_3genE0ELNS1_11target_archE4294967295ELNS1_3gpuE0ELNS1_3repE0EEENS1_30default_config_static_selectorELNS0_4arch9wavefront6targetE1EEEvT1_
                                        ; -- End function
	.section	.AMDGPU.csdata,"",@progbits
; Kernel info:
; codeLenInByte = 0
; NumSgprs: 6
; NumVgprs: 0
; NumAgprs: 0
; TotalNumVgprs: 0
; ScratchSize: 0
; MemoryBound: 0
; FloatMode: 240
; IeeeMode: 1
; LDSByteSize: 0 bytes/workgroup (compile time only)
; SGPRBlocks: 0
; VGPRBlocks: 0
; NumSGPRsForWavesPerEU: 6
; NumVGPRsForWavesPerEU: 1
; AccumOffset: 4
; Occupancy: 8
; WaveLimiterHint : 0
; COMPUTE_PGM_RSRC2:SCRATCH_EN: 0
; COMPUTE_PGM_RSRC2:USER_SGPR: 2
; COMPUTE_PGM_RSRC2:TRAP_HANDLER: 0
; COMPUTE_PGM_RSRC2:TGID_X_EN: 1
; COMPUTE_PGM_RSRC2:TGID_Y_EN: 0
; COMPUTE_PGM_RSRC2:TGID_Z_EN: 0
; COMPUTE_PGM_RSRC2:TIDIG_COMP_CNT: 0
; COMPUTE_PGM_RSRC3_GFX90A:ACCUM_OFFSET: 0
; COMPUTE_PGM_RSRC3_GFX90A:TG_SPLIT: 0
	.section	.text._ZN7rocprim17ROCPRIM_400000_NS6detail17trampoline_kernelINS0_14default_configENS1_20scan_config_selectorIN3c107complexIdEEEEZZNS1_9scan_implILNS1_25lookback_scan_determinismE0ELb0ELb0ES3_PKS7_PS7_S7_ZZZN2at6native31launch_logcumsumexp_cuda_kernelERKNSE_10TensorBaseESI_lENKUlvE_clEvENKUlvE1_clEvEUlS7_S7_E_S7_EEDaPvRmT3_T4_T5_mT6_P12ihipStream_tbENKUlT_T0_E_clISt17integral_constantIbLb0EESY_IbLb1EEEEDaSU_SV_EUlSU_E0_NS1_11comp_targetILNS1_3genE5ELNS1_11target_archE942ELNS1_3gpuE9ELNS1_3repE0EEENS1_30default_config_static_selectorELNS0_4arch9wavefront6targetE1EEEvT1_,"axG",@progbits,_ZN7rocprim17ROCPRIM_400000_NS6detail17trampoline_kernelINS0_14default_configENS1_20scan_config_selectorIN3c107complexIdEEEEZZNS1_9scan_implILNS1_25lookback_scan_determinismE0ELb0ELb0ES3_PKS7_PS7_S7_ZZZN2at6native31launch_logcumsumexp_cuda_kernelERKNSE_10TensorBaseESI_lENKUlvE_clEvENKUlvE1_clEvEUlS7_S7_E_S7_EEDaPvRmT3_T4_T5_mT6_P12ihipStream_tbENKUlT_T0_E_clISt17integral_constantIbLb0EESY_IbLb1EEEEDaSU_SV_EUlSU_E0_NS1_11comp_targetILNS1_3genE5ELNS1_11target_archE942ELNS1_3gpuE9ELNS1_3repE0EEENS1_30default_config_static_selectorELNS0_4arch9wavefront6targetE1EEEvT1_,comdat
	.globl	_ZN7rocprim17ROCPRIM_400000_NS6detail17trampoline_kernelINS0_14default_configENS1_20scan_config_selectorIN3c107complexIdEEEEZZNS1_9scan_implILNS1_25lookback_scan_determinismE0ELb0ELb0ES3_PKS7_PS7_S7_ZZZN2at6native31launch_logcumsumexp_cuda_kernelERKNSE_10TensorBaseESI_lENKUlvE_clEvENKUlvE1_clEvEUlS7_S7_E_S7_EEDaPvRmT3_T4_T5_mT6_P12ihipStream_tbENKUlT_T0_E_clISt17integral_constantIbLb0EESY_IbLb1EEEEDaSU_SV_EUlSU_E0_NS1_11comp_targetILNS1_3genE5ELNS1_11target_archE942ELNS1_3gpuE9ELNS1_3repE0EEENS1_30default_config_static_selectorELNS0_4arch9wavefront6targetE1EEEvT1_ ; -- Begin function _ZN7rocprim17ROCPRIM_400000_NS6detail17trampoline_kernelINS0_14default_configENS1_20scan_config_selectorIN3c107complexIdEEEEZZNS1_9scan_implILNS1_25lookback_scan_determinismE0ELb0ELb0ES3_PKS7_PS7_S7_ZZZN2at6native31launch_logcumsumexp_cuda_kernelERKNSE_10TensorBaseESI_lENKUlvE_clEvENKUlvE1_clEvEUlS7_S7_E_S7_EEDaPvRmT3_T4_T5_mT6_P12ihipStream_tbENKUlT_T0_E_clISt17integral_constantIbLb0EESY_IbLb1EEEEDaSU_SV_EUlSU_E0_NS1_11comp_targetILNS1_3genE5ELNS1_11target_archE942ELNS1_3gpuE9ELNS1_3repE0EEENS1_30default_config_static_selectorELNS0_4arch9wavefront6targetE1EEEvT1_
	.p2align	8
	.type	_ZN7rocprim17ROCPRIM_400000_NS6detail17trampoline_kernelINS0_14default_configENS1_20scan_config_selectorIN3c107complexIdEEEEZZNS1_9scan_implILNS1_25lookback_scan_determinismE0ELb0ELb0ES3_PKS7_PS7_S7_ZZZN2at6native31launch_logcumsumexp_cuda_kernelERKNSE_10TensorBaseESI_lENKUlvE_clEvENKUlvE1_clEvEUlS7_S7_E_S7_EEDaPvRmT3_T4_T5_mT6_P12ihipStream_tbENKUlT_T0_E_clISt17integral_constantIbLb0EESY_IbLb1EEEEDaSU_SV_EUlSU_E0_NS1_11comp_targetILNS1_3genE5ELNS1_11target_archE942ELNS1_3gpuE9ELNS1_3repE0EEENS1_30default_config_static_selectorELNS0_4arch9wavefront6targetE1EEEvT1_,@function
_ZN7rocprim17ROCPRIM_400000_NS6detail17trampoline_kernelINS0_14default_configENS1_20scan_config_selectorIN3c107complexIdEEEEZZNS1_9scan_implILNS1_25lookback_scan_determinismE0ELb0ELb0ES3_PKS7_PS7_S7_ZZZN2at6native31launch_logcumsumexp_cuda_kernelERKNSE_10TensorBaseESI_lENKUlvE_clEvENKUlvE1_clEvEUlS7_S7_E_S7_EEDaPvRmT3_T4_T5_mT6_P12ihipStream_tbENKUlT_T0_E_clISt17integral_constantIbLb0EESY_IbLb1EEEEDaSU_SV_EUlSU_E0_NS1_11comp_targetILNS1_3genE5ELNS1_11target_archE942ELNS1_3gpuE9ELNS1_3repE0EEENS1_30default_config_static_selectorELNS0_4arch9wavefront6targetE1EEEvT1_: ; @_ZN7rocprim17ROCPRIM_400000_NS6detail17trampoline_kernelINS0_14default_configENS1_20scan_config_selectorIN3c107complexIdEEEEZZNS1_9scan_implILNS1_25lookback_scan_determinismE0ELb0ELb0ES3_PKS7_PS7_S7_ZZZN2at6native31launch_logcumsumexp_cuda_kernelERKNSE_10TensorBaseESI_lENKUlvE_clEvENKUlvE1_clEvEUlS7_S7_E_S7_EEDaPvRmT3_T4_T5_mT6_P12ihipStream_tbENKUlT_T0_E_clISt17integral_constantIbLb0EESY_IbLb1EEEEDaSU_SV_EUlSU_E0_NS1_11comp_targetILNS1_3genE5ELNS1_11target_archE942ELNS1_3gpuE9ELNS1_3repE0EEENS1_30default_config_static_selectorELNS0_4arch9wavefront6targetE1EEEvT1_
; %bb.0:
	s_mov_b64 s[62:63], s[0:1]
	s_load_dwordx4 s[0:3], s[0:1], 0x0
	v_mov_b32_e32 v41, v0
	v_lshlrev_b32_e32 v164, 4, v41
	s_mov_b32 s32, 0
	s_waitcnt lgkmcnt(0)
	s_load_dwordx4 s[4:7], s[0:1], 0x0
	v_cmp_gt_u32_e64 s[34:35], s2, v41
	s_waitcnt lgkmcnt(0)
	v_mov_b64_e32 v[2:3], s[6:7]
	v_mov_b64_e32 v[0:1], s[4:5]
	s_and_saveexec_b64 s[8:9], s[34:35]
	s_cbranch_execz .LBB259_2
; %bb.1:
	global_load_dwordx4 v[0:3], v164, s[0:1]
.LBB259_2:
	s_or_b64 exec, exec, s[8:9]
	v_or_b32_e32 v8, 0x100, v41
	v_cmp_gt_u32_e64 s[36:37], s2, v8
	v_mov_b64_e32 v[6:7], s[6:7]
	v_mov_b64_e32 v[4:5], s[4:5]
	s_and_saveexec_b64 s[8:9], s[36:37]
	s_cbranch_execz .LBB259_4
; %bb.3:
	v_lshlrev_b32_e32 v4, 4, v8
	global_load_dwordx4 v[4:7], v4, s[0:1]
.LBB259_4:
	s_or_b64 exec, exec, s[8:9]
	v_or_b32_e32 v12, 0x200, v41
	v_cmp_gt_u32_e64 s[38:39], s2, v12
	v_mov_b64_e32 v[10:11], s[6:7]
	v_mov_b64_e32 v[8:9], s[4:5]
	s_and_saveexec_b64 s[8:9], s[38:39]
	s_cbranch_execz .LBB259_6
; %bb.5:
	v_lshlrev_b32_e32 v8, 4, v12
	global_load_dwordx4 v[8:11], v8, s[0:1]
.LBB259_6:
	;; [unrolled: 11-line block ×13, first 2 shown]
	s_or_b64 exec, exec, s[2:3]
	s_movk_i32 s0, 0xd0
	s_waitcnt vmcnt(0)
	ds_write_b128 v164, v[0:3]
	ds_write_b128 v164, v[4:7] offset:4096
	ds_write_b128 v164, v[8:11] offset:8192
	ds_write_b128 v164, v[12:15] offset:12288
	ds_write_b128 v164, v[16:19] offset:16384
	ds_write_b128 v164, v[20:23] offset:20480
	ds_write_b128 v164, v[24:27] offset:24576
	ds_write_b128 v164, v[28:31] offset:28672
	ds_write_b128 v164, v[32:35] offset:32768
	ds_write_b128 v164, v[36:39] offset:36864
	ds_write_b128 v164, v[42:45] offset:40960
	ds_write_b128 v164, v[46:49] offset:45056
	ds_write_b128 v164, v[50:53] offset:49152
	ds_write_b128 v164, v[54:57] offset:53248
	v_mad_u32_u24 v46, v41, s0, v164
	s_waitcnt lgkmcnt(0)
	s_barrier
	ds_read_b128 v[42:45], v46
	ds_read_b128 v[128:131], v46 offset:16
	ds_read_b128 v[124:127], v46 offset:32
	;; [unrolled: 1-line block ×13, first 2 shown]
	s_waitcnt lgkmcnt(13)
	v_mov_b32_e32 v0, v42
	v_mov_b32_e32 v1, v43
	;; [unrolled: 1-line block ×4, first 2 shown]
	s_waitcnt lgkmcnt(12)
	v_mov_b32_e32 v4, v128
	v_mov_b32_e32 v5, v129
	;; [unrolled: 1-line block ×4, first 2 shown]
	s_waitcnt lgkmcnt(0)
	s_barrier
	s_getpc_b64 s[64:65]
	s_add_u32 s64, s64, _ZZZZN2at6native31launch_logcumsumexp_cuda_kernelERKNS_10TensorBaseES3_lENKUlvE_clEvENKUlvE1_clEvENKUlN3c107complexIdEES8_E_clES8_S8_@rel32@lo+4
	s_addc_u32 s65, s65, _ZZZZN2at6native31launch_logcumsumexp_cuda_kernelERKNS_10TensorBaseES3_lENKUlvE_clEvENKUlvE1_clEvENKUlN3c107complexIdEES8_E_clES8_S8_@rel32@hi+12
	s_swappc_b64 s[30:31], s[64:65]
	v_mov_b32_e32 v4, v124
	v_mov_b32_e32 v5, v125
	v_mov_b32_e32 v6, v126
	v_mov_b32_e32 v7, v127
	v_mov_b32_e32 v52, v0
	v_mov_b32_e32 v53, v1
	v_mov_b32_e32 v54, v2
	v_mov_b32_e32 v55, v3
	s_swappc_b64 s[30:31], s[64:65]
	v_mov_b32_e32 v4, v116
	v_mov_b32_e32 v5, v117
	v_mov_b32_e32 v6, v118
	v_mov_b32_e32 v7, v119
	v_mov_b32_e32 v64, v0
	v_mov_b32_e32 v65, v1
	v_mov_b32_e32 v66, v2
	v_mov_b32_e32 v67, v3
	;; [unrolled: 9-line block ×12, first 2 shown]
	s_swappc_b64 s[30:31], s[64:65]
	v_mov_b32_e32 v152, v0
	v_mbcnt_lo_u32_b32 v0, -1, 0
	v_mbcnt_hi_u32_b32 v47, -1, v0
	v_mov_b32_e32 v153, v1
	v_mov_b32_e32 v154, v2
	;; [unrolled: 1-line block ×3, first 2 shown]
	v_and_b32_e32 v160, 15, v47
	v_mov_b32_dpp v4, v152 row_shr:1 row_mask:0xf bank_mask:0xf
	v_mov_b32_dpp v5, v153 row_shr:1 row_mask:0xf bank_mask:0xf
	;; [unrolled: 1-line block ×4, first 2 shown]
	v_cmp_ne_u32_e32 vcc, 0, v160
	v_mov_b64_e32 v[158:159], v[154:155]
	v_mov_b64_e32 v[156:157], v[152:153]
	v_mov_b32_e32 v0, v152
	s_and_saveexec_b64 s[66:67], vcc
	s_cbranch_execz .LBB259_30
; %bb.29:
	v_mov_b32_e32 v0, v4
	v_mov_b32_e32 v1, v5
	;; [unrolled: 1-line block ×8, first 2 shown]
	s_swappc_b64 s[30:31], s[64:65]
	v_mov_b32_e32 v156, v0
	v_mov_b32_e32 v157, v1
	;; [unrolled: 1-line block ×4, first 2 shown]
.LBB259_30:
	s_or_b64 exec, exec, s[66:67]
	v_mov_b32_dpp v4, v0 row_shr:2 row_mask:0xf bank_mask:0xf
	v_mov_b32_dpp v5, v1 row_shr:2 row_mask:0xf bank_mask:0xf
	v_mov_b32_dpp v6, v2 row_shr:2 row_mask:0xf bank_mask:0xf
	v_mov_b32_dpp v7, v3 row_shr:2 row_mask:0xf bank_mask:0xf
	v_cmp_lt_u32_e32 vcc, 1, v160
	s_and_saveexec_b64 s[64:65], vcc
	s_cbranch_execz .LBB259_32
; %bb.31:
	v_mov_b32_e32 v0, v4
	v_mov_b32_e32 v1, v5
	v_mov_b32_e32 v2, v6
	v_mov_b32_e32 v3, v7
	v_mov_b32_e32 v4, v156
	v_mov_b32_e32 v5, v157
	v_mov_b32_e32 v6, v158
	v_mov_b32_e32 v7, v159
	s_getpc_b64 s[0:1]
	s_add_u32 s0, s0, _ZZZZN2at6native31launch_logcumsumexp_cuda_kernelERKNS_10TensorBaseES3_lENKUlvE_clEvENKUlvE1_clEvENKUlN3c107complexIdEES8_E_clES8_S8_@rel32@lo+4
	s_addc_u32 s1, s1, _ZZZZN2at6native31launch_logcumsumexp_cuda_kernelERKNS_10TensorBaseES3_lENKUlvE_clEvENKUlvE1_clEvENKUlN3c107complexIdEES8_E_clES8_S8_@rel32@hi+12
	s_swappc_b64 s[30:31], s[0:1]
	v_mov_b64_e32 v[158:159], v[2:3]
	v_mov_b64_e32 v[156:157], v[0:1]
.LBB259_32:
	s_or_b64 exec, exec, s[64:65]
	v_mov_b32_dpp v4, v0 row_shr:4 row_mask:0xf bank_mask:0xf
	v_mov_b32_dpp v5, v1 row_shr:4 row_mask:0xf bank_mask:0xf
	v_mov_b32_dpp v6, v2 row_shr:4 row_mask:0xf bank_mask:0xf
	v_mov_b32_dpp v7, v3 row_shr:4 row_mask:0xf bank_mask:0xf
	v_cmp_lt_u32_e32 vcc, 3, v160
	s_and_saveexec_b64 s[64:65], vcc
	s_cbranch_execz .LBB259_34
; %bb.33:
	v_mov_b32_e32 v0, v4
	v_mov_b32_e32 v1, v5
	v_mov_b32_e32 v2, v6
	v_mov_b32_e32 v3, v7
	v_mov_b32_e32 v4, v156
	v_mov_b32_e32 v5, v157
	v_mov_b32_e32 v6, v158
	v_mov_b32_e32 v7, v159
	s_getpc_b64 s[0:1]
	s_add_u32 s0, s0, _ZZZZN2at6native31launch_logcumsumexp_cuda_kernelERKNS_10TensorBaseES3_lENKUlvE_clEvENKUlvE1_clEvENKUlN3c107complexIdEES8_E_clES8_S8_@rel32@lo+4
	s_addc_u32 s1, s1, _ZZZZN2at6native31launch_logcumsumexp_cuda_kernelERKNS_10TensorBaseES3_lENKUlvE_clEvENKUlvE1_clEvENKUlN3c107complexIdEES8_E_clES8_S8_@rel32@hi+12
	s_swappc_b64 s[30:31], s[0:1]
	v_mov_b64_e32 v[158:159], v[2:3]
	v_mov_b64_e32 v[156:157], v[0:1]
.LBB259_34:
	;; [unrolled: 24-line block ×3, first 2 shown]
	s_or_b64 exec, exec, s[64:65]
	v_and_b32_e32 v8, 16, v47
	v_mov_b32_dpp v4, v0 row_bcast:15 row_mask:0xf bank_mask:0xf
	v_mov_b32_dpp v5, v1 row_bcast:15 row_mask:0xf bank_mask:0xf
	;; [unrolled: 1-line block ×4, first 2 shown]
	v_cmp_ne_u32_e32 vcc, 0, v8
	s_and_saveexec_b64 s[64:65], vcc
	s_cbranch_execz .LBB259_38
; %bb.37:
	v_mov_b32_e32 v0, v4
	v_mov_b32_e32 v1, v5
	;; [unrolled: 1-line block ×8, first 2 shown]
	s_getpc_b64 s[0:1]
	s_add_u32 s0, s0, _ZZZZN2at6native31launch_logcumsumexp_cuda_kernelERKNS_10TensorBaseES3_lENKUlvE_clEvENKUlvE1_clEvENKUlN3c107complexIdEES8_E_clES8_S8_@rel32@lo+4
	s_addc_u32 s1, s1, _ZZZZN2at6native31launch_logcumsumexp_cuda_kernelERKNS_10TensorBaseES3_lENKUlvE_clEvENKUlvE1_clEvENKUlN3c107complexIdEES8_E_clES8_S8_@rel32@hi+12
	s_swappc_b64 s[30:31], s[0:1]
	v_mov_b32_e32 v156, v0
	v_mov_b32_e32 v157, v1
	;; [unrolled: 1-line block ×4, first 2 shown]
.LBB259_38:
	s_or_b64 exec, exec, s[64:65]
	v_mov_b32_dpp v0, v0 row_bcast:31 row_mask:0xf bank_mask:0xf
	v_mov_b32_dpp v1, v1 row_bcast:31 row_mask:0xf bank_mask:0xf
	;; [unrolled: 1-line block ×4, first 2 shown]
	v_cmp_lt_u32_e32 vcc, 31, v47
	s_and_saveexec_b64 s[64:65], vcc
	s_cbranch_execz .LBB259_40
; %bb.39:
	v_mov_b32_e32 v4, v156
	v_mov_b32_e32 v5, v157
	;; [unrolled: 1-line block ×4, first 2 shown]
	s_getpc_b64 s[0:1]
	s_add_u32 s0, s0, _ZZZZN2at6native31launch_logcumsumexp_cuda_kernelERKNS_10TensorBaseES3_lENKUlvE_clEvENKUlvE1_clEvENKUlN3c107complexIdEES8_E_clES8_S8_@rel32@lo+4
	s_addc_u32 s1, s1, _ZZZZN2at6native31launch_logcumsumexp_cuda_kernelERKNS_10TensorBaseES3_lENKUlvE_clEvENKUlvE1_clEvENKUlN3c107complexIdEES8_E_clES8_S8_@rel32@hi+12
	s_swappc_b64 s[30:31], s[0:1]
	v_mov_b32_e32 v156, v0
	v_mov_b32_e32 v157, v1
	;; [unrolled: 1-line block ×4, first 2 shown]
.LBB259_40:
	s_or_b64 exec, exec, s[64:65]
	v_or_b32_e32 v0, 63, v41
	v_lshrrev_b32_e32 v165, 6, v41
	v_cmp_eq_u32_e32 vcc, v0, v41
	s_and_saveexec_b64 s[0:1], vcc
	s_cbranch_execz .LBB259_42
; %bb.41:
	v_lshlrev_b32_e32 v0, 4, v165
	ds_write_b128 v0, v[156:159]
.LBB259_42:
	s_or_b64 exec, exec, s[0:1]
	v_cmp_gt_u32_e32 vcc, 4, v41
	s_waitcnt lgkmcnt(0)
	s_barrier
	s_and_saveexec_b64 s[64:65], vcc
	s_cbranch_execz .LBB259_48
; %bb.43:
	ds_read_b128 v[4:7], v164
	v_and_b32_e32 v160, 3, v47
	v_cmp_ne_u32_e32 vcc, 0, v160
	s_waitcnt lgkmcnt(0)
	v_mov_b32_dpp v0, v4 row_shr:1 row_mask:0xf bank_mask:0xf
	v_mov_b32_dpp v1, v5 row_shr:1 row_mask:0xf bank_mask:0xf
	v_mov_b32_dpp v2, v6 row_shr:1 row_mask:0xf bank_mask:0xf
	v_mov_b32_dpp v3, v7 row_shr:1 row_mask:0xf bank_mask:0xf
	s_and_saveexec_b64 s[66:67], vcc
	s_cbranch_execz .LBB259_45
; %bb.44:
	s_getpc_b64 s[0:1]
	s_add_u32 s0, s0, _ZZZZN2at6native31launch_logcumsumexp_cuda_kernelERKNS_10TensorBaseES3_lENKUlvE_clEvENKUlvE1_clEvENKUlN3c107complexIdEES8_E_clES8_S8_@rel32@lo+4
	s_addc_u32 s1, s1, _ZZZZN2at6native31launch_logcumsumexp_cuda_kernelERKNS_10TensorBaseES3_lENKUlvE_clEvENKUlvE1_clEvENKUlN3c107complexIdEES8_E_clES8_S8_@rel32@hi+12
	s_swappc_b64 s[30:31], s[0:1]
	v_mov_b32_e32 v4, v0
	v_mov_b32_e32 v5, v1
	;; [unrolled: 1-line block ×4, first 2 shown]
.LBB259_45:
	s_or_b64 exec, exec, s[66:67]
	v_mov_b32_dpp v0, v4 row_shr:2 row_mask:0xf bank_mask:0xf
	v_mov_b32_dpp v1, v5 row_shr:2 row_mask:0xf bank_mask:0xf
	;; [unrolled: 1-line block ×4, first 2 shown]
	v_cmp_lt_u32_e32 vcc, 1, v160
	s_and_saveexec_b64 s[66:67], vcc
	s_cbranch_execz .LBB259_47
; %bb.46:
	s_getpc_b64 s[0:1]
	s_add_u32 s0, s0, _ZZZZN2at6native31launch_logcumsumexp_cuda_kernelERKNS_10TensorBaseES3_lENKUlvE_clEvENKUlvE1_clEvENKUlN3c107complexIdEES8_E_clES8_S8_@rel32@lo+4
	s_addc_u32 s1, s1, _ZZZZN2at6native31launch_logcumsumexp_cuda_kernelERKNS_10TensorBaseES3_lENKUlvE_clEvENKUlvE1_clEvENKUlN3c107complexIdEES8_E_clES8_S8_@rel32@hi+12
	s_swappc_b64 s[30:31], s[0:1]
	v_mov_b32_e32 v4, v0
	v_mov_b32_e32 v5, v1
	;; [unrolled: 1-line block ×4, first 2 shown]
.LBB259_47:
	s_or_b64 exec, exec, s[66:67]
	ds_write_b128 v164, v[4:7]
.LBB259_48:
	s_or_b64 exec, exec, s[64:65]
	s_load_dwordx2 s[62:63], s[62:63], 0x28
	v_mov_b64_e32 v[162:163], 0
	v_cmp_lt_u32_e32 vcc, 63, v41
	v_mov_b64_e32 v[160:161], v[162:163]
	s_waitcnt lgkmcnt(0)
	s_barrier
	s_and_saveexec_b64 s[64:65], vcc
	s_cbranch_execz .LBB259_50
; %bb.49:
	v_lshl_add_u32 v0, v165, 4, -16
	ds_read_b128 v[160:163], v0
	v_mov_b32_e32 v4, v156
	v_mov_b32_e32 v5, v157
	;; [unrolled: 1-line block ×4, first 2 shown]
	s_waitcnt lgkmcnt(0)
	v_mov_b32_e32 v0, v160
	v_mov_b32_e32 v1, v161
	;; [unrolled: 1-line block ×4, first 2 shown]
	s_getpc_b64 s[0:1]
	s_add_u32 s0, s0, _ZZZZN2at6native31launch_logcumsumexp_cuda_kernelERKNS_10TensorBaseES3_lENKUlvE_clEvENKUlvE1_clEvENKUlN3c107complexIdEES8_E_clES8_S8_@rel32@lo+4
	s_addc_u32 s1, s1, _ZZZZN2at6native31launch_logcumsumexp_cuda_kernelERKNS_10TensorBaseES3_lENKUlvE_clEvENKUlvE1_clEvENKUlN3c107complexIdEES8_E_clES8_S8_@rel32@hi+12
	s_swappc_b64 s[30:31], s[0:1]
	v_mov_b32_e32 v156, v0
	v_mov_b32_e32 v157, v1
	;; [unrolled: 1-line block ×4, first 2 shown]
.LBB259_50:
	s_or_b64 exec, exec, s[64:65]
	v_add_u32_e32 v0, -1, v47
	v_and_b32_e32 v1, 64, v47
	v_cmp_lt_i32_e32 vcc, v0, v1
	s_nop 1
	v_cndmask_b32_e32 v0, v0, v47, vcc
	v_lshlrev_b32_e32 v3, 2, v0
	ds_bpermute_b32 v0, v3, v156
	ds_bpermute_b32 v1, v3, v157
	;; [unrolled: 1-line block ×4, first 2 shown]
	v_cmp_ne_u32_e32 vcc, 0, v41
	s_and_saveexec_b64 s[64:65], vcc
	s_cbranch_execz .LBB259_52
; %bb.51:
	v_cmp_eq_u32_e32 vcc, 0, v47
	v_mov_b32_e32 v4, v42
	v_mov_b32_e32 v5, v43
	s_waitcnt lgkmcnt(3)
	v_cndmask_b32_e32 v0, v0, v160, vcc
	s_waitcnt lgkmcnt(2)
	v_cndmask_b32_e32 v1, v1, v161, vcc
	;; [unrolled: 2-line block ×4, first 2 shown]
	v_mov_b32_e32 v6, v44
	v_mov_b32_e32 v7, v45
	s_getpc_b64 s[66:67]
	s_add_u32 s66, s66, _ZZZZN2at6native31launch_logcumsumexp_cuda_kernelERKNS_10TensorBaseES3_lENKUlvE_clEvENKUlvE1_clEvENKUlN3c107complexIdEES8_E_clES8_S8_@rel32@lo+4
	s_addc_u32 s67, s67, _ZZZZN2at6native31launch_logcumsumexp_cuda_kernelERKNS_10TensorBaseES3_lENKUlvE_clEvENKUlvE1_clEvENKUlN3c107complexIdEES8_E_clES8_S8_@rel32@hi+12
	s_swappc_b64 s[30:31], s[66:67]
	v_mov_b32_e32 v4, v128
	v_mov_b32_e32 v5, v129
	;; [unrolled: 1-line block ×8, first 2 shown]
	;;#ASMSTART
	;;#ASMEND
	s_swappc_b64 s[30:31], s[66:67]
	v_mov_b32_e32 v4, v124
	v_mov_b32_e32 v5, v125
	v_mov_b32_e32 v6, v126
	v_mov_b32_e32 v7, v127
	v_mov_b32_e32 v52, v0
	v_mov_b32_e32 v53, v1
	v_mov_b32_e32 v54, v2
	v_mov_b32_e32 v55, v3
	s_swappc_b64 s[30:31], s[66:67]
	v_mov_b32_e32 v4, v116
	v_mov_b32_e32 v5, v117
	v_mov_b32_e32 v6, v118
	v_mov_b32_e32 v7, v119
	v_mov_b32_e32 v64, v0
	v_mov_b32_e32 v65, v1
	v_mov_b32_e32 v66, v2
	v_mov_b32_e32 v67, v3
	;; [unrolled: 9-line block ×12, first 2 shown]
	s_swappc_b64 s[30:31], s[66:67]
	v_mov_b32_e32 v152, v0
	v_mov_b32_e32 v153, v1
	;; [unrolled: 1-line block ×4, first 2 shown]
.LBB259_52:
	s_or_b64 exec, exec, s[64:65]
	s_movk_i32 s0, 0xff30
	s_waitcnt lgkmcnt(3)
	v_mad_i32_i24 v0, v41, s0, v46
	s_waitcnt lgkmcnt(0)
	s_barrier
	ds_write_b128 v46, v[42:45]
	ds_write_b128 v46, v[52:55] offset:16
	ds_write_b128 v46, v[64:67] offset:32
	;; [unrolled: 1-line block ×13, first 2 shown]
	s_waitcnt lgkmcnt(0)
	s_barrier
	ds_read_b128 v[48:51], v0 offset:4096
	ds_read_b128 v[44:47], v0 offset:8192
	;; [unrolled: 1-line block ×13, first 2 shown]
	v_mov_b32_e32 v165, 0
	v_lshl_add_u64 v[52:53], s[62:63], 0, v[164:165]
	s_and_saveexec_b64 s[0:1], s[34:35]
	s_cbranch_execnz .LBB259_67
; %bb.53:
	s_or_b64 exec, exec, s[0:1]
	s_and_saveexec_b64 s[0:1], s[36:37]
	s_cbranch_execnz .LBB259_68
.LBB259_54:
	s_or_b64 exec, exec, s[0:1]
	s_and_saveexec_b64 s[0:1], s[38:39]
	s_cbranch_execnz .LBB259_69
.LBB259_55:
	s_or_b64 exec, exec, s[0:1]
	s_and_saveexec_b64 s[0:1], s[40:41]
	s_cbranch_execnz .LBB259_70
.LBB259_56:
	s_or_b64 exec, exec, s[0:1]
	s_and_saveexec_b64 s[0:1], s[42:43]
	s_cbranch_execnz .LBB259_71
.LBB259_57:
	s_or_b64 exec, exec, s[0:1]
	s_and_saveexec_b64 s[0:1], s[44:45]
	s_cbranch_execnz .LBB259_72
.LBB259_58:
	s_or_b64 exec, exec, s[0:1]
	s_and_saveexec_b64 s[0:1], s[46:47]
	s_cbranch_execnz .LBB259_73
.LBB259_59:
	s_or_b64 exec, exec, s[0:1]
	s_and_saveexec_b64 s[0:1], s[48:49]
	s_cbranch_execnz .LBB259_74
.LBB259_60:
	s_or_b64 exec, exec, s[0:1]
	s_and_saveexec_b64 s[0:1], s[50:51]
	s_cbranch_execnz .LBB259_75
.LBB259_61:
	s_or_b64 exec, exec, s[0:1]
	s_and_saveexec_b64 s[0:1], s[52:53]
	s_cbranch_execnz .LBB259_76
.LBB259_62:
	s_or_b64 exec, exec, s[0:1]
	s_and_saveexec_b64 s[0:1], s[54:55]
	s_cbranch_execnz .LBB259_77
.LBB259_63:
	s_or_b64 exec, exec, s[0:1]
	s_and_saveexec_b64 s[0:1], s[56:57]
	s_cbranch_execnz .LBB259_78
.LBB259_64:
	s_or_b64 exec, exec, s[0:1]
	s_and_saveexec_b64 s[0:1], s[58:59]
	s_cbranch_execnz .LBB259_79
.LBB259_65:
	s_or_b64 exec, exec, s[0:1]
	s_and_saveexec_b64 s[0:1], s[60:61]
	s_cbranch_execnz .LBB259_80
.LBB259_66:
	s_endpgm
.LBB259_67:
	ds_read_b128 v[54:57], v164
	s_waitcnt lgkmcnt(0)
	global_store_dwordx4 v[52:53], v[54:57], off
	s_or_b64 exec, exec, s[0:1]
	s_and_saveexec_b64 s[0:1], s[36:37]
	s_cbranch_execz .LBB259_54
.LBB259_68:
	v_add_co_u32_e32 v54, vcc, 0x1000, v52
	s_nop 1
	v_addc_co_u32_e32 v55, vcc, 0, v53, vcc
	s_waitcnt lgkmcnt(12)
	global_store_dwordx4 v[54:55], v[48:51], off
	s_or_b64 exec, exec, s[0:1]
	s_and_saveexec_b64 s[0:1], s[38:39]
	s_cbranch_execz .LBB259_55
.LBB259_69:
	s_waitcnt lgkmcnt(12)
	v_add_co_u32_e32 v48, vcc, 0x2000, v52
	s_nop 1
	v_addc_co_u32_e32 v49, vcc, 0, v53, vcc
	s_waitcnt lgkmcnt(11)
	global_store_dwordx4 v[48:49], v[44:47], off
	s_or_b64 exec, exec, s[0:1]
	s_and_saveexec_b64 s[0:1], s[40:41]
	s_cbranch_execz .LBB259_56
.LBB259_70:
	s_waitcnt lgkmcnt(11)
	v_add_co_u32_e32 v44, vcc, 0x3000, v52
	s_nop 1
	v_addc_co_u32_e32 v45, vcc, 0, v53, vcc
	s_waitcnt lgkmcnt(9)
	global_store_dwordx4 v[44:45], v[40:43], off
	s_or_b64 exec, exec, s[0:1]
	s_and_saveexec_b64 s[0:1], s[42:43]
	s_cbranch_execz .LBB259_57
.LBB259_71:
	s_waitcnt lgkmcnt(9)
	v_add_co_u32_e32 v40, vcc, 0x4000, v52
	s_nop 1
	v_addc_co_u32_e32 v41, vcc, 0, v53, vcc
	global_store_dwordx4 v[40:41], v[36:39], off
	s_or_b64 exec, exec, s[0:1]
	s_and_saveexec_b64 s[0:1], s[44:45]
	s_cbranch_execz .LBB259_58
.LBB259_72:
	s_waitcnt lgkmcnt(10)
	v_add_co_u32_e32 v36, vcc, 0x5000, v52
	s_nop 1
	v_addc_co_u32_e32 v37, vcc, 0, v53, vcc
	s_waitcnt lgkmcnt(8)
	global_store_dwordx4 v[36:37], v[32:35], off
	s_or_b64 exec, exec, s[0:1]
	s_and_saveexec_b64 s[0:1], s[46:47]
	s_cbranch_execz .LBB259_59
.LBB259_73:
	s_waitcnt lgkmcnt(8)
	v_add_co_u32_e32 v32, vcc, 0x6000, v52
	s_nop 1
	v_addc_co_u32_e32 v33, vcc, 0, v53, vcc
	s_waitcnt lgkmcnt(7)
	global_store_dwordx4 v[32:33], v[28:31], off
	s_or_b64 exec, exec, s[0:1]
	s_and_saveexec_b64 s[0:1], s[48:49]
	s_cbranch_execz .LBB259_60
.LBB259_74:
	s_waitcnt lgkmcnt(7)
	v_add_co_u32_e32 v28, vcc, 0x7000, v52
	s_nop 1
	v_addc_co_u32_e32 v29, vcc, 0, v53, vcc
	s_waitcnt lgkmcnt(6)
	global_store_dwordx4 v[28:29], v[24:27], off
	s_or_b64 exec, exec, s[0:1]
	s_and_saveexec_b64 s[0:1], s[50:51]
	s_cbranch_execz .LBB259_61
.LBB259_75:
	s_waitcnt lgkmcnt(6)
	v_add_co_u32_e32 v24, vcc, 0x8000, v52
	s_nop 1
	v_addc_co_u32_e32 v25, vcc, 0, v53, vcc
	s_waitcnt lgkmcnt(3)
	global_store_dwordx4 v[24:25], v[20:23], off
	s_or_b64 exec, exec, s[0:1]
	s_and_saveexec_b64 s[0:1], s[52:53]
	s_cbranch_execz .LBB259_62
.LBB259_76:
	s_waitcnt lgkmcnt(3)
	v_add_co_u32_e32 v20, vcc, 0x9000, v52
	s_nop 1
	v_addc_co_u32_e32 v21, vcc, 0, v53, vcc
	global_store_dwordx4 v[20:21], v[16:19], off
	s_or_b64 exec, exec, s[0:1]
	s_and_saveexec_b64 s[0:1], s[54:55]
	s_cbranch_execz .LBB259_63
.LBB259_77:
	s_waitcnt lgkmcnt(5)
	v_add_co_u32_e32 v16, vcc, 0xa000, v52
	s_nop 1
	v_addc_co_u32_e32 v17, vcc, 0, v53, vcc
	s_waitcnt lgkmcnt(4)
	global_store_dwordx4 v[16:17], v[12:15], off
	s_or_b64 exec, exec, s[0:1]
	s_and_saveexec_b64 s[0:1], s[56:57]
	s_cbranch_execz .LBB259_64
.LBB259_78:
	s_waitcnt lgkmcnt(4)
	v_add_co_u32_e32 v12, vcc, 0xb000, v52
	s_nop 1
	v_addc_co_u32_e32 v13, vcc, 0, v53, vcc
	s_waitcnt lgkmcnt(1)
	global_store_dwordx4 v[12:13], v[8:11], off
	s_or_b64 exec, exec, s[0:1]
	s_and_saveexec_b64 s[0:1], s[58:59]
	s_cbranch_execz .LBB259_65
.LBB259_79:
	s_waitcnt lgkmcnt(1)
	v_add_co_u32_e32 v8, vcc, 0xc000, v52
	s_nop 1
	v_addc_co_u32_e32 v9, vcc, 0, v53, vcc
	global_store_dwordx4 v[8:9], v[4:7], off
	s_or_b64 exec, exec, s[0:1]
	s_and_saveexec_b64 s[0:1], s[60:61]
	s_cbranch_execz .LBB259_66
.LBB259_80:
	s_waitcnt lgkmcnt(2)
	v_add_co_u32_e32 v4, vcc, 0xd000, v52
	s_nop 1
	v_addc_co_u32_e32 v5, vcc, 0, v53, vcc
	s_waitcnt lgkmcnt(0)
	global_store_dwordx4 v[4:5], v[0:3], off
	s_endpgm
	.section	.rodata,"a",@progbits
	.p2align	6, 0x0
	.amdhsa_kernel _ZN7rocprim17ROCPRIM_400000_NS6detail17trampoline_kernelINS0_14default_configENS1_20scan_config_selectorIN3c107complexIdEEEEZZNS1_9scan_implILNS1_25lookback_scan_determinismE0ELb0ELb0ES3_PKS7_PS7_S7_ZZZN2at6native31launch_logcumsumexp_cuda_kernelERKNSE_10TensorBaseESI_lENKUlvE_clEvENKUlvE1_clEvEUlS7_S7_E_S7_EEDaPvRmT3_T4_T5_mT6_P12ihipStream_tbENKUlT_T0_E_clISt17integral_constantIbLb0EESY_IbLb1EEEEDaSU_SV_EUlSU_E0_NS1_11comp_targetILNS1_3genE5ELNS1_11target_archE942ELNS1_3gpuE9ELNS1_3repE0EEENS1_30default_config_static_selectorELNS0_4arch9wavefront6targetE1EEEvT1_
		.amdhsa_group_segment_fixed_size 57344
		.amdhsa_private_segment_fixed_size 8
		.amdhsa_kernarg_size 48
		.amdhsa_user_sgpr_count 2
		.amdhsa_user_sgpr_dispatch_ptr 0
		.amdhsa_user_sgpr_queue_ptr 0
		.amdhsa_user_sgpr_kernarg_segment_ptr 1
		.amdhsa_user_sgpr_dispatch_id 0
		.amdhsa_user_sgpr_kernarg_preload_length 0
		.amdhsa_user_sgpr_kernarg_preload_offset 0
		.amdhsa_user_sgpr_private_segment_size 0
		.amdhsa_uses_dynamic_stack 0
		.amdhsa_enable_private_segment 1
		.amdhsa_system_sgpr_workgroup_id_x 1
		.amdhsa_system_sgpr_workgroup_id_y 0
		.amdhsa_system_sgpr_workgroup_id_z 0
		.amdhsa_system_sgpr_workgroup_info 0
		.amdhsa_system_vgpr_workitem_id 0
		.amdhsa_next_free_vgpr 166
		.amdhsa_next_free_sgpr 68
		.amdhsa_accum_offset 168
		.amdhsa_reserve_vcc 1
		.amdhsa_float_round_mode_32 0
		.amdhsa_float_round_mode_16_64 0
		.amdhsa_float_denorm_mode_32 3
		.amdhsa_float_denorm_mode_16_64 3
		.amdhsa_dx10_clamp 1
		.amdhsa_ieee_mode 1
		.amdhsa_fp16_overflow 0
		.amdhsa_tg_split 0
		.amdhsa_exception_fp_ieee_invalid_op 0
		.amdhsa_exception_fp_denorm_src 0
		.amdhsa_exception_fp_ieee_div_zero 0
		.amdhsa_exception_fp_ieee_overflow 0
		.amdhsa_exception_fp_ieee_underflow 0
		.amdhsa_exception_fp_ieee_inexact 0
		.amdhsa_exception_int_div_zero 0
	.end_amdhsa_kernel
	.section	.text._ZN7rocprim17ROCPRIM_400000_NS6detail17trampoline_kernelINS0_14default_configENS1_20scan_config_selectorIN3c107complexIdEEEEZZNS1_9scan_implILNS1_25lookback_scan_determinismE0ELb0ELb0ES3_PKS7_PS7_S7_ZZZN2at6native31launch_logcumsumexp_cuda_kernelERKNSE_10TensorBaseESI_lENKUlvE_clEvENKUlvE1_clEvEUlS7_S7_E_S7_EEDaPvRmT3_T4_T5_mT6_P12ihipStream_tbENKUlT_T0_E_clISt17integral_constantIbLb0EESY_IbLb1EEEEDaSU_SV_EUlSU_E0_NS1_11comp_targetILNS1_3genE5ELNS1_11target_archE942ELNS1_3gpuE9ELNS1_3repE0EEENS1_30default_config_static_selectorELNS0_4arch9wavefront6targetE1EEEvT1_,"axG",@progbits,_ZN7rocprim17ROCPRIM_400000_NS6detail17trampoline_kernelINS0_14default_configENS1_20scan_config_selectorIN3c107complexIdEEEEZZNS1_9scan_implILNS1_25lookback_scan_determinismE0ELb0ELb0ES3_PKS7_PS7_S7_ZZZN2at6native31launch_logcumsumexp_cuda_kernelERKNSE_10TensorBaseESI_lENKUlvE_clEvENKUlvE1_clEvEUlS7_S7_E_S7_EEDaPvRmT3_T4_T5_mT6_P12ihipStream_tbENKUlT_T0_E_clISt17integral_constantIbLb0EESY_IbLb1EEEEDaSU_SV_EUlSU_E0_NS1_11comp_targetILNS1_3genE5ELNS1_11target_archE942ELNS1_3gpuE9ELNS1_3repE0EEENS1_30default_config_static_selectorELNS0_4arch9wavefront6targetE1EEEvT1_,comdat
.Lfunc_end259:
	.size	_ZN7rocprim17ROCPRIM_400000_NS6detail17trampoline_kernelINS0_14default_configENS1_20scan_config_selectorIN3c107complexIdEEEEZZNS1_9scan_implILNS1_25lookback_scan_determinismE0ELb0ELb0ES3_PKS7_PS7_S7_ZZZN2at6native31launch_logcumsumexp_cuda_kernelERKNSE_10TensorBaseESI_lENKUlvE_clEvENKUlvE1_clEvEUlS7_S7_E_S7_EEDaPvRmT3_T4_T5_mT6_P12ihipStream_tbENKUlT_T0_E_clISt17integral_constantIbLb0EESY_IbLb1EEEEDaSU_SV_EUlSU_E0_NS1_11comp_targetILNS1_3genE5ELNS1_11target_archE942ELNS1_3gpuE9ELNS1_3repE0EEENS1_30default_config_static_selectorELNS0_4arch9wavefront6targetE1EEEvT1_, .Lfunc_end259-_ZN7rocprim17ROCPRIM_400000_NS6detail17trampoline_kernelINS0_14default_configENS1_20scan_config_selectorIN3c107complexIdEEEEZZNS1_9scan_implILNS1_25lookback_scan_determinismE0ELb0ELb0ES3_PKS7_PS7_S7_ZZZN2at6native31launch_logcumsumexp_cuda_kernelERKNSE_10TensorBaseESI_lENKUlvE_clEvENKUlvE1_clEvEUlS7_S7_E_S7_EEDaPvRmT3_T4_T5_mT6_P12ihipStream_tbENKUlT_T0_E_clISt17integral_constantIbLb0EESY_IbLb1EEEEDaSU_SV_EUlSU_E0_NS1_11comp_targetILNS1_3genE5ELNS1_11target_archE942ELNS1_3gpuE9ELNS1_3repE0EEENS1_30default_config_static_selectorELNS0_4arch9wavefront6targetE1EEEvT1_
                                        ; -- End function
	.section	.AMDGPU.csdata,"",@progbits
; Kernel info:
; codeLenInByte = 4196
; NumSgprs: 74
; NumVgprs: 166
; NumAgprs: 0
; TotalNumVgprs: 166
; ScratchSize: 8
; MemoryBound: 1
; FloatMode: 240
; IeeeMode: 1
; LDSByteSize: 57344 bytes/workgroup (compile time only)
; SGPRBlocks: 9
; VGPRBlocks: 20
; NumSGPRsForWavesPerEU: 74
; NumVGPRsForWavesPerEU: 166
; AccumOffset: 168
; Occupancy: 1
; WaveLimiterHint : 0
; COMPUTE_PGM_RSRC2:SCRATCH_EN: 1
; COMPUTE_PGM_RSRC2:USER_SGPR: 2
; COMPUTE_PGM_RSRC2:TRAP_HANDLER: 0
; COMPUTE_PGM_RSRC2:TGID_X_EN: 1
; COMPUTE_PGM_RSRC2:TGID_Y_EN: 0
; COMPUTE_PGM_RSRC2:TGID_Z_EN: 0
; COMPUTE_PGM_RSRC2:TIDIG_COMP_CNT: 0
; COMPUTE_PGM_RSRC3_GFX90A:ACCUM_OFFSET: 41
; COMPUTE_PGM_RSRC3_GFX90A:TG_SPLIT: 0
	.section	.text._ZN7rocprim17ROCPRIM_400000_NS6detail17trampoline_kernelINS0_14default_configENS1_20scan_config_selectorIN3c107complexIdEEEEZZNS1_9scan_implILNS1_25lookback_scan_determinismE0ELb0ELb0ES3_PKS7_PS7_S7_ZZZN2at6native31launch_logcumsumexp_cuda_kernelERKNSE_10TensorBaseESI_lENKUlvE_clEvENKUlvE1_clEvEUlS7_S7_E_S7_EEDaPvRmT3_T4_T5_mT6_P12ihipStream_tbENKUlT_T0_E_clISt17integral_constantIbLb0EESY_IbLb1EEEEDaSU_SV_EUlSU_E0_NS1_11comp_targetILNS1_3genE4ELNS1_11target_archE910ELNS1_3gpuE8ELNS1_3repE0EEENS1_30default_config_static_selectorELNS0_4arch9wavefront6targetE1EEEvT1_,"axG",@progbits,_ZN7rocprim17ROCPRIM_400000_NS6detail17trampoline_kernelINS0_14default_configENS1_20scan_config_selectorIN3c107complexIdEEEEZZNS1_9scan_implILNS1_25lookback_scan_determinismE0ELb0ELb0ES3_PKS7_PS7_S7_ZZZN2at6native31launch_logcumsumexp_cuda_kernelERKNSE_10TensorBaseESI_lENKUlvE_clEvENKUlvE1_clEvEUlS7_S7_E_S7_EEDaPvRmT3_T4_T5_mT6_P12ihipStream_tbENKUlT_T0_E_clISt17integral_constantIbLb0EESY_IbLb1EEEEDaSU_SV_EUlSU_E0_NS1_11comp_targetILNS1_3genE4ELNS1_11target_archE910ELNS1_3gpuE8ELNS1_3repE0EEENS1_30default_config_static_selectorELNS0_4arch9wavefront6targetE1EEEvT1_,comdat
	.globl	_ZN7rocprim17ROCPRIM_400000_NS6detail17trampoline_kernelINS0_14default_configENS1_20scan_config_selectorIN3c107complexIdEEEEZZNS1_9scan_implILNS1_25lookback_scan_determinismE0ELb0ELb0ES3_PKS7_PS7_S7_ZZZN2at6native31launch_logcumsumexp_cuda_kernelERKNSE_10TensorBaseESI_lENKUlvE_clEvENKUlvE1_clEvEUlS7_S7_E_S7_EEDaPvRmT3_T4_T5_mT6_P12ihipStream_tbENKUlT_T0_E_clISt17integral_constantIbLb0EESY_IbLb1EEEEDaSU_SV_EUlSU_E0_NS1_11comp_targetILNS1_3genE4ELNS1_11target_archE910ELNS1_3gpuE8ELNS1_3repE0EEENS1_30default_config_static_selectorELNS0_4arch9wavefront6targetE1EEEvT1_ ; -- Begin function _ZN7rocprim17ROCPRIM_400000_NS6detail17trampoline_kernelINS0_14default_configENS1_20scan_config_selectorIN3c107complexIdEEEEZZNS1_9scan_implILNS1_25lookback_scan_determinismE0ELb0ELb0ES3_PKS7_PS7_S7_ZZZN2at6native31launch_logcumsumexp_cuda_kernelERKNSE_10TensorBaseESI_lENKUlvE_clEvENKUlvE1_clEvEUlS7_S7_E_S7_EEDaPvRmT3_T4_T5_mT6_P12ihipStream_tbENKUlT_T0_E_clISt17integral_constantIbLb0EESY_IbLb1EEEEDaSU_SV_EUlSU_E0_NS1_11comp_targetILNS1_3genE4ELNS1_11target_archE910ELNS1_3gpuE8ELNS1_3repE0EEENS1_30default_config_static_selectorELNS0_4arch9wavefront6targetE1EEEvT1_
	.p2align	8
	.type	_ZN7rocprim17ROCPRIM_400000_NS6detail17trampoline_kernelINS0_14default_configENS1_20scan_config_selectorIN3c107complexIdEEEEZZNS1_9scan_implILNS1_25lookback_scan_determinismE0ELb0ELb0ES3_PKS7_PS7_S7_ZZZN2at6native31launch_logcumsumexp_cuda_kernelERKNSE_10TensorBaseESI_lENKUlvE_clEvENKUlvE1_clEvEUlS7_S7_E_S7_EEDaPvRmT3_T4_T5_mT6_P12ihipStream_tbENKUlT_T0_E_clISt17integral_constantIbLb0EESY_IbLb1EEEEDaSU_SV_EUlSU_E0_NS1_11comp_targetILNS1_3genE4ELNS1_11target_archE910ELNS1_3gpuE8ELNS1_3repE0EEENS1_30default_config_static_selectorELNS0_4arch9wavefront6targetE1EEEvT1_,@function
_ZN7rocprim17ROCPRIM_400000_NS6detail17trampoline_kernelINS0_14default_configENS1_20scan_config_selectorIN3c107complexIdEEEEZZNS1_9scan_implILNS1_25lookback_scan_determinismE0ELb0ELb0ES3_PKS7_PS7_S7_ZZZN2at6native31launch_logcumsumexp_cuda_kernelERKNSE_10TensorBaseESI_lENKUlvE_clEvENKUlvE1_clEvEUlS7_S7_E_S7_EEDaPvRmT3_T4_T5_mT6_P12ihipStream_tbENKUlT_T0_E_clISt17integral_constantIbLb0EESY_IbLb1EEEEDaSU_SV_EUlSU_E0_NS1_11comp_targetILNS1_3genE4ELNS1_11target_archE910ELNS1_3gpuE8ELNS1_3repE0EEENS1_30default_config_static_selectorELNS0_4arch9wavefront6targetE1EEEvT1_: ; @_ZN7rocprim17ROCPRIM_400000_NS6detail17trampoline_kernelINS0_14default_configENS1_20scan_config_selectorIN3c107complexIdEEEEZZNS1_9scan_implILNS1_25lookback_scan_determinismE0ELb0ELb0ES3_PKS7_PS7_S7_ZZZN2at6native31launch_logcumsumexp_cuda_kernelERKNSE_10TensorBaseESI_lENKUlvE_clEvENKUlvE1_clEvEUlS7_S7_E_S7_EEDaPvRmT3_T4_T5_mT6_P12ihipStream_tbENKUlT_T0_E_clISt17integral_constantIbLb0EESY_IbLb1EEEEDaSU_SV_EUlSU_E0_NS1_11comp_targetILNS1_3genE4ELNS1_11target_archE910ELNS1_3gpuE8ELNS1_3repE0EEENS1_30default_config_static_selectorELNS0_4arch9wavefront6targetE1EEEvT1_
; %bb.0:
	.section	.rodata,"a",@progbits
	.p2align	6, 0x0
	.amdhsa_kernel _ZN7rocprim17ROCPRIM_400000_NS6detail17trampoline_kernelINS0_14default_configENS1_20scan_config_selectorIN3c107complexIdEEEEZZNS1_9scan_implILNS1_25lookback_scan_determinismE0ELb0ELb0ES3_PKS7_PS7_S7_ZZZN2at6native31launch_logcumsumexp_cuda_kernelERKNSE_10TensorBaseESI_lENKUlvE_clEvENKUlvE1_clEvEUlS7_S7_E_S7_EEDaPvRmT3_T4_T5_mT6_P12ihipStream_tbENKUlT_T0_E_clISt17integral_constantIbLb0EESY_IbLb1EEEEDaSU_SV_EUlSU_E0_NS1_11comp_targetILNS1_3genE4ELNS1_11target_archE910ELNS1_3gpuE8ELNS1_3repE0EEENS1_30default_config_static_selectorELNS0_4arch9wavefront6targetE1EEEvT1_
		.amdhsa_group_segment_fixed_size 0
		.amdhsa_private_segment_fixed_size 0
		.amdhsa_kernarg_size 48
		.amdhsa_user_sgpr_count 2
		.amdhsa_user_sgpr_dispatch_ptr 0
		.amdhsa_user_sgpr_queue_ptr 0
		.amdhsa_user_sgpr_kernarg_segment_ptr 1
		.amdhsa_user_sgpr_dispatch_id 0
		.amdhsa_user_sgpr_kernarg_preload_length 0
		.amdhsa_user_sgpr_kernarg_preload_offset 0
		.amdhsa_user_sgpr_private_segment_size 0
		.amdhsa_uses_dynamic_stack 0
		.amdhsa_enable_private_segment 0
		.amdhsa_system_sgpr_workgroup_id_x 1
		.amdhsa_system_sgpr_workgroup_id_y 0
		.amdhsa_system_sgpr_workgroup_id_z 0
		.amdhsa_system_sgpr_workgroup_info 0
		.amdhsa_system_vgpr_workitem_id 0
		.amdhsa_next_free_vgpr 1
		.amdhsa_next_free_sgpr 0
		.amdhsa_accum_offset 4
		.amdhsa_reserve_vcc 0
		.amdhsa_float_round_mode_32 0
		.amdhsa_float_round_mode_16_64 0
		.amdhsa_float_denorm_mode_32 3
		.amdhsa_float_denorm_mode_16_64 3
		.amdhsa_dx10_clamp 1
		.amdhsa_ieee_mode 1
		.amdhsa_fp16_overflow 0
		.amdhsa_tg_split 0
		.amdhsa_exception_fp_ieee_invalid_op 0
		.amdhsa_exception_fp_denorm_src 0
		.amdhsa_exception_fp_ieee_div_zero 0
		.amdhsa_exception_fp_ieee_overflow 0
		.amdhsa_exception_fp_ieee_underflow 0
		.amdhsa_exception_fp_ieee_inexact 0
		.amdhsa_exception_int_div_zero 0
	.end_amdhsa_kernel
	.section	.text._ZN7rocprim17ROCPRIM_400000_NS6detail17trampoline_kernelINS0_14default_configENS1_20scan_config_selectorIN3c107complexIdEEEEZZNS1_9scan_implILNS1_25lookback_scan_determinismE0ELb0ELb0ES3_PKS7_PS7_S7_ZZZN2at6native31launch_logcumsumexp_cuda_kernelERKNSE_10TensorBaseESI_lENKUlvE_clEvENKUlvE1_clEvEUlS7_S7_E_S7_EEDaPvRmT3_T4_T5_mT6_P12ihipStream_tbENKUlT_T0_E_clISt17integral_constantIbLb0EESY_IbLb1EEEEDaSU_SV_EUlSU_E0_NS1_11comp_targetILNS1_3genE4ELNS1_11target_archE910ELNS1_3gpuE8ELNS1_3repE0EEENS1_30default_config_static_selectorELNS0_4arch9wavefront6targetE1EEEvT1_,"axG",@progbits,_ZN7rocprim17ROCPRIM_400000_NS6detail17trampoline_kernelINS0_14default_configENS1_20scan_config_selectorIN3c107complexIdEEEEZZNS1_9scan_implILNS1_25lookback_scan_determinismE0ELb0ELb0ES3_PKS7_PS7_S7_ZZZN2at6native31launch_logcumsumexp_cuda_kernelERKNSE_10TensorBaseESI_lENKUlvE_clEvENKUlvE1_clEvEUlS7_S7_E_S7_EEDaPvRmT3_T4_T5_mT6_P12ihipStream_tbENKUlT_T0_E_clISt17integral_constantIbLb0EESY_IbLb1EEEEDaSU_SV_EUlSU_E0_NS1_11comp_targetILNS1_3genE4ELNS1_11target_archE910ELNS1_3gpuE8ELNS1_3repE0EEENS1_30default_config_static_selectorELNS0_4arch9wavefront6targetE1EEEvT1_,comdat
.Lfunc_end260:
	.size	_ZN7rocprim17ROCPRIM_400000_NS6detail17trampoline_kernelINS0_14default_configENS1_20scan_config_selectorIN3c107complexIdEEEEZZNS1_9scan_implILNS1_25lookback_scan_determinismE0ELb0ELb0ES3_PKS7_PS7_S7_ZZZN2at6native31launch_logcumsumexp_cuda_kernelERKNSE_10TensorBaseESI_lENKUlvE_clEvENKUlvE1_clEvEUlS7_S7_E_S7_EEDaPvRmT3_T4_T5_mT6_P12ihipStream_tbENKUlT_T0_E_clISt17integral_constantIbLb0EESY_IbLb1EEEEDaSU_SV_EUlSU_E0_NS1_11comp_targetILNS1_3genE4ELNS1_11target_archE910ELNS1_3gpuE8ELNS1_3repE0EEENS1_30default_config_static_selectorELNS0_4arch9wavefront6targetE1EEEvT1_, .Lfunc_end260-_ZN7rocprim17ROCPRIM_400000_NS6detail17trampoline_kernelINS0_14default_configENS1_20scan_config_selectorIN3c107complexIdEEEEZZNS1_9scan_implILNS1_25lookback_scan_determinismE0ELb0ELb0ES3_PKS7_PS7_S7_ZZZN2at6native31launch_logcumsumexp_cuda_kernelERKNSE_10TensorBaseESI_lENKUlvE_clEvENKUlvE1_clEvEUlS7_S7_E_S7_EEDaPvRmT3_T4_T5_mT6_P12ihipStream_tbENKUlT_T0_E_clISt17integral_constantIbLb0EESY_IbLb1EEEEDaSU_SV_EUlSU_E0_NS1_11comp_targetILNS1_3genE4ELNS1_11target_archE910ELNS1_3gpuE8ELNS1_3repE0EEENS1_30default_config_static_selectorELNS0_4arch9wavefront6targetE1EEEvT1_
                                        ; -- End function
	.section	.AMDGPU.csdata,"",@progbits
; Kernel info:
; codeLenInByte = 0
; NumSgprs: 6
; NumVgprs: 0
; NumAgprs: 0
; TotalNumVgprs: 0
; ScratchSize: 0
; MemoryBound: 0
; FloatMode: 240
; IeeeMode: 1
; LDSByteSize: 0 bytes/workgroup (compile time only)
; SGPRBlocks: 0
; VGPRBlocks: 0
; NumSGPRsForWavesPerEU: 6
; NumVGPRsForWavesPerEU: 1
; AccumOffset: 4
; Occupancy: 8
; WaveLimiterHint : 0
; COMPUTE_PGM_RSRC2:SCRATCH_EN: 0
; COMPUTE_PGM_RSRC2:USER_SGPR: 2
; COMPUTE_PGM_RSRC2:TRAP_HANDLER: 0
; COMPUTE_PGM_RSRC2:TGID_X_EN: 1
; COMPUTE_PGM_RSRC2:TGID_Y_EN: 0
; COMPUTE_PGM_RSRC2:TGID_Z_EN: 0
; COMPUTE_PGM_RSRC2:TIDIG_COMP_CNT: 0
; COMPUTE_PGM_RSRC3_GFX90A:ACCUM_OFFSET: 0
; COMPUTE_PGM_RSRC3_GFX90A:TG_SPLIT: 0
	.section	.text._ZN7rocprim17ROCPRIM_400000_NS6detail17trampoline_kernelINS0_14default_configENS1_20scan_config_selectorIN3c107complexIdEEEEZZNS1_9scan_implILNS1_25lookback_scan_determinismE0ELb0ELb0ES3_PKS7_PS7_S7_ZZZN2at6native31launch_logcumsumexp_cuda_kernelERKNSE_10TensorBaseESI_lENKUlvE_clEvENKUlvE1_clEvEUlS7_S7_E_S7_EEDaPvRmT3_T4_T5_mT6_P12ihipStream_tbENKUlT_T0_E_clISt17integral_constantIbLb0EESY_IbLb1EEEEDaSU_SV_EUlSU_E0_NS1_11comp_targetILNS1_3genE3ELNS1_11target_archE908ELNS1_3gpuE7ELNS1_3repE0EEENS1_30default_config_static_selectorELNS0_4arch9wavefront6targetE1EEEvT1_,"axG",@progbits,_ZN7rocprim17ROCPRIM_400000_NS6detail17trampoline_kernelINS0_14default_configENS1_20scan_config_selectorIN3c107complexIdEEEEZZNS1_9scan_implILNS1_25lookback_scan_determinismE0ELb0ELb0ES3_PKS7_PS7_S7_ZZZN2at6native31launch_logcumsumexp_cuda_kernelERKNSE_10TensorBaseESI_lENKUlvE_clEvENKUlvE1_clEvEUlS7_S7_E_S7_EEDaPvRmT3_T4_T5_mT6_P12ihipStream_tbENKUlT_T0_E_clISt17integral_constantIbLb0EESY_IbLb1EEEEDaSU_SV_EUlSU_E0_NS1_11comp_targetILNS1_3genE3ELNS1_11target_archE908ELNS1_3gpuE7ELNS1_3repE0EEENS1_30default_config_static_selectorELNS0_4arch9wavefront6targetE1EEEvT1_,comdat
	.globl	_ZN7rocprim17ROCPRIM_400000_NS6detail17trampoline_kernelINS0_14default_configENS1_20scan_config_selectorIN3c107complexIdEEEEZZNS1_9scan_implILNS1_25lookback_scan_determinismE0ELb0ELb0ES3_PKS7_PS7_S7_ZZZN2at6native31launch_logcumsumexp_cuda_kernelERKNSE_10TensorBaseESI_lENKUlvE_clEvENKUlvE1_clEvEUlS7_S7_E_S7_EEDaPvRmT3_T4_T5_mT6_P12ihipStream_tbENKUlT_T0_E_clISt17integral_constantIbLb0EESY_IbLb1EEEEDaSU_SV_EUlSU_E0_NS1_11comp_targetILNS1_3genE3ELNS1_11target_archE908ELNS1_3gpuE7ELNS1_3repE0EEENS1_30default_config_static_selectorELNS0_4arch9wavefront6targetE1EEEvT1_ ; -- Begin function _ZN7rocprim17ROCPRIM_400000_NS6detail17trampoline_kernelINS0_14default_configENS1_20scan_config_selectorIN3c107complexIdEEEEZZNS1_9scan_implILNS1_25lookback_scan_determinismE0ELb0ELb0ES3_PKS7_PS7_S7_ZZZN2at6native31launch_logcumsumexp_cuda_kernelERKNSE_10TensorBaseESI_lENKUlvE_clEvENKUlvE1_clEvEUlS7_S7_E_S7_EEDaPvRmT3_T4_T5_mT6_P12ihipStream_tbENKUlT_T0_E_clISt17integral_constantIbLb0EESY_IbLb1EEEEDaSU_SV_EUlSU_E0_NS1_11comp_targetILNS1_3genE3ELNS1_11target_archE908ELNS1_3gpuE7ELNS1_3repE0EEENS1_30default_config_static_selectorELNS0_4arch9wavefront6targetE1EEEvT1_
	.p2align	8
	.type	_ZN7rocprim17ROCPRIM_400000_NS6detail17trampoline_kernelINS0_14default_configENS1_20scan_config_selectorIN3c107complexIdEEEEZZNS1_9scan_implILNS1_25lookback_scan_determinismE0ELb0ELb0ES3_PKS7_PS7_S7_ZZZN2at6native31launch_logcumsumexp_cuda_kernelERKNSE_10TensorBaseESI_lENKUlvE_clEvENKUlvE1_clEvEUlS7_S7_E_S7_EEDaPvRmT3_T4_T5_mT6_P12ihipStream_tbENKUlT_T0_E_clISt17integral_constantIbLb0EESY_IbLb1EEEEDaSU_SV_EUlSU_E0_NS1_11comp_targetILNS1_3genE3ELNS1_11target_archE908ELNS1_3gpuE7ELNS1_3repE0EEENS1_30default_config_static_selectorELNS0_4arch9wavefront6targetE1EEEvT1_,@function
_ZN7rocprim17ROCPRIM_400000_NS6detail17trampoline_kernelINS0_14default_configENS1_20scan_config_selectorIN3c107complexIdEEEEZZNS1_9scan_implILNS1_25lookback_scan_determinismE0ELb0ELb0ES3_PKS7_PS7_S7_ZZZN2at6native31launch_logcumsumexp_cuda_kernelERKNSE_10TensorBaseESI_lENKUlvE_clEvENKUlvE1_clEvEUlS7_S7_E_S7_EEDaPvRmT3_T4_T5_mT6_P12ihipStream_tbENKUlT_T0_E_clISt17integral_constantIbLb0EESY_IbLb1EEEEDaSU_SV_EUlSU_E0_NS1_11comp_targetILNS1_3genE3ELNS1_11target_archE908ELNS1_3gpuE7ELNS1_3repE0EEENS1_30default_config_static_selectorELNS0_4arch9wavefront6targetE1EEEvT1_: ; @_ZN7rocprim17ROCPRIM_400000_NS6detail17trampoline_kernelINS0_14default_configENS1_20scan_config_selectorIN3c107complexIdEEEEZZNS1_9scan_implILNS1_25lookback_scan_determinismE0ELb0ELb0ES3_PKS7_PS7_S7_ZZZN2at6native31launch_logcumsumexp_cuda_kernelERKNSE_10TensorBaseESI_lENKUlvE_clEvENKUlvE1_clEvEUlS7_S7_E_S7_EEDaPvRmT3_T4_T5_mT6_P12ihipStream_tbENKUlT_T0_E_clISt17integral_constantIbLb0EESY_IbLb1EEEEDaSU_SV_EUlSU_E0_NS1_11comp_targetILNS1_3genE3ELNS1_11target_archE908ELNS1_3gpuE7ELNS1_3repE0EEENS1_30default_config_static_selectorELNS0_4arch9wavefront6targetE1EEEvT1_
; %bb.0:
	.section	.rodata,"a",@progbits
	.p2align	6, 0x0
	.amdhsa_kernel _ZN7rocprim17ROCPRIM_400000_NS6detail17trampoline_kernelINS0_14default_configENS1_20scan_config_selectorIN3c107complexIdEEEEZZNS1_9scan_implILNS1_25lookback_scan_determinismE0ELb0ELb0ES3_PKS7_PS7_S7_ZZZN2at6native31launch_logcumsumexp_cuda_kernelERKNSE_10TensorBaseESI_lENKUlvE_clEvENKUlvE1_clEvEUlS7_S7_E_S7_EEDaPvRmT3_T4_T5_mT6_P12ihipStream_tbENKUlT_T0_E_clISt17integral_constantIbLb0EESY_IbLb1EEEEDaSU_SV_EUlSU_E0_NS1_11comp_targetILNS1_3genE3ELNS1_11target_archE908ELNS1_3gpuE7ELNS1_3repE0EEENS1_30default_config_static_selectorELNS0_4arch9wavefront6targetE1EEEvT1_
		.amdhsa_group_segment_fixed_size 0
		.amdhsa_private_segment_fixed_size 0
		.amdhsa_kernarg_size 48
		.amdhsa_user_sgpr_count 2
		.amdhsa_user_sgpr_dispatch_ptr 0
		.amdhsa_user_sgpr_queue_ptr 0
		.amdhsa_user_sgpr_kernarg_segment_ptr 1
		.amdhsa_user_sgpr_dispatch_id 0
		.amdhsa_user_sgpr_kernarg_preload_length 0
		.amdhsa_user_sgpr_kernarg_preload_offset 0
		.amdhsa_user_sgpr_private_segment_size 0
		.amdhsa_uses_dynamic_stack 0
		.amdhsa_enable_private_segment 0
		.amdhsa_system_sgpr_workgroup_id_x 1
		.amdhsa_system_sgpr_workgroup_id_y 0
		.amdhsa_system_sgpr_workgroup_id_z 0
		.amdhsa_system_sgpr_workgroup_info 0
		.amdhsa_system_vgpr_workitem_id 0
		.amdhsa_next_free_vgpr 1
		.amdhsa_next_free_sgpr 0
		.amdhsa_accum_offset 4
		.amdhsa_reserve_vcc 0
		.amdhsa_float_round_mode_32 0
		.amdhsa_float_round_mode_16_64 0
		.amdhsa_float_denorm_mode_32 3
		.amdhsa_float_denorm_mode_16_64 3
		.amdhsa_dx10_clamp 1
		.amdhsa_ieee_mode 1
		.amdhsa_fp16_overflow 0
		.amdhsa_tg_split 0
		.amdhsa_exception_fp_ieee_invalid_op 0
		.amdhsa_exception_fp_denorm_src 0
		.amdhsa_exception_fp_ieee_div_zero 0
		.amdhsa_exception_fp_ieee_overflow 0
		.amdhsa_exception_fp_ieee_underflow 0
		.amdhsa_exception_fp_ieee_inexact 0
		.amdhsa_exception_int_div_zero 0
	.end_amdhsa_kernel
	.section	.text._ZN7rocprim17ROCPRIM_400000_NS6detail17trampoline_kernelINS0_14default_configENS1_20scan_config_selectorIN3c107complexIdEEEEZZNS1_9scan_implILNS1_25lookback_scan_determinismE0ELb0ELb0ES3_PKS7_PS7_S7_ZZZN2at6native31launch_logcumsumexp_cuda_kernelERKNSE_10TensorBaseESI_lENKUlvE_clEvENKUlvE1_clEvEUlS7_S7_E_S7_EEDaPvRmT3_T4_T5_mT6_P12ihipStream_tbENKUlT_T0_E_clISt17integral_constantIbLb0EESY_IbLb1EEEEDaSU_SV_EUlSU_E0_NS1_11comp_targetILNS1_3genE3ELNS1_11target_archE908ELNS1_3gpuE7ELNS1_3repE0EEENS1_30default_config_static_selectorELNS0_4arch9wavefront6targetE1EEEvT1_,"axG",@progbits,_ZN7rocprim17ROCPRIM_400000_NS6detail17trampoline_kernelINS0_14default_configENS1_20scan_config_selectorIN3c107complexIdEEEEZZNS1_9scan_implILNS1_25lookback_scan_determinismE0ELb0ELb0ES3_PKS7_PS7_S7_ZZZN2at6native31launch_logcumsumexp_cuda_kernelERKNSE_10TensorBaseESI_lENKUlvE_clEvENKUlvE1_clEvEUlS7_S7_E_S7_EEDaPvRmT3_T4_T5_mT6_P12ihipStream_tbENKUlT_T0_E_clISt17integral_constantIbLb0EESY_IbLb1EEEEDaSU_SV_EUlSU_E0_NS1_11comp_targetILNS1_3genE3ELNS1_11target_archE908ELNS1_3gpuE7ELNS1_3repE0EEENS1_30default_config_static_selectorELNS0_4arch9wavefront6targetE1EEEvT1_,comdat
.Lfunc_end261:
	.size	_ZN7rocprim17ROCPRIM_400000_NS6detail17trampoline_kernelINS0_14default_configENS1_20scan_config_selectorIN3c107complexIdEEEEZZNS1_9scan_implILNS1_25lookback_scan_determinismE0ELb0ELb0ES3_PKS7_PS7_S7_ZZZN2at6native31launch_logcumsumexp_cuda_kernelERKNSE_10TensorBaseESI_lENKUlvE_clEvENKUlvE1_clEvEUlS7_S7_E_S7_EEDaPvRmT3_T4_T5_mT6_P12ihipStream_tbENKUlT_T0_E_clISt17integral_constantIbLb0EESY_IbLb1EEEEDaSU_SV_EUlSU_E0_NS1_11comp_targetILNS1_3genE3ELNS1_11target_archE908ELNS1_3gpuE7ELNS1_3repE0EEENS1_30default_config_static_selectorELNS0_4arch9wavefront6targetE1EEEvT1_, .Lfunc_end261-_ZN7rocprim17ROCPRIM_400000_NS6detail17trampoline_kernelINS0_14default_configENS1_20scan_config_selectorIN3c107complexIdEEEEZZNS1_9scan_implILNS1_25lookback_scan_determinismE0ELb0ELb0ES3_PKS7_PS7_S7_ZZZN2at6native31launch_logcumsumexp_cuda_kernelERKNSE_10TensorBaseESI_lENKUlvE_clEvENKUlvE1_clEvEUlS7_S7_E_S7_EEDaPvRmT3_T4_T5_mT6_P12ihipStream_tbENKUlT_T0_E_clISt17integral_constantIbLb0EESY_IbLb1EEEEDaSU_SV_EUlSU_E0_NS1_11comp_targetILNS1_3genE3ELNS1_11target_archE908ELNS1_3gpuE7ELNS1_3repE0EEENS1_30default_config_static_selectorELNS0_4arch9wavefront6targetE1EEEvT1_
                                        ; -- End function
	.section	.AMDGPU.csdata,"",@progbits
; Kernel info:
; codeLenInByte = 0
; NumSgprs: 6
; NumVgprs: 0
; NumAgprs: 0
; TotalNumVgprs: 0
; ScratchSize: 0
; MemoryBound: 0
; FloatMode: 240
; IeeeMode: 1
; LDSByteSize: 0 bytes/workgroup (compile time only)
; SGPRBlocks: 0
; VGPRBlocks: 0
; NumSGPRsForWavesPerEU: 6
; NumVGPRsForWavesPerEU: 1
; AccumOffset: 4
; Occupancy: 8
; WaveLimiterHint : 0
; COMPUTE_PGM_RSRC2:SCRATCH_EN: 0
; COMPUTE_PGM_RSRC2:USER_SGPR: 2
; COMPUTE_PGM_RSRC2:TRAP_HANDLER: 0
; COMPUTE_PGM_RSRC2:TGID_X_EN: 1
; COMPUTE_PGM_RSRC2:TGID_Y_EN: 0
; COMPUTE_PGM_RSRC2:TGID_Z_EN: 0
; COMPUTE_PGM_RSRC2:TIDIG_COMP_CNT: 0
; COMPUTE_PGM_RSRC3_GFX90A:ACCUM_OFFSET: 0
; COMPUTE_PGM_RSRC3_GFX90A:TG_SPLIT: 0
	.section	.text._ZN7rocprim17ROCPRIM_400000_NS6detail17trampoline_kernelINS0_14default_configENS1_20scan_config_selectorIN3c107complexIdEEEEZZNS1_9scan_implILNS1_25lookback_scan_determinismE0ELb0ELb0ES3_PKS7_PS7_S7_ZZZN2at6native31launch_logcumsumexp_cuda_kernelERKNSE_10TensorBaseESI_lENKUlvE_clEvENKUlvE1_clEvEUlS7_S7_E_S7_EEDaPvRmT3_T4_T5_mT6_P12ihipStream_tbENKUlT_T0_E_clISt17integral_constantIbLb0EESY_IbLb1EEEEDaSU_SV_EUlSU_E0_NS1_11comp_targetILNS1_3genE2ELNS1_11target_archE906ELNS1_3gpuE6ELNS1_3repE0EEENS1_30default_config_static_selectorELNS0_4arch9wavefront6targetE1EEEvT1_,"axG",@progbits,_ZN7rocprim17ROCPRIM_400000_NS6detail17trampoline_kernelINS0_14default_configENS1_20scan_config_selectorIN3c107complexIdEEEEZZNS1_9scan_implILNS1_25lookback_scan_determinismE0ELb0ELb0ES3_PKS7_PS7_S7_ZZZN2at6native31launch_logcumsumexp_cuda_kernelERKNSE_10TensorBaseESI_lENKUlvE_clEvENKUlvE1_clEvEUlS7_S7_E_S7_EEDaPvRmT3_T4_T5_mT6_P12ihipStream_tbENKUlT_T0_E_clISt17integral_constantIbLb0EESY_IbLb1EEEEDaSU_SV_EUlSU_E0_NS1_11comp_targetILNS1_3genE2ELNS1_11target_archE906ELNS1_3gpuE6ELNS1_3repE0EEENS1_30default_config_static_selectorELNS0_4arch9wavefront6targetE1EEEvT1_,comdat
	.globl	_ZN7rocprim17ROCPRIM_400000_NS6detail17trampoline_kernelINS0_14default_configENS1_20scan_config_selectorIN3c107complexIdEEEEZZNS1_9scan_implILNS1_25lookback_scan_determinismE0ELb0ELb0ES3_PKS7_PS7_S7_ZZZN2at6native31launch_logcumsumexp_cuda_kernelERKNSE_10TensorBaseESI_lENKUlvE_clEvENKUlvE1_clEvEUlS7_S7_E_S7_EEDaPvRmT3_T4_T5_mT6_P12ihipStream_tbENKUlT_T0_E_clISt17integral_constantIbLb0EESY_IbLb1EEEEDaSU_SV_EUlSU_E0_NS1_11comp_targetILNS1_3genE2ELNS1_11target_archE906ELNS1_3gpuE6ELNS1_3repE0EEENS1_30default_config_static_selectorELNS0_4arch9wavefront6targetE1EEEvT1_ ; -- Begin function _ZN7rocprim17ROCPRIM_400000_NS6detail17trampoline_kernelINS0_14default_configENS1_20scan_config_selectorIN3c107complexIdEEEEZZNS1_9scan_implILNS1_25lookback_scan_determinismE0ELb0ELb0ES3_PKS7_PS7_S7_ZZZN2at6native31launch_logcumsumexp_cuda_kernelERKNSE_10TensorBaseESI_lENKUlvE_clEvENKUlvE1_clEvEUlS7_S7_E_S7_EEDaPvRmT3_T4_T5_mT6_P12ihipStream_tbENKUlT_T0_E_clISt17integral_constantIbLb0EESY_IbLb1EEEEDaSU_SV_EUlSU_E0_NS1_11comp_targetILNS1_3genE2ELNS1_11target_archE906ELNS1_3gpuE6ELNS1_3repE0EEENS1_30default_config_static_selectorELNS0_4arch9wavefront6targetE1EEEvT1_
	.p2align	8
	.type	_ZN7rocprim17ROCPRIM_400000_NS6detail17trampoline_kernelINS0_14default_configENS1_20scan_config_selectorIN3c107complexIdEEEEZZNS1_9scan_implILNS1_25lookback_scan_determinismE0ELb0ELb0ES3_PKS7_PS7_S7_ZZZN2at6native31launch_logcumsumexp_cuda_kernelERKNSE_10TensorBaseESI_lENKUlvE_clEvENKUlvE1_clEvEUlS7_S7_E_S7_EEDaPvRmT3_T4_T5_mT6_P12ihipStream_tbENKUlT_T0_E_clISt17integral_constantIbLb0EESY_IbLb1EEEEDaSU_SV_EUlSU_E0_NS1_11comp_targetILNS1_3genE2ELNS1_11target_archE906ELNS1_3gpuE6ELNS1_3repE0EEENS1_30default_config_static_selectorELNS0_4arch9wavefront6targetE1EEEvT1_,@function
_ZN7rocprim17ROCPRIM_400000_NS6detail17trampoline_kernelINS0_14default_configENS1_20scan_config_selectorIN3c107complexIdEEEEZZNS1_9scan_implILNS1_25lookback_scan_determinismE0ELb0ELb0ES3_PKS7_PS7_S7_ZZZN2at6native31launch_logcumsumexp_cuda_kernelERKNSE_10TensorBaseESI_lENKUlvE_clEvENKUlvE1_clEvEUlS7_S7_E_S7_EEDaPvRmT3_T4_T5_mT6_P12ihipStream_tbENKUlT_T0_E_clISt17integral_constantIbLb0EESY_IbLb1EEEEDaSU_SV_EUlSU_E0_NS1_11comp_targetILNS1_3genE2ELNS1_11target_archE906ELNS1_3gpuE6ELNS1_3repE0EEENS1_30default_config_static_selectorELNS0_4arch9wavefront6targetE1EEEvT1_: ; @_ZN7rocprim17ROCPRIM_400000_NS6detail17trampoline_kernelINS0_14default_configENS1_20scan_config_selectorIN3c107complexIdEEEEZZNS1_9scan_implILNS1_25lookback_scan_determinismE0ELb0ELb0ES3_PKS7_PS7_S7_ZZZN2at6native31launch_logcumsumexp_cuda_kernelERKNSE_10TensorBaseESI_lENKUlvE_clEvENKUlvE1_clEvEUlS7_S7_E_S7_EEDaPvRmT3_T4_T5_mT6_P12ihipStream_tbENKUlT_T0_E_clISt17integral_constantIbLb0EESY_IbLb1EEEEDaSU_SV_EUlSU_E0_NS1_11comp_targetILNS1_3genE2ELNS1_11target_archE906ELNS1_3gpuE6ELNS1_3repE0EEENS1_30default_config_static_selectorELNS0_4arch9wavefront6targetE1EEEvT1_
; %bb.0:
	.section	.rodata,"a",@progbits
	.p2align	6, 0x0
	.amdhsa_kernel _ZN7rocprim17ROCPRIM_400000_NS6detail17trampoline_kernelINS0_14default_configENS1_20scan_config_selectorIN3c107complexIdEEEEZZNS1_9scan_implILNS1_25lookback_scan_determinismE0ELb0ELb0ES3_PKS7_PS7_S7_ZZZN2at6native31launch_logcumsumexp_cuda_kernelERKNSE_10TensorBaseESI_lENKUlvE_clEvENKUlvE1_clEvEUlS7_S7_E_S7_EEDaPvRmT3_T4_T5_mT6_P12ihipStream_tbENKUlT_T0_E_clISt17integral_constantIbLb0EESY_IbLb1EEEEDaSU_SV_EUlSU_E0_NS1_11comp_targetILNS1_3genE2ELNS1_11target_archE906ELNS1_3gpuE6ELNS1_3repE0EEENS1_30default_config_static_selectorELNS0_4arch9wavefront6targetE1EEEvT1_
		.amdhsa_group_segment_fixed_size 0
		.amdhsa_private_segment_fixed_size 0
		.amdhsa_kernarg_size 48
		.amdhsa_user_sgpr_count 2
		.amdhsa_user_sgpr_dispatch_ptr 0
		.amdhsa_user_sgpr_queue_ptr 0
		.amdhsa_user_sgpr_kernarg_segment_ptr 1
		.amdhsa_user_sgpr_dispatch_id 0
		.amdhsa_user_sgpr_kernarg_preload_length 0
		.amdhsa_user_sgpr_kernarg_preload_offset 0
		.amdhsa_user_sgpr_private_segment_size 0
		.amdhsa_uses_dynamic_stack 0
		.amdhsa_enable_private_segment 0
		.amdhsa_system_sgpr_workgroup_id_x 1
		.amdhsa_system_sgpr_workgroup_id_y 0
		.amdhsa_system_sgpr_workgroup_id_z 0
		.amdhsa_system_sgpr_workgroup_info 0
		.amdhsa_system_vgpr_workitem_id 0
		.amdhsa_next_free_vgpr 1
		.amdhsa_next_free_sgpr 0
		.amdhsa_accum_offset 4
		.amdhsa_reserve_vcc 0
		.amdhsa_float_round_mode_32 0
		.amdhsa_float_round_mode_16_64 0
		.amdhsa_float_denorm_mode_32 3
		.amdhsa_float_denorm_mode_16_64 3
		.amdhsa_dx10_clamp 1
		.amdhsa_ieee_mode 1
		.amdhsa_fp16_overflow 0
		.amdhsa_tg_split 0
		.amdhsa_exception_fp_ieee_invalid_op 0
		.amdhsa_exception_fp_denorm_src 0
		.amdhsa_exception_fp_ieee_div_zero 0
		.amdhsa_exception_fp_ieee_overflow 0
		.amdhsa_exception_fp_ieee_underflow 0
		.amdhsa_exception_fp_ieee_inexact 0
		.amdhsa_exception_int_div_zero 0
	.end_amdhsa_kernel
	.section	.text._ZN7rocprim17ROCPRIM_400000_NS6detail17trampoline_kernelINS0_14default_configENS1_20scan_config_selectorIN3c107complexIdEEEEZZNS1_9scan_implILNS1_25lookback_scan_determinismE0ELb0ELb0ES3_PKS7_PS7_S7_ZZZN2at6native31launch_logcumsumexp_cuda_kernelERKNSE_10TensorBaseESI_lENKUlvE_clEvENKUlvE1_clEvEUlS7_S7_E_S7_EEDaPvRmT3_T4_T5_mT6_P12ihipStream_tbENKUlT_T0_E_clISt17integral_constantIbLb0EESY_IbLb1EEEEDaSU_SV_EUlSU_E0_NS1_11comp_targetILNS1_3genE2ELNS1_11target_archE906ELNS1_3gpuE6ELNS1_3repE0EEENS1_30default_config_static_selectorELNS0_4arch9wavefront6targetE1EEEvT1_,"axG",@progbits,_ZN7rocprim17ROCPRIM_400000_NS6detail17trampoline_kernelINS0_14default_configENS1_20scan_config_selectorIN3c107complexIdEEEEZZNS1_9scan_implILNS1_25lookback_scan_determinismE0ELb0ELb0ES3_PKS7_PS7_S7_ZZZN2at6native31launch_logcumsumexp_cuda_kernelERKNSE_10TensorBaseESI_lENKUlvE_clEvENKUlvE1_clEvEUlS7_S7_E_S7_EEDaPvRmT3_T4_T5_mT6_P12ihipStream_tbENKUlT_T0_E_clISt17integral_constantIbLb0EESY_IbLb1EEEEDaSU_SV_EUlSU_E0_NS1_11comp_targetILNS1_3genE2ELNS1_11target_archE906ELNS1_3gpuE6ELNS1_3repE0EEENS1_30default_config_static_selectorELNS0_4arch9wavefront6targetE1EEEvT1_,comdat
.Lfunc_end262:
	.size	_ZN7rocprim17ROCPRIM_400000_NS6detail17trampoline_kernelINS0_14default_configENS1_20scan_config_selectorIN3c107complexIdEEEEZZNS1_9scan_implILNS1_25lookback_scan_determinismE0ELb0ELb0ES3_PKS7_PS7_S7_ZZZN2at6native31launch_logcumsumexp_cuda_kernelERKNSE_10TensorBaseESI_lENKUlvE_clEvENKUlvE1_clEvEUlS7_S7_E_S7_EEDaPvRmT3_T4_T5_mT6_P12ihipStream_tbENKUlT_T0_E_clISt17integral_constantIbLb0EESY_IbLb1EEEEDaSU_SV_EUlSU_E0_NS1_11comp_targetILNS1_3genE2ELNS1_11target_archE906ELNS1_3gpuE6ELNS1_3repE0EEENS1_30default_config_static_selectorELNS0_4arch9wavefront6targetE1EEEvT1_, .Lfunc_end262-_ZN7rocprim17ROCPRIM_400000_NS6detail17trampoline_kernelINS0_14default_configENS1_20scan_config_selectorIN3c107complexIdEEEEZZNS1_9scan_implILNS1_25lookback_scan_determinismE0ELb0ELb0ES3_PKS7_PS7_S7_ZZZN2at6native31launch_logcumsumexp_cuda_kernelERKNSE_10TensorBaseESI_lENKUlvE_clEvENKUlvE1_clEvEUlS7_S7_E_S7_EEDaPvRmT3_T4_T5_mT6_P12ihipStream_tbENKUlT_T0_E_clISt17integral_constantIbLb0EESY_IbLb1EEEEDaSU_SV_EUlSU_E0_NS1_11comp_targetILNS1_3genE2ELNS1_11target_archE906ELNS1_3gpuE6ELNS1_3repE0EEENS1_30default_config_static_selectorELNS0_4arch9wavefront6targetE1EEEvT1_
                                        ; -- End function
	.section	.AMDGPU.csdata,"",@progbits
; Kernel info:
; codeLenInByte = 0
; NumSgprs: 6
; NumVgprs: 0
; NumAgprs: 0
; TotalNumVgprs: 0
; ScratchSize: 0
; MemoryBound: 0
; FloatMode: 240
; IeeeMode: 1
; LDSByteSize: 0 bytes/workgroup (compile time only)
; SGPRBlocks: 0
; VGPRBlocks: 0
; NumSGPRsForWavesPerEU: 6
; NumVGPRsForWavesPerEU: 1
; AccumOffset: 4
; Occupancy: 8
; WaveLimiterHint : 0
; COMPUTE_PGM_RSRC2:SCRATCH_EN: 0
; COMPUTE_PGM_RSRC2:USER_SGPR: 2
; COMPUTE_PGM_RSRC2:TRAP_HANDLER: 0
; COMPUTE_PGM_RSRC2:TGID_X_EN: 1
; COMPUTE_PGM_RSRC2:TGID_Y_EN: 0
; COMPUTE_PGM_RSRC2:TGID_Z_EN: 0
; COMPUTE_PGM_RSRC2:TIDIG_COMP_CNT: 0
; COMPUTE_PGM_RSRC3_GFX90A:ACCUM_OFFSET: 0
; COMPUTE_PGM_RSRC3_GFX90A:TG_SPLIT: 0
	.section	.text._ZN7rocprim17ROCPRIM_400000_NS6detail17trampoline_kernelINS0_14default_configENS1_20scan_config_selectorIN3c107complexIdEEEEZZNS1_9scan_implILNS1_25lookback_scan_determinismE0ELb0ELb0ES3_PKS7_PS7_S7_ZZZN2at6native31launch_logcumsumexp_cuda_kernelERKNSE_10TensorBaseESI_lENKUlvE_clEvENKUlvE1_clEvEUlS7_S7_E_S7_EEDaPvRmT3_T4_T5_mT6_P12ihipStream_tbENKUlT_T0_E_clISt17integral_constantIbLb0EESY_IbLb1EEEEDaSU_SV_EUlSU_E0_NS1_11comp_targetILNS1_3genE10ELNS1_11target_archE1201ELNS1_3gpuE5ELNS1_3repE0EEENS1_30default_config_static_selectorELNS0_4arch9wavefront6targetE1EEEvT1_,"axG",@progbits,_ZN7rocprim17ROCPRIM_400000_NS6detail17trampoline_kernelINS0_14default_configENS1_20scan_config_selectorIN3c107complexIdEEEEZZNS1_9scan_implILNS1_25lookback_scan_determinismE0ELb0ELb0ES3_PKS7_PS7_S7_ZZZN2at6native31launch_logcumsumexp_cuda_kernelERKNSE_10TensorBaseESI_lENKUlvE_clEvENKUlvE1_clEvEUlS7_S7_E_S7_EEDaPvRmT3_T4_T5_mT6_P12ihipStream_tbENKUlT_T0_E_clISt17integral_constantIbLb0EESY_IbLb1EEEEDaSU_SV_EUlSU_E0_NS1_11comp_targetILNS1_3genE10ELNS1_11target_archE1201ELNS1_3gpuE5ELNS1_3repE0EEENS1_30default_config_static_selectorELNS0_4arch9wavefront6targetE1EEEvT1_,comdat
	.globl	_ZN7rocprim17ROCPRIM_400000_NS6detail17trampoline_kernelINS0_14default_configENS1_20scan_config_selectorIN3c107complexIdEEEEZZNS1_9scan_implILNS1_25lookback_scan_determinismE0ELb0ELb0ES3_PKS7_PS7_S7_ZZZN2at6native31launch_logcumsumexp_cuda_kernelERKNSE_10TensorBaseESI_lENKUlvE_clEvENKUlvE1_clEvEUlS7_S7_E_S7_EEDaPvRmT3_T4_T5_mT6_P12ihipStream_tbENKUlT_T0_E_clISt17integral_constantIbLb0EESY_IbLb1EEEEDaSU_SV_EUlSU_E0_NS1_11comp_targetILNS1_3genE10ELNS1_11target_archE1201ELNS1_3gpuE5ELNS1_3repE0EEENS1_30default_config_static_selectorELNS0_4arch9wavefront6targetE1EEEvT1_ ; -- Begin function _ZN7rocprim17ROCPRIM_400000_NS6detail17trampoline_kernelINS0_14default_configENS1_20scan_config_selectorIN3c107complexIdEEEEZZNS1_9scan_implILNS1_25lookback_scan_determinismE0ELb0ELb0ES3_PKS7_PS7_S7_ZZZN2at6native31launch_logcumsumexp_cuda_kernelERKNSE_10TensorBaseESI_lENKUlvE_clEvENKUlvE1_clEvEUlS7_S7_E_S7_EEDaPvRmT3_T4_T5_mT6_P12ihipStream_tbENKUlT_T0_E_clISt17integral_constantIbLb0EESY_IbLb1EEEEDaSU_SV_EUlSU_E0_NS1_11comp_targetILNS1_3genE10ELNS1_11target_archE1201ELNS1_3gpuE5ELNS1_3repE0EEENS1_30default_config_static_selectorELNS0_4arch9wavefront6targetE1EEEvT1_
	.p2align	8
	.type	_ZN7rocprim17ROCPRIM_400000_NS6detail17trampoline_kernelINS0_14default_configENS1_20scan_config_selectorIN3c107complexIdEEEEZZNS1_9scan_implILNS1_25lookback_scan_determinismE0ELb0ELb0ES3_PKS7_PS7_S7_ZZZN2at6native31launch_logcumsumexp_cuda_kernelERKNSE_10TensorBaseESI_lENKUlvE_clEvENKUlvE1_clEvEUlS7_S7_E_S7_EEDaPvRmT3_T4_T5_mT6_P12ihipStream_tbENKUlT_T0_E_clISt17integral_constantIbLb0EESY_IbLb1EEEEDaSU_SV_EUlSU_E0_NS1_11comp_targetILNS1_3genE10ELNS1_11target_archE1201ELNS1_3gpuE5ELNS1_3repE0EEENS1_30default_config_static_selectorELNS0_4arch9wavefront6targetE1EEEvT1_,@function
_ZN7rocprim17ROCPRIM_400000_NS6detail17trampoline_kernelINS0_14default_configENS1_20scan_config_selectorIN3c107complexIdEEEEZZNS1_9scan_implILNS1_25lookback_scan_determinismE0ELb0ELb0ES3_PKS7_PS7_S7_ZZZN2at6native31launch_logcumsumexp_cuda_kernelERKNSE_10TensorBaseESI_lENKUlvE_clEvENKUlvE1_clEvEUlS7_S7_E_S7_EEDaPvRmT3_T4_T5_mT6_P12ihipStream_tbENKUlT_T0_E_clISt17integral_constantIbLb0EESY_IbLb1EEEEDaSU_SV_EUlSU_E0_NS1_11comp_targetILNS1_3genE10ELNS1_11target_archE1201ELNS1_3gpuE5ELNS1_3repE0EEENS1_30default_config_static_selectorELNS0_4arch9wavefront6targetE1EEEvT1_: ; @_ZN7rocprim17ROCPRIM_400000_NS6detail17trampoline_kernelINS0_14default_configENS1_20scan_config_selectorIN3c107complexIdEEEEZZNS1_9scan_implILNS1_25lookback_scan_determinismE0ELb0ELb0ES3_PKS7_PS7_S7_ZZZN2at6native31launch_logcumsumexp_cuda_kernelERKNSE_10TensorBaseESI_lENKUlvE_clEvENKUlvE1_clEvEUlS7_S7_E_S7_EEDaPvRmT3_T4_T5_mT6_P12ihipStream_tbENKUlT_T0_E_clISt17integral_constantIbLb0EESY_IbLb1EEEEDaSU_SV_EUlSU_E0_NS1_11comp_targetILNS1_3genE10ELNS1_11target_archE1201ELNS1_3gpuE5ELNS1_3repE0EEENS1_30default_config_static_selectorELNS0_4arch9wavefront6targetE1EEEvT1_
; %bb.0:
	.section	.rodata,"a",@progbits
	.p2align	6, 0x0
	.amdhsa_kernel _ZN7rocprim17ROCPRIM_400000_NS6detail17trampoline_kernelINS0_14default_configENS1_20scan_config_selectorIN3c107complexIdEEEEZZNS1_9scan_implILNS1_25lookback_scan_determinismE0ELb0ELb0ES3_PKS7_PS7_S7_ZZZN2at6native31launch_logcumsumexp_cuda_kernelERKNSE_10TensorBaseESI_lENKUlvE_clEvENKUlvE1_clEvEUlS7_S7_E_S7_EEDaPvRmT3_T4_T5_mT6_P12ihipStream_tbENKUlT_T0_E_clISt17integral_constantIbLb0EESY_IbLb1EEEEDaSU_SV_EUlSU_E0_NS1_11comp_targetILNS1_3genE10ELNS1_11target_archE1201ELNS1_3gpuE5ELNS1_3repE0EEENS1_30default_config_static_selectorELNS0_4arch9wavefront6targetE1EEEvT1_
		.amdhsa_group_segment_fixed_size 0
		.amdhsa_private_segment_fixed_size 0
		.amdhsa_kernarg_size 48
		.amdhsa_user_sgpr_count 2
		.amdhsa_user_sgpr_dispatch_ptr 0
		.amdhsa_user_sgpr_queue_ptr 0
		.amdhsa_user_sgpr_kernarg_segment_ptr 1
		.amdhsa_user_sgpr_dispatch_id 0
		.amdhsa_user_sgpr_kernarg_preload_length 0
		.amdhsa_user_sgpr_kernarg_preload_offset 0
		.amdhsa_user_sgpr_private_segment_size 0
		.amdhsa_uses_dynamic_stack 0
		.amdhsa_enable_private_segment 0
		.amdhsa_system_sgpr_workgroup_id_x 1
		.amdhsa_system_sgpr_workgroup_id_y 0
		.amdhsa_system_sgpr_workgroup_id_z 0
		.amdhsa_system_sgpr_workgroup_info 0
		.amdhsa_system_vgpr_workitem_id 0
		.amdhsa_next_free_vgpr 1
		.amdhsa_next_free_sgpr 0
		.amdhsa_accum_offset 4
		.amdhsa_reserve_vcc 0
		.amdhsa_float_round_mode_32 0
		.amdhsa_float_round_mode_16_64 0
		.amdhsa_float_denorm_mode_32 3
		.amdhsa_float_denorm_mode_16_64 3
		.amdhsa_dx10_clamp 1
		.amdhsa_ieee_mode 1
		.amdhsa_fp16_overflow 0
		.amdhsa_tg_split 0
		.amdhsa_exception_fp_ieee_invalid_op 0
		.amdhsa_exception_fp_denorm_src 0
		.amdhsa_exception_fp_ieee_div_zero 0
		.amdhsa_exception_fp_ieee_overflow 0
		.amdhsa_exception_fp_ieee_underflow 0
		.amdhsa_exception_fp_ieee_inexact 0
		.amdhsa_exception_int_div_zero 0
	.end_amdhsa_kernel
	.section	.text._ZN7rocprim17ROCPRIM_400000_NS6detail17trampoline_kernelINS0_14default_configENS1_20scan_config_selectorIN3c107complexIdEEEEZZNS1_9scan_implILNS1_25lookback_scan_determinismE0ELb0ELb0ES3_PKS7_PS7_S7_ZZZN2at6native31launch_logcumsumexp_cuda_kernelERKNSE_10TensorBaseESI_lENKUlvE_clEvENKUlvE1_clEvEUlS7_S7_E_S7_EEDaPvRmT3_T4_T5_mT6_P12ihipStream_tbENKUlT_T0_E_clISt17integral_constantIbLb0EESY_IbLb1EEEEDaSU_SV_EUlSU_E0_NS1_11comp_targetILNS1_3genE10ELNS1_11target_archE1201ELNS1_3gpuE5ELNS1_3repE0EEENS1_30default_config_static_selectorELNS0_4arch9wavefront6targetE1EEEvT1_,"axG",@progbits,_ZN7rocprim17ROCPRIM_400000_NS6detail17trampoline_kernelINS0_14default_configENS1_20scan_config_selectorIN3c107complexIdEEEEZZNS1_9scan_implILNS1_25lookback_scan_determinismE0ELb0ELb0ES3_PKS7_PS7_S7_ZZZN2at6native31launch_logcumsumexp_cuda_kernelERKNSE_10TensorBaseESI_lENKUlvE_clEvENKUlvE1_clEvEUlS7_S7_E_S7_EEDaPvRmT3_T4_T5_mT6_P12ihipStream_tbENKUlT_T0_E_clISt17integral_constantIbLb0EESY_IbLb1EEEEDaSU_SV_EUlSU_E0_NS1_11comp_targetILNS1_3genE10ELNS1_11target_archE1201ELNS1_3gpuE5ELNS1_3repE0EEENS1_30default_config_static_selectorELNS0_4arch9wavefront6targetE1EEEvT1_,comdat
.Lfunc_end263:
	.size	_ZN7rocprim17ROCPRIM_400000_NS6detail17trampoline_kernelINS0_14default_configENS1_20scan_config_selectorIN3c107complexIdEEEEZZNS1_9scan_implILNS1_25lookback_scan_determinismE0ELb0ELb0ES3_PKS7_PS7_S7_ZZZN2at6native31launch_logcumsumexp_cuda_kernelERKNSE_10TensorBaseESI_lENKUlvE_clEvENKUlvE1_clEvEUlS7_S7_E_S7_EEDaPvRmT3_T4_T5_mT6_P12ihipStream_tbENKUlT_T0_E_clISt17integral_constantIbLb0EESY_IbLb1EEEEDaSU_SV_EUlSU_E0_NS1_11comp_targetILNS1_3genE10ELNS1_11target_archE1201ELNS1_3gpuE5ELNS1_3repE0EEENS1_30default_config_static_selectorELNS0_4arch9wavefront6targetE1EEEvT1_, .Lfunc_end263-_ZN7rocprim17ROCPRIM_400000_NS6detail17trampoline_kernelINS0_14default_configENS1_20scan_config_selectorIN3c107complexIdEEEEZZNS1_9scan_implILNS1_25lookback_scan_determinismE0ELb0ELb0ES3_PKS7_PS7_S7_ZZZN2at6native31launch_logcumsumexp_cuda_kernelERKNSE_10TensorBaseESI_lENKUlvE_clEvENKUlvE1_clEvEUlS7_S7_E_S7_EEDaPvRmT3_T4_T5_mT6_P12ihipStream_tbENKUlT_T0_E_clISt17integral_constantIbLb0EESY_IbLb1EEEEDaSU_SV_EUlSU_E0_NS1_11comp_targetILNS1_3genE10ELNS1_11target_archE1201ELNS1_3gpuE5ELNS1_3repE0EEENS1_30default_config_static_selectorELNS0_4arch9wavefront6targetE1EEEvT1_
                                        ; -- End function
	.section	.AMDGPU.csdata,"",@progbits
; Kernel info:
; codeLenInByte = 0
; NumSgprs: 6
; NumVgprs: 0
; NumAgprs: 0
; TotalNumVgprs: 0
; ScratchSize: 0
; MemoryBound: 0
; FloatMode: 240
; IeeeMode: 1
; LDSByteSize: 0 bytes/workgroup (compile time only)
; SGPRBlocks: 0
; VGPRBlocks: 0
; NumSGPRsForWavesPerEU: 6
; NumVGPRsForWavesPerEU: 1
; AccumOffset: 4
; Occupancy: 8
; WaveLimiterHint : 0
; COMPUTE_PGM_RSRC2:SCRATCH_EN: 0
; COMPUTE_PGM_RSRC2:USER_SGPR: 2
; COMPUTE_PGM_RSRC2:TRAP_HANDLER: 0
; COMPUTE_PGM_RSRC2:TGID_X_EN: 1
; COMPUTE_PGM_RSRC2:TGID_Y_EN: 0
; COMPUTE_PGM_RSRC2:TGID_Z_EN: 0
; COMPUTE_PGM_RSRC2:TIDIG_COMP_CNT: 0
; COMPUTE_PGM_RSRC3_GFX90A:ACCUM_OFFSET: 0
; COMPUTE_PGM_RSRC3_GFX90A:TG_SPLIT: 0
	.section	.text._ZN7rocprim17ROCPRIM_400000_NS6detail17trampoline_kernelINS0_14default_configENS1_20scan_config_selectorIN3c107complexIdEEEEZZNS1_9scan_implILNS1_25lookback_scan_determinismE0ELb0ELb0ES3_PKS7_PS7_S7_ZZZN2at6native31launch_logcumsumexp_cuda_kernelERKNSE_10TensorBaseESI_lENKUlvE_clEvENKUlvE1_clEvEUlS7_S7_E_S7_EEDaPvRmT3_T4_T5_mT6_P12ihipStream_tbENKUlT_T0_E_clISt17integral_constantIbLb0EESY_IbLb1EEEEDaSU_SV_EUlSU_E0_NS1_11comp_targetILNS1_3genE10ELNS1_11target_archE1200ELNS1_3gpuE4ELNS1_3repE0EEENS1_30default_config_static_selectorELNS0_4arch9wavefront6targetE1EEEvT1_,"axG",@progbits,_ZN7rocprim17ROCPRIM_400000_NS6detail17trampoline_kernelINS0_14default_configENS1_20scan_config_selectorIN3c107complexIdEEEEZZNS1_9scan_implILNS1_25lookback_scan_determinismE0ELb0ELb0ES3_PKS7_PS7_S7_ZZZN2at6native31launch_logcumsumexp_cuda_kernelERKNSE_10TensorBaseESI_lENKUlvE_clEvENKUlvE1_clEvEUlS7_S7_E_S7_EEDaPvRmT3_T4_T5_mT6_P12ihipStream_tbENKUlT_T0_E_clISt17integral_constantIbLb0EESY_IbLb1EEEEDaSU_SV_EUlSU_E0_NS1_11comp_targetILNS1_3genE10ELNS1_11target_archE1200ELNS1_3gpuE4ELNS1_3repE0EEENS1_30default_config_static_selectorELNS0_4arch9wavefront6targetE1EEEvT1_,comdat
	.globl	_ZN7rocprim17ROCPRIM_400000_NS6detail17trampoline_kernelINS0_14default_configENS1_20scan_config_selectorIN3c107complexIdEEEEZZNS1_9scan_implILNS1_25lookback_scan_determinismE0ELb0ELb0ES3_PKS7_PS7_S7_ZZZN2at6native31launch_logcumsumexp_cuda_kernelERKNSE_10TensorBaseESI_lENKUlvE_clEvENKUlvE1_clEvEUlS7_S7_E_S7_EEDaPvRmT3_T4_T5_mT6_P12ihipStream_tbENKUlT_T0_E_clISt17integral_constantIbLb0EESY_IbLb1EEEEDaSU_SV_EUlSU_E0_NS1_11comp_targetILNS1_3genE10ELNS1_11target_archE1200ELNS1_3gpuE4ELNS1_3repE0EEENS1_30default_config_static_selectorELNS0_4arch9wavefront6targetE1EEEvT1_ ; -- Begin function _ZN7rocprim17ROCPRIM_400000_NS6detail17trampoline_kernelINS0_14default_configENS1_20scan_config_selectorIN3c107complexIdEEEEZZNS1_9scan_implILNS1_25lookback_scan_determinismE0ELb0ELb0ES3_PKS7_PS7_S7_ZZZN2at6native31launch_logcumsumexp_cuda_kernelERKNSE_10TensorBaseESI_lENKUlvE_clEvENKUlvE1_clEvEUlS7_S7_E_S7_EEDaPvRmT3_T4_T5_mT6_P12ihipStream_tbENKUlT_T0_E_clISt17integral_constantIbLb0EESY_IbLb1EEEEDaSU_SV_EUlSU_E0_NS1_11comp_targetILNS1_3genE10ELNS1_11target_archE1200ELNS1_3gpuE4ELNS1_3repE0EEENS1_30default_config_static_selectorELNS0_4arch9wavefront6targetE1EEEvT1_
	.p2align	8
	.type	_ZN7rocprim17ROCPRIM_400000_NS6detail17trampoline_kernelINS0_14default_configENS1_20scan_config_selectorIN3c107complexIdEEEEZZNS1_9scan_implILNS1_25lookback_scan_determinismE0ELb0ELb0ES3_PKS7_PS7_S7_ZZZN2at6native31launch_logcumsumexp_cuda_kernelERKNSE_10TensorBaseESI_lENKUlvE_clEvENKUlvE1_clEvEUlS7_S7_E_S7_EEDaPvRmT3_T4_T5_mT6_P12ihipStream_tbENKUlT_T0_E_clISt17integral_constantIbLb0EESY_IbLb1EEEEDaSU_SV_EUlSU_E0_NS1_11comp_targetILNS1_3genE10ELNS1_11target_archE1200ELNS1_3gpuE4ELNS1_3repE0EEENS1_30default_config_static_selectorELNS0_4arch9wavefront6targetE1EEEvT1_,@function
_ZN7rocprim17ROCPRIM_400000_NS6detail17trampoline_kernelINS0_14default_configENS1_20scan_config_selectorIN3c107complexIdEEEEZZNS1_9scan_implILNS1_25lookback_scan_determinismE0ELb0ELb0ES3_PKS7_PS7_S7_ZZZN2at6native31launch_logcumsumexp_cuda_kernelERKNSE_10TensorBaseESI_lENKUlvE_clEvENKUlvE1_clEvEUlS7_S7_E_S7_EEDaPvRmT3_T4_T5_mT6_P12ihipStream_tbENKUlT_T0_E_clISt17integral_constantIbLb0EESY_IbLb1EEEEDaSU_SV_EUlSU_E0_NS1_11comp_targetILNS1_3genE10ELNS1_11target_archE1200ELNS1_3gpuE4ELNS1_3repE0EEENS1_30default_config_static_selectorELNS0_4arch9wavefront6targetE1EEEvT1_: ; @_ZN7rocprim17ROCPRIM_400000_NS6detail17trampoline_kernelINS0_14default_configENS1_20scan_config_selectorIN3c107complexIdEEEEZZNS1_9scan_implILNS1_25lookback_scan_determinismE0ELb0ELb0ES3_PKS7_PS7_S7_ZZZN2at6native31launch_logcumsumexp_cuda_kernelERKNSE_10TensorBaseESI_lENKUlvE_clEvENKUlvE1_clEvEUlS7_S7_E_S7_EEDaPvRmT3_T4_T5_mT6_P12ihipStream_tbENKUlT_T0_E_clISt17integral_constantIbLb0EESY_IbLb1EEEEDaSU_SV_EUlSU_E0_NS1_11comp_targetILNS1_3genE10ELNS1_11target_archE1200ELNS1_3gpuE4ELNS1_3repE0EEENS1_30default_config_static_selectorELNS0_4arch9wavefront6targetE1EEEvT1_
; %bb.0:
	.section	.rodata,"a",@progbits
	.p2align	6, 0x0
	.amdhsa_kernel _ZN7rocprim17ROCPRIM_400000_NS6detail17trampoline_kernelINS0_14default_configENS1_20scan_config_selectorIN3c107complexIdEEEEZZNS1_9scan_implILNS1_25lookback_scan_determinismE0ELb0ELb0ES3_PKS7_PS7_S7_ZZZN2at6native31launch_logcumsumexp_cuda_kernelERKNSE_10TensorBaseESI_lENKUlvE_clEvENKUlvE1_clEvEUlS7_S7_E_S7_EEDaPvRmT3_T4_T5_mT6_P12ihipStream_tbENKUlT_T0_E_clISt17integral_constantIbLb0EESY_IbLb1EEEEDaSU_SV_EUlSU_E0_NS1_11comp_targetILNS1_3genE10ELNS1_11target_archE1200ELNS1_3gpuE4ELNS1_3repE0EEENS1_30default_config_static_selectorELNS0_4arch9wavefront6targetE1EEEvT1_
		.amdhsa_group_segment_fixed_size 0
		.amdhsa_private_segment_fixed_size 0
		.amdhsa_kernarg_size 48
		.amdhsa_user_sgpr_count 2
		.amdhsa_user_sgpr_dispatch_ptr 0
		.amdhsa_user_sgpr_queue_ptr 0
		.amdhsa_user_sgpr_kernarg_segment_ptr 1
		.amdhsa_user_sgpr_dispatch_id 0
		.amdhsa_user_sgpr_kernarg_preload_length 0
		.amdhsa_user_sgpr_kernarg_preload_offset 0
		.amdhsa_user_sgpr_private_segment_size 0
		.amdhsa_uses_dynamic_stack 0
		.amdhsa_enable_private_segment 0
		.amdhsa_system_sgpr_workgroup_id_x 1
		.amdhsa_system_sgpr_workgroup_id_y 0
		.amdhsa_system_sgpr_workgroup_id_z 0
		.amdhsa_system_sgpr_workgroup_info 0
		.amdhsa_system_vgpr_workitem_id 0
		.amdhsa_next_free_vgpr 1
		.amdhsa_next_free_sgpr 0
		.amdhsa_accum_offset 4
		.amdhsa_reserve_vcc 0
		.amdhsa_float_round_mode_32 0
		.amdhsa_float_round_mode_16_64 0
		.amdhsa_float_denorm_mode_32 3
		.amdhsa_float_denorm_mode_16_64 3
		.amdhsa_dx10_clamp 1
		.amdhsa_ieee_mode 1
		.amdhsa_fp16_overflow 0
		.amdhsa_tg_split 0
		.amdhsa_exception_fp_ieee_invalid_op 0
		.amdhsa_exception_fp_denorm_src 0
		.amdhsa_exception_fp_ieee_div_zero 0
		.amdhsa_exception_fp_ieee_overflow 0
		.amdhsa_exception_fp_ieee_underflow 0
		.amdhsa_exception_fp_ieee_inexact 0
		.amdhsa_exception_int_div_zero 0
	.end_amdhsa_kernel
	.section	.text._ZN7rocprim17ROCPRIM_400000_NS6detail17trampoline_kernelINS0_14default_configENS1_20scan_config_selectorIN3c107complexIdEEEEZZNS1_9scan_implILNS1_25lookback_scan_determinismE0ELb0ELb0ES3_PKS7_PS7_S7_ZZZN2at6native31launch_logcumsumexp_cuda_kernelERKNSE_10TensorBaseESI_lENKUlvE_clEvENKUlvE1_clEvEUlS7_S7_E_S7_EEDaPvRmT3_T4_T5_mT6_P12ihipStream_tbENKUlT_T0_E_clISt17integral_constantIbLb0EESY_IbLb1EEEEDaSU_SV_EUlSU_E0_NS1_11comp_targetILNS1_3genE10ELNS1_11target_archE1200ELNS1_3gpuE4ELNS1_3repE0EEENS1_30default_config_static_selectorELNS0_4arch9wavefront6targetE1EEEvT1_,"axG",@progbits,_ZN7rocprim17ROCPRIM_400000_NS6detail17trampoline_kernelINS0_14default_configENS1_20scan_config_selectorIN3c107complexIdEEEEZZNS1_9scan_implILNS1_25lookback_scan_determinismE0ELb0ELb0ES3_PKS7_PS7_S7_ZZZN2at6native31launch_logcumsumexp_cuda_kernelERKNSE_10TensorBaseESI_lENKUlvE_clEvENKUlvE1_clEvEUlS7_S7_E_S7_EEDaPvRmT3_T4_T5_mT6_P12ihipStream_tbENKUlT_T0_E_clISt17integral_constantIbLb0EESY_IbLb1EEEEDaSU_SV_EUlSU_E0_NS1_11comp_targetILNS1_3genE10ELNS1_11target_archE1200ELNS1_3gpuE4ELNS1_3repE0EEENS1_30default_config_static_selectorELNS0_4arch9wavefront6targetE1EEEvT1_,comdat
.Lfunc_end264:
	.size	_ZN7rocprim17ROCPRIM_400000_NS6detail17trampoline_kernelINS0_14default_configENS1_20scan_config_selectorIN3c107complexIdEEEEZZNS1_9scan_implILNS1_25lookback_scan_determinismE0ELb0ELb0ES3_PKS7_PS7_S7_ZZZN2at6native31launch_logcumsumexp_cuda_kernelERKNSE_10TensorBaseESI_lENKUlvE_clEvENKUlvE1_clEvEUlS7_S7_E_S7_EEDaPvRmT3_T4_T5_mT6_P12ihipStream_tbENKUlT_T0_E_clISt17integral_constantIbLb0EESY_IbLb1EEEEDaSU_SV_EUlSU_E0_NS1_11comp_targetILNS1_3genE10ELNS1_11target_archE1200ELNS1_3gpuE4ELNS1_3repE0EEENS1_30default_config_static_selectorELNS0_4arch9wavefront6targetE1EEEvT1_, .Lfunc_end264-_ZN7rocprim17ROCPRIM_400000_NS6detail17trampoline_kernelINS0_14default_configENS1_20scan_config_selectorIN3c107complexIdEEEEZZNS1_9scan_implILNS1_25lookback_scan_determinismE0ELb0ELb0ES3_PKS7_PS7_S7_ZZZN2at6native31launch_logcumsumexp_cuda_kernelERKNSE_10TensorBaseESI_lENKUlvE_clEvENKUlvE1_clEvEUlS7_S7_E_S7_EEDaPvRmT3_T4_T5_mT6_P12ihipStream_tbENKUlT_T0_E_clISt17integral_constantIbLb0EESY_IbLb1EEEEDaSU_SV_EUlSU_E0_NS1_11comp_targetILNS1_3genE10ELNS1_11target_archE1200ELNS1_3gpuE4ELNS1_3repE0EEENS1_30default_config_static_selectorELNS0_4arch9wavefront6targetE1EEEvT1_
                                        ; -- End function
	.section	.AMDGPU.csdata,"",@progbits
; Kernel info:
; codeLenInByte = 0
; NumSgprs: 6
; NumVgprs: 0
; NumAgprs: 0
; TotalNumVgprs: 0
; ScratchSize: 0
; MemoryBound: 0
; FloatMode: 240
; IeeeMode: 1
; LDSByteSize: 0 bytes/workgroup (compile time only)
; SGPRBlocks: 0
; VGPRBlocks: 0
; NumSGPRsForWavesPerEU: 6
; NumVGPRsForWavesPerEU: 1
; AccumOffset: 4
; Occupancy: 8
; WaveLimiterHint : 0
; COMPUTE_PGM_RSRC2:SCRATCH_EN: 0
; COMPUTE_PGM_RSRC2:USER_SGPR: 2
; COMPUTE_PGM_RSRC2:TRAP_HANDLER: 0
; COMPUTE_PGM_RSRC2:TGID_X_EN: 1
; COMPUTE_PGM_RSRC2:TGID_Y_EN: 0
; COMPUTE_PGM_RSRC2:TGID_Z_EN: 0
; COMPUTE_PGM_RSRC2:TIDIG_COMP_CNT: 0
; COMPUTE_PGM_RSRC3_GFX90A:ACCUM_OFFSET: 0
; COMPUTE_PGM_RSRC3_GFX90A:TG_SPLIT: 0
	.section	.text._ZN7rocprim17ROCPRIM_400000_NS6detail17trampoline_kernelINS0_14default_configENS1_20scan_config_selectorIN3c107complexIdEEEEZZNS1_9scan_implILNS1_25lookback_scan_determinismE0ELb0ELb0ES3_PKS7_PS7_S7_ZZZN2at6native31launch_logcumsumexp_cuda_kernelERKNSE_10TensorBaseESI_lENKUlvE_clEvENKUlvE1_clEvEUlS7_S7_E_S7_EEDaPvRmT3_T4_T5_mT6_P12ihipStream_tbENKUlT_T0_E_clISt17integral_constantIbLb0EESY_IbLb1EEEEDaSU_SV_EUlSU_E0_NS1_11comp_targetILNS1_3genE9ELNS1_11target_archE1100ELNS1_3gpuE3ELNS1_3repE0EEENS1_30default_config_static_selectorELNS0_4arch9wavefront6targetE1EEEvT1_,"axG",@progbits,_ZN7rocprim17ROCPRIM_400000_NS6detail17trampoline_kernelINS0_14default_configENS1_20scan_config_selectorIN3c107complexIdEEEEZZNS1_9scan_implILNS1_25lookback_scan_determinismE0ELb0ELb0ES3_PKS7_PS7_S7_ZZZN2at6native31launch_logcumsumexp_cuda_kernelERKNSE_10TensorBaseESI_lENKUlvE_clEvENKUlvE1_clEvEUlS7_S7_E_S7_EEDaPvRmT3_T4_T5_mT6_P12ihipStream_tbENKUlT_T0_E_clISt17integral_constantIbLb0EESY_IbLb1EEEEDaSU_SV_EUlSU_E0_NS1_11comp_targetILNS1_3genE9ELNS1_11target_archE1100ELNS1_3gpuE3ELNS1_3repE0EEENS1_30default_config_static_selectorELNS0_4arch9wavefront6targetE1EEEvT1_,comdat
	.globl	_ZN7rocprim17ROCPRIM_400000_NS6detail17trampoline_kernelINS0_14default_configENS1_20scan_config_selectorIN3c107complexIdEEEEZZNS1_9scan_implILNS1_25lookback_scan_determinismE0ELb0ELb0ES3_PKS7_PS7_S7_ZZZN2at6native31launch_logcumsumexp_cuda_kernelERKNSE_10TensorBaseESI_lENKUlvE_clEvENKUlvE1_clEvEUlS7_S7_E_S7_EEDaPvRmT3_T4_T5_mT6_P12ihipStream_tbENKUlT_T0_E_clISt17integral_constantIbLb0EESY_IbLb1EEEEDaSU_SV_EUlSU_E0_NS1_11comp_targetILNS1_3genE9ELNS1_11target_archE1100ELNS1_3gpuE3ELNS1_3repE0EEENS1_30default_config_static_selectorELNS0_4arch9wavefront6targetE1EEEvT1_ ; -- Begin function _ZN7rocprim17ROCPRIM_400000_NS6detail17trampoline_kernelINS0_14default_configENS1_20scan_config_selectorIN3c107complexIdEEEEZZNS1_9scan_implILNS1_25lookback_scan_determinismE0ELb0ELb0ES3_PKS7_PS7_S7_ZZZN2at6native31launch_logcumsumexp_cuda_kernelERKNSE_10TensorBaseESI_lENKUlvE_clEvENKUlvE1_clEvEUlS7_S7_E_S7_EEDaPvRmT3_T4_T5_mT6_P12ihipStream_tbENKUlT_T0_E_clISt17integral_constantIbLb0EESY_IbLb1EEEEDaSU_SV_EUlSU_E0_NS1_11comp_targetILNS1_3genE9ELNS1_11target_archE1100ELNS1_3gpuE3ELNS1_3repE0EEENS1_30default_config_static_selectorELNS0_4arch9wavefront6targetE1EEEvT1_
	.p2align	8
	.type	_ZN7rocprim17ROCPRIM_400000_NS6detail17trampoline_kernelINS0_14default_configENS1_20scan_config_selectorIN3c107complexIdEEEEZZNS1_9scan_implILNS1_25lookback_scan_determinismE0ELb0ELb0ES3_PKS7_PS7_S7_ZZZN2at6native31launch_logcumsumexp_cuda_kernelERKNSE_10TensorBaseESI_lENKUlvE_clEvENKUlvE1_clEvEUlS7_S7_E_S7_EEDaPvRmT3_T4_T5_mT6_P12ihipStream_tbENKUlT_T0_E_clISt17integral_constantIbLb0EESY_IbLb1EEEEDaSU_SV_EUlSU_E0_NS1_11comp_targetILNS1_3genE9ELNS1_11target_archE1100ELNS1_3gpuE3ELNS1_3repE0EEENS1_30default_config_static_selectorELNS0_4arch9wavefront6targetE1EEEvT1_,@function
_ZN7rocprim17ROCPRIM_400000_NS6detail17trampoline_kernelINS0_14default_configENS1_20scan_config_selectorIN3c107complexIdEEEEZZNS1_9scan_implILNS1_25lookback_scan_determinismE0ELb0ELb0ES3_PKS7_PS7_S7_ZZZN2at6native31launch_logcumsumexp_cuda_kernelERKNSE_10TensorBaseESI_lENKUlvE_clEvENKUlvE1_clEvEUlS7_S7_E_S7_EEDaPvRmT3_T4_T5_mT6_P12ihipStream_tbENKUlT_T0_E_clISt17integral_constantIbLb0EESY_IbLb1EEEEDaSU_SV_EUlSU_E0_NS1_11comp_targetILNS1_3genE9ELNS1_11target_archE1100ELNS1_3gpuE3ELNS1_3repE0EEENS1_30default_config_static_selectorELNS0_4arch9wavefront6targetE1EEEvT1_: ; @_ZN7rocprim17ROCPRIM_400000_NS6detail17trampoline_kernelINS0_14default_configENS1_20scan_config_selectorIN3c107complexIdEEEEZZNS1_9scan_implILNS1_25lookback_scan_determinismE0ELb0ELb0ES3_PKS7_PS7_S7_ZZZN2at6native31launch_logcumsumexp_cuda_kernelERKNSE_10TensorBaseESI_lENKUlvE_clEvENKUlvE1_clEvEUlS7_S7_E_S7_EEDaPvRmT3_T4_T5_mT6_P12ihipStream_tbENKUlT_T0_E_clISt17integral_constantIbLb0EESY_IbLb1EEEEDaSU_SV_EUlSU_E0_NS1_11comp_targetILNS1_3genE9ELNS1_11target_archE1100ELNS1_3gpuE3ELNS1_3repE0EEENS1_30default_config_static_selectorELNS0_4arch9wavefront6targetE1EEEvT1_
; %bb.0:
	.section	.rodata,"a",@progbits
	.p2align	6, 0x0
	.amdhsa_kernel _ZN7rocprim17ROCPRIM_400000_NS6detail17trampoline_kernelINS0_14default_configENS1_20scan_config_selectorIN3c107complexIdEEEEZZNS1_9scan_implILNS1_25lookback_scan_determinismE0ELb0ELb0ES3_PKS7_PS7_S7_ZZZN2at6native31launch_logcumsumexp_cuda_kernelERKNSE_10TensorBaseESI_lENKUlvE_clEvENKUlvE1_clEvEUlS7_S7_E_S7_EEDaPvRmT3_T4_T5_mT6_P12ihipStream_tbENKUlT_T0_E_clISt17integral_constantIbLb0EESY_IbLb1EEEEDaSU_SV_EUlSU_E0_NS1_11comp_targetILNS1_3genE9ELNS1_11target_archE1100ELNS1_3gpuE3ELNS1_3repE0EEENS1_30default_config_static_selectorELNS0_4arch9wavefront6targetE1EEEvT1_
		.amdhsa_group_segment_fixed_size 0
		.amdhsa_private_segment_fixed_size 0
		.amdhsa_kernarg_size 48
		.amdhsa_user_sgpr_count 2
		.amdhsa_user_sgpr_dispatch_ptr 0
		.amdhsa_user_sgpr_queue_ptr 0
		.amdhsa_user_sgpr_kernarg_segment_ptr 1
		.amdhsa_user_sgpr_dispatch_id 0
		.amdhsa_user_sgpr_kernarg_preload_length 0
		.amdhsa_user_sgpr_kernarg_preload_offset 0
		.amdhsa_user_sgpr_private_segment_size 0
		.amdhsa_uses_dynamic_stack 0
		.amdhsa_enable_private_segment 0
		.amdhsa_system_sgpr_workgroup_id_x 1
		.amdhsa_system_sgpr_workgroup_id_y 0
		.amdhsa_system_sgpr_workgroup_id_z 0
		.amdhsa_system_sgpr_workgroup_info 0
		.amdhsa_system_vgpr_workitem_id 0
		.amdhsa_next_free_vgpr 1
		.amdhsa_next_free_sgpr 0
		.amdhsa_accum_offset 4
		.amdhsa_reserve_vcc 0
		.amdhsa_float_round_mode_32 0
		.amdhsa_float_round_mode_16_64 0
		.amdhsa_float_denorm_mode_32 3
		.amdhsa_float_denorm_mode_16_64 3
		.amdhsa_dx10_clamp 1
		.amdhsa_ieee_mode 1
		.amdhsa_fp16_overflow 0
		.amdhsa_tg_split 0
		.amdhsa_exception_fp_ieee_invalid_op 0
		.amdhsa_exception_fp_denorm_src 0
		.amdhsa_exception_fp_ieee_div_zero 0
		.amdhsa_exception_fp_ieee_overflow 0
		.amdhsa_exception_fp_ieee_underflow 0
		.amdhsa_exception_fp_ieee_inexact 0
		.amdhsa_exception_int_div_zero 0
	.end_amdhsa_kernel
	.section	.text._ZN7rocprim17ROCPRIM_400000_NS6detail17trampoline_kernelINS0_14default_configENS1_20scan_config_selectorIN3c107complexIdEEEEZZNS1_9scan_implILNS1_25lookback_scan_determinismE0ELb0ELb0ES3_PKS7_PS7_S7_ZZZN2at6native31launch_logcumsumexp_cuda_kernelERKNSE_10TensorBaseESI_lENKUlvE_clEvENKUlvE1_clEvEUlS7_S7_E_S7_EEDaPvRmT3_T4_T5_mT6_P12ihipStream_tbENKUlT_T0_E_clISt17integral_constantIbLb0EESY_IbLb1EEEEDaSU_SV_EUlSU_E0_NS1_11comp_targetILNS1_3genE9ELNS1_11target_archE1100ELNS1_3gpuE3ELNS1_3repE0EEENS1_30default_config_static_selectorELNS0_4arch9wavefront6targetE1EEEvT1_,"axG",@progbits,_ZN7rocprim17ROCPRIM_400000_NS6detail17trampoline_kernelINS0_14default_configENS1_20scan_config_selectorIN3c107complexIdEEEEZZNS1_9scan_implILNS1_25lookback_scan_determinismE0ELb0ELb0ES3_PKS7_PS7_S7_ZZZN2at6native31launch_logcumsumexp_cuda_kernelERKNSE_10TensorBaseESI_lENKUlvE_clEvENKUlvE1_clEvEUlS7_S7_E_S7_EEDaPvRmT3_T4_T5_mT6_P12ihipStream_tbENKUlT_T0_E_clISt17integral_constantIbLb0EESY_IbLb1EEEEDaSU_SV_EUlSU_E0_NS1_11comp_targetILNS1_3genE9ELNS1_11target_archE1100ELNS1_3gpuE3ELNS1_3repE0EEENS1_30default_config_static_selectorELNS0_4arch9wavefront6targetE1EEEvT1_,comdat
.Lfunc_end265:
	.size	_ZN7rocprim17ROCPRIM_400000_NS6detail17trampoline_kernelINS0_14default_configENS1_20scan_config_selectorIN3c107complexIdEEEEZZNS1_9scan_implILNS1_25lookback_scan_determinismE0ELb0ELb0ES3_PKS7_PS7_S7_ZZZN2at6native31launch_logcumsumexp_cuda_kernelERKNSE_10TensorBaseESI_lENKUlvE_clEvENKUlvE1_clEvEUlS7_S7_E_S7_EEDaPvRmT3_T4_T5_mT6_P12ihipStream_tbENKUlT_T0_E_clISt17integral_constantIbLb0EESY_IbLb1EEEEDaSU_SV_EUlSU_E0_NS1_11comp_targetILNS1_3genE9ELNS1_11target_archE1100ELNS1_3gpuE3ELNS1_3repE0EEENS1_30default_config_static_selectorELNS0_4arch9wavefront6targetE1EEEvT1_, .Lfunc_end265-_ZN7rocprim17ROCPRIM_400000_NS6detail17trampoline_kernelINS0_14default_configENS1_20scan_config_selectorIN3c107complexIdEEEEZZNS1_9scan_implILNS1_25lookback_scan_determinismE0ELb0ELb0ES3_PKS7_PS7_S7_ZZZN2at6native31launch_logcumsumexp_cuda_kernelERKNSE_10TensorBaseESI_lENKUlvE_clEvENKUlvE1_clEvEUlS7_S7_E_S7_EEDaPvRmT3_T4_T5_mT6_P12ihipStream_tbENKUlT_T0_E_clISt17integral_constantIbLb0EESY_IbLb1EEEEDaSU_SV_EUlSU_E0_NS1_11comp_targetILNS1_3genE9ELNS1_11target_archE1100ELNS1_3gpuE3ELNS1_3repE0EEENS1_30default_config_static_selectorELNS0_4arch9wavefront6targetE1EEEvT1_
                                        ; -- End function
	.section	.AMDGPU.csdata,"",@progbits
; Kernel info:
; codeLenInByte = 0
; NumSgprs: 6
; NumVgprs: 0
; NumAgprs: 0
; TotalNumVgprs: 0
; ScratchSize: 0
; MemoryBound: 0
; FloatMode: 240
; IeeeMode: 1
; LDSByteSize: 0 bytes/workgroup (compile time only)
; SGPRBlocks: 0
; VGPRBlocks: 0
; NumSGPRsForWavesPerEU: 6
; NumVGPRsForWavesPerEU: 1
; AccumOffset: 4
; Occupancy: 8
; WaveLimiterHint : 0
; COMPUTE_PGM_RSRC2:SCRATCH_EN: 0
; COMPUTE_PGM_RSRC2:USER_SGPR: 2
; COMPUTE_PGM_RSRC2:TRAP_HANDLER: 0
; COMPUTE_PGM_RSRC2:TGID_X_EN: 1
; COMPUTE_PGM_RSRC2:TGID_Y_EN: 0
; COMPUTE_PGM_RSRC2:TGID_Z_EN: 0
; COMPUTE_PGM_RSRC2:TIDIG_COMP_CNT: 0
; COMPUTE_PGM_RSRC3_GFX90A:ACCUM_OFFSET: 0
; COMPUTE_PGM_RSRC3_GFX90A:TG_SPLIT: 0
	.section	.text._ZN7rocprim17ROCPRIM_400000_NS6detail17trampoline_kernelINS0_14default_configENS1_20scan_config_selectorIN3c107complexIdEEEEZZNS1_9scan_implILNS1_25lookback_scan_determinismE0ELb0ELb0ES3_PKS7_PS7_S7_ZZZN2at6native31launch_logcumsumexp_cuda_kernelERKNSE_10TensorBaseESI_lENKUlvE_clEvENKUlvE1_clEvEUlS7_S7_E_S7_EEDaPvRmT3_T4_T5_mT6_P12ihipStream_tbENKUlT_T0_E_clISt17integral_constantIbLb0EESY_IbLb1EEEEDaSU_SV_EUlSU_E0_NS1_11comp_targetILNS1_3genE8ELNS1_11target_archE1030ELNS1_3gpuE2ELNS1_3repE0EEENS1_30default_config_static_selectorELNS0_4arch9wavefront6targetE1EEEvT1_,"axG",@progbits,_ZN7rocprim17ROCPRIM_400000_NS6detail17trampoline_kernelINS0_14default_configENS1_20scan_config_selectorIN3c107complexIdEEEEZZNS1_9scan_implILNS1_25lookback_scan_determinismE0ELb0ELb0ES3_PKS7_PS7_S7_ZZZN2at6native31launch_logcumsumexp_cuda_kernelERKNSE_10TensorBaseESI_lENKUlvE_clEvENKUlvE1_clEvEUlS7_S7_E_S7_EEDaPvRmT3_T4_T5_mT6_P12ihipStream_tbENKUlT_T0_E_clISt17integral_constantIbLb0EESY_IbLb1EEEEDaSU_SV_EUlSU_E0_NS1_11comp_targetILNS1_3genE8ELNS1_11target_archE1030ELNS1_3gpuE2ELNS1_3repE0EEENS1_30default_config_static_selectorELNS0_4arch9wavefront6targetE1EEEvT1_,comdat
	.globl	_ZN7rocprim17ROCPRIM_400000_NS6detail17trampoline_kernelINS0_14default_configENS1_20scan_config_selectorIN3c107complexIdEEEEZZNS1_9scan_implILNS1_25lookback_scan_determinismE0ELb0ELb0ES3_PKS7_PS7_S7_ZZZN2at6native31launch_logcumsumexp_cuda_kernelERKNSE_10TensorBaseESI_lENKUlvE_clEvENKUlvE1_clEvEUlS7_S7_E_S7_EEDaPvRmT3_T4_T5_mT6_P12ihipStream_tbENKUlT_T0_E_clISt17integral_constantIbLb0EESY_IbLb1EEEEDaSU_SV_EUlSU_E0_NS1_11comp_targetILNS1_3genE8ELNS1_11target_archE1030ELNS1_3gpuE2ELNS1_3repE0EEENS1_30default_config_static_selectorELNS0_4arch9wavefront6targetE1EEEvT1_ ; -- Begin function _ZN7rocprim17ROCPRIM_400000_NS6detail17trampoline_kernelINS0_14default_configENS1_20scan_config_selectorIN3c107complexIdEEEEZZNS1_9scan_implILNS1_25lookback_scan_determinismE0ELb0ELb0ES3_PKS7_PS7_S7_ZZZN2at6native31launch_logcumsumexp_cuda_kernelERKNSE_10TensorBaseESI_lENKUlvE_clEvENKUlvE1_clEvEUlS7_S7_E_S7_EEDaPvRmT3_T4_T5_mT6_P12ihipStream_tbENKUlT_T0_E_clISt17integral_constantIbLb0EESY_IbLb1EEEEDaSU_SV_EUlSU_E0_NS1_11comp_targetILNS1_3genE8ELNS1_11target_archE1030ELNS1_3gpuE2ELNS1_3repE0EEENS1_30default_config_static_selectorELNS0_4arch9wavefront6targetE1EEEvT1_
	.p2align	8
	.type	_ZN7rocprim17ROCPRIM_400000_NS6detail17trampoline_kernelINS0_14default_configENS1_20scan_config_selectorIN3c107complexIdEEEEZZNS1_9scan_implILNS1_25lookback_scan_determinismE0ELb0ELb0ES3_PKS7_PS7_S7_ZZZN2at6native31launch_logcumsumexp_cuda_kernelERKNSE_10TensorBaseESI_lENKUlvE_clEvENKUlvE1_clEvEUlS7_S7_E_S7_EEDaPvRmT3_T4_T5_mT6_P12ihipStream_tbENKUlT_T0_E_clISt17integral_constantIbLb0EESY_IbLb1EEEEDaSU_SV_EUlSU_E0_NS1_11comp_targetILNS1_3genE8ELNS1_11target_archE1030ELNS1_3gpuE2ELNS1_3repE0EEENS1_30default_config_static_selectorELNS0_4arch9wavefront6targetE1EEEvT1_,@function
_ZN7rocprim17ROCPRIM_400000_NS6detail17trampoline_kernelINS0_14default_configENS1_20scan_config_selectorIN3c107complexIdEEEEZZNS1_9scan_implILNS1_25lookback_scan_determinismE0ELb0ELb0ES3_PKS7_PS7_S7_ZZZN2at6native31launch_logcumsumexp_cuda_kernelERKNSE_10TensorBaseESI_lENKUlvE_clEvENKUlvE1_clEvEUlS7_S7_E_S7_EEDaPvRmT3_T4_T5_mT6_P12ihipStream_tbENKUlT_T0_E_clISt17integral_constantIbLb0EESY_IbLb1EEEEDaSU_SV_EUlSU_E0_NS1_11comp_targetILNS1_3genE8ELNS1_11target_archE1030ELNS1_3gpuE2ELNS1_3repE0EEENS1_30default_config_static_selectorELNS0_4arch9wavefront6targetE1EEEvT1_: ; @_ZN7rocprim17ROCPRIM_400000_NS6detail17trampoline_kernelINS0_14default_configENS1_20scan_config_selectorIN3c107complexIdEEEEZZNS1_9scan_implILNS1_25lookback_scan_determinismE0ELb0ELb0ES3_PKS7_PS7_S7_ZZZN2at6native31launch_logcumsumexp_cuda_kernelERKNSE_10TensorBaseESI_lENKUlvE_clEvENKUlvE1_clEvEUlS7_S7_E_S7_EEDaPvRmT3_T4_T5_mT6_P12ihipStream_tbENKUlT_T0_E_clISt17integral_constantIbLb0EESY_IbLb1EEEEDaSU_SV_EUlSU_E0_NS1_11comp_targetILNS1_3genE8ELNS1_11target_archE1030ELNS1_3gpuE2ELNS1_3repE0EEENS1_30default_config_static_selectorELNS0_4arch9wavefront6targetE1EEEvT1_
; %bb.0:
	.section	.rodata,"a",@progbits
	.p2align	6, 0x0
	.amdhsa_kernel _ZN7rocprim17ROCPRIM_400000_NS6detail17trampoline_kernelINS0_14default_configENS1_20scan_config_selectorIN3c107complexIdEEEEZZNS1_9scan_implILNS1_25lookback_scan_determinismE0ELb0ELb0ES3_PKS7_PS7_S7_ZZZN2at6native31launch_logcumsumexp_cuda_kernelERKNSE_10TensorBaseESI_lENKUlvE_clEvENKUlvE1_clEvEUlS7_S7_E_S7_EEDaPvRmT3_T4_T5_mT6_P12ihipStream_tbENKUlT_T0_E_clISt17integral_constantIbLb0EESY_IbLb1EEEEDaSU_SV_EUlSU_E0_NS1_11comp_targetILNS1_3genE8ELNS1_11target_archE1030ELNS1_3gpuE2ELNS1_3repE0EEENS1_30default_config_static_selectorELNS0_4arch9wavefront6targetE1EEEvT1_
		.amdhsa_group_segment_fixed_size 0
		.amdhsa_private_segment_fixed_size 0
		.amdhsa_kernarg_size 48
		.amdhsa_user_sgpr_count 2
		.amdhsa_user_sgpr_dispatch_ptr 0
		.amdhsa_user_sgpr_queue_ptr 0
		.amdhsa_user_sgpr_kernarg_segment_ptr 1
		.amdhsa_user_sgpr_dispatch_id 0
		.amdhsa_user_sgpr_kernarg_preload_length 0
		.amdhsa_user_sgpr_kernarg_preload_offset 0
		.amdhsa_user_sgpr_private_segment_size 0
		.amdhsa_uses_dynamic_stack 0
		.amdhsa_enable_private_segment 0
		.amdhsa_system_sgpr_workgroup_id_x 1
		.amdhsa_system_sgpr_workgroup_id_y 0
		.amdhsa_system_sgpr_workgroup_id_z 0
		.amdhsa_system_sgpr_workgroup_info 0
		.amdhsa_system_vgpr_workitem_id 0
		.amdhsa_next_free_vgpr 1
		.amdhsa_next_free_sgpr 0
		.amdhsa_accum_offset 4
		.amdhsa_reserve_vcc 0
		.amdhsa_float_round_mode_32 0
		.amdhsa_float_round_mode_16_64 0
		.amdhsa_float_denorm_mode_32 3
		.amdhsa_float_denorm_mode_16_64 3
		.amdhsa_dx10_clamp 1
		.amdhsa_ieee_mode 1
		.amdhsa_fp16_overflow 0
		.amdhsa_tg_split 0
		.amdhsa_exception_fp_ieee_invalid_op 0
		.amdhsa_exception_fp_denorm_src 0
		.amdhsa_exception_fp_ieee_div_zero 0
		.amdhsa_exception_fp_ieee_overflow 0
		.amdhsa_exception_fp_ieee_underflow 0
		.amdhsa_exception_fp_ieee_inexact 0
		.amdhsa_exception_int_div_zero 0
	.end_amdhsa_kernel
	.section	.text._ZN7rocprim17ROCPRIM_400000_NS6detail17trampoline_kernelINS0_14default_configENS1_20scan_config_selectorIN3c107complexIdEEEEZZNS1_9scan_implILNS1_25lookback_scan_determinismE0ELb0ELb0ES3_PKS7_PS7_S7_ZZZN2at6native31launch_logcumsumexp_cuda_kernelERKNSE_10TensorBaseESI_lENKUlvE_clEvENKUlvE1_clEvEUlS7_S7_E_S7_EEDaPvRmT3_T4_T5_mT6_P12ihipStream_tbENKUlT_T0_E_clISt17integral_constantIbLb0EESY_IbLb1EEEEDaSU_SV_EUlSU_E0_NS1_11comp_targetILNS1_3genE8ELNS1_11target_archE1030ELNS1_3gpuE2ELNS1_3repE0EEENS1_30default_config_static_selectorELNS0_4arch9wavefront6targetE1EEEvT1_,"axG",@progbits,_ZN7rocprim17ROCPRIM_400000_NS6detail17trampoline_kernelINS0_14default_configENS1_20scan_config_selectorIN3c107complexIdEEEEZZNS1_9scan_implILNS1_25lookback_scan_determinismE0ELb0ELb0ES3_PKS7_PS7_S7_ZZZN2at6native31launch_logcumsumexp_cuda_kernelERKNSE_10TensorBaseESI_lENKUlvE_clEvENKUlvE1_clEvEUlS7_S7_E_S7_EEDaPvRmT3_T4_T5_mT6_P12ihipStream_tbENKUlT_T0_E_clISt17integral_constantIbLb0EESY_IbLb1EEEEDaSU_SV_EUlSU_E0_NS1_11comp_targetILNS1_3genE8ELNS1_11target_archE1030ELNS1_3gpuE2ELNS1_3repE0EEENS1_30default_config_static_selectorELNS0_4arch9wavefront6targetE1EEEvT1_,comdat
.Lfunc_end266:
	.size	_ZN7rocprim17ROCPRIM_400000_NS6detail17trampoline_kernelINS0_14default_configENS1_20scan_config_selectorIN3c107complexIdEEEEZZNS1_9scan_implILNS1_25lookback_scan_determinismE0ELb0ELb0ES3_PKS7_PS7_S7_ZZZN2at6native31launch_logcumsumexp_cuda_kernelERKNSE_10TensorBaseESI_lENKUlvE_clEvENKUlvE1_clEvEUlS7_S7_E_S7_EEDaPvRmT3_T4_T5_mT6_P12ihipStream_tbENKUlT_T0_E_clISt17integral_constantIbLb0EESY_IbLb1EEEEDaSU_SV_EUlSU_E0_NS1_11comp_targetILNS1_3genE8ELNS1_11target_archE1030ELNS1_3gpuE2ELNS1_3repE0EEENS1_30default_config_static_selectorELNS0_4arch9wavefront6targetE1EEEvT1_, .Lfunc_end266-_ZN7rocprim17ROCPRIM_400000_NS6detail17trampoline_kernelINS0_14default_configENS1_20scan_config_selectorIN3c107complexIdEEEEZZNS1_9scan_implILNS1_25lookback_scan_determinismE0ELb0ELb0ES3_PKS7_PS7_S7_ZZZN2at6native31launch_logcumsumexp_cuda_kernelERKNSE_10TensorBaseESI_lENKUlvE_clEvENKUlvE1_clEvEUlS7_S7_E_S7_EEDaPvRmT3_T4_T5_mT6_P12ihipStream_tbENKUlT_T0_E_clISt17integral_constantIbLb0EESY_IbLb1EEEEDaSU_SV_EUlSU_E0_NS1_11comp_targetILNS1_3genE8ELNS1_11target_archE1030ELNS1_3gpuE2ELNS1_3repE0EEENS1_30default_config_static_selectorELNS0_4arch9wavefront6targetE1EEEvT1_
                                        ; -- End function
	.section	.AMDGPU.csdata,"",@progbits
; Kernel info:
; codeLenInByte = 0
; NumSgprs: 6
; NumVgprs: 0
; NumAgprs: 0
; TotalNumVgprs: 0
; ScratchSize: 0
; MemoryBound: 0
; FloatMode: 240
; IeeeMode: 1
; LDSByteSize: 0 bytes/workgroup (compile time only)
; SGPRBlocks: 0
; VGPRBlocks: 0
; NumSGPRsForWavesPerEU: 6
; NumVGPRsForWavesPerEU: 1
; AccumOffset: 4
; Occupancy: 8
; WaveLimiterHint : 0
; COMPUTE_PGM_RSRC2:SCRATCH_EN: 0
; COMPUTE_PGM_RSRC2:USER_SGPR: 2
; COMPUTE_PGM_RSRC2:TRAP_HANDLER: 0
; COMPUTE_PGM_RSRC2:TGID_X_EN: 1
; COMPUTE_PGM_RSRC2:TGID_Y_EN: 0
; COMPUTE_PGM_RSRC2:TGID_Z_EN: 0
; COMPUTE_PGM_RSRC2:TIDIG_COMP_CNT: 0
; COMPUTE_PGM_RSRC3_GFX90A:ACCUM_OFFSET: 0
; COMPUTE_PGM_RSRC3_GFX90A:TG_SPLIT: 0
	.section	.text._ZN2at6native32tensor_kernel_scan_innermost_dimIN3c107complexIdEEZZZNS0_31launch_logcumsumexp_cuda_kernelERKNS_10TensorBaseES7_lENKUlvE_clEvENKUlvE1_clEvEUlS4_S4_E_EEvPT_PKSB_jjjSB_T0_,"axG",@progbits,_ZN2at6native32tensor_kernel_scan_innermost_dimIN3c107complexIdEEZZZNS0_31launch_logcumsumexp_cuda_kernelERKNS_10TensorBaseES7_lENKUlvE_clEvENKUlvE1_clEvEUlS4_S4_E_EEvPT_PKSB_jjjSB_T0_,comdat
	.globl	_ZN2at6native32tensor_kernel_scan_innermost_dimIN3c107complexIdEEZZZNS0_31launch_logcumsumexp_cuda_kernelERKNS_10TensorBaseES7_lENKUlvE_clEvENKUlvE1_clEvEUlS4_S4_E_EEvPT_PKSB_jjjSB_T0_ ; -- Begin function _ZN2at6native32tensor_kernel_scan_innermost_dimIN3c107complexIdEEZZZNS0_31launch_logcumsumexp_cuda_kernelERKNS_10TensorBaseES7_lENKUlvE_clEvENKUlvE1_clEvEUlS4_S4_E_EEvPT_PKSB_jjjSB_T0_
	.p2align	8
	.type	_ZN2at6native32tensor_kernel_scan_innermost_dimIN3c107complexIdEEZZZNS0_31launch_logcumsumexp_cuda_kernelERKNS_10TensorBaseES7_lENKUlvE_clEvENKUlvE1_clEvEUlS4_S4_E_EEvPT_PKSB_jjjSB_T0_,@function
_ZN2at6native32tensor_kernel_scan_innermost_dimIN3c107complexIdEEZZZNS0_31launch_logcumsumexp_cuda_kernelERKNS_10TensorBaseES7_lENKUlvE_clEvENKUlvE1_clEvEUlS4_S4_E_EEvPT_PKSB_jjjSB_T0_: ; @_ZN2at6native32tensor_kernel_scan_innermost_dimIN3c107complexIdEEZZZNS0_31launch_logcumsumexp_cuda_kernelERKNS_10TensorBaseES7_lENKUlvE_clEvENKUlvE1_clEvEUlS4_S4_E_EEvPT_PKSB_jjjSB_T0_
; %bb.0:
	s_load_dwordx8 s[44:51], s[0:1], 0x0
	s_load_dwordx4 s[52:55], s[0:1], 0x20
	v_mov_b32_e32 v41, v0
	v_bfe_u32 v42, v41, 10, 10
	s_mov_b64 s[34:35], s[0:1]
	s_waitcnt lgkmcnt(0)
	s_lshl_b32 s51, 2, s50
	v_mul_lo_u32 v0, s51, v42
	s_mul_hi_u32 s0, s48, s49
	s_mov_b32 s33, s2
	s_mov_b32 s56, s48
	v_lshl_add_u32 v58, v0, 4, 0
	s_cmp_lg_u32 s0, 0
	s_mov_b64 s[0:1], -1
	s_mov_b32 s32, 0
	s_cbranch_scc1 .LBB267_30
; %bb.1:
	s_load_dword s2, s[34:35], 0x44
	s_add_u32 s0, s34, 56
	s_addc_u32 s1, s35, 0
	s_waitcnt lgkmcnt(0)
	s_lshr_b32 s2, s2, 16
	s_mul_i32 s57, s33, s2
	s_cmp_ge_u32 s57, s48
	s_cbranch_scc1 .LBB267_29
; %bb.2:
	s_load_dword s63, s[0:1], 0x0
	s_lshl_b32 s62, 1, s50
	s_cmp_lg_u32 s49, 0
	v_and_b32_e32 v43, 0x3ff, v41
	s_cselect_b64 s[0:1], -1, 0
	v_lshl_add_u32 v56, v43, 4, v58
	s_lshl_b32 s3, s51, 4
	v_cndmask_b32_e64 v0, 0, 1, s[0:1]
	v_lshl_add_u32 v57, s62, 4, v56
	v_cmp_eq_u32_e64 s[36:37], 0, v43
	v_add3_u32 v59, v58, s3, -16
	s_waitcnt lgkmcnt(0)
	s_mul_i32 s63, s63, s2
	s_add_i32 s64, s50, 1
	v_cmp_ne_u32_e64 s[38:39], 1, v0
	v_mov_b32_e32 v45, 0
	s_branch .LBB267_4
.LBB267_3:                              ;   in Loop: Header=BB267_4 Depth=1
	s_add_i32 s57, s57, s63
	s_cmp_ge_u32 s57, s48
	s_cbranch_scc1 .LBB267_29
.LBB267_4:                              ; =>This Loop Header: Depth=1
                                        ;     Child Loop BB267_7 Depth 2
                                        ;       Child Loop BB267_18 Depth 3
	s_and_b64 vcc, exec, s[38:39]
	s_cbranch_vccnz .LBB267_3
; %bb.5:                                ;   in Loop: Header=BB267_4 Depth=1
	v_add_u32_e32 v2, s57, v42
	v_mul_lo_u32 v44, v2, s49
	v_lshlrev_b64 v[0:1], 4, v[44:45]
	v_lshl_add_u64 v[46:47], s[46:47], 0, v[0:1]
	v_lshl_add_u64 v[52:53], s[44:45], 0, v[0:1]
	v_cmp_gt_u32_e64 s[40:41], s48, v2
	v_cmp_le_u32_e64 s[42:43], s48, v2
	s_mov_b32 s65, 0
	v_mov_b64_e32 v[6:7], s[54:55]
	v_mov_b64_e32 v[4:5], s[52:53]
	s_branch .LBB267_7
.LBB267_6:                              ;   in Loop: Header=BB267_7 Depth=2
	s_or_b64 exec, exec, s[0:1]
	ds_read_b128 v[4:7], v59
	s_add_i32 s65, s65, s51
	s_cmp_ge_u32 s65, s49
	s_waitcnt lgkmcnt(0)
	s_barrier
	s_cbranch_scc1 .LBB267_3
.LBB267_7:                              ;   Parent Loop BB267_4 Depth=1
                                        ; =>  This Loop Header: Depth=2
                                        ;       Child Loop BB267_18 Depth 3
	v_add_u32_e32 v44, s65, v43
	v_add_u32_e32 v54, s62, v44
	s_and_saveexec_b64 s[58:59], s[40:41]
	s_cbranch_execz .LBB267_16
; %bb.8:                                ;   in Loop: Header=BB267_7 Depth=2
	v_cmp_le_u32_e32 vcc, s49, v44
	s_and_saveexec_b64 s[0:1], vcc
	s_xor_b64 s[0:1], exec, s[0:1]
	s_cbranch_execz .LBB267_10
; %bb.9:                                ;   in Loop: Header=BB267_7 Depth=2
	v_mov_b32_e32 v0, s52
	v_mov_b32_e32 v1, s53
	;; [unrolled: 1-line block ×4, first 2 shown]
	ds_write_b128 v56, v[0:3]
.LBB267_10:                             ;   in Loop: Header=BB267_7 Depth=2
	s_andn2_saveexec_b64 s[0:1], s[0:1]
	s_cbranch_execz .LBB267_12
; %bb.11:                               ;   in Loop: Header=BB267_7 Depth=2
	v_lshl_add_u64 v[0:1], v[44:45], 4, v[46:47]
	global_load_dwordx4 v[0:3], v[0:1], off
	s_waitcnt vmcnt(0)
	ds_write_b128 v56, v[0:3]
.LBB267_12:                             ;   in Loop: Header=BB267_7 Depth=2
	s_or_b64 exec, exec, s[0:1]
	v_cmp_le_u32_e32 vcc, s49, v54
	s_and_saveexec_b64 s[0:1], vcc
	s_xor_b64 s[0:1], exec, s[0:1]
	s_cbranch_execnz .LBB267_27
; %bb.13:                               ;   in Loop: Header=BB267_7 Depth=2
	s_andn2_saveexec_b64 s[0:1], s[0:1]
	s_cbranch_execnz .LBB267_28
.LBB267_14:                             ;   in Loop: Header=BB267_7 Depth=2
	s_or_b64 exec, exec, s[0:1]
	s_and_b64 exec, exec, s[36:37]
	s_cbranch_execz .LBB267_16
.LBB267_15:                             ;   in Loop: Header=BB267_7 Depth=2
	ds_read_b128 v[0:3], v58
	s_getpc_b64 s[0:1]
	s_add_u32 s0, s0, _ZZZZN2at6native31launch_logcumsumexp_cuda_kernelERKNS_10TensorBaseES3_lENKUlvE_clEvENKUlvE1_clEvENKUlN3c107complexIdEES8_E_clES8_S8_@rel32@lo+4
	s_addc_u32 s1, s1, _ZZZZN2at6native31launch_logcumsumexp_cuda_kernelERKNS_10TensorBaseES3_lENKUlvE_clEvENKUlvE1_clEvENKUlN3c107complexIdEES8_E_clES8_S8_@rel32@hi+12
	s_swappc_b64 s[30:31], s[0:1]
	ds_write_b128 v58, v[0:3]
.LBB267_16:                             ;   in Loop: Header=BB267_7 Depth=2
	s_or_b64 exec, exec, s[58:59]
	s_mov_b64 s[58:59], 0
	v_mov_b32_e32 v0, 0
	s_waitcnt lgkmcnt(0)
	s_barrier
	s_branch .LBB267_18
.LBB267_17:                             ;   in Loop: Header=BB267_18 Depth=3
	s_or_b64 exec, exec, s[60:61]
	v_cmp_eq_u32_e32 vcc, s64, v0
	s_or_b64 s[58:59], vcc, s[58:59]
	s_waitcnt lgkmcnt(0)
	s_barrier
	s_andn2_b64 exec, exec, s[58:59]
	s_cbranch_execz .LBB267_22
.LBB267_18:                             ;   Parent Loop BB267_4 Depth=1
                                        ;     Parent Loop BB267_7 Depth=2
                                        ; =>    This Inner Loop Header: Depth=3
	v_add_u32_e32 v55, 1, v0
	s_and_saveexec_b64 s[0:1], s[42:43]
	s_xor_b64 s[0:1], exec, s[0:1]
; %bb.19:                               ;   in Loop: Header=BB267_18 Depth=3
	v_add_u32_e32 v0, 1, v0
                                        ; implicit-def: $vgpr55
; %bb.20:                               ;   in Loop: Header=BB267_18 Depth=3
	s_andn2_saveexec_b64 s[60:61], s[0:1]
	s_cbranch_execz .LBB267_17
; %bb.21:                               ;   in Loop: Header=BB267_18 Depth=3
	v_lshlrev_b32_e64 v1, v0, 1
	v_lshrrev_b32_e32 v2, v0, v43
	v_lshl_or_b32 v1, v2, v55, v1
	v_bfm_b32 v0, v0, 0
	v_and_b32_e32 v0, v0, v43
	v_lshl_add_u32 v4, v1, 4, v58
	v_lshl_add_u32 v60, v0, 4, v4
	v_add_u32_e32 v4, -16, v4
	ds_read_b128 v[0:3], v60
	ds_read_b128 v[4:7], v4
	s_getpc_b64 s[0:1]
	s_add_u32 s0, s0, _ZZZZN2at6native31launch_logcumsumexp_cuda_kernelERKNS_10TensorBaseES3_lENKUlvE_clEvENKUlvE1_clEvENKUlN3c107complexIdEES8_E_clES8_S8_@rel32@lo+4
	s_addc_u32 s1, s1, _ZZZZN2at6native31launch_logcumsumexp_cuda_kernelERKNS_10TensorBaseES3_lENKUlvE_clEvENKUlvE1_clEvENKUlN3c107complexIdEES8_E_clES8_S8_@rel32@hi+12
	s_swappc_b64 s[30:31], s[0:1]
	ds_write_b128 v60, v[0:3]
	v_mov_b32_e32 v0, v55
	s_branch .LBB267_17
.LBB267_22:                             ;   in Loop: Header=BB267_7 Depth=2
	s_or_b64 exec, exec, s[58:59]
	s_and_saveexec_b64 s[0:1], s[40:41]
	s_cbranch_execz .LBB267_6
; %bb.23:                               ;   in Loop: Header=BB267_7 Depth=2
	v_cmp_gt_u32_e32 vcc, s49, v44
	s_and_saveexec_b64 s[2:3], vcc
	s_cbranch_execz .LBB267_25
; %bb.24:                               ;   in Loop: Header=BB267_7 Depth=2
	ds_read_b128 v[0:3], v56
	v_lshl_add_u64 v[4:5], v[44:45], 4, v[52:53]
	s_waitcnt lgkmcnt(0)
	global_store_dwordx4 v[4:5], v[0:3], off
.LBB267_25:                             ;   in Loop: Header=BB267_7 Depth=2
	s_or_b64 exec, exec, s[2:3]
	v_cmp_gt_u32_e32 vcc, s49, v54
	s_and_b64 exec, exec, vcc
	s_cbranch_execz .LBB267_6
; %bb.26:                               ;   in Loop: Header=BB267_7 Depth=2
	ds_read_b128 v[0:3], v57
	v_mov_b32_e32 v55, v45
	v_lshl_add_u64 v[4:5], v[54:55], 4, v[52:53]
	s_waitcnt lgkmcnt(0)
	global_store_dwordx4 v[4:5], v[0:3], off
	s_branch .LBB267_6
.LBB267_27:                             ;   in Loop: Header=BB267_7 Depth=2
	v_mov_b32_e32 v0, s52
	v_mov_b32_e32 v1, s53
	;; [unrolled: 1-line block ×4, first 2 shown]
	ds_write_b128 v57, v[0:3]
	s_andn2_saveexec_b64 s[0:1], s[0:1]
	s_cbranch_execz .LBB267_14
.LBB267_28:                             ;   in Loop: Header=BB267_7 Depth=2
	v_mov_b32_e32 v55, v45
	v_lshl_add_u64 v[0:1], v[54:55], 4, v[46:47]
	global_load_dwordx4 v[0:3], v[0:1], off
	s_waitcnt vmcnt(0)
	ds_write_b128 v57, v[0:3]
	s_or_b64 exec, exec, s[0:1]
	s_and_b64 exec, exec, s[36:37]
	s_cbranch_execnz .LBB267_15
	s_branch .LBB267_16
.LBB267_29:
	s_mov_b64 s[0:1], 0
.LBB267_30:
	s_andn2_b64 vcc, exec, s[0:1]
	s_cbranch_vccnz .LBB267_61
; %bb.31:
	s_load_dword s2, s[34:35], 0x44
	s_add_u32 s0, s34, 56
	s_mov_b32 s57, 0
	s_addc_u32 s1, s35, 0
	v_mov_b64_e32 v[0:1], s[56:57]
	s_waitcnt lgkmcnt(0)
	s_lshr_b32 s2, s2, 16
	s_mul_hi_u32 s43, s2, s33
	s_mul_i32 s42, s2, s33
	v_cmp_ge_u64_e32 vcc, s[42:43], v[0:1]
	s_cbranch_vccnz .LBB267_61
; %bb.32:
	s_lshl_b32 s58, 1, s50
	s_load_dword s3, s[0:1], 0x0
	s_and_b32 s2, 0xffff, s2
	s_ashr_i32 s59, s58, 31
	s_cmp_lg_u32 s49, 0
	s_mov_b32 s60, s49
	v_and_b32_e32 v44, 0x3ff, v41
	s_cselect_b64 s[0:1], -1, 0
	s_lshl_b64 s[48:49], s[58:59], 1
	v_mov_b32_e32 v43, 0
	v_lshl_add_u32 v41, v44, 4, v58
	s_lshl_b32 s4, s48, 4
	v_cndmask_b32_e64 v0, 0, 1, s[0:1]
	s_mov_b32 s61, s57
	v_mov_b32_e32 v45, v43
	v_lshl_add_u32 v59, s58, 4, v41
	v_cmp_eq_u32_e64 s[34:35], 0, v44
	v_add3_u32 v60, v58, s4, -16
	s_waitcnt lgkmcnt(0)
	s_mul_i32 s33, s3, s2
	s_add_i32 s66, s50, 1
	v_cmp_ne_u32_e64 s[36:37], 1, v0
	s_branch .LBB267_34
.LBB267_33:                             ;   in Loop: Header=BB267_34 Depth=1
	s_add_u32 s42, s42, s33
	s_addc_u32 s43, s43, 0
	v_mov_b64_e32 v[0:1], s[56:57]
	v_cmp_ge_u64_e32 vcc, s[42:43], v[0:1]
	s_cbranch_vccnz .LBB267_61
.LBB267_34:                             ; =>This Loop Header: Depth=1
                                        ;     Child Loop BB267_37 Depth 2
                                        ;       Child Loop BB267_49 Depth 3
	s_and_b64 vcc, exec, s[36:37]
	s_cbranch_vccnz .LBB267_33
; %bb.35:                               ;   in Loop: Header=BB267_34 Depth=1
	v_lshl_add_u64 v[0:1], s[42:43], 0, v[42:43]
	v_mad_u64_u32 v[2:3], s[0:1], v0, s60, 0
	v_mov_b32_e32 v4, v3
	v_mad_u64_u32 v[4:5], s[0:1], v1, s60, v[4:5]
	v_mov_b32_e32 v3, v4
	v_lshlrev_b64 v[2:3], 4, v[2:3]
	v_lshl_add_u64 v[46:47], s[46:47], 0, v[2:3]
	v_lshl_add_u64 v[52:53], s[44:45], 0, v[2:3]
	v_cmp_gt_u64_e64 s[38:39], s[56:57], v[0:1]
	v_cmp_le_u64_e64 s[40:41], s[56:57], v[0:1]
	s_mov_b64 s[50:51], 0
	v_mov_b64_e32 v[6:7], s[54:55]
	v_mov_b64_e32 v[4:5], s[52:53]
	s_branch .LBB267_37
.LBB267_36:                             ;   in Loop: Header=BB267_37 Depth=2
	s_or_b64 exec, exec, s[0:1]
	ds_read_b128 v[4:7], v60
	s_add_u32 s50, s50, s48
	s_addc_u32 s51, s51, s49
	v_mov_b64_e32 v[0:1], s[60:61]
	v_cmp_ge_u64_e32 vcc, s[50:51], v[0:1]
	s_waitcnt lgkmcnt(0)
	s_barrier
	s_cbranch_vccnz .LBB267_33
.LBB267_37:                             ;   Parent Loop BB267_34 Depth=1
                                        ; =>  This Loop Header: Depth=2
                                        ;       Child Loop BB267_49 Depth 3
	v_lshl_add_u64 v[56:57], s[50:51], 0, v[44:45]
	v_lshl_add_u64 v[54:55], v[56:57], 0, s[58:59]
	s_and_saveexec_b64 s[62:63], s[38:39]
	s_cbranch_execz .LBB267_46
; %bb.38:                               ;   in Loop: Header=BB267_37 Depth=2
	v_cmp_le_u64_e32 vcc, s[60:61], v[56:57]
	s_and_saveexec_b64 s[0:1], vcc
	s_xor_b64 s[0:1], exec, s[0:1]
	s_cbranch_execz .LBB267_40
; %bb.39:                               ;   in Loop: Header=BB267_37 Depth=2
	v_mov_b32_e32 v0, s52
	v_mov_b32_e32 v1, s53
	;; [unrolled: 1-line block ×4, first 2 shown]
	ds_write_b128 v41, v[0:3]
.LBB267_40:                             ;   in Loop: Header=BB267_37 Depth=2
	s_andn2_saveexec_b64 s[0:1], s[0:1]
	s_cbranch_execz .LBB267_42
; %bb.41:                               ;   in Loop: Header=BB267_37 Depth=2
	v_lshl_add_u64 v[0:1], v[56:57], 4, v[46:47]
	global_load_dwordx4 v[0:3], v[0:1], off
	s_waitcnt vmcnt(0)
	ds_write_b128 v41, v[0:3]
.LBB267_42:                             ;   in Loop: Header=BB267_37 Depth=2
	s_or_b64 exec, exec, s[0:1]
	v_cmp_le_u64_e32 vcc, s[60:61], v[54:55]
	s_and_saveexec_b64 s[0:1], vcc
	s_xor_b64 s[0:1], exec, s[0:1]
	s_cbranch_execnz .LBB267_59
; %bb.43:                               ;   in Loop: Header=BB267_37 Depth=2
	s_andn2_saveexec_b64 s[0:1], s[0:1]
	s_cbranch_execnz .LBB267_60
.LBB267_44:                             ;   in Loop: Header=BB267_37 Depth=2
	s_or_b64 exec, exec, s[0:1]
	s_and_b64 exec, exec, s[34:35]
	s_cbranch_execz .LBB267_46
.LBB267_45:                             ;   in Loop: Header=BB267_37 Depth=2
	ds_read_b128 v[0:3], v58
	s_getpc_b64 s[0:1]
	s_add_u32 s0, s0, _ZZZZN2at6native31launch_logcumsumexp_cuda_kernelERKNS_10TensorBaseES3_lENKUlvE_clEvENKUlvE1_clEvENKUlN3c107complexIdEES8_E_clES8_S8_@rel32@lo+4
	s_addc_u32 s1, s1, _ZZZZN2at6native31launch_logcumsumexp_cuda_kernelERKNS_10TensorBaseES3_lENKUlvE_clEvENKUlvE1_clEvENKUlN3c107complexIdEES8_E_clES8_S8_@rel32@hi+12
	s_swappc_b64 s[30:31], s[0:1]
	ds_write_b128 v58, v[0:3]
.LBB267_46:                             ;   in Loop: Header=BB267_37 Depth=2
	s_or_b64 exec, exec, s[62:63]
	s_mov_b64 s[62:63], 0
	v_mov_b32_e32 v4, 0
	s_waitcnt lgkmcnt(0)
	s_barrier
	s_branch .LBB267_49
.LBB267_47:                             ;   in Loop: Header=BB267_49 Depth=3
	s_or_b64 exec, exec, s[0:1]
	v_lshrrev_b32_e32 v1, v4, v44
	v_lshl_or_b32 v0, v1, v61, v0
	v_lshl_add_u32 v4, v0, 4, v58
	v_lshl_add_u32 v62, v2, 4, v4
	v_add_u32_e32 v4, -16, v4
	ds_read_b128 v[0:3], v62
	ds_read_b128 v[4:7], v4
	s_getpc_b64 s[0:1]
	s_add_u32 s0, s0, _ZZZZN2at6native31launch_logcumsumexp_cuda_kernelERKNS_10TensorBaseES3_lENKUlvE_clEvENKUlvE1_clEvENKUlN3c107complexIdEES8_E_clES8_S8_@rel32@lo+4
	s_addc_u32 s1, s1, _ZZZZN2at6native31launch_logcumsumexp_cuda_kernelERKNS_10TensorBaseES3_lENKUlvE_clEvENKUlvE1_clEvENKUlN3c107complexIdEES8_E_clES8_S8_@rel32@hi+12
	s_swappc_b64 s[30:31], s[0:1]
	ds_write_b128 v62, v[0:3]
.LBB267_48:                             ;   in Loop: Header=BB267_49 Depth=3
	s_or_b64 exec, exec, s[64:65]
	v_cmp_eq_u32_e32 vcc, s66, v61
	s_or_b64 s[62:63], vcc, s[62:63]
	v_mov_b32_e32 v4, v61
	s_waitcnt lgkmcnt(0)
	s_barrier
	s_andn2_b64 exec, exec, s[62:63]
	s_cbranch_execz .LBB267_54
.LBB267_49:                             ;   Parent Loop BB267_34 Depth=1
                                        ;     Parent Loop BB267_37 Depth=2
                                        ; =>    This Inner Loop Header: Depth=3
	v_add_u32_e32 v61, 1, v4
	s_and_saveexec_b64 s[0:1], s[40:41]
	s_xor_b64 s[0:1], exec, s[0:1]
; %bb.50:                               ;   in Loop: Header=BB267_49 Depth=3
	v_add_u32_e32 v61, 1, v4
                                        ; implicit-def: $vgpr4
; %bb.51:                               ;   in Loop: Header=BB267_49 Depth=3
	s_andn2_saveexec_b64 s[64:65], s[0:1]
	s_cbranch_execz .LBB267_48
; %bb.52:                               ;   in Loop: Header=BB267_49 Depth=3
	v_lshlrev_b32_e64 v0, v4, 1
	v_ashrrev_i32_e32 v1, 31, v0
	v_cmp_ge_u64_e32 vcc, v[44:45], v[0:1]
	v_mov_b64_e32 v[2:3], v[44:45]
	s_and_saveexec_b64 s[0:1], vcc
	s_cbranch_execz .LBB267_47
; %bb.53:                               ;   in Loop: Header=BB267_49 Depth=3
	v_cvt_f32_u32_e32 v1, v0
	v_sub_u32_e32 v2, 0, v0
	v_rcp_iflag_f32_e32 v1, v1
	s_nop 0
	v_mul_f32_e32 v1, 0x4f7ffffe, v1
	v_cvt_u32_f32_e32 v1, v1
	v_mul_lo_u32 v2, v2, v1
	v_mul_hi_u32 v2, v1, v2
	v_add_u32_e32 v1, v1, v2
	v_mul_hi_u32 v1, v44, v1
	v_mul_lo_u32 v1, v1, v0
	v_sub_u32_e32 v1, v44, v1
	v_sub_u32_e32 v2, v1, v0
	v_cmp_ge_u32_e32 vcc, v1, v0
	s_nop 1
	v_cndmask_b32_e32 v1, v1, v2, vcc
	v_sub_u32_e32 v2, v1, v0
	v_cmp_ge_u32_e32 vcc, v1, v0
	s_nop 1
	v_cndmask_b32_e32 v2, v1, v2, vcc
	s_branch .LBB267_47
.LBB267_54:                             ;   in Loop: Header=BB267_37 Depth=2
	s_or_b64 exec, exec, s[62:63]
	s_and_saveexec_b64 s[0:1], s[38:39]
	s_cbranch_execz .LBB267_36
; %bb.55:                               ;   in Loop: Header=BB267_37 Depth=2
	v_cmp_gt_u64_e32 vcc, s[60:61], v[56:57]
	s_and_saveexec_b64 s[2:3], vcc
	s_cbranch_execz .LBB267_57
; %bb.56:                               ;   in Loop: Header=BB267_37 Depth=2
	ds_read_b128 v[0:3], v41
	v_lshl_add_u64 v[4:5], v[56:57], 4, v[52:53]
	s_waitcnt lgkmcnt(0)
	global_store_dwordx4 v[4:5], v[0:3], off
.LBB267_57:                             ;   in Loop: Header=BB267_37 Depth=2
	s_or_b64 exec, exec, s[2:3]
	v_cmp_gt_u64_e32 vcc, s[60:61], v[54:55]
	s_and_b64 exec, exec, vcc
	s_cbranch_execz .LBB267_36
; %bb.58:                               ;   in Loop: Header=BB267_37 Depth=2
	ds_read_b128 v[0:3], v59
	v_lshl_add_u64 v[4:5], v[54:55], 4, v[52:53]
	s_waitcnt lgkmcnt(0)
	global_store_dwordx4 v[4:5], v[0:3], off
	s_branch .LBB267_36
.LBB267_59:                             ;   in Loop: Header=BB267_37 Depth=2
	v_mov_b32_e32 v0, s52
	v_mov_b32_e32 v1, s53
	;; [unrolled: 1-line block ×4, first 2 shown]
	ds_write_b128 v59, v[0:3]
	s_andn2_saveexec_b64 s[0:1], s[0:1]
	s_cbranch_execz .LBB267_44
.LBB267_60:                             ;   in Loop: Header=BB267_37 Depth=2
	v_lshl_add_u64 v[0:1], v[54:55], 4, v[46:47]
	global_load_dwordx4 v[0:3], v[0:1], off
	s_waitcnt vmcnt(0)
	ds_write_b128 v59, v[0:3]
	s_or_b64 exec, exec, s[0:1]
	s_and_b64 exec, exec, s[34:35]
	s_cbranch_execnz .LBB267_45
	s_branch .LBB267_46
.LBB267_61:
	s_endpgm
	.section	.rodata,"a",@progbits
	.p2align	6, 0x0
	.amdhsa_kernel _ZN2at6native32tensor_kernel_scan_innermost_dimIN3c107complexIdEEZZZNS0_31launch_logcumsumexp_cuda_kernelERKNS_10TensorBaseES7_lENKUlvE_clEvENKUlvE1_clEvEUlS4_S4_E_EEvPT_PKSB_jjjSB_T0_
		.amdhsa_group_segment_fixed_size 0
		.amdhsa_private_segment_fixed_size 8
		.amdhsa_kernarg_size 312
		.amdhsa_user_sgpr_count 2
		.amdhsa_user_sgpr_dispatch_ptr 0
		.amdhsa_user_sgpr_queue_ptr 0
		.amdhsa_user_sgpr_kernarg_segment_ptr 1
		.amdhsa_user_sgpr_dispatch_id 0
		.amdhsa_user_sgpr_kernarg_preload_length 0
		.amdhsa_user_sgpr_kernarg_preload_offset 0
		.amdhsa_user_sgpr_private_segment_size 0
		.amdhsa_uses_dynamic_stack 0
		.amdhsa_enable_private_segment 1
		.amdhsa_system_sgpr_workgroup_id_x 1
		.amdhsa_system_sgpr_workgroup_id_y 0
		.amdhsa_system_sgpr_workgroup_id_z 0
		.amdhsa_system_sgpr_workgroup_info 0
		.amdhsa_system_vgpr_workitem_id 1
		.amdhsa_next_free_vgpr 63
		.amdhsa_next_free_sgpr 67
		.amdhsa_accum_offset 64
		.amdhsa_reserve_vcc 1
		.amdhsa_float_round_mode_32 0
		.amdhsa_float_round_mode_16_64 0
		.amdhsa_float_denorm_mode_32 3
		.amdhsa_float_denorm_mode_16_64 3
		.amdhsa_dx10_clamp 1
		.amdhsa_ieee_mode 1
		.amdhsa_fp16_overflow 0
		.amdhsa_tg_split 0
		.amdhsa_exception_fp_ieee_invalid_op 0
		.amdhsa_exception_fp_denorm_src 0
		.amdhsa_exception_fp_ieee_div_zero 0
		.amdhsa_exception_fp_ieee_overflow 0
		.amdhsa_exception_fp_ieee_underflow 0
		.amdhsa_exception_fp_ieee_inexact 0
		.amdhsa_exception_int_div_zero 0
	.end_amdhsa_kernel
	.section	.text._ZN2at6native32tensor_kernel_scan_innermost_dimIN3c107complexIdEEZZZNS0_31launch_logcumsumexp_cuda_kernelERKNS_10TensorBaseES7_lENKUlvE_clEvENKUlvE1_clEvEUlS4_S4_E_EEvPT_PKSB_jjjSB_T0_,"axG",@progbits,_ZN2at6native32tensor_kernel_scan_innermost_dimIN3c107complexIdEEZZZNS0_31launch_logcumsumexp_cuda_kernelERKNS_10TensorBaseES7_lENKUlvE_clEvENKUlvE1_clEvEUlS4_S4_E_EEvPT_PKSB_jjjSB_T0_,comdat
.Lfunc_end267:
	.size	_ZN2at6native32tensor_kernel_scan_innermost_dimIN3c107complexIdEEZZZNS0_31launch_logcumsumexp_cuda_kernelERKNS_10TensorBaseES7_lENKUlvE_clEvENKUlvE1_clEvEUlS4_S4_E_EEvPT_PKSB_jjjSB_T0_, .Lfunc_end267-_ZN2at6native32tensor_kernel_scan_innermost_dimIN3c107complexIdEEZZZNS0_31launch_logcumsumexp_cuda_kernelERKNS_10TensorBaseES7_lENKUlvE_clEvENKUlvE1_clEvEUlS4_S4_E_EEvPT_PKSB_jjjSB_T0_
                                        ; -- End function
	.section	.AMDGPU.csdata,"",@progbits
; Kernel info:
; codeLenInByte = 1880
; NumSgprs: 73
; NumVgprs: 63
; NumAgprs: 0
; TotalNumVgprs: 63
; ScratchSize: 8
; MemoryBound: 0
; FloatMode: 240
; IeeeMode: 1
; LDSByteSize: 0 bytes/workgroup (compile time only)
; SGPRBlocks: 9
; VGPRBlocks: 7
; NumSGPRsForWavesPerEU: 73
; NumVGPRsForWavesPerEU: 63
; AccumOffset: 64
; Occupancy: 8
; WaveLimiterHint : 0
; COMPUTE_PGM_RSRC2:SCRATCH_EN: 1
; COMPUTE_PGM_RSRC2:USER_SGPR: 2
; COMPUTE_PGM_RSRC2:TRAP_HANDLER: 0
; COMPUTE_PGM_RSRC2:TGID_X_EN: 1
; COMPUTE_PGM_RSRC2:TGID_Y_EN: 0
; COMPUTE_PGM_RSRC2:TGID_Z_EN: 0
; COMPUTE_PGM_RSRC2:TIDIG_COMP_CNT: 1
; COMPUTE_PGM_RSRC3_GFX90A:ACCUM_OFFSET: 15
; COMPUTE_PGM_RSRC3_GFX90A:TG_SPLIT: 0
	.section	.text._ZN2at6native28tensor_kernel_scan_outer_dimIN3c107complexIdEEjZZZNS0_31launch_logcumsumexp_cuda_kernelERKNS_10TensorBaseES7_lENKUlvE_clEvENKUlvE1_clEvEUlS4_S4_E_EEvPT_PKSB_jjjSB_T1_,"axG",@progbits,_ZN2at6native28tensor_kernel_scan_outer_dimIN3c107complexIdEEjZZZNS0_31launch_logcumsumexp_cuda_kernelERKNS_10TensorBaseES7_lENKUlvE_clEvENKUlvE1_clEvEUlS4_S4_E_EEvPT_PKSB_jjjSB_T1_,comdat
	.globl	_ZN2at6native28tensor_kernel_scan_outer_dimIN3c107complexIdEEjZZZNS0_31launch_logcumsumexp_cuda_kernelERKNS_10TensorBaseES7_lENKUlvE_clEvENKUlvE1_clEvEUlS4_S4_E_EEvPT_PKSB_jjjSB_T1_ ; -- Begin function _ZN2at6native28tensor_kernel_scan_outer_dimIN3c107complexIdEEjZZZNS0_31launch_logcumsumexp_cuda_kernelERKNS_10TensorBaseES7_lENKUlvE_clEvENKUlvE1_clEvEUlS4_S4_E_EEvPT_PKSB_jjjSB_T1_
	.p2align	8
	.type	_ZN2at6native28tensor_kernel_scan_outer_dimIN3c107complexIdEEjZZZNS0_31launch_logcumsumexp_cuda_kernelERKNS_10TensorBaseES7_lENKUlvE_clEvENKUlvE1_clEvEUlS4_S4_E_EEvPT_PKSB_jjjSB_T1_,@function
_ZN2at6native28tensor_kernel_scan_outer_dimIN3c107complexIdEEjZZZNS0_31launch_logcumsumexp_cuda_kernelERKNS_10TensorBaseES7_lENKUlvE_clEvENKUlvE1_clEvEUlS4_S4_E_EEvPT_PKSB_jjjSB_T1_: ; @_ZN2at6native28tensor_kernel_scan_outer_dimIN3c107complexIdEEjZZZNS0_31launch_logcumsumexp_cuda_kernelERKNS_10TensorBaseES7_lENKUlvE_clEvENKUlvE1_clEvEUlS4_S4_E_EEvPT_PKSB_jjjSB_T1_
; %bb.0:
	s_load_dwordx4 s[40:43], s[0:1], 0x10
	s_mov_b32 s32, 0
	s_waitcnt lgkmcnt(0)
	s_cmp_ge_u32 s2, s40
	s_cbranch_scc1 .LBB268_9
; %bb.1:
	s_mov_b32 s33, s2
	s_load_dword s43, s[0:1], 0x38
	s_load_dword s2, s[0:1], 0x44
	s_load_dwordx4 s[44:47], s[0:1], 0x0
	s_load_dwordx4 s[48:51], s[0:1], 0x20
	s_add_u32 s38, s0, 56
	s_addc_u32 s39, s1, 0
	s_waitcnt lgkmcnt(0)
	s_and_b32 s62, s2, 0xffff
	s_cmp_lg_u32 s42, 0
	s_mul_i32 s0, s33, s42
	s_mul_i32 s3, s3, s62
	;; [unrolled: 1-line block ×3, first 2 shown]
	s_cselect_b64 s[0:1], -1, 0
	v_add_u32_e32 v41, s3, v0
	s_mov_b32 s53, 0
	s_mov_b32 s52, s41
	s_mul_i32 s63, s43, s42
	v_cndmask_b32_e64 v0, 0, 1, s[0:1]
	v_cmp_gt_u32_e64 s[34:35], s41, v41
	s_mul_i32 s63, s63, s41
	s_lshl_b64 s[54:55], s[52:53], 4
	v_cmp_ne_u32_e64 s[36:37], 1, v0
	v_mov_b32_e32 v43, 0
	s_mov_b32 s52, s2
	s_branch .LBB268_3
.LBB268_2:                              ;   in Loop: Header=BB268_3 Depth=1
	s_or_b64 exec, exec, s[56:57]
	s_add_i32 s33, s43, s33
	s_add_i32 s52, s52, s63
	s_cmp_ge_u32 s33, s40
	s_cbranch_scc1 .LBB268_9
.LBB268_3:                              ; =>This Loop Header: Depth=1
                                        ;     Child Loop BB268_6 Depth 2
                                        ;       Child Loop BB268_8 Depth 3
	s_and_saveexec_b64 s[56:57], s[34:35]
	s_cbranch_execz .LBB268_2
; %bb.4:                                ;   in Loop: Header=BB268_3 Depth=1
	s_load_dword s64, s[38:39], 0x4
	s_lshl_b64 s[58:59], s[52:53], 4
	s_mov_b64 s[60:61], 0
	v_mov_b32_e32 v42, v41
	s_waitcnt lgkmcnt(0)
	s_mul_i32 s64, s64, s62
	s_branch .LBB268_6
.LBB268_5:                              ;   in Loop: Header=BB268_6 Depth=2
	v_add_u32_e32 v42, s64, v42
	v_cmp_le_u32_e32 vcc, s41, v42
	s_or_b64 s[60:61], vcc, s[60:61]
	s_andn2_b64 exec, exec, s[60:61]
	s_cbranch_execz .LBB268_2
.LBB268_6:                              ;   Parent Loop BB268_3 Depth=1
                                        ; =>  This Loop Header: Depth=2
                                        ;       Child Loop BB268_8 Depth 3
	s_and_b64 vcc, exec, s[36:37]
	s_cbranch_vccnz .LBB268_5
; %bb.7:                                ;   in Loop: Header=BB268_6 Depth=2
	v_lshl_add_u64 v[44:45], v[42:43], 4, s[58:59]
	v_mov_b64_e32 v[2:3], s[50:51]
	v_mov_b64_e32 v[0:1], s[48:49]
	s_mov_b32 s65, s42
.LBB268_8:                              ;   Parent Loop BB268_3 Depth=1
                                        ;     Parent Loop BB268_6 Depth=2
                                        ; =>    This Inner Loop Header: Depth=3
	v_lshl_add_u64 v[4:5], s[46:47], 0, v[44:45]
	global_load_dwordx4 v[4:7], v[4:5], off
	v_lshl_add_u64 v[46:47], s[44:45], 0, v[44:45]
	s_getpc_b64 s[0:1]
	s_add_u32 s0, s0, _ZZZZN2at6native31launch_logcumsumexp_cuda_kernelERKNS_10TensorBaseES3_lENKUlvE_clEvENKUlvE1_clEvENKUlN3c107complexIdEES8_E_clES8_S8_@rel32@lo+4
	s_addc_u32 s1, s1, _ZZZZN2at6native31launch_logcumsumexp_cuda_kernelERKNS_10TensorBaseES3_lENKUlvE_clEvENKUlvE1_clEvENKUlN3c107complexIdEES8_E_clES8_S8_@rel32@hi+12
	s_swappc_b64 s[30:31], s[0:1]
	s_add_i32 s65, s65, -1
	s_cmp_eq_u32 s65, 0
	v_lshl_add_u64 v[44:45], v[44:45], 0, s[54:55]
	global_store_dwordx4 v[46:47], v[0:3], off
	s_cbranch_scc0 .LBB268_8
	s_branch .LBB268_5
.LBB268_9:
	s_endpgm
	.section	.rodata,"a",@progbits
	.p2align	6, 0x0
	.amdhsa_kernel _ZN2at6native28tensor_kernel_scan_outer_dimIN3c107complexIdEEjZZZNS0_31launch_logcumsumexp_cuda_kernelERKNS_10TensorBaseES7_lENKUlvE_clEvENKUlvE1_clEvEUlS4_S4_E_EEvPT_PKSB_jjjSB_T1_
		.amdhsa_group_segment_fixed_size 0
		.amdhsa_private_segment_fixed_size 8
		.amdhsa_kernarg_size 312
		.amdhsa_user_sgpr_count 2
		.amdhsa_user_sgpr_dispatch_ptr 0
		.amdhsa_user_sgpr_queue_ptr 0
		.amdhsa_user_sgpr_kernarg_segment_ptr 1
		.amdhsa_user_sgpr_dispatch_id 0
		.amdhsa_user_sgpr_kernarg_preload_length 0
		.amdhsa_user_sgpr_kernarg_preload_offset 0
		.amdhsa_user_sgpr_private_segment_size 0
		.amdhsa_uses_dynamic_stack 0
		.amdhsa_enable_private_segment 1
		.amdhsa_system_sgpr_workgroup_id_x 1
		.amdhsa_system_sgpr_workgroup_id_y 1
		.amdhsa_system_sgpr_workgroup_id_z 0
		.amdhsa_system_sgpr_workgroup_info 0
		.amdhsa_system_vgpr_workitem_id 0
		.amdhsa_next_free_vgpr 52
		.amdhsa_next_free_sgpr 66
		.amdhsa_accum_offset 52
		.amdhsa_reserve_vcc 1
		.amdhsa_float_round_mode_32 0
		.amdhsa_float_round_mode_16_64 0
		.amdhsa_float_denorm_mode_32 3
		.amdhsa_float_denorm_mode_16_64 3
		.amdhsa_dx10_clamp 1
		.amdhsa_ieee_mode 1
		.amdhsa_fp16_overflow 0
		.amdhsa_tg_split 0
		.amdhsa_exception_fp_ieee_invalid_op 0
		.amdhsa_exception_fp_denorm_src 0
		.amdhsa_exception_fp_ieee_div_zero 0
		.amdhsa_exception_fp_ieee_overflow 0
		.amdhsa_exception_fp_ieee_underflow 0
		.amdhsa_exception_fp_ieee_inexact 0
		.amdhsa_exception_int_div_zero 0
	.end_amdhsa_kernel
	.section	.text._ZN2at6native28tensor_kernel_scan_outer_dimIN3c107complexIdEEjZZZNS0_31launch_logcumsumexp_cuda_kernelERKNS_10TensorBaseES7_lENKUlvE_clEvENKUlvE1_clEvEUlS4_S4_E_EEvPT_PKSB_jjjSB_T1_,"axG",@progbits,_ZN2at6native28tensor_kernel_scan_outer_dimIN3c107complexIdEEjZZZNS0_31launch_logcumsumexp_cuda_kernelERKNS_10TensorBaseES7_lENKUlvE_clEvENKUlvE1_clEvEUlS4_S4_E_EEvPT_PKSB_jjjSB_T1_,comdat
.Lfunc_end268:
	.size	_ZN2at6native28tensor_kernel_scan_outer_dimIN3c107complexIdEEjZZZNS0_31launch_logcumsumexp_cuda_kernelERKNS_10TensorBaseES7_lENKUlvE_clEvENKUlvE1_clEvEUlS4_S4_E_EEvPT_PKSB_jjjSB_T1_, .Lfunc_end268-_ZN2at6native28tensor_kernel_scan_outer_dimIN3c107complexIdEEjZZZNS0_31launch_logcumsumexp_cuda_kernelERKNS_10TensorBaseES7_lENKUlvE_clEvENKUlvE1_clEvEUlS4_S4_E_EEvPT_PKSB_jjjSB_T1_
                                        ; -- End function
	.section	.AMDGPU.csdata,"",@progbits
; Kernel info:
; codeLenInByte = 352
; NumSgprs: 72
; NumVgprs: 52
; NumAgprs: 0
; TotalNumVgprs: 52
; ScratchSize: 8
; MemoryBound: 0
; FloatMode: 240
; IeeeMode: 1
; LDSByteSize: 0 bytes/workgroup (compile time only)
; SGPRBlocks: 8
; VGPRBlocks: 6
; NumSGPRsForWavesPerEU: 72
; NumVGPRsForWavesPerEU: 52
; AccumOffset: 52
; Occupancy: 8
; WaveLimiterHint : 0
; COMPUTE_PGM_RSRC2:SCRATCH_EN: 1
; COMPUTE_PGM_RSRC2:USER_SGPR: 2
; COMPUTE_PGM_RSRC2:TRAP_HANDLER: 0
; COMPUTE_PGM_RSRC2:TGID_X_EN: 1
; COMPUTE_PGM_RSRC2:TGID_Y_EN: 1
; COMPUTE_PGM_RSRC2:TGID_Z_EN: 0
; COMPUTE_PGM_RSRC2:TIDIG_COMP_CNT: 0
; COMPUTE_PGM_RSRC3_GFX90A:ACCUM_OFFSET: 12
; COMPUTE_PGM_RSRC3_GFX90A:TG_SPLIT: 0
	.section	.text._ZN2at6native28tensor_kernel_scan_outer_dimIN3c107complexIdEEmZZZNS0_31launch_logcumsumexp_cuda_kernelERKNS_10TensorBaseES7_lENKUlvE_clEvENKUlvE1_clEvEUlS4_S4_E_EEvPT_PKSB_jjjSB_T1_,"axG",@progbits,_ZN2at6native28tensor_kernel_scan_outer_dimIN3c107complexIdEEmZZZNS0_31launch_logcumsumexp_cuda_kernelERKNS_10TensorBaseES7_lENKUlvE_clEvENKUlvE1_clEvEUlS4_S4_E_EEvPT_PKSB_jjjSB_T1_,comdat
	.globl	_ZN2at6native28tensor_kernel_scan_outer_dimIN3c107complexIdEEmZZZNS0_31launch_logcumsumexp_cuda_kernelERKNS_10TensorBaseES7_lENKUlvE_clEvENKUlvE1_clEvEUlS4_S4_E_EEvPT_PKSB_jjjSB_T1_ ; -- Begin function _ZN2at6native28tensor_kernel_scan_outer_dimIN3c107complexIdEEmZZZNS0_31launch_logcumsumexp_cuda_kernelERKNS_10TensorBaseES7_lENKUlvE_clEvENKUlvE1_clEvEUlS4_S4_E_EEvPT_PKSB_jjjSB_T1_
	.p2align	8
	.type	_ZN2at6native28tensor_kernel_scan_outer_dimIN3c107complexIdEEmZZZNS0_31launch_logcumsumexp_cuda_kernelERKNS_10TensorBaseES7_lENKUlvE_clEvENKUlvE1_clEvEUlS4_S4_E_EEvPT_PKSB_jjjSB_T1_,@function
_ZN2at6native28tensor_kernel_scan_outer_dimIN3c107complexIdEEmZZZNS0_31launch_logcumsumexp_cuda_kernelERKNS_10TensorBaseES7_lENKUlvE_clEvENKUlvE1_clEvEUlS4_S4_E_EEvPT_PKSB_jjjSB_T1_: ; @_ZN2at6native28tensor_kernel_scan_outer_dimIN3c107complexIdEEmZZZNS0_31launch_logcumsumexp_cuda_kernelERKNS_10TensorBaseES7_lENKUlvE_clEvENKUlvE1_clEvEUlS4_S4_E_EEvPT_PKSB_jjjSB_T1_
; %bb.0:
	s_load_dwordx4 s[40:43], s[0:1], 0x10
	s_mov_b32 s32, 0
	s_waitcnt lgkmcnt(0)
	s_cmp_ge_u32 s2, s40
	s_cbranch_scc1 .LBB269_9
; %bb.1:
	s_mov_b32 s33, s2
	s_load_dword s43, s[0:1], 0x38
	s_load_dword s2, s[0:1], 0x44
	s_load_dwordx4 s[44:47], s[0:1], 0x0
	s_load_dwordx4 s[48:51], s[0:1], 0x20
	s_add_u32 s38, s0, 56
	s_addc_u32 s39, s1, 0
	s_waitcnt lgkmcnt(0)
	s_and_b32 s62, s2, 0xffff
	s_cmp_lg_u32 s42, 0
	s_mul_i32 s3, s3, s62
	s_cselect_b64 s[4:5], -1, 0
	v_add_u32_e32 v41, s3, v0
	s_mov_b32 s1, 0
	s_mov_b32 s0, s41
	s_mul_hi_u32 s3, s42, s41
	s_mul_i32 s2, s42, s41
	v_cndmask_b32_e64 v0, 0, 1, s[4:5]
	v_cmp_gt_u32_e64 s[34:35], s41, v41
	s_lshl_b64 s[52:53], s[2:3], 4
	s_lshl_b64 s[54:55], s[0:1], 4
	v_cmp_ne_u32_e64 s[36:37], 1, v0
	v_mov_b32_e32 v43, 0
	s_branch .LBB269_3
.LBB269_2:                              ;   in Loop: Header=BB269_3 Depth=1
	s_or_b64 exec, exec, s[56:57]
	s_add_i32 s33, s33, s43
	s_cmp_ge_u32 s33, s40
	s_cbranch_scc1 .LBB269_9
.LBB269_3:                              ; =>This Loop Header: Depth=1
                                        ;     Child Loop BB269_6 Depth 2
                                        ;       Child Loop BB269_8 Depth 3
	s_and_saveexec_b64 s[56:57], s[34:35]
	s_cbranch_execz .LBB269_2
; %bb.4:                                ;   in Loop: Header=BB269_3 Depth=1
	s_load_dword s63, s[38:39], 0x4
	s_mul_i32 s0, s53, s33
	s_mul_hi_u32 s1, s52, s33
	s_mul_i32 s58, s52, s33
	s_add_i32 s59, s1, s0
	s_waitcnt lgkmcnt(0)
	s_mul_i32 s63, s63, s62
	s_mov_b64 s[60:61], 0
	v_mov_b32_e32 v42, v41
	s_branch .LBB269_6
.LBB269_5:                              ;   in Loop: Header=BB269_6 Depth=2
	v_add_u32_e32 v42, s63, v42
	v_cmp_le_u32_e32 vcc, s41, v42
	s_or_b64 s[60:61], vcc, s[60:61]
	s_andn2_b64 exec, exec, s[60:61]
	s_cbranch_execz .LBB269_2
.LBB269_6:                              ;   Parent Loop BB269_3 Depth=1
                                        ; =>  This Loop Header: Depth=2
                                        ;       Child Loop BB269_8 Depth 3
	s_and_b64 vcc, exec, s[36:37]
	s_cbranch_vccnz .LBB269_5
; %bb.7:                                ;   in Loop: Header=BB269_6 Depth=2
	v_lshl_add_u64 v[44:45], v[42:43], 4, s[58:59]
	v_mov_b64_e32 v[2:3], s[50:51]
	v_mov_b64_e32 v[0:1], s[48:49]
	s_mov_b32 s64, s42
.LBB269_8:                              ;   Parent Loop BB269_3 Depth=1
                                        ;     Parent Loop BB269_6 Depth=2
                                        ; =>    This Inner Loop Header: Depth=3
	v_lshl_add_u64 v[4:5], s[46:47], 0, v[44:45]
	global_load_dwordx4 v[4:7], v[4:5], off
	v_lshl_add_u64 v[46:47], s[44:45], 0, v[44:45]
	s_getpc_b64 s[0:1]
	s_add_u32 s0, s0, _ZZZZN2at6native31launch_logcumsumexp_cuda_kernelERKNS_10TensorBaseES3_lENKUlvE_clEvENKUlvE1_clEvENKUlN3c107complexIdEES8_E_clES8_S8_@rel32@lo+4
	s_addc_u32 s1, s1, _ZZZZN2at6native31launch_logcumsumexp_cuda_kernelERKNS_10TensorBaseES3_lENKUlvE_clEvENKUlvE1_clEvENKUlN3c107complexIdEES8_E_clES8_S8_@rel32@hi+12
	s_swappc_b64 s[30:31], s[0:1]
	s_add_i32 s64, s64, -1
	s_cmp_eq_u32 s64, 0
	v_lshl_add_u64 v[44:45], v[44:45], 0, s[54:55]
	global_store_dwordx4 v[46:47], v[0:3], off
	s_cbranch_scc0 .LBB269_8
	s_branch .LBB269_5
.LBB269_9:
	s_endpgm
	.section	.rodata,"a",@progbits
	.p2align	6, 0x0
	.amdhsa_kernel _ZN2at6native28tensor_kernel_scan_outer_dimIN3c107complexIdEEmZZZNS0_31launch_logcumsumexp_cuda_kernelERKNS_10TensorBaseES7_lENKUlvE_clEvENKUlvE1_clEvEUlS4_S4_E_EEvPT_PKSB_jjjSB_T1_
		.amdhsa_group_segment_fixed_size 0
		.amdhsa_private_segment_fixed_size 8
		.amdhsa_kernarg_size 312
		.amdhsa_user_sgpr_count 2
		.amdhsa_user_sgpr_dispatch_ptr 0
		.amdhsa_user_sgpr_queue_ptr 0
		.amdhsa_user_sgpr_kernarg_segment_ptr 1
		.amdhsa_user_sgpr_dispatch_id 0
		.amdhsa_user_sgpr_kernarg_preload_length 0
		.amdhsa_user_sgpr_kernarg_preload_offset 0
		.amdhsa_user_sgpr_private_segment_size 0
		.amdhsa_uses_dynamic_stack 0
		.amdhsa_enable_private_segment 1
		.amdhsa_system_sgpr_workgroup_id_x 1
		.amdhsa_system_sgpr_workgroup_id_y 1
		.amdhsa_system_sgpr_workgroup_id_z 0
		.amdhsa_system_sgpr_workgroup_info 0
		.amdhsa_system_vgpr_workitem_id 0
		.amdhsa_next_free_vgpr 52
		.amdhsa_next_free_sgpr 65
		.amdhsa_accum_offset 52
		.amdhsa_reserve_vcc 1
		.amdhsa_float_round_mode_32 0
		.amdhsa_float_round_mode_16_64 0
		.amdhsa_float_denorm_mode_32 3
		.amdhsa_float_denorm_mode_16_64 3
		.amdhsa_dx10_clamp 1
		.amdhsa_ieee_mode 1
		.amdhsa_fp16_overflow 0
		.amdhsa_tg_split 0
		.amdhsa_exception_fp_ieee_invalid_op 0
		.amdhsa_exception_fp_denorm_src 0
		.amdhsa_exception_fp_ieee_div_zero 0
		.amdhsa_exception_fp_ieee_overflow 0
		.amdhsa_exception_fp_ieee_underflow 0
		.amdhsa_exception_fp_ieee_inexact 0
		.amdhsa_exception_int_div_zero 0
	.end_amdhsa_kernel
	.section	.text._ZN2at6native28tensor_kernel_scan_outer_dimIN3c107complexIdEEmZZZNS0_31launch_logcumsumexp_cuda_kernelERKNS_10TensorBaseES7_lENKUlvE_clEvENKUlvE1_clEvEUlS4_S4_E_EEvPT_PKSB_jjjSB_T1_,"axG",@progbits,_ZN2at6native28tensor_kernel_scan_outer_dimIN3c107complexIdEEmZZZNS0_31launch_logcumsumexp_cuda_kernelERKNS_10TensorBaseES7_lENKUlvE_clEvENKUlvE1_clEvEUlS4_S4_E_EEvPT_PKSB_jjjSB_T1_,comdat
.Lfunc_end269:
	.size	_ZN2at6native28tensor_kernel_scan_outer_dimIN3c107complexIdEEmZZZNS0_31launch_logcumsumexp_cuda_kernelERKNS_10TensorBaseES7_lENKUlvE_clEvENKUlvE1_clEvEUlS4_S4_E_EEvPT_PKSB_jjjSB_T1_, .Lfunc_end269-_ZN2at6native28tensor_kernel_scan_outer_dimIN3c107complexIdEEmZZZNS0_31launch_logcumsumexp_cuda_kernelERKNS_10TensorBaseES7_lENKUlvE_clEvENKUlvE1_clEvEUlS4_S4_E_EEvPT_PKSB_jjjSB_T1_
                                        ; -- End function
	.section	.AMDGPU.csdata,"",@progbits
; Kernel info:
; codeLenInByte = 352
; NumSgprs: 71
; NumVgprs: 52
; NumAgprs: 0
; TotalNumVgprs: 52
; ScratchSize: 8
; MemoryBound: 0
; FloatMode: 240
; IeeeMode: 1
; LDSByteSize: 0 bytes/workgroup (compile time only)
; SGPRBlocks: 8
; VGPRBlocks: 6
; NumSGPRsForWavesPerEU: 71
; NumVGPRsForWavesPerEU: 52
; AccumOffset: 52
; Occupancy: 8
; WaveLimiterHint : 0
; COMPUTE_PGM_RSRC2:SCRATCH_EN: 1
; COMPUTE_PGM_RSRC2:USER_SGPR: 2
; COMPUTE_PGM_RSRC2:TRAP_HANDLER: 0
; COMPUTE_PGM_RSRC2:TGID_X_EN: 1
; COMPUTE_PGM_RSRC2:TGID_Y_EN: 1
; COMPUTE_PGM_RSRC2:TGID_Z_EN: 0
; COMPUTE_PGM_RSRC2:TIDIG_COMP_CNT: 0
; COMPUTE_PGM_RSRC3_GFX90A:ACCUM_OFFSET: 12
; COMPUTE_PGM_RSRC3_GFX90A:TG_SPLIT: 0
	.section	.text._ZN7rocprim17ROCPRIM_400000_NS6detail31init_lookback_scan_state_kernelINS1_19lookback_scan_stateIN3c107complexIfEELb0ELb1EEENS1_16block_id_wrapperIjLb0EEEEEvT_jT0_jPNSA_10value_typeE,"axG",@progbits,_ZN7rocprim17ROCPRIM_400000_NS6detail31init_lookback_scan_state_kernelINS1_19lookback_scan_stateIN3c107complexIfEELb0ELb1EEENS1_16block_id_wrapperIjLb0EEEEEvT_jT0_jPNSA_10value_typeE,comdat
	.protected	_ZN7rocprim17ROCPRIM_400000_NS6detail31init_lookback_scan_state_kernelINS1_19lookback_scan_stateIN3c107complexIfEELb0ELb1EEENS1_16block_id_wrapperIjLb0EEEEEvT_jT0_jPNSA_10value_typeE ; -- Begin function _ZN7rocprim17ROCPRIM_400000_NS6detail31init_lookback_scan_state_kernelINS1_19lookback_scan_stateIN3c107complexIfEELb0ELb1EEENS1_16block_id_wrapperIjLb0EEEEEvT_jT0_jPNSA_10value_typeE
	.globl	_ZN7rocprim17ROCPRIM_400000_NS6detail31init_lookback_scan_state_kernelINS1_19lookback_scan_stateIN3c107complexIfEELb0ELb1EEENS1_16block_id_wrapperIjLb0EEEEEvT_jT0_jPNSA_10value_typeE
	.p2align	8
	.type	_ZN7rocprim17ROCPRIM_400000_NS6detail31init_lookback_scan_state_kernelINS1_19lookback_scan_stateIN3c107complexIfEELb0ELb1EEENS1_16block_id_wrapperIjLb0EEEEEvT_jT0_jPNSA_10value_typeE,@function
_ZN7rocprim17ROCPRIM_400000_NS6detail31init_lookback_scan_state_kernelINS1_19lookback_scan_stateIN3c107complexIfEELb0ELb1EEENS1_16block_id_wrapperIjLb0EEEEEvT_jT0_jPNSA_10value_typeE: ; @_ZN7rocprim17ROCPRIM_400000_NS6detail31init_lookback_scan_state_kernelINS1_19lookback_scan_stateIN3c107complexIfEELb0ELb1EEENS1_16block_id_wrapperIjLb0EEEEEvT_jT0_jPNSA_10value_typeE
; %bb.0:
	s_load_dword s3, s[0:1], 0x2c
	s_load_dwordx2 s[6:7], s[0:1], 0x18
	s_load_dwordx2 s[4:5], s[0:1], 0x0
	s_load_dword s12, s[0:1], 0x8
	s_waitcnt lgkmcnt(0)
	s_and_b32 s3, s3, 0xffff
	s_mul_i32 s2, s2, s3
	s_cmp_eq_u64 s[6:7], 0
	v_add_u32_e32 v0, s2, v0
	s_cbranch_scc1 .LBB270_8
; %bb.1:
	s_load_dword s2, s[0:1], 0x10
	s_mov_b32 s3, 0
	s_waitcnt lgkmcnt(0)
	s_cmp_lt_u32 s2, s12
	s_cselect_b32 s0, s2, 0
	v_cmp_eq_u32_e32 vcc, s0, v0
	s_and_saveexec_b64 s[0:1], vcc
	s_cbranch_execz .LBB270_7
; %bb.2:
	s_add_i32 s2, s2, 64
	s_lshl_b64 s[2:3], s[2:3], 4
	s_add_u32 s10, s4, s2
	s_addc_u32 s11, s5, s3
	v_mov_b64_e32 v[2:3], s[10:11]
	;;#ASMSTART
	global_load_dwordx4 v[2:5], v[2:3] off sc1	
s_waitcnt vmcnt(0)
	;;#ASMEND
	v_mov_b32_e32 v7, 0
	v_and_b32_e32 v6, 0xff, v4
	v_mov_b32_e32 v8, v3
	s_mov_b64 s[8:9], 0
	v_cmp_eq_u64_e32 vcc, 0, v[6:7]
	s_and_saveexec_b64 s[2:3], vcc
	s_cbranch_execz .LBB270_6
; %bb.3:
	v_mov_b64_e32 v[8:9], s[10:11]
.LBB270_4:                              ; =>This Inner Loop Header: Depth=1
	;;#ASMSTART
	global_load_dwordx4 v[2:5], v[8:9] off sc1	
s_waitcnt vmcnt(0)
	;;#ASMEND
	s_nop 0
	v_and_b32_e32 v6, 0xff, v4
	v_cmp_ne_u64_e32 vcc, 0, v[6:7]
	s_or_b64 s[8:9], vcc, s[8:9]
	s_andn2_b64 exec, exec, s[8:9]
	s_cbranch_execnz .LBB270_4
; %bb.5:
	s_or_b64 exec, exec, s[8:9]
	v_mov_b32_e32 v8, v3
.LBB270_6:
	s_or_b64 exec, exec, s[2:3]
	v_mov_b32_e32 v3, v8
	v_mov_b32_e32 v1, 0
	global_store_dwordx2 v1, v[2:3], s[6:7]
.LBB270_7:
	s_or_b64 exec, exec, s[0:1]
.LBB270_8:
	v_cmp_gt_u32_e32 vcc, s12, v0
	s_and_saveexec_b64 s[0:1], vcc
	s_cbranch_execnz .LBB270_11
; %bb.9:
	s_or_b64 exec, exec, s[0:1]
	v_cmp_gt_u32_e32 vcc, 64, v0
	s_and_saveexec_b64 s[0:1], vcc
	s_cbranch_execnz .LBB270_12
.LBB270_10:
	s_endpgm
.LBB270_11:
	v_add_u32_e32 v2, 64, v0
	v_mov_b32_e32 v3, 0
	v_lshl_add_u64 v[6:7], v[2:3], 4, s[4:5]
	v_mov_b32_e32 v2, v3
	v_mov_b32_e32 v4, v3
	;; [unrolled: 1-line block ×3, first 2 shown]
	global_store_dwordx4 v[6:7], v[2:5], off
	s_or_b64 exec, exec, s[0:1]
	v_cmp_gt_u32_e32 vcc, 64, v0
	s_and_saveexec_b64 s[0:1], vcc
	s_cbranch_execz .LBB270_10
.LBB270_12:
	v_mov_b32_e32 v1, 0
	v_lshl_add_u64 v[4:5], v[0:1], 4, s[4:5]
	v_mov_b32_e32 v2, 0xff
	v_mov_b32_e32 v0, v1
	;; [unrolled: 1-line block ×3, first 2 shown]
	global_store_dwordx4 v[4:5], v[0:3], off
	s_endpgm
	.section	.rodata,"a",@progbits
	.p2align	6, 0x0
	.amdhsa_kernel _ZN7rocprim17ROCPRIM_400000_NS6detail31init_lookback_scan_state_kernelINS1_19lookback_scan_stateIN3c107complexIfEELb0ELb1EEENS1_16block_id_wrapperIjLb0EEEEEvT_jT0_jPNSA_10value_typeE
		.amdhsa_group_segment_fixed_size 0
		.amdhsa_private_segment_fixed_size 0
		.amdhsa_kernarg_size 288
		.amdhsa_user_sgpr_count 2
		.amdhsa_user_sgpr_dispatch_ptr 0
		.amdhsa_user_sgpr_queue_ptr 0
		.amdhsa_user_sgpr_kernarg_segment_ptr 1
		.amdhsa_user_sgpr_dispatch_id 0
		.amdhsa_user_sgpr_kernarg_preload_length 0
		.amdhsa_user_sgpr_kernarg_preload_offset 0
		.amdhsa_user_sgpr_private_segment_size 0
		.amdhsa_uses_dynamic_stack 0
		.amdhsa_enable_private_segment 0
		.amdhsa_system_sgpr_workgroup_id_x 1
		.amdhsa_system_sgpr_workgroup_id_y 0
		.amdhsa_system_sgpr_workgroup_id_z 0
		.amdhsa_system_sgpr_workgroup_info 0
		.amdhsa_system_vgpr_workitem_id 0
		.amdhsa_next_free_vgpr 10
		.amdhsa_next_free_sgpr 13
		.amdhsa_accum_offset 12
		.amdhsa_reserve_vcc 1
		.amdhsa_float_round_mode_32 0
		.amdhsa_float_round_mode_16_64 0
		.amdhsa_float_denorm_mode_32 3
		.amdhsa_float_denorm_mode_16_64 3
		.amdhsa_dx10_clamp 1
		.amdhsa_ieee_mode 1
		.amdhsa_fp16_overflow 0
		.amdhsa_tg_split 0
		.amdhsa_exception_fp_ieee_invalid_op 0
		.amdhsa_exception_fp_denorm_src 0
		.amdhsa_exception_fp_ieee_div_zero 0
		.amdhsa_exception_fp_ieee_overflow 0
		.amdhsa_exception_fp_ieee_underflow 0
		.amdhsa_exception_fp_ieee_inexact 0
		.amdhsa_exception_int_div_zero 0
	.end_amdhsa_kernel
	.section	.text._ZN7rocprim17ROCPRIM_400000_NS6detail31init_lookback_scan_state_kernelINS1_19lookback_scan_stateIN3c107complexIfEELb0ELb1EEENS1_16block_id_wrapperIjLb0EEEEEvT_jT0_jPNSA_10value_typeE,"axG",@progbits,_ZN7rocprim17ROCPRIM_400000_NS6detail31init_lookback_scan_state_kernelINS1_19lookback_scan_stateIN3c107complexIfEELb0ELb1EEENS1_16block_id_wrapperIjLb0EEEEEvT_jT0_jPNSA_10value_typeE,comdat
.Lfunc_end270:
	.size	_ZN7rocprim17ROCPRIM_400000_NS6detail31init_lookback_scan_state_kernelINS1_19lookback_scan_stateIN3c107complexIfEELb0ELb1EEENS1_16block_id_wrapperIjLb0EEEEEvT_jT0_jPNSA_10value_typeE, .Lfunc_end270-_ZN7rocprim17ROCPRIM_400000_NS6detail31init_lookback_scan_state_kernelINS1_19lookback_scan_stateIN3c107complexIfEELb0ELb1EEENS1_16block_id_wrapperIjLb0EEEEEvT_jT0_jPNSA_10value_typeE
                                        ; -- End function
	.section	.AMDGPU.csdata,"",@progbits
; Kernel info:
; codeLenInByte = 368
; NumSgprs: 19
; NumVgprs: 10
; NumAgprs: 0
; TotalNumVgprs: 10
; ScratchSize: 0
; MemoryBound: 0
; FloatMode: 240
; IeeeMode: 1
; LDSByteSize: 0 bytes/workgroup (compile time only)
; SGPRBlocks: 2
; VGPRBlocks: 1
; NumSGPRsForWavesPerEU: 19
; NumVGPRsForWavesPerEU: 10
; AccumOffset: 12
; Occupancy: 8
; WaveLimiterHint : 0
; COMPUTE_PGM_RSRC2:SCRATCH_EN: 0
; COMPUTE_PGM_RSRC2:USER_SGPR: 2
; COMPUTE_PGM_RSRC2:TRAP_HANDLER: 0
; COMPUTE_PGM_RSRC2:TGID_X_EN: 1
; COMPUTE_PGM_RSRC2:TGID_Y_EN: 0
; COMPUTE_PGM_RSRC2:TGID_Z_EN: 0
; COMPUTE_PGM_RSRC2:TIDIG_COMP_CNT: 0
; COMPUTE_PGM_RSRC3_GFX90A:ACCUM_OFFSET: 2
; COMPUTE_PGM_RSRC3_GFX90A:TG_SPLIT: 0
	.section	.text._ZN7rocprim17ROCPRIM_400000_NS6detail17trampoline_kernelINS0_14default_configENS1_20scan_config_selectorIN3c107complexIfEEEEZZNS1_9scan_implILNS1_25lookback_scan_determinismE0ELb0ELb0ES3_PKS7_PS7_S7_ZZZN2at6native31launch_logcumsumexp_cuda_kernelERKNSE_10TensorBaseESI_lENKUlvE_clEvENKUlvE2_clEvEUlS7_S7_E_S7_EEDaPvRmT3_T4_T5_mT6_P12ihipStream_tbENKUlT_T0_E_clISt17integral_constantIbLb0EESZ_EEDaSU_SV_EUlSU_E_NS1_11comp_targetILNS1_3genE0ELNS1_11target_archE4294967295ELNS1_3gpuE0ELNS1_3repE0EEENS1_30default_config_static_selectorELNS0_4arch9wavefront6targetE1EEEvT1_,"axG",@progbits,_ZN7rocprim17ROCPRIM_400000_NS6detail17trampoline_kernelINS0_14default_configENS1_20scan_config_selectorIN3c107complexIfEEEEZZNS1_9scan_implILNS1_25lookback_scan_determinismE0ELb0ELb0ES3_PKS7_PS7_S7_ZZZN2at6native31launch_logcumsumexp_cuda_kernelERKNSE_10TensorBaseESI_lENKUlvE_clEvENKUlvE2_clEvEUlS7_S7_E_S7_EEDaPvRmT3_T4_T5_mT6_P12ihipStream_tbENKUlT_T0_E_clISt17integral_constantIbLb0EESZ_EEDaSU_SV_EUlSU_E_NS1_11comp_targetILNS1_3genE0ELNS1_11target_archE4294967295ELNS1_3gpuE0ELNS1_3repE0EEENS1_30default_config_static_selectorELNS0_4arch9wavefront6targetE1EEEvT1_,comdat
	.globl	_ZN7rocprim17ROCPRIM_400000_NS6detail17trampoline_kernelINS0_14default_configENS1_20scan_config_selectorIN3c107complexIfEEEEZZNS1_9scan_implILNS1_25lookback_scan_determinismE0ELb0ELb0ES3_PKS7_PS7_S7_ZZZN2at6native31launch_logcumsumexp_cuda_kernelERKNSE_10TensorBaseESI_lENKUlvE_clEvENKUlvE2_clEvEUlS7_S7_E_S7_EEDaPvRmT3_T4_T5_mT6_P12ihipStream_tbENKUlT_T0_E_clISt17integral_constantIbLb0EESZ_EEDaSU_SV_EUlSU_E_NS1_11comp_targetILNS1_3genE0ELNS1_11target_archE4294967295ELNS1_3gpuE0ELNS1_3repE0EEENS1_30default_config_static_selectorELNS0_4arch9wavefront6targetE1EEEvT1_ ; -- Begin function _ZN7rocprim17ROCPRIM_400000_NS6detail17trampoline_kernelINS0_14default_configENS1_20scan_config_selectorIN3c107complexIfEEEEZZNS1_9scan_implILNS1_25lookback_scan_determinismE0ELb0ELb0ES3_PKS7_PS7_S7_ZZZN2at6native31launch_logcumsumexp_cuda_kernelERKNSE_10TensorBaseESI_lENKUlvE_clEvENKUlvE2_clEvEUlS7_S7_E_S7_EEDaPvRmT3_T4_T5_mT6_P12ihipStream_tbENKUlT_T0_E_clISt17integral_constantIbLb0EESZ_EEDaSU_SV_EUlSU_E_NS1_11comp_targetILNS1_3genE0ELNS1_11target_archE4294967295ELNS1_3gpuE0ELNS1_3repE0EEENS1_30default_config_static_selectorELNS0_4arch9wavefront6targetE1EEEvT1_
	.p2align	8
	.type	_ZN7rocprim17ROCPRIM_400000_NS6detail17trampoline_kernelINS0_14default_configENS1_20scan_config_selectorIN3c107complexIfEEEEZZNS1_9scan_implILNS1_25lookback_scan_determinismE0ELb0ELb0ES3_PKS7_PS7_S7_ZZZN2at6native31launch_logcumsumexp_cuda_kernelERKNSE_10TensorBaseESI_lENKUlvE_clEvENKUlvE2_clEvEUlS7_S7_E_S7_EEDaPvRmT3_T4_T5_mT6_P12ihipStream_tbENKUlT_T0_E_clISt17integral_constantIbLb0EESZ_EEDaSU_SV_EUlSU_E_NS1_11comp_targetILNS1_3genE0ELNS1_11target_archE4294967295ELNS1_3gpuE0ELNS1_3repE0EEENS1_30default_config_static_selectorELNS0_4arch9wavefront6targetE1EEEvT1_,@function
_ZN7rocprim17ROCPRIM_400000_NS6detail17trampoline_kernelINS0_14default_configENS1_20scan_config_selectorIN3c107complexIfEEEEZZNS1_9scan_implILNS1_25lookback_scan_determinismE0ELb0ELb0ES3_PKS7_PS7_S7_ZZZN2at6native31launch_logcumsumexp_cuda_kernelERKNSE_10TensorBaseESI_lENKUlvE_clEvENKUlvE2_clEvEUlS7_S7_E_S7_EEDaPvRmT3_T4_T5_mT6_P12ihipStream_tbENKUlT_T0_E_clISt17integral_constantIbLb0EESZ_EEDaSU_SV_EUlSU_E_NS1_11comp_targetILNS1_3genE0ELNS1_11target_archE4294967295ELNS1_3gpuE0ELNS1_3repE0EEENS1_30default_config_static_selectorELNS0_4arch9wavefront6targetE1EEEvT1_: ; @_ZN7rocprim17ROCPRIM_400000_NS6detail17trampoline_kernelINS0_14default_configENS1_20scan_config_selectorIN3c107complexIfEEEEZZNS1_9scan_implILNS1_25lookback_scan_determinismE0ELb0ELb0ES3_PKS7_PS7_S7_ZZZN2at6native31launch_logcumsumexp_cuda_kernelERKNSE_10TensorBaseESI_lENKUlvE_clEvENKUlvE2_clEvEUlS7_S7_E_S7_EEDaPvRmT3_T4_T5_mT6_P12ihipStream_tbENKUlT_T0_E_clISt17integral_constantIbLb0EESZ_EEDaSU_SV_EUlSU_E_NS1_11comp_targetILNS1_3genE0ELNS1_11target_archE4294967295ELNS1_3gpuE0ELNS1_3repE0EEENS1_30default_config_static_selectorELNS0_4arch9wavefront6targetE1EEEvT1_
; %bb.0:
	.section	.rodata,"a",@progbits
	.p2align	6, 0x0
	.amdhsa_kernel _ZN7rocprim17ROCPRIM_400000_NS6detail17trampoline_kernelINS0_14default_configENS1_20scan_config_selectorIN3c107complexIfEEEEZZNS1_9scan_implILNS1_25lookback_scan_determinismE0ELb0ELb0ES3_PKS7_PS7_S7_ZZZN2at6native31launch_logcumsumexp_cuda_kernelERKNSE_10TensorBaseESI_lENKUlvE_clEvENKUlvE2_clEvEUlS7_S7_E_S7_EEDaPvRmT3_T4_T5_mT6_P12ihipStream_tbENKUlT_T0_E_clISt17integral_constantIbLb0EESZ_EEDaSU_SV_EUlSU_E_NS1_11comp_targetILNS1_3genE0ELNS1_11target_archE4294967295ELNS1_3gpuE0ELNS1_3repE0EEENS1_30default_config_static_selectorELNS0_4arch9wavefront6targetE1EEEvT1_
		.amdhsa_group_segment_fixed_size 0
		.amdhsa_private_segment_fixed_size 0
		.amdhsa_kernarg_size 104
		.amdhsa_user_sgpr_count 2
		.amdhsa_user_sgpr_dispatch_ptr 0
		.amdhsa_user_sgpr_queue_ptr 0
		.amdhsa_user_sgpr_kernarg_segment_ptr 1
		.amdhsa_user_sgpr_dispatch_id 0
		.amdhsa_user_sgpr_kernarg_preload_length 0
		.amdhsa_user_sgpr_kernarg_preload_offset 0
		.amdhsa_user_sgpr_private_segment_size 0
		.amdhsa_uses_dynamic_stack 0
		.amdhsa_enable_private_segment 0
		.amdhsa_system_sgpr_workgroup_id_x 1
		.amdhsa_system_sgpr_workgroup_id_y 0
		.amdhsa_system_sgpr_workgroup_id_z 0
		.amdhsa_system_sgpr_workgroup_info 0
		.amdhsa_system_vgpr_workitem_id 0
		.amdhsa_next_free_vgpr 1
		.amdhsa_next_free_sgpr 0
		.amdhsa_accum_offset 4
		.amdhsa_reserve_vcc 0
		.amdhsa_float_round_mode_32 0
		.amdhsa_float_round_mode_16_64 0
		.amdhsa_float_denorm_mode_32 3
		.amdhsa_float_denorm_mode_16_64 3
		.amdhsa_dx10_clamp 1
		.amdhsa_ieee_mode 1
		.amdhsa_fp16_overflow 0
		.amdhsa_tg_split 0
		.amdhsa_exception_fp_ieee_invalid_op 0
		.amdhsa_exception_fp_denorm_src 0
		.amdhsa_exception_fp_ieee_div_zero 0
		.amdhsa_exception_fp_ieee_overflow 0
		.amdhsa_exception_fp_ieee_underflow 0
		.amdhsa_exception_fp_ieee_inexact 0
		.amdhsa_exception_int_div_zero 0
	.end_amdhsa_kernel
	.section	.text._ZN7rocprim17ROCPRIM_400000_NS6detail17trampoline_kernelINS0_14default_configENS1_20scan_config_selectorIN3c107complexIfEEEEZZNS1_9scan_implILNS1_25lookback_scan_determinismE0ELb0ELb0ES3_PKS7_PS7_S7_ZZZN2at6native31launch_logcumsumexp_cuda_kernelERKNSE_10TensorBaseESI_lENKUlvE_clEvENKUlvE2_clEvEUlS7_S7_E_S7_EEDaPvRmT3_T4_T5_mT6_P12ihipStream_tbENKUlT_T0_E_clISt17integral_constantIbLb0EESZ_EEDaSU_SV_EUlSU_E_NS1_11comp_targetILNS1_3genE0ELNS1_11target_archE4294967295ELNS1_3gpuE0ELNS1_3repE0EEENS1_30default_config_static_selectorELNS0_4arch9wavefront6targetE1EEEvT1_,"axG",@progbits,_ZN7rocprim17ROCPRIM_400000_NS6detail17trampoline_kernelINS0_14default_configENS1_20scan_config_selectorIN3c107complexIfEEEEZZNS1_9scan_implILNS1_25lookback_scan_determinismE0ELb0ELb0ES3_PKS7_PS7_S7_ZZZN2at6native31launch_logcumsumexp_cuda_kernelERKNSE_10TensorBaseESI_lENKUlvE_clEvENKUlvE2_clEvEUlS7_S7_E_S7_EEDaPvRmT3_T4_T5_mT6_P12ihipStream_tbENKUlT_T0_E_clISt17integral_constantIbLb0EESZ_EEDaSU_SV_EUlSU_E_NS1_11comp_targetILNS1_3genE0ELNS1_11target_archE4294967295ELNS1_3gpuE0ELNS1_3repE0EEENS1_30default_config_static_selectorELNS0_4arch9wavefront6targetE1EEEvT1_,comdat
.Lfunc_end271:
	.size	_ZN7rocprim17ROCPRIM_400000_NS6detail17trampoline_kernelINS0_14default_configENS1_20scan_config_selectorIN3c107complexIfEEEEZZNS1_9scan_implILNS1_25lookback_scan_determinismE0ELb0ELb0ES3_PKS7_PS7_S7_ZZZN2at6native31launch_logcumsumexp_cuda_kernelERKNSE_10TensorBaseESI_lENKUlvE_clEvENKUlvE2_clEvEUlS7_S7_E_S7_EEDaPvRmT3_T4_T5_mT6_P12ihipStream_tbENKUlT_T0_E_clISt17integral_constantIbLb0EESZ_EEDaSU_SV_EUlSU_E_NS1_11comp_targetILNS1_3genE0ELNS1_11target_archE4294967295ELNS1_3gpuE0ELNS1_3repE0EEENS1_30default_config_static_selectorELNS0_4arch9wavefront6targetE1EEEvT1_, .Lfunc_end271-_ZN7rocprim17ROCPRIM_400000_NS6detail17trampoline_kernelINS0_14default_configENS1_20scan_config_selectorIN3c107complexIfEEEEZZNS1_9scan_implILNS1_25lookback_scan_determinismE0ELb0ELb0ES3_PKS7_PS7_S7_ZZZN2at6native31launch_logcumsumexp_cuda_kernelERKNSE_10TensorBaseESI_lENKUlvE_clEvENKUlvE2_clEvEUlS7_S7_E_S7_EEDaPvRmT3_T4_T5_mT6_P12ihipStream_tbENKUlT_T0_E_clISt17integral_constantIbLb0EESZ_EEDaSU_SV_EUlSU_E_NS1_11comp_targetILNS1_3genE0ELNS1_11target_archE4294967295ELNS1_3gpuE0ELNS1_3repE0EEENS1_30default_config_static_selectorELNS0_4arch9wavefront6targetE1EEEvT1_
                                        ; -- End function
	.section	.AMDGPU.csdata,"",@progbits
; Kernel info:
; codeLenInByte = 0
; NumSgprs: 6
; NumVgprs: 0
; NumAgprs: 0
; TotalNumVgprs: 0
; ScratchSize: 0
; MemoryBound: 0
; FloatMode: 240
; IeeeMode: 1
; LDSByteSize: 0 bytes/workgroup (compile time only)
; SGPRBlocks: 0
; VGPRBlocks: 0
; NumSGPRsForWavesPerEU: 6
; NumVGPRsForWavesPerEU: 1
; AccumOffset: 4
; Occupancy: 8
; WaveLimiterHint : 0
; COMPUTE_PGM_RSRC2:SCRATCH_EN: 0
; COMPUTE_PGM_RSRC2:USER_SGPR: 2
; COMPUTE_PGM_RSRC2:TRAP_HANDLER: 0
; COMPUTE_PGM_RSRC2:TGID_X_EN: 1
; COMPUTE_PGM_RSRC2:TGID_Y_EN: 0
; COMPUTE_PGM_RSRC2:TGID_Z_EN: 0
; COMPUTE_PGM_RSRC2:TIDIG_COMP_CNT: 0
; COMPUTE_PGM_RSRC3_GFX90A:ACCUM_OFFSET: 0
; COMPUTE_PGM_RSRC3_GFX90A:TG_SPLIT: 0
	.text
	.p2align	2                               ; -- Begin function _ZZZZN2at6native31launch_logcumsumexp_cuda_kernelERKNS_10TensorBaseES3_lENKUlvE_clEvENKUlvE2_clEvENKUlN3c107complexIfEES8_E_clES8_S8_
	.type	_ZZZZN2at6native31launch_logcumsumexp_cuda_kernelERKNS_10TensorBaseES3_lENKUlvE_clEvENKUlvE2_clEvENKUlN3c107complexIfEES8_E_clES8_S8_,@function
_ZZZZN2at6native31launch_logcumsumexp_cuda_kernelERKNS_10TensorBaseES3_lENKUlvE_clEvENKUlvE2_clEvENKUlN3c107complexIfEES8_E_clES8_S8_: ; @_ZZZZN2at6native31launch_logcumsumexp_cuda_kernelERKNS_10TensorBaseES3_lENKUlvE_clEvENKUlvE2_clEvENKUlN3c107complexIfEES8_E_clES8_S8_
; %bb.0:
	s_waitcnt vmcnt(0) expcnt(0) lgkmcnt(0)
	v_mov_b32_e32 v4, v3
	v_mov_b32_e32 v5, v2
	v_cmp_o_f32_e32 vcc, v5, v5
	v_cmp_o_f32_e64 s[0:1], v4, v4
	s_and_b64 s[2:3], vcc, s[0:1]
	v_mov_b32_e32 v6, v3
	v_mov_b64_e32 v[2:3], v[4:5]
	s_and_saveexec_b64 s[4:5], s[2:3]
; %bb.1:
	v_cmp_u_f32_e32 vcc, v0, v0
	v_cmp_u_f32_e64 s[0:1], v1, v1
	s_or_b64 s[0:1], vcc, s[0:1]
	v_cmp_lt_f32_e32 vcc, v0, v5
	s_or_b64 vcc, s[0:1], vcc
	s_nop 0
	v_cndmask_b32_e32 v7, v5, v0, vcc
	v_cndmask_b32_e32 v6, v4, v1, vcc
	v_mov_b64_e32 v[2:3], v[6:7]
; %bb.2:
	s_or_b64 exec, exec, s[4:5]
	s_and_saveexec_b64 s[4:5], s[2:3]
; %bb.3:
	v_cmp_u_f32_e32 vcc, v0, v0
	v_cmp_u_f32_e64 s[0:1], v1, v1
	s_or_b64 s[0:1], vcc, s[0:1]
	v_cmp_ge_f32_e32 vcc, v0, v5
	s_or_b64 vcc, s[0:1], vcc
	s_nop 0
	v_cndmask_b32_e32 v4, v4, v1, vcc
	v_cndmask_b32_e32 v5, v5, v0, vcc
; %bb.4:
	s_or_b64 exec, exec, s[4:5]
	s_mov_b32 s2, 0x7fc00000
	v_cmp_o_f32_e32 vcc, v3, v3
	v_cmp_o_f32_e64 s[0:1], v2, v2
	s_mov_b32 s3, s2
	s_and_b64 s[0:1], vcc, s[0:1]
	v_mov_b64_e32 v[8:9], s[2:3]
	s_and_saveexec_b64 s[6:7], s[0:1]
	s_cbranch_execz .LBB272_48
; %bb.5:
	s_movk_i32 s0, 0x1f8
	v_cmp_class_f32_e64 s[0:1], v3, s0
	v_cmp_neq_f32_e32 vcc, v5, v3
	s_or_b64 s[0:1], s[0:1], vcc
	s_and_saveexec_b64 s[2:3], s[0:1]
	s_xor_b64 s[8:9], exec, s[2:3]
	s_cbranch_execz .LBB272_21
; %bb.6:
	v_pk_add_f32 v[0:1], v[2:3], v[4:5] neg_lo:[0,1] neg_hi:[0,1]
	s_brev_b32 s0, 18
	v_and_b32_e32 v8, 0x7fffffff, v0
	v_cmp_nlt_f32_e64 s[10:11], |v0|, s0
	v_lshrrev_b32_e32 v6, 23, v8
                                        ; implicit-def: $vgpr3
                                        ; implicit-def: $vgpr2
	s_and_saveexec_b64 s[0:1], s[10:11]
	s_xor_b64 s[12:13], exec, s[0:1]
	s_cbranch_execz .LBB272_8
; %bb.7:
	v_add_u32_e32 v2, 0xffffff88, v6
	v_not_b32_e32 v7, 63
	v_cmp_lt_u32_e32 vcc, 63, v2
	s_mov_b32 s4, 0xfe5163ab
	v_mov_b32_e32 v3, 0
	v_cndmask_b32_e32 v7, 0, v7, vcc
	v_add_u32_e32 v2, v7, v2
	v_not_b32_e32 v7, 31
	v_cmp_lt_u32_e64 s[0:1], 31, v2
	s_nop 1
	v_cndmask_b32_e64 v9, 0, v7, s[0:1]
	v_add_u32_e32 v2, v9, v2
	v_cmp_lt_u32_e64 s[2:3], 31, v2
	s_nop 1
	v_cndmask_b32_e64 v7, 0, v7, s[2:3]
	v_add_u32_e32 v7, v7, v2
	v_and_b32_e32 v2, 0x7fffff, v8
	v_or_b32_e32 v9, 0x800000, v2
	v_mad_u64_u32 v[10:11], s[4:5], v9, s4, 0
	v_mov_b32_e32 v2, v11
	s_mov_b32 s4, 0x3c439041
	v_mad_u64_u32 v[12:13], s[4:5], v9, s4, v[2:3]
	v_mov_b32_e32 v2, v13
	s_mov_b32 s4, 0xdb629599
	v_mad_u64_u32 v[14:15], s[4:5], v9, s4, v[2:3]
	v_mov_b32_e32 v2, v15
	s_mov_b32 s4, 0xf534ddc0
	v_mad_u64_u32 v[16:17], s[4:5], v9, s4, v[2:3]
	v_mov_b32_e32 v2, v17
	s_mov_b32 s4, 0xfc2757d1
	v_mad_u64_u32 v[18:19], s[4:5], v9, s4, v[2:3]
	v_mov_b32_e32 v2, v19
	s_mov_b32 s4, 0x4e441529
	v_mad_u64_u32 v[20:21], s[4:5], v9, s4, v[2:3]
	v_mov_b32_e32 v2, v21
	s_mov_b32 s4, 0xa2f9836e
	v_mad_u64_u32 v[2:3], s[4:5], v9, s4, v[2:3]
	v_cndmask_b32_e32 v11, v20, v16, vcc
	v_cndmask_b32_e32 v2, v2, v18, vcc
	;; [unrolled: 1-line block ×3, first 2 shown]
	v_cndmask_b32_e64 v9, v2, v11, s[0:1]
	v_cndmask_b32_e64 v2, v3, v2, s[0:1]
	v_cndmask_b32_e32 v3, v18, v14, vcc
	v_cndmask_b32_e64 v11, v11, v3, s[0:1]
	v_cndmask_b32_e64 v2, v2, v9, s[2:3]
	;; [unrolled: 1-line block ×3, first 2 shown]
	v_sub_u32_e32 v13, 32, v7
	v_alignbit_b32 v15, v2, v9, v13
	v_cmp_eq_u32_e64 s[4:5], 0, v7
	v_cndmask_b32_e32 v10, v14, v10, vcc
	s_nop 0
	v_cndmask_b32_e64 v7, v15, v2, s[4:5]
	v_cndmask_b32_e32 v2, v16, v12, vcc
	v_cndmask_b32_e64 v3, v3, v2, s[0:1]
	v_cndmask_b32_e64 v11, v11, v3, s[2:3]
	v_alignbit_b32 v12, v9, v11, v13
	v_cndmask_b32_e64 v9, v12, v9, s[4:5]
	v_bfe_u32 v16, v7, 29, 1
	v_alignbit_b32 v12, v7, v9, 30
	v_sub_u32_e32 v17, 0, v16
	v_cndmask_b32_e64 v2, v2, v10, s[0:1]
	v_xor_b32_e32 v18, v12, v17
	v_cndmask_b32_e64 v2, v3, v2, s[2:3]
	v_alignbit_b32 v3, v11, v2, v13
	v_ffbh_u32_e32 v10, v18
	v_cndmask_b32_e64 v3, v3, v11, s[4:5]
	v_add_u32_e32 v10, 1, v10
	v_cmp_ne_u32_e32 vcc, v12, v17
	v_alignbit_b32 v9, v9, v3, 30
	v_alignbit_b32 v2, v3, v2, 30
	v_cndmask_b32_e32 v10, 33, v10, vcc
	v_xor_b32_e32 v9, v9, v17
	v_sub_u32_e32 v11, 32, v10
	v_xor_b32_e32 v2, v2, v17
	v_alignbit_b32 v12, v18, v9, v11
	v_alignbit_b32 v2, v9, v2, v11
	;; [unrolled: 1-line block ×3, first 2 shown]
	v_ffbh_u32_e32 v9, v3
	v_min_u32_e32 v9, 32, v9
	v_lshrrev_b32_e32 v15, 29, v7
	v_sub_u32_e32 v11, 31, v9
	v_alignbit_b32 v2, v3, v2, v11
	v_lshlrev_b32_e32 v3, 31, v15
	v_or_b32_e32 v11, 0x33800000, v3
	v_add_lshl_u32 v9, v9, v10, 23
	v_lshrrev_b32_e32 v2, 9, v2
	v_sub_u32_e32 v9, v11, v9
	v_or_b32_e32 v2, v9, v2
	v_alignbit_b32 v9, v10, v12, 9
	v_or_b32_e32 v3, v9, v3
	v_xor_b32_e32 v3, 1.0, v3
	s_mov_b32 s0, 0x3fc90fda
	v_mul_f32_e32 v9, 0x3fc90fda, v3
	v_fma_f32 v10, v3, s0, -v9
	v_fmamk_f32 v3, v3, 0x33a22168, v10
	v_fmac_f32_e32 v3, 0x3fc90fda, v2
	v_add_f32_e32 v2, v9, v3
	v_lshrrev_b32_e32 v3, 30, v7
	v_add_u32_e32 v3, v16, v3
	s_andn2_saveexec_b64 s[0:1], s[12:13]
	s_branch .LBB272_9
.LBB272_8:
	s_andn2_saveexec_b64 s[0:1], s[12:13]
.LBB272_9:
	s_mov_b32 s2, 0x3f22f983
	v_mul_f32_e64 v2, |v0|, s2
	v_rndne_f32_e32 v2, v2
	s_mov_b32 s2, 0xbfc90fda
	v_cvt_i32_f32_e32 v3, v2
	v_fma_f32 v7, v2, s2, |v0|
	v_fmamk_f32 v7, v2, 0xb3a22168, v7
	v_fmamk_f32 v2, v2, 0xa7c234c4, v7
; %bb.10:
	s_or_b64 exec, exec, s[0:1]
                                        ; implicit-def: $vgpr10
                                        ; implicit-def: $vgpr7
	s_and_saveexec_b64 s[0:1], s[10:11]
	s_xor_b64 s[10:11], exec, s[0:1]
	s_cbranch_execz .LBB272_12
; %bb.11:
	v_add_u32_e32 v6, 0xffffff88, v6
	v_not_b32_e32 v9, 63
	v_cmp_lt_u32_e32 vcc, 63, v6
	s_mov_b32 s4, 0xfe5163ab
	v_mov_b32_e32 v7, 0
	v_cndmask_b32_e32 v9, 0, v9, vcc
	v_add_u32_e32 v6, v9, v6
	v_not_b32_e32 v9, 31
	v_cmp_lt_u32_e64 s[0:1], 31, v6
	s_nop 1
	v_cndmask_b32_e64 v10, 0, v9, s[0:1]
	v_add_u32_e32 v6, v10, v6
	v_cmp_lt_u32_e64 s[2:3], 31, v6
	s_nop 1
	v_cndmask_b32_e64 v9, 0, v9, s[2:3]
	v_add_u32_e32 v9, v9, v6
	v_and_b32_e32 v6, 0x7fffff, v8
	v_or_b32_e32 v22, 0x800000, v6
	v_mad_u64_u32 v[10:11], s[4:5], v22, s4, 0
	v_mov_b32_e32 v6, v11
	s_mov_b32 s4, 0x3c439041
	v_mad_u64_u32 v[12:13], s[4:5], v22, s4, v[6:7]
	v_mov_b32_e32 v6, v13
	s_mov_b32 s4, 0xdb629599
	;; [unrolled: 3-line block ×6, first 2 shown]
	v_mad_u64_u32 v[6:7], s[4:5], v22, s4, v[6:7]
	v_cndmask_b32_e32 v11, v20, v16, vcc
	v_cndmask_b32_e32 v6, v6, v18, vcc
	;; [unrolled: 1-line block ×3, first 2 shown]
	v_cndmask_b32_e64 v13, v6, v11, s[0:1]
	v_cndmask_b32_e64 v6, v7, v6, s[0:1]
	v_cndmask_b32_e32 v7, v18, v14, vcc
	v_cndmask_b32_e64 v11, v11, v7, s[0:1]
	v_sub_u32_e32 v15, 32, v9
	v_cmp_eq_u32_e64 s[4:5], 0, v9
	v_cndmask_b32_e32 v9, v16, v12, vcc
	v_cndmask_b32_e64 v6, v6, v13, s[2:3]
	v_cndmask_b32_e64 v13, v13, v11, s[2:3]
	;; [unrolled: 1-line block ×3, first 2 shown]
	v_alignbit_b32 v17, v6, v13, v15
	v_cndmask_b32_e64 v11, v11, v7, s[2:3]
	v_cndmask_b32_e64 v6, v17, v6, s[4:5]
	v_alignbit_b32 v12, v13, v11, v15
	v_cndmask_b32_e32 v10, v14, v10, vcc
	v_cndmask_b32_e64 v12, v12, v13, s[4:5]
	v_bfe_u32 v17, v6, 29, 1
	v_cndmask_b32_e64 v9, v9, v10, s[0:1]
	v_alignbit_b32 v13, v6, v12, 30
	v_sub_u32_e32 v18, 0, v17
	v_cndmask_b32_e64 v7, v7, v9, s[2:3]
	v_xor_b32_e32 v19, v13, v18
	v_alignbit_b32 v9, v11, v7, v15
	v_cndmask_b32_e64 v9, v9, v11, s[4:5]
	v_ffbh_u32_e32 v11, v19
	v_add_u32_e32 v11, 1, v11
	v_cmp_ne_u32_e32 vcc, v13, v18
	v_alignbit_b32 v10, v12, v9, 30
	v_alignbit_b32 v7, v9, v7, 30
	v_cndmask_b32_e32 v11, 33, v11, vcc
	v_xor_b32_e32 v10, v10, v18
	v_sub_u32_e32 v12, 32, v11
	v_xor_b32_e32 v7, v7, v18
	v_alignbit_b32 v13, v19, v10, v12
	v_alignbit_b32 v7, v10, v7, v12
	;; [unrolled: 1-line block ×3, first 2 shown]
	v_ffbh_u32_e32 v10, v9
	v_min_u32_e32 v10, 32, v10
	v_lshrrev_b32_e32 v16, 29, v6
	v_sub_u32_e32 v12, 31, v10
	v_alignbit_b32 v7, v9, v7, v12
	v_lshlrev_b32_e32 v9, 31, v16
	v_or_b32_e32 v12, 0x33800000, v9
	v_add_lshl_u32 v10, v10, v11, 23
	v_lshrrev_b32_e32 v7, 9, v7
	v_sub_u32_e32 v10, v12, v10
	v_or_b32_e32 v7, v10, v7
	v_alignbit_b32 v10, v11, v13, 9
	v_or_b32_e32 v9, v10, v9
	v_xor_b32_e32 v9, 1.0, v9
	s_mov_b32 s0, 0x3fc90fda
	v_mul_f32_e32 v10, 0x3fc90fda, v9
	v_fma_f32 v11, v9, s0, -v10
	v_fmamk_f32 v9, v9, 0x33a22168, v11
	v_fmac_f32_e32 v9, 0x3fc90fda, v7
	v_lshrrev_b32_e32 v6, 30, v6
	v_add_f32_e32 v7, v10, v9
	v_add_u32_e32 v10, v17, v6
	s_andn2_saveexec_b64 s[0:1], s[10:11]
	s_cbranch_execnz .LBB272_13
	s_branch .LBB272_14
.LBB272_12:
	s_andn2_saveexec_b64 s[0:1], s[10:11]
.LBB272_13:
	s_mov_b32 s2, 0x3f22f983
	v_mul_f32_e64 v6, |v0|, s2
	v_rndne_f32_e32 v6, v6
	s_mov_b32 s2, 0xbfc90fda
	v_cvt_i32_f32_e32 v10, v6
	v_fma_f32 v7, v6, s2, |v0|
	v_fmamk_f32 v7, v6, 0xb3a22168, v7
	v_fmamk_f32 v7, v6, 0xa7c234c4, v7
.LBB272_14:
	s_or_b64 exec, exec, s[0:1]
	v_mul_f32_e32 v6, 0x3fb8aa3b, v1
	s_mov_b32 s0, 0x3fb8aa3b
	v_rndne_f32_e32 v9, v6
	v_sub_f32_e32 v11, v6, v9
	v_fma_f32 v6, v1, s0, -v6
	v_fmamk_f32 v6, v1, 0x32a5705f, v6
	v_add_f32_e32 v6, v11, v6
	v_exp_f32_e32 v6, v6
	v_cvt_i32_f32_e32 v9, v9
	s_mov_b32 s0, 0xc2ce8ed0
	v_cmp_ngt_f32_e32 vcc, s0, v1
	s_mov_b32 s0, 0x42b17218
	v_ldexp_f32 v6, v6, v9
	v_cndmask_b32_e32 v6, 0, v6, vcc
	v_mov_b32_e32 v9, 0x7f800000
	v_cmp_nlt_f32_e32 vcc, s0, v1
	v_lshlrev_b32_e32 v1, 30, v3
	v_and_b32_e32 v13, 1, v10
	v_and_b32_e32 v16, 1, v3
	v_mul_f32_e32 v3, v7, v7
	v_mov_b32_e32 v15, 0x3c0881c4
	v_lshlrev_b32_e32 v10, 30, v10
	v_cndmask_b32_e32 v12, v9, v6, vcc
	v_fmamk_f32 v6, v3, 0xb94c1982, v15
	v_and_b32_e32 v10, 0x80000000, v10
	v_xor_b32_e32 v8, v8, v0
	v_fmaak_f32 v11, v3, v6, 0xbe2aaa9d
	v_xor_b32_e32 v8, v8, v10
	v_mov_b32_e32 v10, v2
	v_mov_b32_e32 v18, 0xbab64f3b
	v_pk_mul_f32 v[10:11], v[2:3], v[10:11]
	v_fmamk_f32 v6, v3, 0x37d75334, v18
	v_mov_b32_e32 v19, 0x3d2aabf7
	v_fmac_f32_e32 v18, 0x37d75334, v10
	v_mov_b32_e32 v17, 0xbe2aaa9d
	v_fmaak_f32 v14, v3, v6, 0x3d2aabf7
	v_mov_b32_e32 v6, 0xbf000004
	v_fmac_f32_e32 v19, v10, v18
	v_fmac_f32_e32 v15, 0xb94c1982, v10
	v_fmaak_f32 v20, v3, v14, 0xbf000004
	v_mov_b32_e32 v14, 1.0
	v_fmac_f32_e32 v6, v10, v19
	v_fmac_f32_e32 v17, v10, v15
	v_mov_b32_e32 v15, v7
	v_fma_f32 v20, v3, v20, 1.0
	v_mul_f32_e32 v3, v10, v17
	v_pk_fma_f32 v[6:7], v[10:11], v[6:7], v[14:15]
	v_cmp_eq_u32_e32 vcc, 0, v13
	v_fmac_f32_e32 v2, v2, v3
	s_movk_i32 s0, 0x1f8
	v_cndmask_b32_e32 v3, v20, v7, vcc
	v_cmp_eq_u32_e32 vcc, 0, v16
	v_and_b32_e32 v1, 0x80000000, v1
	s_mov_b32 s4, 0x7f800000
	v_cndmask_b32_e64 v2, -v2, v6, vcc
	v_xor_b32_e32 v2, v1, v2
	v_xor_b32_e32 v1, v8, v3
	v_mov_b32_e32 v3, 0x7fc00000
	v_cmp_class_f32_e64 vcc, v0, s0
	s_nop 1
	v_cndmask_b32_e32 v1, v3, v1, vcc
	v_cndmask_b32_e32 v0, v3, v2, vcc
	v_pk_mul_f32 v[0:1], v[12:13], v[0:1] op_sel_hi:[0,1]
	v_max_f32_e64 v6, |v0|, |v1|
	v_cvt_f64_f32_e32 v[2:3], v6
	v_frexp_exp_i32_f64_e32 v2, v[2:3]
	v_sub_u32_e32 v3, 0, v2
	v_ldexp_f32 v7, |v0|, v3
	v_ldexp_f32 v3, |v1|, v3
	v_mul_f32_e32 v3, v3, v3
	v_fmac_f32_e32 v3, v7, v7
	v_sqrt_f32_e32 v3, v3
	v_cmp_eq_f32_e32 vcc, s4, v6
	v_ldexp_f32 v2, v3, v2
	v_cmp_ngt_f32_e64 s[0:1], 0.5, v2
	v_add_f32_e32 v2, 1.0, v0
	v_max_f32_e64 v6, |v2|, |v1|
	s_or_b64 s[0:1], vcc, s[0:1]
                                        ; implicit-def: $vgpr3
	s_and_saveexec_b64 s[2:3], s[0:1]
	s_xor_b64 s[2:3], exec, s[2:3]
	s_cbranch_execz .LBB272_16
; %bb.15:
	v_cvt_f64_f32_e32 v[10:11], v6
	v_frexp_exp_i32_f64_e32 v3, v[10:11]
	v_sub_u32_e32 v7, 0, v3
	v_ldexp_f32 v8, |v2|, v7
	v_ldexp_f32 v7, |v1|, v7
	v_mul_f32_e32 v7, v7, v7
	v_fmac_f32_e32 v7, v8, v8
	v_sqrt_f32_e32 v7, v7
	v_cmp_neq_f32_e32 vcc, s4, v6
	s_mov_b32 s0, 0x800000
	v_ldexp_f32 v3, v7, v3
	v_cndmask_b32_e32 v3, v9, v3, vcc
	v_mov_b32_e32 v7, 0x4f800000
	v_cmp_gt_f32_e32 vcc, s0, v3
	s_mov_b32 s0, 0x3f317217
	s_nop 0
	v_cndmask_b32_e32 v7, 1.0, v7, vcc
	v_mul_f32_e32 v3, v3, v7
	v_log_f32_e32 v3, v3
	s_nop 0
	v_mul_f32_e32 v7, 0x3f317217, v3
	v_fma_f32 v8, v3, s0, -v7
	v_fmamk_f32 v8, v3, 0x3377d1cf, v8
	v_add_f32_e32 v7, v7, v8
	v_cmp_lt_f32_e64 s[0:1], |v3|, s4
	s_nop 1
	v_cndmask_b32_e64 v3, v3, v7, s[0:1]
	v_mov_b32_e32 v7, 0x41b17218
	v_cndmask_b32_e32 v7, 0, v7, vcc
	v_sub_f32_e32 v3, v3, v7
.LBB272_16:
	s_andn2_saveexec_b64 s[0:1], s[2:3]
	s_cbranch_execz .LBB272_20
; %bb.17:
	v_add_f32_e32 v8, 2.0, v0
	v_mov_b32_e32 v9, v1
	v_pk_mul_f32 v[8:9], v[0:1], v[8:9]
	s_nop 0
	v_add_f32_e32 v3, v8, v9
	v_cmp_neq_f32_e32 vcc, 0, v3
	s_and_saveexec_b64 s[2:3], vcc
	s_cbranch_execz .LBB272_19
; %bb.18:
	v_add_f32_e32 v0, 1.0, v3
	v_add_f32_e32 v7, -1.0, v0
	v_sub_f32_e32 v8, v7, v0
	v_add_f32_e32 v8, 1.0, v8
	v_sub_f32_e32 v7, v3, v7
	v_add_f32_e32 v7, v7, v8
	v_frexp_mant_f32_e32 v10, v0
	s_mov_b32 s4, 0x3f2aaaab
	v_cvt_f64_f32_e32 v[8:9], v0
	v_frexp_exp_i32_f64_e32 v8, v[8:9]
	v_cmp_gt_f32_e32 vcc, s4, v10
	s_mov_b32 s4, 0x3f317218
	s_nop 0
	v_subbrev_co_u32_e32 v16, vcc, 0, v8, vcc
	v_sub_u32_e32 v8, 0, v16
	v_ldexp_f32 v0, v0, v8
	v_ldexp_f32 v7, v7, v8
	v_add_f32_e32 v8, -1.0, v0
	v_add_f32_e32 v9, 1.0, v8
	v_sub_f32_e32 v9, v0, v9
	v_add_f32_e32 v10, v7, v9
	v_add_f32_e32 v9, 1.0, v0
	v_add_f32_e32 v11, -1.0, v9
	v_sub_f32_e32 v0, v0, v11
	v_add_f32_e32 v0, v7, v0
	v_add_f32_e32 v7, v9, v0
	v_rcp_f32_e32 v17, v7
	v_sub_f32_e32 v9, v7, v9
	v_sub_f32_e32 v0, v0, v9
	v_add_f32_e32 v9, v8, v10
	v_sub_f32_e32 v8, v9, v8
	v_mul_f32_e32 v19, v9, v17
	v_sub_f32_e32 v18, v10, v8
	v_mul_f32_e32 v10, v7, v19
	v_fma_f32 v12, v19, v7, -v10
	v_fmac_f32_e32 v12, v19, v0
	v_add_f32_e32 v8, v10, v12
	v_sub_f32_e32 v11, v9, v8
	v_pk_add_f32 v[14:15], v[8:9], v[10:11] neg_lo:[0,1] neg_hi:[0,1]
	v_mov_b32_e32 v13, v8
	v_pk_add_f32 v[8:9], v[14:15], v[12:13] neg_lo:[0,1] neg_hi:[0,1]
	s_nop 0
	v_add_f32_e32 v9, v18, v9
	v_add_f32_e32 v8, v8, v9
	v_add_f32_e32 v9, v11, v8
	v_mul_f32_e32 v18, v17, v9
	v_mul_f32_e32 v10, v7, v18
	v_fma_f32 v12, v18, v7, -v10
	v_fmac_f32_e32 v12, v18, v0
	v_sub_f32_e32 v0, v11, v9
	v_add_f32_e32 v0, v8, v0
	v_add_f32_e32 v8, v10, v12
	v_sub_f32_e32 v11, v9, v8
	v_pk_add_f32 v[14:15], v[8:9], v[10:11] neg_lo:[0,1] neg_hi:[0,1]
	v_mov_b32_e32 v13, v8
	v_pk_add_f32 v[8:9], v[14:15], v[12:13] neg_lo:[0,1] neg_hi:[0,1]
	v_add_f32_e32 v7, v19, v18
	v_add_f32_e32 v0, v0, v9
	;; [unrolled: 1-line block ×4, first 2 shown]
	v_sub_f32_e32 v8, v7, v19
	v_mul_f32_e32 v0, v17, v0
	v_sub_f32_e32 v8, v18, v8
	v_add_f32_e32 v0, v8, v0
	v_add_f32_e32 v8, v7, v0
	v_cvt_f32_i32_e32 v10, v16
	v_mul_f32_e32 v11, v8, v8
	v_mov_b32_e32 v9, 0x3ecc95a3
	v_fmac_f32_e32 v9, 0x3e9b6dac, v11
	v_fmaak_f32 v9, v11, v9, 0x3f2aaada
	v_sub_f32_e32 v7, v8, v7
	v_ldexp_f32 v13, v8, 1
	v_mul_f32_e32 v11, v8, v11
	v_mov_b32_e32 v8, 0x3f317218
	v_pk_mul_f32 v[8:9], v[10:11], v[8:9]
	v_sub_f32_e32 v0, v0, v7
	v_fma_f32 v7, v10, s4, -v8
	v_fmamk_f32 v12, v10, 0xb102e308, v7
	v_pk_add_f32 v[10:11], v[8:9], v[12:13]
	v_ldexp_f32 v0, v0, 1
	v_sub_f32_e32 v7, v11, v13
	v_sub_f32_e32 v7, v9, v7
	v_add_f32_e32 v15, v0, v7
	v_mov_b32_e32 v14, v8
	v_pk_add_f32 v[8:9], v[10:11], v[8:9] neg_lo:[0,1] neg_hi:[0,1]
	v_pk_add_f32 v[16:17], v[10:11], v[14:15]
	v_mov_b32_e32 v13, v10
	v_mov_b32_e32 v9, v17
	v_pk_add_f32 v[18:19], v[12:13], v[8:9] neg_lo:[0,1] neg_hi:[0,1]
	v_pk_add_f32 v[8:9], v[12:13], v[8:9]
	s_mov_b32 s4, 0x7f800000
	v_mov_b32_e32 v0, v9
	v_pk_add_f32 v[12:13], v[0:1], v[10:11] neg_lo:[0,1] neg_hi:[0,1]
	v_mov_b32_e32 v8, v17
	v_mov_b32_e32 v7, v12
	v_pk_add_f32 v[20:21], v[16:17], v[6:7] neg_lo:[0,1] neg_hi:[0,1]
	v_mov_b32_e32 v16, v11
	v_mov_b32_e32 v17, v12
	;; [unrolled: 1-line block ×3, first 2 shown]
	v_pk_add_f32 v[8:9], v[8:9], v[16:17] neg_lo:[0,1] neg_hi:[0,1]
	v_mov_b32_e32 v12, v15
	v_mov_b32_e32 v13, v10
	v_pk_add_f32 v[8:9], v[12:13], v[8:9] neg_lo:[0,1] neg_hi:[0,1]
	v_mov_b32_e32 v20, v18
	v_pk_add_f32 v[10:11], v[20:21], v[8:9]
	v_cmp_eq_f32_e32 vcc, s4, v3
	v_mov_b32_e32 v12, v11
	v_pk_add_f32 v[12:13], v[10:11], v[12:13]
	v_mov_b32_e32 v7, 0x7fc00000
	v_pk_add_f32 v[14:15], v[0:1], v[12:13]
	v_mov_b32_e32 v9, v12
	v_mov_b32_e32 v11, v14
	v_pk_add_f32 v[16:17], v[10:11], v[18:19] neg_lo:[0,1] neg_hi:[0,1]
	s_mov_b32 s4, 0x33800000
	v_sub_f32_e32 v0, v10, v16
	v_pk_add_f32 v[8:9], v[8:9], v[16:17] neg_lo:[0,1] neg_hi:[0,1]
	v_sub_f32_e32 v0, v18, v0
	v_add_f32_e32 v0, v8, v0
	v_add_f32_e32 v0, v0, v9
	;; [unrolled: 1-line block ×3, first 2 shown]
	v_cndmask_b32_e32 v0, v0, v3, vcc
	v_cmp_ngt_f32_e32 vcc, -1.0, v3
	s_nop 1
	v_cndmask_b32_e32 v0, v7, v0, vcc
	v_mov_b32_e32 v7, 0xff800000
	v_cmp_neq_f32_e32 vcc, -1.0, v3
	s_nop 1
	v_cndmask_b32_e32 v0, v7, v0, vcc
	v_cmp_lt_f32_e64 vcc, |v3|, s4
	s_nop 1
	v_cndmask_b32_e32 v0, v0, v3, vcc
	v_mul_f32_e32 v0, 0.5, v0
.LBB272_19:
	s_or_b64 exec, exec, s[2:3]
	v_mov_b32_e32 v3, v0
.LBB272_20:
	s_or_b64 exec, exec, s[0:1]
	v_max_f32_e64 v8, |v1|, |v1|
	v_max_f32_e64 v9, |v2|, |v2|
	v_min_f32_e32 v8, v9, v8
	v_frexp_mant_f32_e32 v9, v6
	v_rcp_f32_e32 v9, v9
	v_frexp_exp_i32_f32_e32 v6, v6
	v_frexp_exp_i32_f32_e32 v10, v8
	v_frexp_mant_f32_e32 v8, v8
	v_mul_f32_e32 v8, v8, v9
	v_sub_u32_e32 v6, v10, v6
	v_ldexp_f32 v6, v8, v6
	v_mul_f32_e32 v8, v6, v6
	v_mov_b32_e32 v9, 0xbc7a590c
	v_fmac_f32_e32 v9, 0x3b2d2a58, v8
	v_fmaak_f32 v9, v8, v9, 0x3d29fb3f
	v_fmaak_f32 v9, v8, v9, 0xbd97d4d7
	;; [unrolled: 1-line block ×6, first 2 shown]
	s_movk_i32 s0, 0x204
	v_mov_b32_e32 v0, 0x3f490fdb
	v_mov_b32_e32 v7, 0x4016cbe4
	v_cmp_gt_f32_e32 vcc, 0, v2
	v_mul_f32_e32 v8, v8, v9
	v_cmp_class_f32_e64 s[2:3], v1, s0
	v_cmp_class_f32_e64 s[4:5], v2, s0
	v_cndmask_b32_e32 v0, v0, v7, vcc
	v_mov_b32_e32 v7, 0x40490fdb
	v_cmp_gt_i32_e64 s[0:1], 0, v2
	v_fmac_f32_e32 v6, v6, v8
	v_sub_f32_e32 v8, 0x3fc90fdb, v6
	v_cndmask_b32_e64 v7, 0, v7, s[0:1]
	v_cmp_gt_f32_e64 s[0:1], |v1|, |v2|
	s_nop 1
	v_cndmask_b32_e64 v6, v6, v8, s[0:1]
	v_sub_f32_e32 v8, 0x40490fdb, v6
	v_cndmask_b32_e32 v6, v6, v8, vcc
	v_cmp_eq_f32_e32 vcc, 0, v1
	s_brev_b32 s0, -2
	s_nop 0
	v_cndmask_b32_e32 v6, v6, v7, vcc
	s_and_b64 vcc, s[4:5], s[2:3]
	v_cndmask_b32_e32 v0, v6, v0, vcc
	v_mov_b32_e32 v6, 0x7fc00000
	v_cmp_o_f32_e32 vcc, v2, v1
	s_nop 1
	v_cndmask_b32_e32 v0, v6, v0, vcc
	v_bfi_b32 v2, s0, v0, v1
	v_pk_add_f32 v[2:3], v[2:3], v[4:5]
                                        ; implicit-def: $vgpr6
                                        ; implicit-def: $vgpr4_vgpr5
.LBB272_21:
	s_andn2_saveexec_b64 s[8:9], s[8:9]
	s_cbranch_execz .LBB272_47
; %bb.22:
	v_cmp_ngt_f32_e32 vcc, 0, v3
	s_and_saveexec_b64 s[10:11], vcc
	s_cbranch_execz .LBB272_46
; %bb.23:
	v_and_b32_e32 v0, 0x7fffffff, v2
	s_brev_b32 s0, 18
	v_cmp_nlt_f32_e64 s[12:13], |v2|, s0
	v_lshrrev_b32_e32 v8, 23, v0
                                        ; implicit-def: $vgpr3
                                        ; implicit-def: $vgpr1
	s_and_saveexec_b64 s[0:1], s[12:13]
	s_xor_b64 s[14:15], exec, s[0:1]
	s_cbranch_execz .LBB272_25
; %bb.24:
	v_add_u32_e32 v1, 0xffffff88, v8
	v_not_b32_e32 v3, 63
	v_cmp_lt_u32_e32 vcc, 63, v1
	s_mov_b32 s4, 0xfe5163ab
	v_mov_b32_e32 v11, 0
	v_cndmask_b32_e32 v3, 0, v3, vcc
	v_add_u32_e32 v1, v3, v1
	v_not_b32_e32 v3, 31
	v_cmp_lt_u32_e64 s[0:1], 31, v1
	s_nop 1
	v_cndmask_b32_e64 v5, 0, v3, s[0:1]
	v_add_u32_e32 v1, v5, v1
	v_cmp_lt_u32_e64 s[2:3], 31, v1
	s_nop 1
	v_cndmask_b32_e64 v3, 0, v3, s[2:3]
	v_add_u32_e32 v1, v3, v1
	v_and_b32_e32 v3, 0x7fffff, v0
	v_or_b32_e32 v3, 0x800000, v3
	v_mad_u64_u32 v[12:13], s[4:5], v3, s4, 0
	v_mov_b32_e32 v10, v13
	s_mov_b32 s4, 0x3c439041
	v_mad_u64_u32 v[14:15], s[4:5], v3, s4, v[10:11]
	v_mov_b32_e32 v10, v15
	s_mov_b32 s4, 0xdb629599
	;; [unrolled: 3-line block ×6, first 2 shown]
	v_mad_u64_u32 v[10:11], s[4:5], v3, s4, v[10:11]
	v_cndmask_b32_e32 v5, v22, v18, vcc
	v_cndmask_b32_e32 v3, v10, v20, vcc
	;; [unrolled: 1-line block ×3, first 2 shown]
	v_cndmask_b32_e64 v7, v3, v5, s[0:1]
	v_cndmask_b32_e64 v3, v9, v3, s[0:1]
	v_cndmask_b32_e32 v9, v20, v16, vcc
	v_cndmask_b32_e64 v5, v5, v9, s[0:1]
	v_sub_u32_e32 v10, 32, v1
	v_cmp_eq_u32_e64 s[4:5], 0, v1
	v_cndmask_b32_e32 v1, v18, v14, vcc
	v_cndmask_b32_e64 v3, v3, v7, s[2:3]
	v_cndmask_b32_e64 v7, v7, v5, s[2:3]
	;; [unrolled: 1-line block ×3, first 2 shown]
	v_alignbit_b32 v11, v3, v7, v10
	v_cndmask_b32_e64 v5, v5, v9, s[2:3]
	v_cndmask_b32_e64 v3, v11, v3, s[4:5]
	v_alignbit_b32 v11, v7, v5, v10
	v_cndmask_b32_e32 v12, v16, v12, vcc
	v_cndmask_b32_e64 v7, v11, v7, s[4:5]
	v_bfe_u32 v14, v3, 29, 1
	v_cndmask_b32_e64 v1, v1, v12, s[0:1]
	v_alignbit_b32 v11, v3, v7, 30
	v_sub_u32_e32 v15, 0, v14
	v_cndmask_b32_e64 v1, v9, v1, s[2:3]
	v_xor_b32_e32 v17, v11, v15
	v_alignbit_b32 v9, v5, v1, v10
	v_cndmask_b32_e64 v5, v9, v5, s[4:5]
	v_ffbh_u32_e32 v9, v17
	v_add_u32_e32 v9, 1, v9
	v_cmp_ne_u32_e32 vcc, v11, v15
	v_alignbit_b32 v7, v7, v5, 30
	v_alignbit_b32 v1, v5, v1, 30
	v_cndmask_b32_e32 v9, 33, v9, vcc
	v_xor_b32_e32 v7, v7, v15
	v_sub_u32_e32 v10, 32, v9
	v_xor_b32_e32 v1, v1, v15
	v_alignbit_b32 v11, v17, v7, v10
	v_alignbit_b32 v1, v7, v1, v10
	;; [unrolled: 1-line block ×3, first 2 shown]
	v_ffbh_u32_e32 v7, v5
	v_min_u32_e32 v7, 32, v7
	v_lshrrev_b32_e32 v13, 29, v3
	v_sub_u32_e32 v10, 31, v7
	v_alignbit_b32 v1, v5, v1, v10
	v_lshlrev_b32_e32 v5, 31, v13
	v_or_b32_e32 v10, 0x33800000, v5
	v_add_lshl_u32 v7, v7, v9, 23
	v_lshrrev_b32_e32 v1, 9, v1
	v_sub_u32_e32 v7, v10, v7
	v_or_b32_e32 v1, v7, v1
	v_alignbit_b32 v7, v9, v11, 9
	v_or_b32_e32 v5, v7, v5
	v_xor_b32_e32 v5, 1.0, v5
	s_mov_b32 s0, 0x3fc90fda
	v_mul_f32_e32 v7, 0x3fc90fda, v5
	v_fma_f32 v9, v5, s0, -v7
	v_fmamk_f32 v5, v5, 0x33a22168, v9
	v_fmac_f32_e32 v5, 0x3fc90fda, v1
	v_lshrrev_b32_e32 v3, 30, v3
	v_add_f32_e32 v1, v7, v5
	v_add_u32_e32 v3, v14, v3
	s_andn2_saveexec_b64 s[0:1], s[14:15]
	s_branch .LBB272_26
.LBB272_25:
	s_andn2_saveexec_b64 s[0:1], s[14:15]
.LBB272_26:
	s_mov_b32 s2, 0x3f22f983
	v_mul_f32_e64 v1, |v2|, s2
	v_rndne_f32_e32 v1, v1
	s_mov_b32 s2, 0xbfc90fda
	v_cvt_i32_f32_e32 v3, v1
	v_fma_f32 v5, v1, s2, |v2|
	v_fmamk_f32 v5, v1, 0xb3a22168, v5
	v_fmamk_f32 v1, v1, 0xa7c234c4, v5
; %bb.27:
	s_or_b64 exec, exec, s[0:1]
                                        ; implicit-def: $vgpr5
                                        ; implicit-def: $vgpr7
	s_and_saveexec_b64 s[0:1], s[12:13]
	s_xor_b64 s[12:13], exec, s[0:1]
	s_cbranch_execz .LBB272_29
; %bb.28:
	v_add_u32_e32 v5, 0xffffff88, v8
	v_not_b32_e32 v7, 63
	v_cmp_lt_u32_e32 vcc, 63, v5
	s_mov_b32 s4, 0xfe5163ab
	v_mov_b32_e32 v9, 0
	v_cndmask_b32_e32 v7, 0, v7, vcc
	v_add_u32_e32 v5, v7, v5
	v_not_b32_e32 v7, 31
	v_cmp_lt_u32_e64 s[0:1], 31, v5
	s_nop 1
	v_cndmask_b32_e64 v8, 0, v7, s[0:1]
	v_add_u32_e32 v5, v8, v5
	v_cmp_lt_u32_e64 s[2:3], 31, v5
	s_nop 1
	v_cndmask_b32_e64 v7, 0, v7, s[2:3]
	v_add_u32_e32 v5, v7, v5
	v_and_b32_e32 v7, 0x7fffff, v0
	v_or_b32_e32 v7, 0x800000, v7
	v_mad_u64_u32 v[10:11], s[4:5], v7, s4, 0
	v_mov_b32_e32 v8, v11
	s_mov_b32 s4, 0x3c439041
	v_mad_u64_u32 v[12:13], s[4:5], v7, s4, v[8:9]
	v_mov_b32_e32 v8, v13
	s_mov_b32 s4, 0xdb629599
	;; [unrolled: 3-line block ×6, first 2 shown]
	v_mad_u64_u32 v[8:9], s[4:5], v7, s4, v[8:9]
	v_cndmask_b32_e32 v11, v20, v16, vcc
	v_cndmask_b32_e32 v7, v8, v18, vcc
	v_cndmask_b32_e32 v9, v9, v20, vcc
	v_cndmask_b32_e64 v8, v7, v11, s[0:1]
	v_cndmask_b32_e64 v7, v9, v7, s[0:1]
	v_cndmask_b32_e32 v9, v18, v14, vcc
	v_cndmask_b32_e64 v11, v11, v9, s[0:1]
	v_cndmask_b32_e64 v7, v7, v8, s[2:3]
	;; [unrolled: 1-line block ×3, first 2 shown]
	v_sub_u32_e32 v13, 32, v5
	v_alignbit_b32 v15, v7, v8, v13
	v_cmp_eq_u32_e64 s[4:5], 0, v5
	v_cndmask_b32_e32 v10, v14, v10, vcc
	s_nop 0
	v_cndmask_b32_e64 v5, v15, v7, s[4:5]
	v_cndmask_b32_e32 v7, v16, v12, vcc
	v_cndmask_b32_e64 v9, v9, v7, s[0:1]
	v_cndmask_b32_e64 v11, v11, v9, s[2:3]
	v_alignbit_b32 v12, v8, v11, v13
	v_cndmask_b32_e64 v8, v12, v8, s[4:5]
	v_bfe_u32 v16, v5, 29, 1
	v_alignbit_b32 v12, v5, v8, 30
	v_sub_u32_e32 v17, 0, v16
	v_cndmask_b32_e64 v7, v7, v10, s[0:1]
	v_xor_b32_e32 v18, v12, v17
	v_cndmask_b32_e64 v7, v9, v7, s[2:3]
	v_alignbit_b32 v9, v11, v7, v13
	v_ffbh_u32_e32 v10, v18
	v_cndmask_b32_e64 v9, v9, v11, s[4:5]
	v_add_u32_e32 v10, 1, v10
	v_cmp_ne_u32_e32 vcc, v12, v17
	v_alignbit_b32 v8, v8, v9, 30
	v_alignbit_b32 v7, v9, v7, 30
	v_cndmask_b32_e32 v10, 33, v10, vcc
	v_xor_b32_e32 v8, v8, v17
	v_sub_u32_e32 v11, 32, v10
	v_xor_b32_e32 v7, v7, v17
	v_alignbit_b32 v12, v18, v8, v11
	v_alignbit_b32 v7, v8, v7, v11
	;; [unrolled: 1-line block ×3, first 2 shown]
	v_ffbh_u32_e32 v9, v8
	v_min_u32_e32 v9, 32, v9
	v_lshrrev_b32_e32 v15, 29, v5
	v_sub_u32_e32 v11, 31, v9
	v_alignbit_b32 v7, v8, v7, v11
	v_lshlrev_b32_e32 v8, 31, v15
	v_or_b32_e32 v11, 0x33800000, v8
	v_add_lshl_u32 v9, v9, v10, 23
	v_lshrrev_b32_e32 v7, 9, v7
	v_sub_u32_e32 v9, v11, v9
	v_or_b32_e32 v7, v9, v7
	v_alignbit_b32 v9, v10, v12, 9
	v_or_b32_e32 v8, v9, v8
	v_xor_b32_e32 v8, 1.0, v8
	s_mov_b32 s0, 0x3fc90fda
	v_mul_f32_e32 v9, 0x3fc90fda, v8
	v_fma_f32 v10, v8, s0, -v9
	v_fmamk_f32 v8, v8, 0x33a22168, v10
	v_fmac_f32_e32 v8, 0x3fc90fda, v7
	v_lshrrev_b32_e32 v5, 30, v5
	v_add_f32_e32 v7, v9, v8
	v_add_u32_e32 v5, v16, v5
	s_andn2_saveexec_b64 s[0:1], s[12:13]
	s_cbranch_execnz .LBB272_30
	s_branch .LBB272_31
.LBB272_29:
	s_andn2_saveexec_b64 s[0:1], s[12:13]
.LBB272_30:
	s_mov_b32 s2, 0x3f22f983
	v_mul_f32_e64 v5, |v2|, s2
	v_rndne_f32_e32 v7, v5
	s_mov_b32 s2, 0xbfc90fda
	v_cvt_i32_f32_e32 v5, v7
	v_fma_f32 v8, v7, s2, |v2|
	v_fmamk_f32 v8, v7, 0xb3a22168, v8
	v_fmamk_f32 v7, v7, 0xa7c234c4, v8
.LBB272_31:
	s_or_b64 exec, exec, s[0:1]
	v_and_b32_e32 v8, 0x7fffffff, v4
	s_brev_b32 s0, 18
	v_cmp_nlt_f32_e64 s[12:13], |v4|, s0
	v_lshrrev_b32_e32 v11, 23, v8
                                        ; implicit-def: $vgpr10
                                        ; implicit-def: $vgpr9
	s_and_saveexec_b64 s[0:1], s[12:13]
	s_xor_b64 s[14:15], exec, s[0:1]
	s_cbranch_execz .LBB272_33
; %bb.32:
	v_add_u32_e32 v9, 0xffffff88, v11
	v_not_b32_e32 v10, 63
	v_cmp_lt_u32_e32 vcc, 63, v9
	s_mov_b32 s4, 0xfe5163ab
	v_mov_b32_e32 v13, 0
	v_cndmask_b32_e32 v10, 0, v10, vcc
	v_add_u32_e32 v9, v10, v9
	v_not_b32_e32 v10, 31
	v_cmp_lt_u32_e64 s[0:1], 31, v9
	s_nop 1
	v_cndmask_b32_e64 v12, 0, v10, s[0:1]
	v_add_u32_e32 v9, v12, v9
	v_cmp_lt_u32_e64 s[2:3], 31, v9
	s_nop 1
	v_cndmask_b32_e64 v10, 0, v10, s[2:3]
	v_add_u32_e32 v9, v10, v9
	v_and_b32_e32 v10, 0x7fffff, v8
	v_or_b32_e32 v10, 0x800000, v10
	v_mad_u64_u32 v[14:15], s[4:5], v10, s4, 0
	v_mov_b32_e32 v12, v15
	s_mov_b32 s4, 0x3c439041
	v_mad_u64_u32 v[16:17], s[4:5], v10, s4, v[12:13]
	v_mov_b32_e32 v12, v17
	s_mov_b32 s4, 0xdb629599
	v_mad_u64_u32 v[18:19], s[4:5], v10, s4, v[12:13]
	v_mov_b32_e32 v12, v19
	s_mov_b32 s4, 0xf534ddc0
	v_mad_u64_u32 v[20:21], s[4:5], v10, s4, v[12:13]
	v_mov_b32_e32 v12, v21
	s_mov_b32 s4, 0xfc2757d1
	v_mad_u64_u32 v[22:23], s[4:5], v10, s4, v[12:13]
	v_mov_b32_e32 v12, v23
	s_mov_b32 s4, 0x4e441529
	v_mad_u64_u32 v[24:25], s[4:5], v10, s4, v[12:13]
	v_mov_b32_e32 v12, v25
	s_mov_b32 s4, 0xa2f9836e
	v_mad_u64_u32 v[12:13], s[4:5], v10, s4, v[12:13]
	v_cndmask_b32_e32 v15, v24, v20, vcc
	v_cndmask_b32_e32 v10, v12, v22, vcc
	;; [unrolled: 1-line block ×3, first 2 shown]
	v_cndmask_b32_e64 v12, v10, v15, s[0:1]
	v_cndmask_b32_e64 v10, v13, v10, s[0:1]
	v_cndmask_b32_e32 v13, v22, v18, vcc
	v_cndmask_b32_e64 v15, v15, v13, s[0:1]
	v_sub_u32_e32 v17, 32, v9
	v_cmp_eq_u32_e64 s[4:5], 0, v9
	v_cndmask_b32_e32 v9, v20, v16, vcc
	v_cndmask_b32_e64 v10, v10, v12, s[2:3]
	v_cndmask_b32_e64 v12, v12, v15, s[2:3]
	;; [unrolled: 1-line block ×3, first 2 shown]
	v_alignbit_b32 v19, v10, v12, v17
	v_cndmask_b32_e64 v15, v15, v13, s[2:3]
	v_cndmask_b32_e64 v10, v19, v10, s[4:5]
	v_alignbit_b32 v16, v12, v15, v17
	v_cndmask_b32_e64 v12, v16, v12, s[4:5]
	v_bfe_u32 v20, v10, 29, 1
	v_cndmask_b32_e32 v14, v18, v14, vcc
	v_alignbit_b32 v16, v10, v12, 30
	v_sub_u32_e32 v21, 0, v20
	v_cndmask_b32_e64 v9, v9, v14, s[0:1]
	v_xor_b32_e32 v22, v16, v21
	v_cndmask_b32_e64 v9, v13, v9, s[2:3]
	v_alignbit_b32 v13, v15, v9, v17
	v_ffbh_u32_e32 v14, v22
	v_cndmask_b32_e64 v13, v13, v15, s[4:5]
	v_add_u32_e32 v14, 1, v14
	v_cmp_ne_u32_e32 vcc, v16, v21
	v_alignbit_b32 v12, v12, v13, 30
	v_alignbit_b32 v9, v13, v9, 30
	v_cndmask_b32_e32 v14, 33, v14, vcc
	v_xor_b32_e32 v12, v12, v21
	v_sub_u32_e32 v15, 32, v14
	v_xor_b32_e32 v9, v9, v21
	v_alignbit_b32 v16, v22, v12, v15
	v_alignbit_b32 v9, v12, v9, v15
	;; [unrolled: 1-line block ×3, first 2 shown]
	v_ffbh_u32_e32 v13, v12
	v_min_u32_e32 v13, 32, v13
	v_lshrrev_b32_e32 v19, 29, v10
	v_sub_u32_e32 v15, 31, v13
	v_alignbit_b32 v9, v12, v9, v15
	v_lshlrev_b32_e32 v12, 31, v19
	v_or_b32_e32 v15, 0x33800000, v12
	v_add_lshl_u32 v13, v13, v14, 23
	v_lshrrev_b32_e32 v9, 9, v9
	v_sub_u32_e32 v13, v15, v13
	v_or_b32_e32 v9, v13, v9
	v_alignbit_b32 v13, v14, v16, 9
	v_or_b32_e32 v12, v13, v12
	v_xor_b32_e32 v12, 1.0, v12
	s_mov_b32 s0, 0x3fc90fda
	v_mul_f32_e32 v13, 0x3fc90fda, v12
	v_fma_f32 v14, v12, s0, -v13
	v_fmamk_f32 v12, v12, 0x33a22168, v14
	v_fmac_f32_e32 v12, 0x3fc90fda, v9
	v_lshrrev_b32_e32 v10, 30, v10
	v_add_f32_e32 v9, v13, v12
	v_add_u32_e32 v10, v20, v10
	s_andn2_saveexec_b64 s[0:1], s[14:15]
	s_branch .LBB272_34
.LBB272_33:
	s_andn2_saveexec_b64 s[0:1], s[14:15]
.LBB272_34:
	s_mov_b32 s2, 0x3f22f983
	v_mul_f32_e64 v9, |v4|, s2
	v_rndne_f32_e32 v9, v9
	s_mov_b32 s2, 0xbfc90fda
	v_cvt_i32_f32_e32 v10, v9
	v_fma_f32 v12, v9, s2, |v4|
	v_fmamk_f32 v12, v9, 0xb3a22168, v12
	v_fmamk_f32 v9, v9, 0xa7c234c4, v12
; %bb.35:
	s_or_b64 exec, exec, s[0:1]
                                        ; implicit-def: $vgpr12
                                        ; implicit-def: $vgpr13
	s_and_saveexec_b64 s[0:1], s[12:13]
	s_xor_b64 s[12:13], exec, s[0:1]
	s_cbranch_execz .LBB272_37
; %bb.36:
	v_add_u32_e32 v11, 0xffffff88, v11
	v_not_b32_e32 v12, 63
	v_cmp_lt_u32_e32 vcc, 63, v11
	s_mov_b32 s4, 0xfe5163ab
	v_mov_b32_e32 v13, 0
	v_cndmask_b32_e32 v12, 0, v12, vcc
	v_add_u32_e32 v11, v12, v11
	v_not_b32_e32 v12, 31
	v_cmp_lt_u32_e64 s[0:1], 31, v11
	s_nop 1
	v_cndmask_b32_e64 v14, 0, v12, s[0:1]
	v_add_u32_e32 v11, v14, v11
	v_cmp_lt_u32_e64 s[2:3], 31, v11
	s_nop 1
	v_cndmask_b32_e64 v12, 0, v12, s[2:3]
	v_add_u32_e32 v11, v12, v11
	v_and_b32_e32 v12, 0x7fffff, v8
	v_or_b32_e32 v26, 0x800000, v12
	v_mad_u64_u32 v[14:15], s[4:5], v26, s4, 0
	v_mov_b32_e32 v12, v15
	s_mov_b32 s4, 0x3c439041
	v_mad_u64_u32 v[16:17], s[4:5], v26, s4, v[12:13]
	v_mov_b32_e32 v12, v17
	s_mov_b32 s4, 0xdb629599
	;; [unrolled: 3-line block ×6, first 2 shown]
	v_mad_u64_u32 v[12:13], s[4:5], v26, s4, v[12:13]
	v_cndmask_b32_e32 v15, v24, v20, vcc
	v_cndmask_b32_e32 v12, v12, v22, vcc
	;; [unrolled: 1-line block ×3, first 2 shown]
	v_cndmask_b32_e64 v17, v12, v15, s[0:1]
	v_cndmask_b32_e64 v12, v13, v12, s[0:1]
	v_cndmask_b32_e32 v13, v22, v18, vcc
	v_cndmask_b32_e64 v15, v15, v13, s[0:1]
	v_cndmask_b32_e64 v12, v12, v17, s[2:3]
	v_cndmask_b32_e64 v17, v17, v15, s[2:3]
	v_sub_u32_e32 v19, 32, v11
	v_alignbit_b32 v21, v12, v17, v19
	v_cmp_eq_u32_e64 s[4:5], 0, v11
	v_cndmask_b32_e32 v14, v18, v14, vcc
	s_nop 0
	v_cndmask_b32_e64 v11, v21, v12, s[4:5]
	v_cndmask_b32_e32 v12, v20, v16, vcc
	v_cndmask_b32_e64 v13, v13, v12, s[0:1]
	v_cndmask_b32_e64 v15, v15, v13, s[2:3]
	v_alignbit_b32 v16, v17, v15, v19
	v_cndmask_b32_e64 v16, v16, v17, s[4:5]
	v_bfe_u32 v21, v11, 29, 1
	v_cndmask_b32_e64 v12, v12, v14, s[0:1]
	v_alignbit_b32 v17, v11, v16, 30
	v_sub_u32_e32 v22, 0, v21
	v_cndmask_b32_e64 v12, v13, v12, s[2:3]
	v_xor_b32_e32 v23, v17, v22
	v_alignbit_b32 v13, v15, v12, v19
	v_cndmask_b32_e64 v13, v13, v15, s[4:5]
	v_ffbh_u32_e32 v15, v23
	v_add_u32_e32 v15, 1, v15
	v_cmp_ne_u32_e32 vcc, v17, v22
	v_alignbit_b32 v14, v16, v13, 30
	v_alignbit_b32 v12, v13, v12, 30
	v_cndmask_b32_e32 v15, 33, v15, vcc
	v_xor_b32_e32 v14, v14, v22
	v_sub_u32_e32 v16, 32, v15
	v_xor_b32_e32 v12, v12, v22
	v_alignbit_b32 v17, v23, v14, v16
	v_alignbit_b32 v12, v14, v12, v16
	;; [unrolled: 1-line block ×3, first 2 shown]
	v_ffbh_u32_e32 v14, v13
	v_min_u32_e32 v14, 32, v14
	v_lshrrev_b32_e32 v20, 29, v11
	v_sub_u32_e32 v16, 31, v14
	v_alignbit_b32 v12, v13, v12, v16
	v_lshlrev_b32_e32 v13, 31, v20
	v_or_b32_e32 v16, 0x33800000, v13
	v_add_lshl_u32 v14, v14, v15, 23
	v_lshrrev_b32_e32 v12, 9, v12
	v_sub_u32_e32 v14, v16, v14
	v_or_b32_e32 v12, v14, v12
	v_alignbit_b32 v14, v15, v17, 9
	v_or_b32_e32 v13, v14, v13
	v_xor_b32_e32 v13, 1.0, v13
	s_mov_b32 s0, 0x3fc90fda
	v_mul_f32_e32 v14, 0x3fc90fda, v13
	v_fma_f32 v15, v13, s0, -v14
	v_fmamk_f32 v13, v13, 0x33a22168, v15
	v_fmac_f32_e32 v13, 0x3fc90fda, v12
	v_lshrrev_b32_e32 v11, 30, v11
	v_add_f32_e32 v13, v14, v13
	v_add_u32_e32 v12, v21, v11
	s_andn2_saveexec_b64 s[0:1], s[12:13]
	s_cbranch_execnz .LBB272_38
	s_branch .LBB272_39
.LBB272_37:
	s_andn2_saveexec_b64 s[0:1], s[12:13]
.LBB272_38:
	s_mov_b32 s2, 0x3f22f983
	v_mul_f32_e64 v11, |v4|, s2
	v_rndne_f32_e32 v11, v11
	s_mov_b32 s2, 0xbfc90fda
	v_cvt_i32_f32_e32 v12, v11
	v_fma_f32 v13, v11, s2, |v4|
	v_fmamk_f32 v13, v11, 0xb3a22168, v13
	v_fmamk_f32 v13, v11, 0xa7c234c4, v13
.LBB272_39:
	s_or_b64 exec, exec, s[0:1]
	v_mul_f32_e32 v14, v1, v1
	v_mov_b32_e32 v15, 0x3c0881c4
	v_fmamk_f32 v16, v14, 0xb94c1982, v15
	v_fmaak_f32 v16, v14, v16, 0xbe2aaa9d
	v_mul_f32_e32 v16, v14, v16
	v_fmac_f32_e32 v1, v1, v16
	v_mov_b32_e32 v16, 0xbab64f3b
	v_fmamk_f32 v18, v14, 0x37d75334, v16
	v_fmaak_f32 v18, v14, v18, 0x3d2aabf7
	v_lshlrev_b32_e32 v11, 30, v3
	v_and_b32_e32 v3, 1, v3
	v_fmaak_f32 v18, v14, v18, 0xbf000004
	s_movk_i32 s2, 0x1f8
	v_fma_f32 v14, v14, v18, 1.0
	v_cmp_eq_u32_e32 vcc, 0, v3
	v_and_b32_e32 v11, 0x80000000, v11
	v_xor_b32_e32 v0, v0, v11
	v_cndmask_b32_e32 v1, v14, v1, vcc
	v_cmp_class_f32_e64 vcc, v2, s2
	v_mul_f32_e32 v2, v7, v7
	v_fmamk_f32 v3, v2, 0xb94c1982, v15
	v_fmaak_f32 v3, v2, v3, 0xbe2aaa9d
	v_mul_f32_e32 v3, v2, v3
	v_fmac_f32_e32 v7, v7, v3
	v_fmamk_f32 v3, v2, 0x37d75334, v16
	v_fmaak_f32 v3, v2, v3, 0x3d2aabf7
	v_fmaak_f32 v3, v2, v3, 0xbf000004
	v_xor_b32_e32 v0, v0, v1
	v_fma_f32 v2, v2, v3, 1.0
	v_and_b32_e32 v3, 1, v5
	v_xor_b32_e32 v0, v0, v6
	v_cmp_eq_u32_e64 s[0:1], 0, v3
	v_lshlrev_b32_e32 v3, 30, v5
	v_mul_f32_e32 v6, v9, v9
	v_cndmask_b32_e64 v2, -v7, v2, s[0:1]
	v_and_b32_e32 v3, 0x80000000, v3
	v_fmamk_f32 v7, v6, 0xb94c1982, v15
	v_mov_b32_e32 v1, 0x7fc00000
	v_xor_b32_e32 v2, v3, v2
	v_fmaak_f32 v7, v6, v7, 0xbe2aaa9d
	v_cndmask_b32_e32 v2, v1, v2, vcc
	v_mul_f32_e32 v7, v6, v7
	v_cndmask_b32_e32 v0, v1, v0, vcc
	v_mul_f32_e32 v3, 0x7f800000, v2
	v_cmp_neq_f32_e32 vcc, 0, v2
	v_fmac_f32_e32 v9, v9, v7
	v_fmamk_f32 v7, v6, 0x37d75334, v16
	v_cndmask_b32_e32 v2, 0, v3, vcc
	v_mul_f32_e32 v3, 0x7f800000, v0
	v_cmp_neq_f32_e32 vcc, 0, v0
	v_fmaak_f32 v7, v6, v7, 0x3d2aabf7
	v_and_b32_e32 v5, 1, v10
	v_cndmask_b32_e32 v0, 0, v3, vcc
	v_lshlrev_b32_e32 v3, 30, v10
	v_fmaak_f32 v7, v6, v7, 0xbf000004
	v_and_b32_e32 v3, 0x80000000, v3
	v_fma_f32 v6, v6, v7, 1.0
	v_cmp_eq_u32_e32 vcc, 0, v5
	v_xor_b32_e32 v3, v8, v3
	v_mov_b32_e32 v17, 0xbe2aaa9d
	v_cndmask_b32_e32 v5, v6, v9, vcc
	v_xor_b32_e32 v3, v3, v5
	v_xor_b32_e32 v3, v3, v4
	v_cmp_class_f32_e64 vcc, v4, s2
	v_mul_f32_e32 v4, v13, v13
	v_fmac_f32_e32 v15, 0xb94c1982, v4
	v_mov_b32_e32 v19, 0x3d2aabf7
	v_fmac_f32_e32 v17, v4, v15
	v_fmac_f32_e32 v16, 0x37d75334, v4
	v_mov_b32_e32 v20, 0xbf000004
	v_mul_f32_e32 v5, v4, v17
	v_fmac_f32_e32 v19, v4, v16
	v_fmac_f32_e32 v13, v13, v5
	;; [unrolled: 1-line block ×3, first 2 shown]
	v_and_b32_e32 v5, 1, v12
	v_fma_f32 v4, v4, v20, 1.0
	v_cmp_eq_u32_e64 s[0:1], 0, v5
	v_lshlrev_b32_e32 v5, 30, v12
	v_and_b32_e32 v5, 0x80000000, v5
	v_cndmask_b32_e64 v4, -v13, v4, s[0:1]
	v_xor_b32_e32 v4, v5, v4
	v_cndmask_b32_e32 v3, v1, v3, vcc
	v_cndmask_b32_e32 v1, v1, v4, vcc
	v_mul_f32_e32 v4, 0x7f800000, v1
	v_cmp_neq_f32_e32 vcc, 0, v1
	s_mov_b32 s4, 0x7f800000
	s_nop 0
	v_cndmask_b32_e32 v1, 0, v4, vcc
	v_mul_f32_e32 v4, 0x7f800000, v3
	v_cmp_neq_f32_e32 vcc, 0, v3
	v_add_f32_e32 v1, v2, v1
	s_nop 0
	v_cndmask_b32_e32 v3, 0, v4, vcc
	v_add_f32_e32 v0, v0, v3
	v_add_f32_e32 v3, -1.0, v1
	v_max_f32_e64 v1, |v3|, |v0|
	v_cvt_f64_f32_e32 v[4:5], v1
	v_frexp_exp_i32_f64_e32 v2, v[4:5]
	v_sub_u32_e32 v4, 0, v2
	v_ldexp_f32 v5, |v3|, v4
	v_ldexp_f32 v4, |v0|, v4
	v_mul_f32_e32 v4, v4, v4
	v_fmac_f32_e32 v4, v5, v5
	v_sqrt_f32_e32 v4, v4
	v_cmp_eq_f32_e32 vcc, s4, v1
	v_add_f32_e32 v1, 1.0, v3
	v_ldexp_f32 v2, v4, v2
	v_cmp_ngt_f32_e64 s[0:1], 0.5, v2
	v_max_f32_e64 v2, |v1|, |v0|
	s_or_b64 s[0:1], vcc, s[0:1]
	s_and_saveexec_b64 s[2:3], s[0:1]
	s_xor_b64 s[2:3], exec, s[2:3]
	s_cbranch_execz .LBB272_41
; %bb.40:
	v_cvt_f64_f32_e32 v[4:5], v2
	v_frexp_exp_i32_f64_e32 v3, v[4:5]
	v_sub_u32_e32 v4, 0, v3
	v_ldexp_f32 v5, |v1|, v4
	v_ldexp_f32 v4, |v0|, v4
	v_mul_f32_e32 v4, v4, v4
	v_fmac_f32_e32 v4, v5, v5
	v_sqrt_f32_e32 v4, v4
	v_mov_b32_e32 v5, 0x7f800000
	v_cmp_neq_f32_e32 vcc, s4, v2
	s_mov_b32 s0, 0x800000
	v_ldexp_f32 v3, v4, v3
	v_cndmask_b32_e32 v3, v5, v3, vcc
	v_mov_b32_e32 v4, 0x4f800000
	v_cmp_gt_f32_e32 vcc, s0, v3
	s_mov_b32 s0, 0x3f317217
	s_nop 0
	v_cndmask_b32_e32 v4, 1.0, v4, vcc
	v_mul_f32_e32 v3, v3, v4
	v_log_f32_e32 v3, v3
	s_nop 0
	v_mul_f32_e32 v4, 0x3f317217, v3
	v_fma_f32 v5, v3, s0, -v4
	v_fmamk_f32 v5, v3, 0x3377d1cf, v5
	v_add_f32_e32 v4, v4, v5
	v_cmp_lt_f32_e64 s[0:1], |v3|, s4
	s_nop 1
	v_cndmask_b32_e64 v3, v3, v4, s[0:1]
	v_mov_b32_e32 v4, 0x41b17218
	v_cndmask_b32_e32 v4, 0, v4, vcc
	v_sub_f32_e32 v3, v3, v4
.LBB272_41:
	s_andn2_saveexec_b64 s[0:1], s[2:3]
	s_cbranch_execz .LBB272_45
; %bb.42:
	v_add_f32_e32 v4, 2.0, v3
	v_mul_f32_e32 v4, v3, v4
	v_fmac_f32_e32 v4, v0, v0
	v_cmp_neq_f32_e32 vcc, 0, v4
	s_and_saveexec_b64 s[2:3], vcc
	s_cbranch_execz .LBB272_44
; %bb.43:
	v_add_f32_e32 v3, 1.0, v4
	v_add_f32_e32 v5, -1.0, v3
	v_sub_f32_e32 v6, v5, v3
	v_add_f32_e32 v6, 1.0, v6
	v_sub_f32_e32 v5, v4, v5
	v_add_f32_e32 v5, v5, v6
	v_frexp_mant_f32_e32 v8, v3
	s_mov_b32 s4, 0x3f2aaaab
	v_cvt_f64_f32_e32 v[6:7], v3
	v_frexp_exp_i32_f64_e32 v6, v[6:7]
	v_cmp_gt_f32_e32 vcc, s4, v8
	s_mov_b32 s4, 0x3f317218
	s_nop 0
	v_subbrev_co_u32_e32 v14, vcc, 0, v6, vcc
	v_sub_u32_e32 v6, 0, v14
	v_ldexp_f32 v3, v3, v6
	v_ldexp_f32 v5, v5, v6
	v_add_f32_e32 v6, -1.0, v3
	v_add_f32_e32 v7, 1.0, v6
	v_sub_f32_e32 v7, v3, v7
	v_add_f32_e32 v8, v5, v7
	v_add_f32_e32 v7, 1.0, v3
	v_add_f32_e32 v9, -1.0, v7
	v_sub_f32_e32 v3, v3, v9
	v_add_f32_e32 v3, v5, v3
	v_add_f32_e32 v5, v7, v3
	v_rcp_f32_e32 v15, v5
	v_sub_f32_e32 v7, v5, v7
	v_sub_f32_e32 v3, v3, v7
	v_add_f32_e32 v7, v6, v8
	v_sub_f32_e32 v6, v7, v6
	v_mul_f32_e32 v17, v7, v15
	v_sub_f32_e32 v16, v8, v6
	v_mul_f32_e32 v8, v5, v17
	v_fma_f32 v10, v17, v5, -v8
	v_fmac_f32_e32 v10, v17, v3
	v_add_f32_e32 v6, v8, v10
	v_sub_f32_e32 v9, v7, v6
	v_pk_add_f32 v[12:13], v[6:7], v[8:9] neg_lo:[0,1] neg_hi:[0,1]
	v_mov_b32_e32 v11, v6
	v_pk_add_f32 v[6:7], v[12:13], v[10:11] neg_lo:[0,1] neg_hi:[0,1]
	s_nop 0
	v_add_f32_e32 v7, v16, v7
	v_add_f32_e32 v6, v6, v7
	;; [unrolled: 1-line block ×3, first 2 shown]
	v_mul_f32_e32 v16, v15, v7
	v_mul_f32_e32 v8, v5, v16
	v_fma_f32 v10, v16, v5, -v8
	v_fmac_f32_e32 v10, v16, v3
	v_sub_f32_e32 v3, v9, v7
	v_add_f32_e32 v3, v6, v3
	v_add_f32_e32 v6, v8, v10
	v_sub_f32_e32 v9, v7, v6
	v_pk_add_f32 v[12:13], v[6:7], v[8:9] neg_lo:[0,1] neg_hi:[0,1]
	v_mov_b32_e32 v11, v6
	v_pk_add_f32 v[6:7], v[12:13], v[10:11] neg_lo:[0,1] neg_hi:[0,1]
	v_add_f32_e32 v5, v17, v16
	v_add_f32_e32 v3, v3, v7
	v_add_f32_e32 v3, v6, v3
	v_add_f32_e32 v3, v9, v3
	v_sub_f32_e32 v6, v5, v17
	v_mul_f32_e32 v3, v15, v3
	v_sub_f32_e32 v6, v16, v6
	v_add_f32_e32 v3, v6, v3
	v_add_f32_e32 v6, v5, v3
	v_cvt_f32_i32_e32 v8, v14
	v_mul_f32_e32 v9, v6, v6
	v_mov_b32_e32 v7, 0x3ecc95a3
	v_fmac_f32_e32 v7, 0x3e9b6dac, v9
	v_fmaak_f32 v7, v9, v7, 0x3f2aaada
	v_sub_f32_e32 v5, v6, v5
	v_ldexp_f32 v11, v6, 1
	v_mul_f32_e32 v9, v6, v9
	v_mov_b32_e32 v6, 0x3f317218
	v_pk_mul_f32 v[6:7], v[8:9], v[6:7]
	v_sub_f32_e32 v3, v3, v5
	v_fma_f32 v5, v8, s4, -v6
	v_fmamk_f32 v10, v8, 0xb102e308, v5
	v_pk_add_f32 v[8:9], v[6:7], v[10:11]
	v_ldexp_f32 v3, v3, 1
	v_sub_f32_e32 v5, v9, v11
	v_sub_f32_e32 v5, v7, v5
	v_add_f32_e32 v13, v3, v5
	v_mov_b32_e32 v12, v6
	v_pk_add_f32 v[6:7], v[8:9], v[6:7] neg_lo:[0,1] neg_hi:[0,1]
	v_pk_add_f32 v[14:15], v[8:9], v[12:13]
	v_mov_b32_e32 v11, v8
	v_mov_b32_e32 v7, v15
	v_pk_add_f32 v[16:17], v[10:11], v[6:7] neg_lo:[0,1] neg_hi:[0,1]
	v_pk_add_f32 v[6:7], v[10:11], v[6:7]
	v_mov_b32_e32 v12, v13
	v_mov_b32_e32 v10, v7
	v_pk_add_f32 v[18:19], v[10:11], v[8:9] neg_lo:[0,1] neg_hi:[0,1]
	v_mov_b32_e32 v6, v15
	v_mov_b32_e32 v3, v18
	v_pk_add_f32 v[20:21], v[14:15], v[2:3] neg_lo:[0,1] neg_hi:[0,1]
	v_mov_b32_e32 v14, v9
	v_mov_b32_e32 v15, v18
	;; [unrolled: 1-line block ×3, first 2 shown]
	v_pk_add_f32 v[6:7], v[6:7], v[14:15] neg_lo:[0,1] neg_hi:[0,1]
	v_mov_b32_e32 v13, v8
	v_pk_add_f32 v[6:7], v[12:13], v[6:7] neg_lo:[0,1] neg_hi:[0,1]
	v_mov_b32_e32 v20, v16
	v_pk_add_f32 v[8:9], v[20:21], v[6:7]
	s_mov_b32 s4, 0x7f800000
	v_mov_b32_e32 v12, v9
	v_pk_add_f32 v[12:13], v[8:9], v[12:13]
	v_cmp_eq_f32_e32 vcc, s4, v4
	v_pk_add_f32 v[10:11], v[10:11], v[12:13]
	v_mov_b32_e32 v7, v12
	v_mov_b32_e32 v9, v10
	v_pk_add_f32 v[14:15], v[8:9], v[16:17] neg_lo:[0,1] neg_hi:[0,1]
	v_mov_b32_e32 v5, 0x7fc00000
	v_sub_f32_e32 v3, v8, v14
	v_pk_add_f32 v[6:7], v[6:7], v[14:15] neg_lo:[0,1] neg_hi:[0,1]
	v_sub_f32_e32 v3, v16, v3
	v_add_f32_e32 v3, v6, v3
	v_add_f32_e32 v3, v3, v7
	;; [unrolled: 1-line block ×3, first 2 shown]
	v_cndmask_b32_e32 v3, v3, v4, vcc
	v_cmp_ngt_f32_e32 vcc, -1.0, v4
	s_mov_b32 s4, 0x33800000
	s_nop 0
	v_cndmask_b32_e32 v3, v5, v3, vcc
	v_mov_b32_e32 v5, 0xff800000
	v_cmp_neq_f32_e32 vcc, -1.0, v4
	s_nop 1
	v_cndmask_b32_e32 v3, v5, v3, vcc
	v_cmp_lt_f32_e64 vcc, |v4|, s4
	s_nop 1
	v_cndmask_b32_e32 v3, v3, v4, vcc
	v_mul_f32_e32 v3, 0.5, v3
.LBB272_44:
	s_or_b64 exec, exec, s[2:3]
.LBB272_45:
	s_or_b64 exec, exec, s[0:1]
	v_max_f32_e64 v6, |v0|, |v0|
	v_max_f32_e64 v7, |v1|, |v1|
	v_min_f32_e32 v6, v7, v6
	v_frexp_mant_f32_e32 v7, v2
	v_rcp_f32_e32 v7, v7
	v_frexp_exp_i32_f32_e32 v2, v2
	v_frexp_exp_i32_f32_e32 v8, v6
	v_frexp_mant_f32_e32 v6, v6
	v_mul_f32_e32 v6, v6, v7
	v_sub_u32_e32 v2, v8, v2
	v_ldexp_f32 v2, v6, v2
	v_mul_f32_e32 v6, v2, v2
	v_mov_b32_e32 v7, 0xbc7a590c
	v_fmac_f32_e32 v7, 0x3b2d2a58, v6
	v_fmaak_f32 v7, v6, v7, 0x3d29fb3f
	v_fmaak_f32 v7, v6, v7, 0xbd97d4d7
	;; [unrolled: 1-line block ×6, first 2 shown]
	s_movk_i32 s0, 0x204
	v_mov_b32_e32 v4, 0x3f490fdb
	v_mov_b32_e32 v5, 0x4016cbe4
	v_cmp_gt_f32_e32 vcc, 0, v1
	v_mul_f32_e32 v6, v6, v7
	v_cmp_class_f32_e64 s[2:3], v0, s0
	v_cmp_class_f32_e64 s[4:5], v1, s0
	v_cndmask_b32_e32 v4, v4, v5, vcc
	v_mov_b32_e32 v5, 0x40490fdb
	v_cmp_gt_i32_e64 s[0:1], 0, v1
	v_fmac_f32_e32 v2, v2, v6
	v_sub_f32_e32 v6, 0x3fc90fdb, v2
	v_cndmask_b32_e64 v5, 0, v5, s[0:1]
	v_cmp_gt_f32_e64 s[0:1], |v0|, |v1|
	s_nop 1
	v_cndmask_b32_e64 v2, v2, v6, s[0:1]
	v_sub_f32_e32 v6, 0x40490fdb, v2
	v_cndmask_b32_e32 v2, v2, v6, vcc
	v_cmp_eq_f32_e32 vcc, 0, v0
	s_brev_b32 s0, -2
	s_nop 0
	v_cndmask_b32_e32 v2, v2, v5, vcc
	s_and_b64 vcc, s[2:3], s[4:5]
	v_cndmask_b32_e32 v2, v2, v4, vcc
	v_mov_b32_e32 v4, 0x7fc00000
	v_cmp_o_f32_e32 vcc, v1, v0
	s_nop 1
	v_cndmask_b32_e32 v1, v4, v2, vcc
	v_bfi_b32 v2, s0, v1, v0
.LBB272_46:
	s_or_b64 exec, exec, s[10:11]
.LBB272_47:
	s_or_b64 exec, exec, s[8:9]
	v_mov_b64_e32 v[8:9], v[2:3]
.LBB272_48:
	s_or_b64 exec, exec, s[6:7]
	v_mov_b32_e32 v0, v9
	v_mov_b32_e32 v1, v8
	s_setpc_b64 s[30:31]
.Lfunc_end272:
	.size	_ZZZZN2at6native31launch_logcumsumexp_cuda_kernelERKNS_10TensorBaseES3_lENKUlvE_clEvENKUlvE2_clEvENKUlN3c107complexIfEES8_E_clES8_S8_, .Lfunc_end272-_ZZZZN2at6native31launch_logcumsumexp_cuda_kernelERKNS_10TensorBaseES3_lENKUlvE_clEvENKUlvE2_clEvENKUlN3c107complexIfEES8_E_clES8_S8_
                                        ; -- End function
	.section	.AMDGPU.csdata,"",@progbits
; Function info:
; codeLenInByte = 7984
; NumSgprs: 38
; NumVgprs: 27
; NumAgprs: 0
; TotalNumVgprs: 27
; ScratchSize: 0
; MemoryBound: 0
	.section	.text._ZN7rocprim17ROCPRIM_400000_NS6detail17trampoline_kernelINS0_14default_configENS1_20scan_config_selectorIN3c107complexIfEEEEZZNS1_9scan_implILNS1_25lookback_scan_determinismE0ELb0ELb0ES3_PKS7_PS7_S7_ZZZN2at6native31launch_logcumsumexp_cuda_kernelERKNSE_10TensorBaseESI_lENKUlvE_clEvENKUlvE2_clEvEUlS7_S7_E_S7_EEDaPvRmT3_T4_T5_mT6_P12ihipStream_tbENKUlT_T0_E_clISt17integral_constantIbLb0EESZ_EEDaSU_SV_EUlSU_E_NS1_11comp_targetILNS1_3genE5ELNS1_11target_archE942ELNS1_3gpuE9ELNS1_3repE0EEENS1_30default_config_static_selectorELNS0_4arch9wavefront6targetE1EEEvT1_,"axG",@progbits,_ZN7rocprim17ROCPRIM_400000_NS6detail17trampoline_kernelINS0_14default_configENS1_20scan_config_selectorIN3c107complexIfEEEEZZNS1_9scan_implILNS1_25lookback_scan_determinismE0ELb0ELb0ES3_PKS7_PS7_S7_ZZZN2at6native31launch_logcumsumexp_cuda_kernelERKNSE_10TensorBaseESI_lENKUlvE_clEvENKUlvE2_clEvEUlS7_S7_E_S7_EEDaPvRmT3_T4_T5_mT6_P12ihipStream_tbENKUlT_T0_E_clISt17integral_constantIbLb0EESZ_EEDaSU_SV_EUlSU_E_NS1_11comp_targetILNS1_3genE5ELNS1_11target_archE942ELNS1_3gpuE9ELNS1_3repE0EEENS1_30default_config_static_selectorELNS0_4arch9wavefront6targetE1EEEvT1_,comdat
	.globl	_ZN7rocprim17ROCPRIM_400000_NS6detail17trampoline_kernelINS0_14default_configENS1_20scan_config_selectorIN3c107complexIfEEEEZZNS1_9scan_implILNS1_25lookback_scan_determinismE0ELb0ELb0ES3_PKS7_PS7_S7_ZZZN2at6native31launch_logcumsumexp_cuda_kernelERKNSE_10TensorBaseESI_lENKUlvE_clEvENKUlvE2_clEvEUlS7_S7_E_S7_EEDaPvRmT3_T4_T5_mT6_P12ihipStream_tbENKUlT_T0_E_clISt17integral_constantIbLb0EESZ_EEDaSU_SV_EUlSU_E_NS1_11comp_targetILNS1_3genE5ELNS1_11target_archE942ELNS1_3gpuE9ELNS1_3repE0EEENS1_30default_config_static_selectorELNS0_4arch9wavefront6targetE1EEEvT1_ ; -- Begin function _ZN7rocprim17ROCPRIM_400000_NS6detail17trampoline_kernelINS0_14default_configENS1_20scan_config_selectorIN3c107complexIfEEEEZZNS1_9scan_implILNS1_25lookback_scan_determinismE0ELb0ELb0ES3_PKS7_PS7_S7_ZZZN2at6native31launch_logcumsumexp_cuda_kernelERKNSE_10TensorBaseESI_lENKUlvE_clEvENKUlvE2_clEvEUlS7_S7_E_S7_EEDaPvRmT3_T4_T5_mT6_P12ihipStream_tbENKUlT_T0_E_clISt17integral_constantIbLb0EESZ_EEDaSU_SV_EUlSU_E_NS1_11comp_targetILNS1_3genE5ELNS1_11target_archE942ELNS1_3gpuE9ELNS1_3repE0EEENS1_30default_config_static_selectorELNS0_4arch9wavefront6targetE1EEEvT1_
	.p2align	8
	.type	_ZN7rocprim17ROCPRIM_400000_NS6detail17trampoline_kernelINS0_14default_configENS1_20scan_config_selectorIN3c107complexIfEEEEZZNS1_9scan_implILNS1_25lookback_scan_determinismE0ELb0ELb0ES3_PKS7_PS7_S7_ZZZN2at6native31launch_logcumsumexp_cuda_kernelERKNSE_10TensorBaseESI_lENKUlvE_clEvENKUlvE2_clEvEUlS7_S7_E_S7_EEDaPvRmT3_T4_T5_mT6_P12ihipStream_tbENKUlT_T0_E_clISt17integral_constantIbLb0EESZ_EEDaSU_SV_EUlSU_E_NS1_11comp_targetILNS1_3genE5ELNS1_11target_archE942ELNS1_3gpuE9ELNS1_3repE0EEENS1_30default_config_static_selectorELNS0_4arch9wavefront6targetE1EEEvT1_,@function
_ZN7rocprim17ROCPRIM_400000_NS6detail17trampoline_kernelINS0_14default_configENS1_20scan_config_selectorIN3c107complexIfEEEEZZNS1_9scan_implILNS1_25lookback_scan_determinismE0ELb0ELb0ES3_PKS7_PS7_S7_ZZZN2at6native31launch_logcumsumexp_cuda_kernelERKNSE_10TensorBaseESI_lENKUlvE_clEvENKUlvE2_clEvEUlS7_S7_E_S7_EEDaPvRmT3_T4_T5_mT6_P12ihipStream_tbENKUlT_T0_E_clISt17integral_constantIbLb0EESZ_EEDaSU_SV_EUlSU_E_NS1_11comp_targetILNS1_3genE5ELNS1_11target_archE942ELNS1_3gpuE9ELNS1_3repE0EEENS1_30default_config_static_selectorELNS0_4arch9wavefront6targetE1EEEvT1_: ; @_ZN7rocprim17ROCPRIM_400000_NS6detail17trampoline_kernelINS0_14default_configENS1_20scan_config_selectorIN3c107complexIfEEEEZZNS1_9scan_implILNS1_25lookback_scan_determinismE0ELb0ELb0ES3_PKS7_PS7_S7_ZZZN2at6native31launch_logcumsumexp_cuda_kernelERKNSE_10TensorBaseESI_lENKUlvE_clEvENKUlvE2_clEvEUlS7_S7_E_S7_EEDaPvRmT3_T4_T5_mT6_P12ihipStream_tbENKUlT_T0_E_clISt17integral_constantIbLb0EESZ_EEDaSU_SV_EUlSU_E_NS1_11comp_targetILNS1_3genE5ELNS1_11target_archE942ELNS1_3gpuE9ELNS1_3repE0EEENS1_30default_config_static_selectorELNS0_4arch9wavefront6targetE1EEEvT1_
; %bb.0:
	s_mov_b64 s[16:17], s[0:1]
	s_load_dwordx8 s[36:43], s[0:1], 0x0
	s_nop 0
	s_load_dword s0, s[0:1], 0x38
	s_mov_b32 s24, s2
	s_mov_b32 s1, 0
	v_mov_b32_e32 v64, v0
	s_waitcnt lgkmcnt(0)
	s_lshl_b64 s[34:35], s[38:39], 3
	s_add_u32 s2, s36, s34
	s_addc_u32 s3, s37, s35
	s_add_i32 s4, s0, -1
	s_mul_i32 s5, s4, 0xf00
	s_sub_u32 s33, s42, s5
	s_subb_u32 s48, s43, 0
	s_mul_i32 s0, s24, 0xf00
	s_cmp_lg_u32 s24, s4
	s_cselect_b64 s[28:29], -1, 0
	s_lshl_b64 s[36:37], s[0:1], 3
	s_add_u32 s2, s2, s36
	s_addc_u32 s3, s3, s37
	s_mov_b64 s[0:1], -1
	s_and_b64 vcc, exec, s[28:29]
	v_lshlrev_b32_e32 v94, 3, v64
	s_mov_b32 s32, 0
	s_cbranch_vccz .LBB273_2
; %bb.1:
	v_mov_b32_e32 v95, 0
	v_lshl_add_u64 v[0:1], s[2:3], 0, v[94:95]
	v_add_co_u32_e32 v6, vcc, 0x1000, v0
	global_load_dwordx2 v[2:3], v94, s[2:3]
	global_load_dwordx2 v[4:5], v94, s[2:3] offset:2048
	v_addc_co_u32_e32 v7, vcc, 0, v1, vcc
	v_add_co_u32_e32 v8, vcc, 0x2000, v0
	s_mov_b64 s[0:1], 0
	s_nop 0
	v_addc_co_u32_e32 v9, vcc, 0, v1, vcc
	global_load_dwordx2 v[10:11], v[6:7], off
	global_load_dwordx2 v[12:13], v[6:7], off offset:2048
	global_load_dwordx2 v[14:15], v[8:9], off
	global_load_dwordx2 v[16:17], v[8:9], off offset:2048
	v_add_co_u32_e32 v6, vcc, 0x3000, v0
	s_nop 1
	v_addc_co_u32_e32 v7, vcc, 0, v1, vcc
	v_add_co_u32_e32 v8, vcc, 0x4000, v0
	s_nop 1
	v_addc_co_u32_e32 v9, vcc, 0, v1, vcc
	global_load_dwordx2 v[18:19], v[6:7], off
	global_load_dwordx2 v[20:21], v[6:7], off offset:2048
	global_load_dwordx2 v[22:23], v[8:9], off
	global_load_dwordx2 v[24:25], v[8:9], off offset:2048
	v_add_co_u32_e32 v6, vcc, 0x5000, v0
	s_nop 1
	v_addc_co_u32_e32 v7, vcc, 0, v1, vcc
	v_add_co_u32_e32 v8, vcc, 0x6000, v0
	s_nop 1
	v_addc_co_u32_e32 v9, vcc, 0, v1, vcc
	global_load_dwordx2 v[26:27], v[6:7], off
	global_load_dwordx2 v[28:29], v[6:7], off offset:2048
	global_load_dwordx2 v[30:31], v[8:9], off
	global_load_dwordx2 v[32:33], v[8:9], off offset:2048
	v_add_co_u32_e32 v0, vcc, 0x7000, v0
	s_nop 1
	v_addc_co_u32_e32 v1, vcc, 0, v1, vcc
	global_load_dwordx2 v[0:1], v[0:1], off
	s_waitcnt vmcnt(13)
	ds_write2st64_b64 v94, v[2:3], v[4:5] offset1:4
	s_waitcnt vmcnt(11)
	ds_write2st64_b64 v94, v[10:11], v[12:13] offset0:8 offset1:12
	s_waitcnt vmcnt(9)
	ds_write2st64_b64 v94, v[14:15], v[16:17] offset0:16 offset1:20
	;; [unrolled: 2-line block ×6, first 2 shown]
	s_waitcnt vmcnt(0)
	ds_write_b64 v94, v[0:1] offset:28672
	s_waitcnt lgkmcnt(0)
	s_barrier
.LBB273_2:
	s_load_dwordx2 s[38:39], s[16:17], 0x30
	s_andn2_b64 vcc, exec, s[0:1]
	v_cmp_gt_u32_e64 s[0:1], s33, v64
	s_cbranch_vccnz .LBB273_34
; %bb.3:
	s_load_dwordx2 s[4:5], s[2:3], 0x0
	s_waitcnt lgkmcnt(0)
	v_mov_b64_e32 v[0:1], s[4:5]
	s_and_saveexec_b64 s[6:7], s[0:1]
	s_cbranch_execz .LBB273_5
; %bb.4:
	global_load_dwordx2 v[0:1], v94, s[2:3]
.LBB273_5:
	s_or_b64 exec, exec, s[6:7]
	v_or_b32_e32 v2, 0x100, v64
	v_cmp_gt_u32_e32 vcc, s33, v2
	v_mov_b64_e32 v[2:3], s[4:5]
	s_and_saveexec_b64 s[0:1], vcc
	s_cbranch_execz .LBB273_7
; %bb.6:
	global_load_dwordx2 v[2:3], v94, s[2:3] offset:2048
.LBB273_7:
	s_or_b64 exec, exec, s[0:1]
	v_or_b32_e32 v6, 0x200, v64
	v_cmp_gt_u32_e32 vcc, s33, v6
	v_mov_b64_e32 v[4:5], s[4:5]
	s_and_saveexec_b64 s[0:1], vcc
	s_cbranch_execz .LBB273_9
; %bb.8:
	v_lshlrev_b32_e32 v4, 3, v6
	global_load_dwordx2 v[4:5], v4, s[2:3]
.LBB273_9:
	s_or_b64 exec, exec, s[0:1]
	v_or_b32_e32 v8, 0x300, v64
	v_cmp_gt_u32_e32 vcc, s33, v8
	v_mov_b64_e32 v[6:7], s[4:5]
	s_and_saveexec_b64 s[0:1], vcc
	s_cbranch_execz .LBB273_11
; %bb.10:
	v_lshlrev_b32_e32 v6, 3, v8
	global_load_dwordx2 v[6:7], v6, s[2:3]
.LBB273_11:
	s_or_b64 exec, exec, s[0:1]
	v_or_b32_e32 v10, 0x400, v64
	v_cmp_gt_u32_e32 vcc, s33, v10
	v_mov_b64_e32 v[8:9], s[4:5]
	s_and_saveexec_b64 s[0:1], vcc
	s_cbranch_execz .LBB273_13
; %bb.12:
	v_lshlrev_b32_e32 v8, 3, v10
	global_load_dwordx2 v[8:9], v8, s[2:3]
.LBB273_13:
	s_or_b64 exec, exec, s[0:1]
	v_or_b32_e32 v12, 0x500, v64
	v_cmp_gt_u32_e32 vcc, s33, v12
	v_mov_b64_e32 v[10:11], s[4:5]
	s_and_saveexec_b64 s[0:1], vcc
	s_cbranch_execz .LBB273_15
; %bb.14:
	v_lshlrev_b32_e32 v10, 3, v12
	global_load_dwordx2 v[10:11], v10, s[2:3]
.LBB273_15:
	s_or_b64 exec, exec, s[0:1]
	v_or_b32_e32 v14, 0x600, v64
	v_cmp_gt_u32_e32 vcc, s33, v14
	v_mov_b64_e32 v[12:13], s[4:5]
	s_and_saveexec_b64 s[0:1], vcc
	s_cbranch_execz .LBB273_17
; %bb.16:
	v_lshlrev_b32_e32 v12, 3, v14
	global_load_dwordx2 v[12:13], v12, s[2:3]
.LBB273_17:
	s_or_b64 exec, exec, s[0:1]
	v_or_b32_e32 v16, 0x700, v64
	v_cmp_gt_u32_e32 vcc, s33, v16
	v_mov_b64_e32 v[14:15], s[4:5]
	s_and_saveexec_b64 s[0:1], vcc
	s_cbranch_execz .LBB273_19
; %bb.18:
	v_lshlrev_b32_e32 v14, 3, v16
	global_load_dwordx2 v[14:15], v14, s[2:3]
.LBB273_19:
	s_or_b64 exec, exec, s[0:1]
	v_or_b32_e32 v18, 0x800, v64
	v_cmp_gt_u32_e32 vcc, s33, v18
	v_mov_b64_e32 v[16:17], s[4:5]
	s_and_saveexec_b64 s[0:1], vcc
	s_cbranch_execz .LBB273_21
; %bb.20:
	v_lshlrev_b32_e32 v16, 3, v18
	global_load_dwordx2 v[16:17], v16, s[2:3]
.LBB273_21:
	s_or_b64 exec, exec, s[0:1]
	v_or_b32_e32 v20, 0x900, v64
	v_cmp_gt_u32_e32 vcc, s33, v20
	v_mov_b64_e32 v[18:19], s[4:5]
	s_and_saveexec_b64 s[0:1], vcc
	s_cbranch_execz .LBB273_23
; %bb.22:
	v_lshlrev_b32_e32 v18, 3, v20
	global_load_dwordx2 v[18:19], v18, s[2:3]
.LBB273_23:
	s_or_b64 exec, exec, s[0:1]
	v_or_b32_e32 v22, 0xa00, v64
	v_cmp_gt_u32_e32 vcc, s33, v22
	v_mov_b64_e32 v[20:21], s[4:5]
	s_and_saveexec_b64 s[0:1], vcc
	s_cbranch_execz .LBB273_25
; %bb.24:
	v_lshlrev_b32_e32 v20, 3, v22
	global_load_dwordx2 v[20:21], v20, s[2:3]
.LBB273_25:
	s_or_b64 exec, exec, s[0:1]
	v_or_b32_e32 v24, 0xb00, v64
	v_cmp_gt_u32_e32 vcc, s33, v24
	v_mov_b64_e32 v[22:23], s[4:5]
	s_and_saveexec_b64 s[0:1], vcc
	s_cbranch_execz .LBB273_27
; %bb.26:
	v_lshlrev_b32_e32 v22, 3, v24
	global_load_dwordx2 v[22:23], v22, s[2:3]
.LBB273_27:
	s_or_b64 exec, exec, s[0:1]
	v_or_b32_e32 v26, 0xc00, v64
	v_cmp_gt_u32_e32 vcc, s33, v26
	v_mov_b64_e32 v[24:25], s[4:5]
	s_and_saveexec_b64 s[0:1], vcc
	s_cbranch_execz .LBB273_29
; %bb.28:
	v_lshlrev_b32_e32 v24, 3, v26
	global_load_dwordx2 v[24:25], v24, s[2:3]
.LBB273_29:
	s_or_b64 exec, exec, s[0:1]
	v_or_b32_e32 v28, 0xd00, v64
	v_cmp_gt_u32_e32 vcc, s33, v28
	v_mov_b64_e32 v[26:27], s[4:5]
	s_and_saveexec_b64 s[0:1], vcc
	s_cbranch_execz .LBB273_31
; %bb.30:
	v_lshlrev_b32_e32 v26, 3, v28
	global_load_dwordx2 v[26:27], v26, s[2:3]
.LBB273_31:
	s_or_b64 exec, exec, s[0:1]
	v_or_b32_e32 v30, 0xe00, v64
	v_cmp_gt_u32_e32 vcc, s33, v30
	v_mov_b64_e32 v[28:29], s[4:5]
	s_and_saveexec_b64 s[0:1], vcc
	s_cbranch_execz .LBB273_33
; %bb.32:
	v_lshlrev_b32_e32 v28, 3, v30
	global_load_dwordx2 v[28:29], v28, s[2:3]
.LBB273_33:
	s_or_b64 exec, exec, s[0:1]
	s_waitcnt vmcnt(0)
	ds_write2st64_b64 v94, v[0:1], v[2:3] offset1:4
	ds_write2st64_b64 v94, v[4:5], v[6:7] offset0:8 offset1:12
	ds_write2st64_b64 v94, v[8:9], v[10:11] offset0:16 offset1:20
	;; [unrolled: 1-line block ×6, first 2 shown]
	ds_write_b64 v94, v[28:29] offset:28672
	s_waitcnt lgkmcnt(0)
	s_barrier
.LBB273_34:
	v_mul_u32_u24_e32 v96, 15, v64
	v_lshlrev_b32_e32 v65, 3, v96
	s_waitcnt lgkmcnt(0)
	ds_read2_b64 v[28:31], v65 offset1:1
	ds_read2_b64 v[52:55], v65 offset0:2 offset1:3
	ds_read2_b64 v[48:51], v65 offset0:4 offset1:5
	;; [unrolled: 1-line block ×6, first 2 shown]
	ds_read_b64 v[66:67], v65 offset:112
	s_cmp_lg_u32 s24, 0
	s_waitcnt lgkmcnt(0)
	s_barrier
	s_cbranch_scc0 .LBB273_92
; %bb.35:
	v_mov_b32_e32 v0, v28
	v_mov_b32_e32 v1, v29
	;; [unrolled: 1-line block ×4, first 2 shown]
	s_getpc_b64 s[20:21]
	s_add_u32 s20, s20, _ZZZZN2at6native31launch_logcumsumexp_cuda_kernelERKNS_10TensorBaseES3_lENKUlvE_clEvENKUlvE2_clEvENKUlN3c107complexIfEES8_E_clES8_S8_@rel32@lo+4
	s_addc_u32 s21, s21, _ZZZZN2at6native31launch_logcumsumexp_cuda_kernelERKNS_10TensorBaseES3_lENKUlvE_clEvENKUlvE2_clEvENKUlN3c107complexIfEES8_E_clES8_S8_@rel32@hi+12
	s_swappc_b64 s[30:31], s[20:21]
	v_mov_b32_e32 v2, v52
	v_mov_b32_e32 v3, v53
	s_swappc_b64 s[30:31], s[20:21]
	v_mov_b32_e32 v2, v54
	v_mov_b32_e32 v3, v55
	;; [unrolled: 3-line block ×13, first 2 shown]
	s_swappc_b64 s[30:31], s[20:21]
	v_mov_b32_e32 v68, v0
	v_lshrrev_b32_e32 v0, 5, v64
	v_mov_b32_e32 v69, v1
	v_add_lshl_u32 v0, v0, v64, 3
	v_cmp_gt_u32_e64 s[22:23], 64, v64
	ds_write_b64 v0, v[68:69]
	s_waitcnt lgkmcnt(0)
	s_barrier
	s_and_saveexec_b64 s[18:19], s[22:23]
	s_cbranch_execz .LBB273_49
; %bb.36:
	v_lshlrev_b32_e32 v0, 2, v64
	v_lshrrev_b32_e32 v1, 3, v64
	v_add_lshl_u32 v27, v1, v0, 3
	ds_read_b64 v[56:57], v27
	ds_read2_b64 v[58:61], v27 offset0:1 offset1:2
	s_waitcnt lgkmcnt(1)
	v_mov_b32_e32 v0, v56
	v_mov_b32_e32 v1, v57
	s_waitcnt lgkmcnt(0)
	v_mov_b32_e32 v2, v58
	v_mov_b32_e32 v3, v59
	s_swappc_b64 s[30:31], s[20:21]
	v_mov_b32_e32 v2, v60
	v_mov_b32_e32 v3, v61
	s_swappc_b64 s[30:31], s[20:21]
	ds_read_b64 v[2:3], v27 offset:24
	s_swappc_b64 s[30:31], s[20:21]
	v_mov_b32_e32 v2, v0
	v_mbcnt_lo_u32_b32 v0, -1, 0
	v_mbcnt_hi_u32_b32 v58, -1, v0
	v_mov_b32_e32 v3, v1
	v_and_b32_e32 v59, 15, v58
	v_mov_b32_dpp v0, v2 row_shr:1 row_mask:0xf bank_mask:0xf
	v_mov_b32_dpp v1, v3 row_shr:1 row_mask:0xf bank_mask:0xf
	v_cmp_ne_u32_e32 vcc, 0, v59
	s_and_saveexec_b64 s[20:21], vcc
	s_cbranch_execz .LBB273_38
; %bb.37:
	s_getpc_b64 s[0:1]
	s_add_u32 s0, s0, _ZZZZN2at6native31launch_logcumsumexp_cuda_kernelERKNS_10TensorBaseES3_lENKUlvE_clEvENKUlvE2_clEvENKUlN3c107complexIfEES8_E_clES8_S8_@rel32@lo+4
	s_addc_u32 s1, s1, _ZZZZN2at6native31launch_logcumsumexp_cuda_kernelERKNS_10TensorBaseES3_lENKUlvE_clEvENKUlvE2_clEvENKUlN3c107complexIfEES8_E_clES8_S8_@rel32@hi+12
	s_swappc_b64 s[30:31], s[0:1]
	v_mov_b32_e32 v2, v0
	v_mov_b32_e32 v3, v1
.LBB273_38:
	s_or_b64 exec, exec, s[20:21]
	v_mov_b32_dpp v0, v2 row_shr:2 row_mask:0xf bank_mask:0xf
	v_mov_b32_dpp v1, v3 row_shr:2 row_mask:0xf bank_mask:0xf
	v_cmp_lt_u32_e32 vcc, 1, v59
	s_and_saveexec_b64 s[20:21], vcc
	s_cbranch_execz .LBB273_40
; %bb.39:
	s_getpc_b64 s[0:1]
	s_add_u32 s0, s0, _ZZZZN2at6native31launch_logcumsumexp_cuda_kernelERKNS_10TensorBaseES3_lENKUlvE_clEvENKUlvE2_clEvENKUlN3c107complexIfEES8_E_clES8_S8_@rel32@lo+4
	s_addc_u32 s1, s1, _ZZZZN2at6native31launch_logcumsumexp_cuda_kernelERKNS_10TensorBaseES3_lENKUlvE_clEvENKUlvE2_clEvENKUlN3c107complexIfEES8_E_clES8_S8_@rel32@hi+12
	s_swappc_b64 s[30:31], s[0:1]
	v_mov_b32_e32 v2, v0
	v_mov_b32_e32 v3, v1
.LBB273_40:
	s_or_b64 exec, exec, s[20:21]
	v_mov_b32_dpp v0, v2 row_shr:4 row_mask:0xf bank_mask:0xf
	v_mov_b32_dpp v1, v3 row_shr:4 row_mask:0xf bank_mask:0xf
	v_cmp_lt_u32_e32 vcc, 3, v59
	;; [unrolled: 14-line block ×3, first 2 shown]
	s_and_saveexec_b64 s[20:21], vcc
	s_cbranch_execz .LBB273_44
; %bb.43:
	s_getpc_b64 s[0:1]
	s_add_u32 s0, s0, _ZZZZN2at6native31launch_logcumsumexp_cuda_kernelERKNS_10TensorBaseES3_lENKUlvE_clEvENKUlvE2_clEvENKUlN3c107complexIfEES8_E_clES8_S8_@rel32@lo+4
	s_addc_u32 s1, s1, _ZZZZN2at6native31launch_logcumsumexp_cuda_kernelERKNS_10TensorBaseES3_lENKUlvE_clEvENKUlvE2_clEvENKUlN3c107complexIfEES8_E_clES8_S8_@rel32@hi+12
	s_swappc_b64 s[30:31], s[0:1]
	v_mov_b32_e32 v2, v0
	v_mov_b32_e32 v3, v1
.LBB273_44:
	s_or_b64 exec, exec, s[20:21]
	v_and_b32_e32 v4, 16, v58
	v_mov_b32_dpp v0, v2 row_bcast:15 row_mask:0xf bank_mask:0xf
	v_mov_b32_dpp v1, v3 row_bcast:15 row_mask:0xf bank_mask:0xf
	v_cmp_ne_u32_e32 vcc, 0, v4
	s_and_saveexec_b64 s[20:21], vcc
	s_cbranch_execz .LBB273_46
; %bb.45:
	s_getpc_b64 s[0:1]
	s_add_u32 s0, s0, _ZZZZN2at6native31launch_logcumsumexp_cuda_kernelERKNS_10TensorBaseES3_lENKUlvE_clEvENKUlvE2_clEvENKUlN3c107complexIfEES8_E_clES8_S8_@rel32@lo+4
	s_addc_u32 s1, s1, _ZZZZN2at6native31launch_logcumsumexp_cuda_kernelERKNS_10TensorBaseES3_lENKUlvE_clEvENKUlvE2_clEvENKUlN3c107complexIfEES8_E_clES8_S8_@rel32@hi+12
	s_swappc_b64 s[30:31], s[0:1]
	v_mov_b32_e32 v2, v0
	v_mov_b32_e32 v3, v1
.LBB273_46:
	s_or_b64 exec, exec, s[20:21]
	v_mov_b32_dpp v0, v2 row_bcast:31 row_mask:0xf bank_mask:0xf
	v_mov_b32_dpp v1, v3 row_bcast:31 row_mask:0xf bank_mask:0xf
	v_cmp_lt_u32_e32 vcc, 31, v58
	s_and_saveexec_b64 s[20:21], vcc
	s_cbranch_execz .LBB273_48
; %bb.47:
	s_getpc_b64 s[0:1]
	s_add_u32 s0, s0, _ZZZZN2at6native31launch_logcumsumexp_cuda_kernelERKNS_10TensorBaseES3_lENKUlvE_clEvENKUlvE2_clEvENKUlN3c107complexIfEES8_E_clES8_S8_@rel32@lo+4
	s_addc_u32 s1, s1, _ZZZZN2at6native31launch_logcumsumexp_cuda_kernelERKNS_10TensorBaseES3_lENKUlvE_clEvENKUlvE2_clEvENKUlN3c107complexIfEES8_E_clES8_S8_@rel32@hi+12
	s_swappc_b64 s[30:31], s[0:1]
	v_mov_b32_e32 v2, v0
	v_mov_b32_e32 v3, v1
.LBB273_48:
	s_or_b64 exec, exec, s[20:21]
	v_add_u32_e32 v0, -1, v58
	v_and_b32_e32 v1, 64, v58
	v_cmp_lt_i32_e32 vcc, v0, v1
	s_getpc_b64 s[20:21]
	s_add_u32 s20, s20, _ZZZZN2at6native31launch_logcumsumexp_cuda_kernelERKNS_10TensorBaseES3_lENKUlvE_clEvENKUlvE2_clEvENKUlN3c107complexIfEES8_E_clES8_S8_@rel32@lo+4
	s_addc_u32 s21, s21, _ZZZZN2at6native31launch_logcumsumexp_cuda_kernelERKNS_10TensorBaseES3_lENKUlvE_clEvENKUlvE2_clEvENKUlN3c107complexIfEES8_E_clES8_S8_@rel32@hi+12
	v_cndmask_b32_e32 v0, v0, v58, vcc
	v_lshlrev_b32_e32 v1, 2, v0
	ds_bpermute_b32 v0, v1, v2
	ds_bpermute_b32 v1, v1, v3
	v_mov_b32_e32 v2, v56
	v_mov_b32_e32 v3, v57
	s_swappc_b64 s[30:31], s[20:21]
	v_cmp_eq_u32_e32 vcc, 0, v64
	; wave barrier
	s_nop 1
	v_cndmask_b32_e32 v0, v0, v68, vcc
	v_cndmask_b32_e32 v1, v1, v69, vcc
	ds_write_b64 v27, v[0:1]
	; wave barrier
	ds_read2_b64 v[56:59], v27 offset0:1 offset1:2
	s_waitcnt lgkmcnt(0)
	v_mov_b32_e32 v2, v56
	v_mov_b32_e32 v3, v57
	s_swappc_b64 s[30:31], s[20:21]
	v_mov_b32_e32 v2, v58
	v_mov_b32_e32 v3, v59
	;; [unrolled: 1-line block ×4, first 2 shown]
	s_swappc_b64 s[30:31], s[20:21]
	ds_read_b64 v[2:3], v27 offset:24
	ds_write2_b64 v27, v[56:57], v[0:1] offset0:1 offset1:2
	s_swappc_b64 s[30:31], s[20:21]
	ds_write_b64 v27, v[0:1] offset:24
.LBB273_49:
	s_or_b64 exec, exec, s[18:19]
	v_cmp_eq_u32_e64 s[20:21], 0, v64
	v_cmp_ne_u32_e64 s[18:19], 0, v64
	s_waitcnt lgkmcnt(0)
	s_barrier
	s_and_saveexec_b64 s[0:1], s[18:19]
	s_cbranch_execz .LBB273_51
; %bb.50:
	v_add_u32_e32 v0, -1, v64
	v_lshrrev_b32_e32 v1, 5, v0
	v_add_lshl_u32 v0, v1, v0, 3
	ds_read_b64 v[68:69], v0
.LBB273_51:
	s_or_b64 exec, exec, s[0:1]
	s_and_saveexec_b64 s[26:27], s[22:23]
	s_cbranch_execz .LBB273_97
; %bb.52:
	v_mov_b32_e32 v59, 0
	ds_read_b64 v[56:57], v59 offset:2096
	v_mbcnt_lo_u32_b32 v0, -1, 0
	v_mbcnt_hi_u32_b32 v71, -1, v0
	s_mov_b32 s3, 0
	v_cmp_eq_u32_e64 s[22:23], 0, v71
	s_waitcnt lgkmcnt(0)
	v_readfirstlane_b32 s25, v57
	s_and_saveexec_b64 s[0:1], s[22:23]
	s_cbranch_execz .LBB273_54
; %bb.53:
	s_add_i32 s2, s24, 64
	s_lshl_b64 s[4:5], s[2:3], 4
	s_add_u32 s4, s38, s4
	s_addc_u32 s5, s39, s5
	s_and_b32 s7, s25, 0xff000000
	s_mov_b32 s6, s3
	s_and_b32 s9, s25, 0xff0000
	s_mov_b32 s8, s3
	s_or_b64 s[6:7], s[8:9], s[6:7]
	s_and_b32 s9, s25, 0xff00
	s_or_b64 s[6:7], s[6:7], s[8:9]
	s_and_b32 s9, s25, 0xff
	s_or_b64 s[2:3], s[6:7], s[8:9]
	v_mov_b32_e32 v57, s3
	v_mov_b32_e32 v58, 1
	v_mov_b64_e32 v[0:1], s[4:5]
	;;#ASMSTART
	global_store_dwordx4 v[0:1], v[56:59] off sc1	
s_waitcnt vmcnt(0)
	;;#ASMEND
.LBB273_54:
	s_or_b64 exec, exec, s[0:1]
	v_xad_u32 v70, v71, -1, s24
	v_add_u32_e32 v58, 64, v70
	s_mov_b32 s0, 0x1000706
	v_lshl_add_u64 v[0:1], v[58:59], 4, s[38:39]
	;;#ASMSTART
	global_load_dwordx4 v[60:63], v[0:1] off sc1	
s_waitcnt vmcnt(0)
	;;#ASMEND
	s_mov_b32 s1, 0x7020504
	v_perm_b32 v2, v61, v62, s0
	s_mov_b32 s2, 0x3060504
	v_lshlrev_b32_e32 v2, 16, v2
	v_perm_b32 v27, v61, v2, s1
	v_perm_b32 v61, v60, v60, s2
	v_cmp_eq_u16_sdwa s[2:3], v62, v59 src0_sel:BYTE_0 src1_sel:DWORD
	s_and_saveexec_b64 s[0:1], s[2:3]
	s_cbranch_execz .LBB273_58
; %bb.55:
	s_mov_b64 s[2:3], 0
	v_mov_b32_e32 v2, 0
.LBB273_56:                             ; =>This Inner Loop Header: Depth=1
	;;#ASMSTART
	global_load_dwordx4 v[60:63], v[0:1] off sc1	
s_waitcnt vmcnt(0)
	;;#ASMEND
	s_nop 0
	v_cmp_ne_u16_sdwa s[4:5], v62, v2 src0_sel:BYTE_0 src1_sel:DWORD
	s_or_b64 s[2:3], s[4:5], s[2:3]
	s_andn2_b64 exec, exec, s[2:3]
	s_cbranch_execnz .LBB273_56
; %bb.57:
	s_or_b64 exec, exec, s[2:3]
	s_mov_b32 s2, 0x2010007
	v_perm_b32 v0, v61, v62, s2
	s_mov_b32 s2, 0x1000706
	v_perm_b32 v1, v61, v62, s2
	v_lshlrev_b32_e32 v1, 16, v1
	s_mov_b32 s2, 0xc060100
	v_perm_b32 v1, v1, v61, s2
	s_mov_b32 s2, 0x3020504
	v_lshl_or_b32 v27, v0, 24, v1
	v_perm_b32 v61, v60, v60, s2
.LBB273_58:
	s_or_b64 exec, exec, s[0:1]
	v_mov_b32_e32 v0, 2
	v_cmp_eq_u16_sdwa s[0:1], v62, v0 src0_sel:BYTE_0 src1_sel:DWORD
	v_lshlrev_b64 v[72:73], v71, -1
	v_and_b32_e32 v74, 63, v71
	v_and_b32_e32 v0, s1, v73
	v_or_b32_e32 v0, 0x80000000, v0
	v_cmp_ne_u32_e32 vcc, 63, v74
	v_ffbl_b32_e32 v3, v0
	v_and_b32_e32 v2, s0, v72
	v_addc_co_u32_e32 v0, vcc, 0, v71, vcc
	v_lshlrev_b32_e32 v75, 2, v0
	ds_bpermute_b32 v0, v75, v61
	ds_bpermute_b32 v1, v75, v27
	v_add_u32_e32 v3, 32, v3
	v_ffbl_b32_e32 v2, v2
	v_min_u32_e32 v58, v2, v3
	v_cmp_lt_u32_e32 vcc, v74, v58
	s_and_saveexec_b64 s[42:43], vcc
	s_cbranch_execz .LBB273_60
; %bb.59:
	v_mov_b32_e32 v2, v61
	v_mov_b32_e32 v3, v27
	s_getpc_b64 s[0:1]
	s_add_u32 s0, s0, _ZZZZN2at6native31launch_logcumsumexp_cuda_kernelERKNS_10TensorBaseES3_lENKUlvE_clEvENKUlvE2_clEvENKUlN3c107complexIfEES8_E_clES8_S8_@rel32@lo+4
	s_addc_u32 s1, s1, _ZZZZN2at6native31launch_logcumsumexp_cuda_kernelERKNS_10TensorBaseES3_lENKUlvE_clEvENKUlvE2_clEvENKUlN3c107complexIfEES8_E_clES8_S8_@rel32@hi+12
	s_swappc_b64 s[30:31], s[0:1]
	v_mov_b32_e32 v61, v0
	v_mov_b32_e32 v27, v1
.LBB273_60:
	s_or_b64 exec, exec, s[42:43]
	v_cmp_gt_u32_e32 vcc, 62, v74
	v_add_u32_e32 v77, 2, v74
	s_waitcnt lgkmcnt(1)
	v_cndmask_b32_e64 v0, 0, 1, vcc
	v_lshlrev_b32_e32 v0, 1, v0
	v_add_lshl_u32 v76, v0, v71, 2
	ds_bpermute_b32 v0, v76, v61
	s_waitcnt lgkmcnt(1)
	ds_bpermute_b32 v1, v76, v27
	v_cmp_le_u32_e32 vcc, v77, v58
	s_and_saveexec_b64 s[42:43], vcc
	s_cbranch_execz .LBB273_62
; %bb.61:
	v_mov_b32_e32 v2, v61
	v_mov_b32_e32 v3, v27
	s_getpc_b64 s[0:1]
	s_add_u32 s0, s0, _ZZZZN2at6native31launch_logcumsumexp_cuda_kernelERKNS_10TensorBaseES3_lENKUlvE_clEvENKUlvE2_clEvENKUlN3c107complexIfEES8_E_clES8_S8_@rel32@lo+4
	s_addc_u32 s1, s1, _ZZZZN2at6native31launch_logcumsumexp_cuda_kernelERKNS_10TensorBaseES3_lENKUlvE_clEvENKUlvE2_clEvENKUlN3c107complexIfEES8_E_clES8_S8_@rel32@hi+12
	s_swappc_b64 s[30:31], s[0:1]
	v_mov_b32_e32 v61, v0
	v_mov_b32_e32 v27, v1
.LBB273_62:
	s_or_b64 exec, exec, s[42:43]
	v_cmp_gt_u32_e32 vcc, 60, v74
	v_add_u32_e32 v79, 4, v74
	s_waitcnt lgkmcnt(1)
	v_cndmask_b32_e64 v0, 0, 1, vcc
	v_lshlrev_b32_e32 v0, 2, v0
	v_add_lshl_u32 v78, v0, v71, 2
	ds_bpermute_b32 v0, v78, v61
	s_waitcnt lgkmcnt(1)
	ds_bpermute_b32 v1, v78, v27
	v_cmp_le_u32_e32 vcc, v79, v58
	;; [unrolled: 23-line block ×4, first 2 shown]
	s_and_saveexec_b64 s[42:43], vcc
	s_cbranch_execz .LBB273_68
; %bb.67:
	v_mov_b32_e32 v2, v61
	v_mov_b32_e32 v3, v27
	s_getpc_b64 s[0:1]
	s_add_u32 s0, s0, _ZZZZN2at6native31launch_logcumsumexp_cuda_kernelERKNS_10TensorBaseES3_lENKUlvE_clEvENKUlvE2_clEvENKUlN3c107complexIfEES8_E_clES8_S8_@rel32@lo+4
	s_addc_u32 s1, s1, _ZZZZN2at6native31launch_logcumsumexp_cuda_kernelERKNS_10TensorBaseES3_lENKUlvE_clEvENKUlvE2_clEvENKUlN3c107complexIfEES8_E_clES8_S8_@rel32@hi+12
	s_swappc_b64 s[30:31], s[0:1]
	v_mov_b32_e32 v61, v0
	v_mov_b32_e32 v27, v1
.LBB273_68:
	s_or_b64 exec, exec, s[42:43]
	v_cmp_gt_u32_e32 vcc, 32, v74
	v_add_u32_e32 v84, 32, v74
	v_cmp_gt_u32_e64 s[0:1], v84, v58
	s_waitcnt lgkmcnt(1)
	v_cndmask_b32_e64 v0, 0, 1, vcc
	v_lshlrev_b32_e32 v0, 5, v0
	v_add_lshl_u32 v85, v0, v71, 2
	ds_bpermute_b32 v60, v85, v61
	ds_bpermute_b32 v57, v85, v27
	s_mov_b64 s[42:43], 0
	v_mov_b32_e32 v71, 0
	s_mov_b32 s49, 0x70605
	s_mov_b32 s50, 0x1000706
	;; [unrolled: 1-line block ×4, first 2 shown]
	v_mov_b32_e32 v86, 2
	s_waitcnt lgkmcnt(2)
	v_mov_b32_e32 v1, v27
	v_mov_b32_e32 v0, v61
                                        ; implicit-def: $sgpr44_sgpr45
	s_branch .LBB273_71
.LBB273_69:                             ;   in Loop: Header=BB273_71 Depth=1
	s_or_b64 exec, exec, s[42:43]
	v_subrev_u32_e32 v70, 64, v70
	s_mov_b64 s[0:1], 0
.LBB273_70:                             ;   in Loop: Header=BB273_71 Depth=1
	s_and_b64 vcc, exec, s[0:1]
	s_mov_b64 s[42:43], 0
	v_mov_b32_e32 v27, v59
	v_mov_b32_e32 v61, v58
                                        ; implicit-def: $sgpr44_sgpr45
                                        ; implicit-def: $vgpr1
                                        ; implicit-def: $vgpr0
	s_cbranch_vccnz .LBB273_93
.LBB273_71:                             ; =>This Loop Header: Depth=1
                                        ;     Child Loop BB273_77 Depth 2
	s_waitcnt lgkmcnt(1)
	v_mov_b32_e32 v58, v0
	s_waitcnt lgkmcnt(0)
	v_mov_b32_e32 v59, v1
	s_xor_b64 s[4:5], s[0:1], -1
	s_or_b64 s[44:45], s[44:45], exec
                                        ; implicit-def: $sgpr2_sgpr3
                                        ; implicit-def: $vgpr0
                                        ; implicit-def: $vgpr1
	s_and_saveexec_b64 s[6:7], s[4:5]
	s_xor_b64 s[46:47], exec, s[6:7]
	s_cbranch_execz .LBB273_73
; %bb.72:                               ;   in Loop: Header=BB273_71 Depth=1
	s_waitcnt lgkmcnt(1)
	v_mov_b32_e32 v0, v60
	s_waitcnt lgkmcnt(0)
	v_mov_b32_e32 v1, v57
	v_mov_b32_e32 v2, v61
	;; [unrolled: 1-line block ×3, first 2 shown]
	s_getpc_b64 s[0:1]
	s_add_u32 s0, s0, _ZZZZN2at6native31launch_logcumsumexp_cuda_kernelERKNS_10TensorBaseES3_lENKUlvE_clEvENKUlvE2_clEvENKUlN3c107complexIfEES8_E_clES8_S8_@rel32@lo+4
	s_addc_u32 s1, s1, _ZZZZN2at6native31launch_logcumsumexp_cuda_kernelERKNS_10TensorBaseES3_lENKUlvE_clEvENKUlvE2_clEvENKUlN3c107complexIfEES8_E_clES8_S8_@rel32@hi+12
	s_swappc_b64 s[30:31], s[0:1]
	s_mov_b64 s[2:3], -1
	s_andn2_b64 s[44:45], s[44:45], exec
                                        ; implicit-def: $sgpr0_sgpr1
.LBB273_73:                             ;   in Loop: Header=BB273_71 Depth=1
	s_or_b64 exec, exec, s[46:47]
	s_and_b64 s[4:5], exec, s[44:45]
	s_or_b64 s[42:43], s[4:5], s[42:43]
	s_andn2_b64 s[0:1], s[0:1], exec
	s_and_b64 s[2:3], s[2:3], exec
	s_or_b64 s[0:1], s[0:1], s[2:3]
	s_andn2_b64 exec, exec, s[42:43]
	s_cbranch_execnz .LBB273_71
; %bb.74:                               ;   in Loop: Header=BB273_71 Depth=1
	s_or_b64 exec, exec, s[42:43]
	v_cmp_ne_u16_sdwa s[0:1], v62, v86 src0_sel:BYTE_0 src1_sel:DWORD
	s_nop 1
	v_cndmask_b32_e64 v0, 0, 1, s[0:1]
	;;#ASMSTART
	;;#ASMEND
	s_nop 0
	v_cmp_ne_u32_e32 vcc, 0, v0
	s_cmp_lg_u64 vcc, exec
	s_cbranch_scc1 .LBB273_91
; %bb.75:                               ;   in Loop: Header=BB273_71 Depth=1
	v_lshl_add_u64 v[0:1], v[70:71], 4, s[38:39]
	s_waitcnt lgkmcnt(1)
	;;#ASMSTART
	global_load_dwordx4 v[60:63], v[0:1] off sc1	
s_waitcnt vmcnt(0)
	;;#ASMEND
	s_nop 0
	v_perm_b32 v2, v61, v62, s49
	v_perm_b32 v3, v61, v62, s50
	;; [unrolled: 1-line block ×3, first 2 shown]
	v_lshlrev_b32_e32 v2, 8, v2
	v_lshlrev_b32_e32 v3, 16, v3
	v_perm_b32 v2, v2, v61, s52
	v_and_b32_e32 v3, 0xff0000, v3
	v_lshlrev_b32_e32 v4, 24, v4
	s_waitcnt lgkmcnt(0)
	v_or3_b32 v57, v2, v3, v4
	v_cmp_eq_u16_sdwa s[2:3], v62, v71 src0_sel:BYTE_0 src1_sel:DWORD
	s_and_saveexec_b64 s[0:1], s[2:3]
	s_cbranch_execz .LBB273_79
; %bb.76:                               ;   in Loop: Header=BB273_71 Depth=1
	s_mov_b64 s[2:3], 0
.LBB273_77:                             ;   Parent Loop BB273_71 Depth=1
                                        ; =>  This Inner Loop Header: Depth=2
	;;#ASMSTART
	global_load_dwordx4 v[60:63], v[0:1] off sc1	
s_waitcnt vmcnt(0)
	;;#ASMEND
	s_nop 0
	v_cmp_ne_u16_sdwa s[4:5], v62, v71 src0_sel:BYTE_0 src1_sel:DWORD
	s_or_b64 s[2:3], s[4:5], s[2:3]
	s_andn2_b64 exec, exec, s[2:3]
	s_cbranch_execnz .LBB273_77
; %bb.78:                               ;   in Loop: Header=BB273_71 Depth=1
	s_or_b64 exec, exec, s[2:3]
	v_perm_b32 v0, v61, v62, s49
	v_perm_b32 v1, v61, v62, s50
	;; [unrolled: 1-line block ×3, first 2 shown]
	v_lshlrev_b32_e32 v0, 8, v0
	v_lshlrev_b32_e32 v1, 16, v1
	v_perm_b32 v0, v0, v61, s52
	v_and_b32_e32 v1, 0xff0000, v1
	v_lshlrev_b32_e32 v2, 24, v2
	v_or3_b32 v57, v0, v1, v2
.LBB273_79:                             ;   in Loop: Header=BB273_71 Depth=1
	s_or_b64 exec, exec, s[0:1]
	v_cmp_eq_u16_sdwa s[0:1], v62, v86 src0_sel:BYTE_0 src1_sel:DWORD
	ds_bpermute_b32 v1, v75, v57
	s_nop 0
	v_and_b32_e32 v0, s1, v73
	v_or_b32_e32 v0, 0x80000000, v0
	v_ffbl_b32_e32 v3, v0
	ds_bpermute_b32 v0, v75, v60
	v_and_b32_e32 v2, s0, v72
	v_add_u32_e32 v3, 32, v3
	v_ffbl_b32_e32 v2, v2
	v_min_u32_e32 v27, v2, v3
	v_cmp_lt_u32_e32 vcc, v74, v27
	s_and_saveexec_b64 s[42:43], vcc
	s_cbranch_execz .LBB273_81
; %bb.80:                               ;   in Loop: Header=BB273_71 Depth=1
	v_mov_b32_e32 v2, v60
	v_mov_b32_e32 v3, v57
	s_getpc_b64 s[0:1]
	s_add_u32 s0, s0, _ZZZZN2at6native31launch_logcumsumexp_cuda_kernelERKNS_10TensorBaseES3_lENKUlvE_clEvENKUlvE2_clEvENKUlN3c107complexIfEES8_E_clES8_S8_@rel32@lo+4
	s_addc_u32 s1, s1, _ZZZZN2at6native31launch_logcumsumexp_cuda_kernelERKNS_10TensorBaseES3_lENKUlvE_clEvENKUlvE2_clEvENKUlN3c107complexIfEES8_E_clES8_S8_@rel32@hi+12
	s_swappc_b64 s[30:31], s[0:1]
	v_mov_b32_e32 v60, v0
	v_mov_b32_e32 v57, v1
.LBB273_81:                             ;   in Loop: Header=BB273_71 Depth=1
	s_or_b64 exec, exec, s[42:43]
	s_waitcnt lgkmcnt(0)
	ds_bpermute_b32 v0, v76, v60
	ds_bpermute_b32 v1, v76, v57
	v_cmp_le_u32_e32 vcc, v77, v27
	s_and_saveexec_b64 s[42:43], vcc
	s_cbranch_execz .LBB273_83
; %bb.82:                               ;   in Loop: Header=BB273_71 Depth=1
	v_mov_b32_e32 v2, v60
	v_mov_b32_e32 v3, v57
	s_getpc_b64 s[0:1]
	s_add_u32 s0, s0, _ZZZZN2at6native31launch_logcumsumexp_cuda_kernelERKNS_10TensorBaseES3_lENKUlvE_clEvENKUlvE2_clEvENKUlN3c107complexIfEES8_E_clES8_S8_@rel32@lo+4
	s_addc_u32 s1, s1, _ZZZZN2at6native31launch_logcumsumexp_cuda_kernelERKNS_10TensorBaseES3_lENKUlvE_clEvENKUlvE2_clEvENKUlN3c107complexIfEES8_E_clES8_S8_@rel32@hi+12
	s_swappc_b64 s[30:31], s[0:1]
	v_mov_b32_e32 v60, v0
	v_mov_b32_e32 v57, v1
.LBB273_83:                             ;   in Loop: Header=BB273_71 Depth=1
	s_or_b64 exec, exec, s[42:43]
	s_waitcnt lgkmcnt(1)
	ds_bpermute_b32 v0, v78, v60
	s_waitcnt lgkmcnt(1)
	ds_bpermute_b32 v1, v78, v57
	v_cmp_le_u32_e32 vcc, v79, v27
	s_and_saveexec_b64 s[42:43], vcc
	s_cbranch_execz .LBB273_85
; %bb.84:                               ;   in Loop: Header=BB273_71 Depth=1
	v_mov_b32_e32 v2, v60
	v_mov_b32_e32 v3, v57
	s_getpc_b64 s[0:1]
	s_add_u32 s0, s0, _ZZZZN2at6native31launch_logcumsumexp_cuda_kernelERKNS_10TensorBaseES3_lENKUlvE_clEvENKUlvE2_clEvENKUlN3c107complexIfEES8_E_clES8_S8_@rel32@lo+4
	s_addc_u32 s1, s1, _ZZZZN2at6native31launch_logcumsumexp_cuda_kernelERKNS_10TensorBaseES3_lENKUlvE_clEvENKUlvE2_clEvENKUlN3c107complexIfEES8_E_clES8_S8_@rel32@hi+12
	s_swappc_b64 s[30:31], s[0:1]
	v_mov_b32_e32 v60, v0
	v_mov_b32_e32 v57, v1
.LBB273_85:                             ;   in Loop: Header=BB273_71 Depth=1
	s_or_b64 exec, exec, s[42:43]
	s_waitcnt lgkmcnt(1)
	ds_bpermute_b32 v0, v80, v60
	s_waitcnt lgkmcnt(1)
	;; [unrolled: 18-line block ×4, first 2 shown]
	ds_bpermute_b32 v1, v85, v57
	v_cmp_le_u32_e32 vcc, v84, v27
	s_and_saveexec_b64 s[42:43], vcc
	s_cbranch_execz .LBB273_69
; %bb.90:                               ;   in Loop: Header=BB273_71 Depth=1
	v_mov_b32_e32 v2, v60
	v_mov_b32_e32 v3, v57
	s_getpc_b64 s[0:1]
	s_add_u32 s0, s0, _ZZZZN2at6native31launch_logcumsumexp_cuda_kernelERKNS_10TensorBaseES3_lENKUlvE_clEvENKUlvE2_clEvENKUlN3c107complexIfEES8_E_clES8_S8_@rel32@lo+4
	s_addc_u32 s1, s1, _ZZZZN2at6native31launch_logcumsumexp_cuda_kernelERKNS_10TensorBaseES3_lENKUlvE_clEvENKUlvE2_clEvENKUlN3c107complexIfEES8_E_clES8_S8_@rel32@hi+12
	s_swappc_b64 s[30:31], s[0:1]
	v_mov_b32_e32 v60, v0
	v_mov_b32_e32 v57, v1
	s_branch .LBB273_69
.LBB273_91:                             ;   in Loop: Header=BB273_71 Depth=1
	s_mov_b64 s[0:1], -1
                                        ; implicit-def: $vgpr60
                                        ; implicit-def: $vgpr57
	s_branch .LBB273_70
.LBB273_92:
                                        ; implicit-def: $vgpr90_vgpr91_vgpr92_vgpr93
                                        ; implicit-def: $vgpr88_vgpr89_vgpr90_vgpr91
                                        ; implicit-def: $vgpr73
                                        ; implicit-def: $vgpr75
                                        ; implicit-def: $vgpr56
                                        ; implicit-def: $vgpr58
                                        ; implicit-def: $vgpr60
                                        ; implicit-def: $vgpr62
                                        ; implicit-def: $vgpr68
                                        ; implicit-def: $vgpr70
                                        ; implicit-def: $vgpr86_vgpr87_vgpr88_vgpr89
                                        ; implicit-def: $vgpr84_vgpr85_vgpr86_vgpr87
                                        ; implicit-def: $vgpr82_vgpr83_vgpr84_vgpr85
                                        ; implicit-def: $vgpr80_vgpr81_vgpr82_vgpr83
                                        ; implicit-def: $vgpr78_vgpr79_vgpr80_vgpr81
	s_load_dwordx8 s[20:27], s[16:17], 0x40
	s_cbranch_execnz .LBB273_100
	s_branch .LBB273_123
.LBB273_93:
	s_and_saveexec_b64 s[42:43], s[22:23]
	s_cbranch_execz .LBB273_95
; %bb.94:
	s_waitcnt lgkmcnt(1)
	v_mov_b32_e32 v0, v58
	s_waitcnt lgkmcnt(0)
	v_mov_b32_e32 v1, v59
	v_mov_b32_e32 v2, v56
	;; [unrolled: 1-line block ×3, first 2 shown]
	s_getpc_b64 s[0:1]
	s_add_u32 s0, s0, _ZZZZN2at6native31launch_logcumsumexp_cuda_kernelERKNS_10TensorBaseES3_lENKUlvE_clEvENKUlvE2_clEvENKUlN3c107complexIfEES8_E_clES8_S8_@rel32@lo+4
	s_addc_u32 s1, s1, _ZZZZN2at6native31launch_logcumsumexp_cuda_kernelERKNS_10TensorBaseES3_lENKUlvE_clEvENKUlvE2_clEvENKUlN3c107complexIfEES8_E_clES8_S8_@rel32@hi+12
	s_swappc_b64 s[30:31], s[0:1]
	s_add_i32 s0, s24, 64
	s_mov_b32 s1, 0
	s_lshl_b64 s[0:1], s[0:1], 4
	s_add_u32 s0, s38, s0
	v_and_b32_e32 v2, 0xff000000, v1
	v_and_b32_e32 v4, 0xff0000, v1
	s_addc_u32 s1, s39, s1
	v_or_b32_e32 v2, v4, v2
	v_and_b32_e32 v4, 0xff00, v1
	v_and_b32_e32 v1, 0xff, v1
	v_mov_b32_e32 v3, 0
	v_or3_b32 v1, v2, v4, v1
	v_mov_b32_e32 v2, 2
	v_mov_b64_e32 v[4:5], s[0:1]
	;;#ASMSTART
	global_store_dwordx4 v[4:5], v[0:3] off sc1	
s_waitcnt vmcnt(0)
	;;#ASMEND
.LBB273_95:
	s_or_b64 exec, exec, s[42:43]
	s_and_b64 exec, exec, s[20:21]
	s_cbranch_execz .LBB273_97
; %bb.96:
	s_waitcnt lgkmcnt(1)
	v_mov_b32_e32 v0, 0
	ds_write_b64 v0, v[58:59]
.LBB273_97:
	s_or_b64 exec, exec, s[26:27]
	s_waitcnt lgkmcnt(1)
	v_mov_b32_e32 v0, 0
	s_waitcnt lgkmcnt(0)
	s_barrier
	ds_read_b64 v[56:57], v0
	v_mov_b32_e32 v2, v28
	v_mov_b32_e32 v3, v29
	s_and_saveexec_b64 s[20:21], s[18:19]
	s_cbranch_execz .LBB273_99
; %bb.98:
	v_mov_b32_e32 v0, v68
	v_mov_b32_e32 v1, v69
	;; [unrolled: 1-line block ×4, first 2 shown]
	s_getpc_b64 s[0:1]
	s_add_u32 s0, s0, _ZZZZN2at6native31launch_logcumsumexp_cuda_kernelERKNS_10TensorBaseES3_lENKUlvE_clEvENKUlvE2_clEvENKUlN3c107complexIfEES8_E_clES8_S8_@rel32@lo+4
	s_addc_u32 s1, s1, _ZZZZN2at6native31launch_logcumsumexp_cuda_kernelERKNS_10TensorBaseES3_lENKUlvE_clEvENKUlvE2_clEvENKUlN3c107complexIfEES8_E_clES8_S8_@rel32@hi+12
	s_swappc_b64 s[30:31], s[0:1]
	v_mov_b32_e32 v2, v0
	v_mov_b32_e32 v3, v1
.LBB273_99:
	s_or_b64 exec, exec, s[20:21]
	s_waitcnt lgkmcnt(0)
	v_mov_b32_e32 v0, v56
	v_mov_b32_e32 v1, v57
	s_getpc_b64 s[18:19]
	s_add_u32 s18, s18, _ZZZZN2at6native31launch_logcumsumexp_cuda_kernelERKNS_10TensorBaseES3_lENKUlvE_clEvENKUlvE2_clEvENKUlN3c107complexIfEES8_E_clES8_S8_@rel32@lo+4
	s_addc_u32 s19, s19, _ZZZZN2at6native31launch_logcumsumexp_cuda_kernelERKNS_10TensorBaseES3_lENKUlvE_clEvENKUlvE2_clEvENKUlN3c107complexIfEES8_E_clES8_S8_@rel32@hi+12
	s_swappc_b64 s[30:31], s[18:19]
	v_mov_b32_e32 v2, v30
	v_mov_b32_e32 v3, v31
	v_mov_b32_e32 v74, v0
	v_mov_b32_e32 v75, v1
	s_swappc_b64 s[30:31], s[18:19]
	v_mov_b32_e32 v2, v52
	v_mov_b32_e32 v3, v53
	v_mov_b32_e32 v80, v0
	v_mov_b32_e32 v81, v1
	;; [unrolled: 5-line block ×14, first 2 shown]
	s_swappc_b64 s[30:31], s[18:19]
	v_mov_b32_e32 v72, v0
	v_mov_b32_e32 v73, v1
	s_load_dwordx8 s[20:27], s[16:17], 0x40
	s_branch .LBB273_123
.LBB273_100:
	s_waitcnt lgkmcnt(0)
	s_cmp_lg_u64 s[24:25], 0
	s_cselect_b64 s[0:1], -1, 0
	v_cmp_eq_u32_e64 s[18:19], 0, v64
	v_cmp_ne_u32_e64 s[16:17], 0, v64
	s_and_b64 s[0:1], s[18:19], s[0:1]
	s_and_saveexec_b64 s[24:25], s[0:1]
	s_cbranch_execz .LBB273_102
; %bb.101:
	v_mov_b32_e32 v0, 0
	global_load_dwordx2 v[0:1], v0, s[20:21]
	v_mov_b32_e32 v2, v28
	v_mov_b32_e32 v3, v29
	s_getpc_b64 s[0:1]
	s_add_u32 s0, s0, _ZZZZN2at6native31launch_logcumsumexp_cuda_kernelERKNS_10TensorBaseES3_lENKUlvE_clEvENKUlvE2_clEvENKUlN3c107complexIfEES8_E_clES8_S8_@rel32@lo+4
	s_addc_u32 s1, s1, _ZZZZN2at6native31launch_logcumsumexp_cuda_kernelERKNS_10TensorBaseES3_lENKUlvE_clEvENKUlvE2_clEvENKUlN3c107complexIfEES8_E_clES8_S8_@rel32@hi+12
	s_swappc_b64 s[30:31], s[0:1]
	v_mov_b32_e32 v28, v0
	v_mov_b32_e32 v29, v1
.LBB273_102:
	s_or_b64 exec, exec, s[24:25]
	v_mov_b32_e32 v0, v28
	v_mov_b32_e32 v1, v29
	;; [unrolled: 1-line block ×4, first 2 shown]
	s_getpc_b64 s[24:25]
	s_add_u32 s24, s24, _ZZZZN2at6native31launch_logcumsumexp_cuda_kernelERKNS_10TensorBaseES3_lENKUlvE_clEvENKUlvE2_clEvENKUlN3c107complexIfEES8_E_clES8_S8_@rel32@lo+4
	s_addc_u32 s25, s25, _ZZZZN2at6native31launch_logcumsumexp_cuda_kernelERKNS_10TensorBaseES3_lENKUlvE_clEvENKUlvE2_clEvENKUlN3c107complexIfEES8_E_clES8_S8_@rel32@hi+12
	s_swappc_b64 s[30:31], s[24:25]
	v_mov_b32_e32 v2, v52
	v_mov_b32_e32 v3, v53
	v_mov_b32_e32 v80, v0
	v_mov_b32_e32 v81, v1
	s_swappc_b64 s[30:31], s[24:25]
	v_mov_b32_e32 v2, v54
	v_mov_b32_e32 v3, v55
	v_mov_b32_e32 v56, v0
	v_mov_b32_e32 v57, v1
	;; [unrolled: 5-line block ×13, first 2 shown]
	s_swappc_b64 s[30:31], s[24:25]
	v_mov_b32_e32 v72, v0
	v_lshrrev_b32_e32 v0, 5, v64
	v_mov_b32_e32 v73, v1
	v_add_lshl_u32 v0, v0, v64, 3
	v_cmp_gt_u32_e32 vcc, 64, v64
	ds_write_b64 v0, v[72:73]
	s_waitcnt lgkmcnt(0)
	s_barrier
	s_and_saveexec_b64 s[20:21], vcc
	s_cbranch_execz .LBB273_116
; %bb.103:
	v_lshlrev_b32_e32 v0, 2, v64
	v_lshrrev_b32_e32 v1, 3, v64
	v_add_lshl_u32 v27, v1, v0, 3
	ds_read_b64 v[74:75], v27
	ds_read2_b64 v[76:79], v27 offset0:1 offset1:2
	s_waitcnt lgkmcnt(1)
	v_mov_b32_e32 v0, v74
	v_mov_b32_e32 v1, v75
	s_waitcnt lgkmcnt(0)
	v_mov_b32_e32 v2, v76
	v_mov_b32_e32 v3, v77
	s_swappc_b64 s[30:31], s[24:25]
	v_mov_b32_e32 v2, v78
	v_mov_b32_e32 v3, v79
	s_swappc_b64 s[30:31], s[24:25]
	ds_read_b64 v[2:3], v27 offset:24
	s_swappc_b64 s[30:31], s[24:25]
	v_mov_b32_e32 v2, v0
	v_mbcnt_lo_u32_b32 v0, -1, 0
	v_mbcnt_hi_u32_b32 v76, -1, v0
	v_mov_b32_e32 v3, v1
	v_and_b32_e32 v77, 15, v76
	v_mov_b32_dpp v0, v2 row_shr:1 row_mask:0xf bank_mask:0xf
	v_mov_b32_dpp v1, v3 row_shr:1 row_mask:0xf bank_mask:0xf
	v_cmp_ne_u32_e32 vcc, 0, v77
	s_and_saveexec_b64 s[24:25], vcc
	s_cbranch_execz .LBB273_105
; %bb.104:
	s_getpc_b64 s[0:1]
	s_add_u32 s0, s0, _ZZZZN2at6native31launch_logcumsumexp_cuda_kernelERKNS_10TensorBaseES3_lENKUlvE_clEvENKUlvE2_clEvENKUlN3c107complexIfEES8_E_clES8_S8_@rel32@lo+4
	s_addc_u32 s1, s1, _ZZZZN2at6native31launch_logcumsumexp_cuda_kernelERKNS_10TensorBaseES3_lENKUlvE_clEvENKUlvE2_clEvENKUlN3c107complexIfEES8_E_clES8_S8_@rel32@hi+12
	s_swappc_b64 s[30:31], s[0:1]
	v_mov_b32_e32 v2, v0
	v_mov_b32_e32 v3, v1
.LBB273_105:
	s_or_b64 exec, exec, s[24:25]
	v_mov_b32_dpp v0, v2 row_shr:2 row_mask:0xf bank_mask:0xf
	v_mov_b32_dpp v1, v3 row_shr:2 row_mask:0xf bank_mask:0xf
	v_cmp_lt_u32_e32 vcc, 1, v77
	s_and_saveexec_b64 s[24:25], vcc
	s_cbranch_execz .LBB273_107
; %bb.106:
	s_getpc_b64 s[0:1]
	s_add_u32 s0, s0, _ZZZZN2at6native31launch_logcumsumexp_cuda_kernelERKNS_10TensorBaseES3_lENKUlvE_clEvENKUlvE2_clEvENKUlN3c107complexIfEES8_E_clES8_S8_@rel32@lo+4
	s_addc_u32 s1, s1, _ZZZZN2at6native31launch_logcumsumexp_cuda_kernelERKNS_10TensorBaseES3_lENKUlvE_clEvENKUlvE2_clEvENKUlN3c107complexIfEES8_E_clES8_S8_@rel32@hi+12
	s_swappc_b64 s[30:31], s[0:1]
	v_mov_b32_e32 v2, v0
	v_mov_b32_e32 v3, v1
.LBB273_107:
	s_or_b64 exec, exec, s[24:25]
	v_mov_b32_dpp v0, v2 row_shr:4 row_mask:0xf bank_mask:0xf
	v_mov_b32_dpp v1, v3 row_shr:4 row_mask:0xf bank_mask:0xf
	v_cmp_lt_u32_e32 vcc, 3, v77
	;; [unrolled: 14-line block ×3, first 2 shown]
	s_and_saveexec_b64 s[24:25], vcc
	s_cbranch_execz .LBB273_111
; %bb.110:
	s_getpc_b64 s[0:1]
	s_add_u32 s0, s0, _ZZZZN2at6native31launch_logcumsumexp_cuda_kernelERKNS_10TensorBaseES3_lENKUlvE_clEvENKUlvE2_clEvENKUlN3c107complexIfEES8_E_clES8_S8_@rel32@lo+4
	s_addc_u32 s1, s1, _ZZZZN2at6native31launch_logcumsumexp_cuda_kernelERKNS_10TensorBaseES3_lENKUlvE_clEvENKUlvE2_clEvENKUlN3c107complexIfEES8_E_clES8_S8_@rel32@hi+12
	s_swappc_b64 s[30:31], s[0:1]
	v_mov_b32_e32 v2, v0
	v_mov_b32_e32 v3, v1
.LBB273_111:
	s_or_b64 exec, exec, s[24:25]
	v_and_b32_e32 v4, 16, v76
	v_mov_b32_dpp v0, v2 row_bcast:15 row_mask:0xf bank_mask:0xf
	v_mov_b32_dpp v1, v3 row_bcast:15 row_mask:0xf bank_mask:0xf
	v_cmp_ne_u32_e32 vcc, 0, v4
	s_and_saveexec_b64 s[24:25], vcc
	s_cbranch_execz .LBB273_113
; %bb.112:
	s_getpc_b64 s[0:1]
	s_add_u32 s0, s0, _ZZZZN2at6native31launch_logcumsumexp_cuda_kernelERKNS_10TensorBaseES3_lENKUlvE_clEvENKUlvE2_clEvENKUlN3c107complexIfEES8_E_clES8_S8_@rel32@lo+4
	s_addc_u32 s1, s1, _ZZZZN2at6native31launch_logcumsumexp_cuda_kernelERKNS_10TensorBaseES3_lENKUlvE_clEvENKUlvE2_clEvENKUlN3c107complexIfEES8_E_clES8_S8_@rel32@hi+12
	s_swappc_b64 s[30:31], s[0:1]
	v_mov_b32_e32 v2, v0
	v_mov_b32_e32 v3, v1
.LBB273_113:
	s_or_b64 exec, exec, s[24:25]
	v_mov_b32_dpp v0, v2 row_bcast:31 row_mask:0xf bank_mask:0xf
	v_mov_b32_dpp v1, v3 row_bcast:31 row_mask:0xf bank_mask:0xf
	v_cmp_lt_u32_e32 vcc, 31, v76
	s_and_saveexec_b64 s[24:25], vcc
	s_cbranch_execz .LBB273_115
; %bb.114:
	s_getpc_b64 s[0:1]
	s_add_u32 s0, s0, _ZZZZN2at6native31launch_logcumsumexp_cuda_kernelERKNS_10TensorBaseES3_lENKUlvE_clEvENKUlvE2_clEvENKUlN3c107complexIfEES8_E_clES8_S8_@rel32@lo+4
	s_addc_u32 s1, s1, _ZZZZN2at6native31launch_logcumsumexp_cuda_kernelERKNS_10TensorBaseES3_lENKUlvE_clEvENKUlvE2_clEvENKUlN3c107complexIfEES8_E_clES8_S8_@rel32@hi+12
	s_swappc_b64 s[30:31], s[0:1]
	v_mov_b32_e32 v2, v0
	v_mov_b32_e32 v3, v1
.LBB273_115:
	s_or_b64 exec, exec, s[24:25]
	v_add_u32_e32 v0, -1, v76
	v_and_b32_e32 v1, 64, v76
	v_cmp_lt_i32_e32 vcc, v0, v1
	s_getpc_b64 s[24:25]
	s_add_u32 s24, s24, _ZZZZN2at6native31launch_logcumsumexp_cuda_kernelERKNS_10TensorBaseES3_lENKUlvE_clEvENKUlvE2_clEvENKUlN3c107complexIfEES8_E_clES8_S8_@rel32@lo+4
	s_addc_u32 s25, s25, _ZZZZN2at6native31launch_logcumsumexp_cuda_kernelERKNS_10TensorBaseES3_lENKUlvE_clEvENKUlvE2_clEvENKUlN3c107complexIfEES8_E_clES8_S8_@rel32@hi+12
	v_cndmask_b32_e32 v0, v0, v76, vcc
	v_lshlrev_b32_e32 v1, 2, v0
	ds_bpermute_b32 v0, v1, v2
	ds_bpermute_b32 v1, v1, v3
	v_mov_b32_e32 v2, v74
	v_mov_b32_e32 v3, v75
	s_swappc_b64 s[30:31], s[24:25]
	v_cndmask_b32_e64 v0, v0, v72, s[18:19]
	v_cndmask_b32_e64 v1, v1, v73, s[18:19]
	; wave barrier
	ds_write_b64 v27, v[0:1]
	; wave barrier
	ds_read2_b64 v[74:77], v27 offset0:1 offset1:2
	s_waitcnt lgkmcnt(0)
	v_mov_b32_e32 v2, v74
	v_mov_b32_e32 v3, v75
	s_swappc_b64 s[30:31], s[24:25]
	v_mov_b32_e32 v2, v76
	v_mov_b32_e32 v3, v77
	;; [unrolled: 1-line block ×4, first 2 shown]
	s_swappc_b64 s[30:31], s[24:25]
	ds_read_b64 v[2:3], v27 offset:24
	ds_write2_b64 v27, v[74:75], v[0:1] offset0:1 offset1:2
	s_swappc_b64 s[30:31], s[24:25]
	ds_write_b64 v27, v[0:1] offset:24
.LBB273_116:
	s_or_b64 exec, exec, s[20:21]
	v_mov_b32_e32 v1, v73
	v_mov_b32_e32 v0, v72
	s_waitcnt lgkmcnt(0)
	s_barrier
	s_and_saveexec_b64 s[0:1], s[16:17]
	s_cbranch_execz .LBB273_118
; %bb.117:
	v_add_u32_e32 v0, -1, v64
	v_lshrrev_b32_e32 v1, 5, v0
	v_add_lshl_u32 v0, v1, v0, 3
	ds_read_b64 v[0:1], v0
.LBB273_118:
	s_or_b64 exec, exec, s[0:1]
	s_and_saveexec_b64 s[18:19], s[16:17]
	s_cbranch_execz .LBB273_120
; %bb.119:
	v_mov_b32_e32 v2, v28
	v_mov_b32_e32 v3, v29
	s_getpc_b64 s[16:17]
	s_add_u32 s16, s16, _ZZZZN2at6native31launch_logcumsumexp_cuda_kernelERKNS_10TensorBaseES3_lENKUlvE_clEvENKUlvE2_clEvENKUlN3c107complexIfEES8_E_clES8_S8_@rel32@lo+4
	s_addc_u32 s17, s17, _ZZZZN2at6native31launch_logcumsumexp_cuda_kernelERKNS_10TensorBaseES3_lENKUlvE_clEvENKUlvE2_clEvENKUlN3c107complexIfEES8_E_clES8_S8_@rel32@hi+12
	s_swappc_b64 s[30:31], s[16:17]
	v_mov_b32_e32 v2, v30
	v_mov_b32_e32 v3, v31
	;; [unrolled: 1-line block ×4, first 2 shown]
	;;#ASMSTART
	;;#ASMEND
	s_swappc_b64 s[30:31], s[16:17]
	v_mov_b32_e32 v2, v52
	v_mov_b32_e32 v3, v53
	v_mov_b32_e32 v80, v0
	v_mov_b32_e32 v81, v1
	s_swappc_b64 s[30:31], s[16:17]
	v_mov_b32_e32 v2, v54
	v_mov_b32_e32 v3, v55
	v_mov_b32_e32 v56, v0
	v_mov_b32_e32 v57, v1
	;; [unrolled: 5-line block ×13, first 2 shown]
	s_swappc_b64 s[30:31], s[16:17]
	v_mov_b32_e32 v72, v0
	v_mov_b32_e32 v73, v1
.LBB273_120:
	s_or_b64 exec, exec, s[18:19]
	s_movk_i32 s0, 0xff
	v_cmp_eq_u32_e32 vcc, s0, v64
	s_and_saveexec_b64 s[0:1], vcc
	s_cbranch_execz .LBB273_122
; %bb.121:
	s_add_u32 s2, s38, 0x400
	s_waitcnt lgkmcnt(0)
	v_and_b32_e32 v0, 0xff000000, v73
	v_and_b32_e32 v1, 0xff0000, v73
	s_addc_u32 s3, s39, 0
	v_or_b32_e32 v0, v1, v0
	v_and_b32_e32 v1, 0xff00, v73
	v_and_b32_e32 v2, 0xff, v73
	v_mov_b32_e32 v3, 0
	v_or3_b32 v1, v0, v1, v2
	v_mov_b32_e32 v2, 2
	v_mov_b32_e32 v0, v72
	v_mov_b64_e32 v[4:5], s[2:3]
	;;#ASMSTART
	global_store_dwordx4 v[4:5], v[0:3] off sc1	
s_waitcnt vmcnt(0)
	;;#ASMEND
.LBB273_122:
	s_or_b64 exec, exec, s[0:1]
	v_mov_b32_e32 v75, v29
	v_mov_b32_e32 v74, v28
.LBB273_123:
	s_add_u32 s0, s40, s34
	s_addc_u32 s1, s41, s35
	s_add_u32 s0, s0, s36
	s_addc_u32 s1, s1, s37
	s_mov_b64 s[2:3], -1
	s_and_b64 vcc, exec, s[28:29]
	s_waitcnt lgkmcnt(0)
	s_barrier
	s_cbranch_vccz .LBB273_125
; %bb.124:
	v_mul_u32_u24_e32 v0, 0x78, v64
	s_movk_i32 s2, 0x78
	ds_write2_b64 v0, v[74:75], v[80:81] offset1:1
	ds_write2_b64 v0, v[56:57], v[82:83] offset0:2 offset1:3
	ds_write2_b64 v0, v[58:59], v[84:85] offset0:4 offset1:5
	;; [unrolled: 1-line block ×6, first 2 shown]
	ds_write_b64 v0, v[72:73] offset:112
	v_mul_i32_i24_e32 v0, 0xffffff90, v64
	v_mad_u32_u24 v28, v64, s2, v0
	v_mov_b32_e32 v95, 0
	s_waitcnt lgkmcnt(0)
	s_barrier
	ds_read2st64_b64 v[0:3], v28 offset1:4
	ds_read2st64_b64 v[4:7], v28 offset0:8 offset1:12
	ds_read2st64_b64 v[8:11], v28 offset0:16 offset1:20
	;; [unrolled: 1-line block ×6, first 2 shown]
	ds_read_b64 v[28:29], v28 offset:28672
	v_lshl_add_u64 v[30:31], s[0:1], 0, v[94:95]
	s_movk_i32 s2, 0x1000
	s_waitcnt lgkmcnt(7)
	global_store_dwordx2 v94, v[0:1], s[0:1]
	global_store_dwordx2 v94, v[2:3], s[0:1] offset:2048
	v_add_co_u32_e32 v0, vcc, s2, v30
	s_movk_i32 s2, 0x2000
	s_nop 0
	v_addc_co_u32_e32 v1, vcc, 0, v31, vcc
	v_add_co_u32_e32 v2, vcc, s2, v30
	s_movk_i32 s2, 0x3000
	s_nop 0
	v_addc_co_u32_e32 v3, vcc, 0, v31, vcc
	s_waitcnt lgkmcnt(6)
	global_store_dwordx2 v[2:3], v[4:5], off offset:-4096
	global_store_dwordx2 v[0:1], v[6:7], off offset:2048
	s_waitcnt lgkmcnt(5)
	global_store_dwordx2 v[2:3], v[8:9], off
	global_store_dwordx2 v[2:3], v[10:11], off offset:2048
	v_add_co_u32_e32 v0, vcc, s2, v30
	s_movk_i32 s2, 0x4000
	s_nop 0
	v_addc_co_u32_e32 v1, vcc, 0, v31, vcc
	v_add_co_u32_e32 v2, vcc, s2, v30
	s_movk_i32 s2, 0x5000
	s_nop 0
	v_addc_co_u32_e32 v3, vcc, 0, v31, vcc
	s_waitcnt lgkmcnt(4)
	global_store_dwordx2 v[2:3], v[12:13], off offset:-4096
	global_store_dwordx2 v[0:1], v[14:15], off offset:2048
	s_waitcnt lgkmcnt(3)
	global_store_dwordx2 v[2:3], v[16:17], off
	global_store_dwordx2 v[2:3], v[18:19], off offset:2048
	v_add_co_u32_e32 v0, vcc, s2, v30
	s_mov_b64 s[2:3], 0
	s_nop 0
	v_addc_co_u32_e32 v1, vcc, 0, v31, vcc
	s_waitcnt lgkmcnt(2)
	global_store_dwordx2 v[0:1], v[20:21], off
	global_store_dwordx2 v[0:1], v[22:23], off offset:2048
	v_add_co_u32_e32 v0, vcc, 0x6000, v30
	s_nop 1
	v_addc_co_u32_e32 v1, vcc, 0, v31, vcc
	s_waitcnt lgkmcnt(1)
	global_store_dwordx2 v[0:1], v[24:25], off
	global_store_dwordx2 v[0:1], v[26:27], off offset:2048
	v_add_co_u32_e32 v0, vcc, 0x7000, v30
	s_nop 1
	v_addc_co_u32_e32 v1, vcc, 0, v31, vcc
	s_waitcnt lgkmcnt(0)
	global_store_dwordx2 v[0:1], v[28:29], off
.LBB273_125:
	s_andn2_b64 vcc, exec, s[2:3]
	s_cbranch_vccnz .LBB273_211
; %bb.126:
	s_movk_i32 s2, 0xff90
	v_mad_i32_i24 v28, v64, s2, v65
	ds_write2_b64 v65, v[74:75], v[80:81] offset1:1
	ds_write2_b64 v65, v[56:57], v[82:83] offset0:2 offset1:3
	ds_write2_b64 v65, v[58:59], v[84:85] offset0:4 offset1:5
	;; [unrolled: 1-line block ×6, first 2 shown]
	ds_write_b64 v65, v[72:73] offset:112
	s_waitcnt lgkmcnt(0)
	s_barrier
	ds_read2st64_b64 v[4:7], v28 offset1:4
	ds_read2st64_b64 v[12:15], v28 offset0:8 offset1:12
	ds_read2st64_b64 v[8:11], v28 offset0:16 offset1:20
	;; [unrolled: 1-line block ×6, first 2 shown]
	ds_read_b64 v[28:29], v28 offset:28672
	v_mov_b32_e32 v95, 0
	v_lshl_add_u64 v[30:31], s[0:1], 0, v[94:95]
	v_cmp_gt_u32_e32 vcc, s33, v64
	s_and_saveexec_b64 s[0:1], vcc
	s_cbranch_execz .LBB273_128
; %bb.127:
	s_waitcnt lgkmcnt(7)
	global_store_dwordx2 v[30:31], v[4:5], off
.LBB273_128:
	s_or_b64 exec, exec, s[0:1]
	v_or_b32_e32 v32, 0x100, v64
	v_cmp_gt_u32_e32 vcc, s33, v32
	s_and_saveexec_b64 s[0:1], vcc
	s_cbranch_execz .LBB273_130
; %bb.129:
	s_waitcnt lgkmcnt(7)
	global_store_dwordx2 v[30:31], v[6:7], off offset:2048
.LBB273_130:
	s_or_b64 exec, exec, s[0:1]
	v_or_b32_e32 v32, 0x200, v64
	v_cmp_gt_u32_e32 vcc, s33, v32
	s_and_saveexec_b64 s[0:1], vcc
	s_cbranch_execz .LBB273_132
; %bb.131:
	v_add_co_u32_e32 v32, vcc, 0x1000, v30
	s_nop 1
	v_addc_co_u32_e32 v33, vcc, 0, v31, vcc
	s_waitcnt lgkmcnt(6)
	global_store_dwordx2 v[32:33], v[12:13], off
.LBB273_132:
	s_or_b64 exec, exec, s[0:1]
	v_or_b32_e32 v32, 0x300, v64
	v_cmp_gt_u32_e32 vcc, s33, v32
	s_and_saveexec_b64 s[0:1], vcc
	s_cbranch_execz .LBB273_134
; %bb.133:
	v_add_co_u32_e32 v32, vcc, 0x1000, v30
	s_nop 1
	v_addc_co_u32_e32 v33, vcc, 0, v31, vcc
	s_waitcnt lgkmcnt(6)
	global_store_dwordx2 v[32:33], v[14:15], off offset:2048
.LBB273_134:
	s_or_b64 exec, exec, s[0:1]
	v_or_b32_e32 v32, 0x400, v64
	v_cmp_gt_u32_e32 vcc, s33, v32
	s_and_saveexec_b64 s[0:1], vcc
	s_cbranch_execz .LBB273_136
; %bb.135:
	v_add_co_u32_e32 v32, vcc, 0x2000, v30
	s_nop 1
	v_addc_co_u32_e32 v33, vcc, 0, v31, vcc
	s_waitcnt lgkmcnt(5)
	global_store_dwordx2 v[32:33], v[8:9], off
.LBB273_136:
	s_or_b64 exec, exec, s[0:1]
	v_or_b32_e32 v32, 0x500, v64
	v_cmp_gt_u32_e32 vcc, s33, v32
	s_and_saveexec_b64 s[0:1], vcc
	s_cbranch_execz .LBB273_138
; %bb.137:
	v_add_co_u32_e32 v32, vcc, 0x2000, v30
	s_nop 1
	v_addc_co_u32_e32 v33, vcc, 0, v31, vcc
	s_waitcnt lgkmcnt(5)
	global_store_dwordx2 v[32:33], v[10:11], off offset:2048
.LBB273_138:
	;; [unrolled: 24-line block ×6, first 2 shown]
	s_or_b64 exec, exec, s[0:1]
	v_or_b32_e32 v32, 0xe00, v64
	v_cmp_gt_u32_e32 vcc, s33, v32
	s_and_saveexec_b64 s[0:1], vcc
	s_cbranch_execz .LBB273_156
; %bb.155:
	v_add_co_u32_e32 v30, vcc, 0x7000, v30
	s_nop 1
	v_addc_co_u32_e32 v31, vcc, 0, v31, vcc
	s_waitcnt lgkmcnt(0)
	global_store_dwordx2 v[30:31], v[28:29], off
.LBB273_156:
	s_or_b64 exec, exec, s[0:1]
	v_cmp_lt_u64_e64 s[0:1], s[26:27], 2
	s_and_b64 vcc, exec, s[0:1]
	s_cbranch_vccnz .LBB273_211
; %bb.157:
	s_add_u32 s0, s33, -1
	s_addc_u32 s1, s48, -1
	s_add_u32 s2, 0, 0x11108400
	s_addc_u32 s3, 0, 49
	s_add_i32 s3, s3, 0x111110e0
	s_mul_hi_u32 s7, s2, -15
	s_sub_i32 s7, s7, s2
	s_mul_i32 s8, s3, -15
	s_mul_i32 s4, s2, -15
	s_add_i32 s7, s7, s8
	s_mul_hi_u32 s5, s3, s4
	s_mul_i32 s6, s3, s4
	s_mul_i32 s9, s2, s7
	s_mul_hi_u32 s4, s2, s4
	s_mul_hi_u32 s8, s2, s7
	s_add_u32 s4, s4, s9
	s_addc_u32 s8, 0, s8
	s_add_u32 s4, s4, s6
	s_mul_hi_u32 s9, s3, s7
	s_addc_u32 s4, s8, s5
	s_addc_u32 s5, s9, 0
	s_mul_i32 s6, s3, s7
	s_add_u32 s4, s4, s6
	v_mov_b32_e32 v30, s4
	s_addc_u32 s5, 0, s5
	v_add_co_u32_e32 v30, vcc, s2, v30
	s_cmp_lg_u64 vcc, 0
	s_addc_u32 s2, s3, s5
	v_readfirstlane_b32 s5, v30
	s_mul_i32 s4, s0, s2
	s_mul_hi_u32 s6, s0, s5
	s_mul_hi_u32 s3, s0, s2
	s_add_u32 s4, s6, s4
	s_addc_u32 s3, 0, s3
	s_mul_hi_u32 s7, s1, s5
	s_mul_i32 s5, s1, s5
	s_add_u32 s4, s4, s5
	s_mul_hi_u32 s6, s1, s2
	s_addc_u32 s3, s3, s7
	s_addc_u32 s4, s6, 0
	s_mul_i32 s2, s1, s2
	s_add_u32 s2, s3, s2
	s_addc_u32 s3, 0, s4
	s_add_u32 s4, s2, 1
	s_addc_u32 s5, s3, 0
	s_add_u32 s6, s2, 2
	s_mul_i32 s8, s3, 15
	s_mul_hi_u32 s9, s2, 15
	s_addc_u32 s7, s3, 0
	s_add_i32 s9, s9, s8
	s_mul_i32 s8, s2, 15
	v_mov_b32_e32 v30, s8
	v_sub_co_u32_e32 v30, vcc, s0, v30
	s_cmp_lg_u64 vcc, 0
	s_subb_u32 s8, s1, s9
	v_subrev_co_u32_e32 v31, vcc, 15, v30
	s_cmp_lg_u64 vcc, 0
	s_subb_u32 s9, s8, 0
	v_readfirstlane_b32 s10, v31
	s_cmp_gt_u32 s10, 14
	s_cselect_b32 s10, -1, 0
	s_cmp_eq_u32 s9, 0
	s_cselect_b32 s9, s10, -1
	s_cmp_lg_u32 s9, 0
	s_cselect_b32 s4, s6, s4
	v_readfirstlane_b32 s6, v30
	s_cselect_b32 s5, s7, s5
	s_cmp_gt_u32 s6, 14
	s_cselect_b32 s6, -1, 0
	s_cmp_eq_u32 s8, 0
	s_cselect_b32 s6, s6, -1
	s_cmp_lg_u32 s6, 0
	v_mov_b32_e32 v65, v95
	s_cselect_b32 s3, s5, s3
	s_cselect_b32 s2, s4, s2
	v_cmp_eq_u64_e32 vcc, s[2:3], v[64:65]
	s_and_saveexec_b64 s[2:3], vcc
	s_cbranch_execz .LBB273_211
; %bb.158:
	v_mul_hi_u32_u24_e32 v31, 15, v64
	v_mov_b32_e32 v32, s1
	v_sub_co_u32_e32 v30, vcc, s0, v96
	s_nop 1
	v_subb_co_u32_e32 v31, vcc, v32, v31, vcc
	v_cmp_lt_i64_e32 vcc, 7, v[30:31]
	s_and_saveexec_b64 s[0:1], vcc
	s_xor_b64 s[0:1], exec, s[0:1]
	s_cbranch_execz .LBB273_184
; %bb.159:
	v_cmp_lt_i64_e32 vcc, 10, v[30:31]
	s_and_saveexec_b64 s[2:3], vcc
	s_xor_b64 s[2:3], exec, s[2:3]
	s_cbranch_execz .LBB273_173
; %bb.160:
	;; [unrolled: 5-line block ×4, first 2 shown]
	s_waitcnt lgkmcnt(2)
	v_mov_b32_e32 v0, 0
	s_waitcnt lgkmcnt(0)
	global_store_dwordx2 v0, v[28:29], s[22:23]
                                        ; implicit-def: $vgpr20_vgpr21_vgpr22_vgpr23
.LBB273_163:
	s_andn2_saveexec_b64 s[6:7], s[6:7]
	s_cbranch_execz .LBB273_165
; %bb.164:
	s_waitcnt lgkmcnt(2)
	v_mov_b32_e32 v0, 0
	s_waitcnt lgkmcnt(1)
	global_store_dwordx2 v0, v[22:23], s[22:23]
.LBB273_165:
	s_or_b64 exec, exec, s[6:7]
                                        ; implicit-def: $vgpr0_vgpr1_vgpr2_vgpr3
                                        ; implicit-def: $vgpr30_vgpr31
                                        ; implicit-def: $vgpr20_vgpr21_vgpr22_vgpr23
.LBB273_166:
	s_andn2_saveexec_b64 s[4:5], s[4:5]
	s_cbranch_execz .LBB273_172
; %bb.167:
	v_cmp_lt_i64_e32 vcc, 11, v[30:31]
	s_and_saveexec_b64 s[6:7], vcc
	s_xor_b64 s[6:7], exec, s[6:7]
	s_cbranch_execz .LBB273_169
; %bb.168:
	s_waitcnt lgkmcnt(2)
	v_mov_b32_e32 v0, 0
	s_waitcnt lgkmcnt(1)
	global_store_dwordx2 v0, v[20:21], s[22:23]
                                        ; implicit-def: $vgpr0_vgpr1_vgpr2_vgpr3
.LBB273_169:
	s_andn2_saveexec_b64 s[6:7], s[6:7]
	s_cbranch_execz .LBB273_171
; %bb.170:
	s_waitcnt lgkmcnt(2)
	v_mov_b32_e32 v0, 0
	global_store_dwordx2 v0, v[2:3], s[22:23]
.LBB273_171:
	s_or_b64 exec, exec, s[6:7]
.LBB273_172:
	s_or_b64 exec, exec, s[4:5]
                                        ; implicit-def: $vgpr16_vgpr17_vgpr18_vgpr19
                                        ; implicit-def: $vgpr30_vgpr31
                                        ; implicit-def: $vgpr0_vgpr1_vgpr2_vgpr3
.LBB273_173:
	s_andn2_saveexec_b64 s[2:3], s[2:3]
	s_cbranch_execz .LBB273_183
; %bb.174:
	v_cmp_lt_i64_e32 vcc, 8, v[30:31]
	s_and_saveexec_b64 s[4:5], vcc
	s_xor_b64 s[4:5], exec, s[4:5]
	s_cbranch_execz .LBB273_180
; %bb.175:
	v_cmp_lt_i64_e32 vcc, 9, v[30:31]
	s_and_saveexec_b64 s[6:7], vcc
	s_xor_b64 s[6:7], exec, s[6:7]
	s_cbranch_execz .LBB273_177
; %bb.176:
	s_waitcnt lgkmcnt(2)
	v_mov_b32_e32 v2, 0
	global_store_dwordx2 v2, v[0:1], s[22:23]
                                        ; implicit-def: $vgpr16_vgpr17_vgpr18_vgpr19
.LBB273_177:
	s_andn2_saveexec_b64 s[6:7], s[6:7]
	s_cbranch_execz .LBB273_179
; %bb.178:
	s_waitcnt lgkmcnt(2)
	v_mov_b32_e32 v0, 0
	global_store_dwordx2 v0, v[18:19], s[22:23]
.LBB273_179:
	s_or_b64 exec, exec, s[6:7]
                                        ; implicit-def: $vgpr16_vgpr17_vgpr18_vgpr19
.LBB273_180:
	s_andn2_saveexec_b64 s[4:5], s[4:5]
	s_cbranch_execz .LBB273_182
; %bb.181:
	s_waitcnt lgkmcnt(2)
	v_mov_b32_e32 v0, 0
	global_store_dwordx2 v0, v[16:17], s[22:23]
.LBB273_182:
	s_or_b64 exec, exec, s[4:5]
.LBB273_183:
	s_or_b64 exec, exec, s[2:3]
                                        ; implicit-def: $vgpr30_vgpr31
                                        ; implicit-def: $vgpr4_vgpr5_vgpr6_vgpr7
                                        ; implicit-def: $vgpr8_vgpr9_vgpr10_vgpr11
                                        ; implicit-def: $vgpr12_vgpr13_vgpr14_vgpr15
                                        ; implicit-def: $vgpr24_vgpr25_vgpr26_vgpr27
.LBB273_184:
	s_andn2_saveexec_b64 s[0:1], s[0:1]
	s_cbranch_execz .LBB273_211
; %bb.185:
	v_cmp_lt_i64_e32 vcc, 3, v[30:31]
	s_and_saveexec_b64 s[0:1], vcc
	s_xor_b64 s[0:1], exec, s[0:1]
	s_cbranch_execz .LBB273_199
; %bb.186:
	v_cmp_lt_i64_e32 vcc, 5, v[30:31]
	s_and_saveexec_b64 s[2:3], vcc
	s_xor_b64 s[2:3], exec, s[2:3]
	s_cbranch_execz .LBB273_192
; %bb.187:
	v_cmp_lt_i64_e32 vcc, 6, v[30:31]
	s_and_saveexec_b64 s[4:5], vcc
	s_xor_b64 s[4:5], exec, s[4:5]
	s_cbranch_execz .LBB273_189
; %bb.188:
	s_waitcnt lgkmcnt(2)
	v_mov_b32_e32 v0, 0
	global_store_dwordx2 v0, v[26:27], s[22:23]
                                        ; implicit-def: $vgpr24_vgpr25_vgpr26_vgpr27
.LBB273_189:
	s_andn2_saveexec_b64 s[4:5], s[4:5]
	s_cbranch_execz .LBB273_191
; %bb.190:
	s_waitcnt lgkmcnt(2)
	v_mov_b32_e32 v0, 0
	global_store_dwordx2 v0, v[24:25], s[22:23]
.LBB273_191:
	s_or_b64 exec, exec, s[4:5]
                                        ; implicit-def: $vgpr8_vgpr9_vgpr10_vgpr11
                                        ; implicit-def: $vgpr30_vgpr31
.LBB273_192:
	s_andn2_saveexec_b64 s[2:3], s[2:3]
	s_cbranch_execz .LBB273_198
; %bb.193:
	v_cmp_lt_i64_e32 vcc, 4, v[30:31]
	s_and_saveexec_b64 s[4:5], vcc
	s_xor_b64 s[4:5], exec, s[4:5]
	s_cbranch_execz .LBB273_195
; %bb.194:
	s_waitcnt lgkmcnt(2)
	v_mov_b32_e32 v0, 0
	global_store_dwordx2 v0, v[10:11], s[22:23]
                                        ; implicit-def: $vgpr8_vgpr9_vgpr10_vgpr11
.LBB273_195:
	s_andn2_saveexec_b64 s[4:5], s[4:5]
	s_cbranch_execz .LBB273_197
; %bb.196:
	s_waitcnt lgkmcnt(2)
	v_mov_b32_e32 v0, 0
	global_store_dwordx2 v0, v[8:9], s[22:23]
.LBB273_197:
	s_or_b64 exec, exec, s[4:5]
.LBB273_198:
	s_or_b64 exec, exec, s[2:3]
                                        ; implicit-def: $vgpr30_vgpr31
                                        ; implicit-def: $vgpr4_vgpr5_vgpr6_vgpr7
                                        ; implicit-def: $vgpr12_vgpr13_vgpr14_vgpr15
.LBB273_199:
	s_andn2_saveexec_b64 s[0:1], s[0:1]
	s_cbranch_execz .LBB273_211
; %bb.200:
	v_cmp_lt_i64_e32 vcc, 1, v[30:31]
	s_and_saveexec_b64 s[0:1], vcc
	s_xor_b64 s[0:1], exec, s[0:1]
	s_cbranch_execz .LBB273_206
; %bb.201:
	v_cmp_lt_i64_e32 vcc, 2, v[30:31]
	s_and_saveexec_b64 s[2:3], vcc
	s_xor_b64 s[2:3], exec, s[2:3]
	s_cbranch_execz .LBB273_203
; %bb.202:
	s_waitcnt lgkmcnt(2)
	v_mov_b32_e32 v0, 0
	global_store_dwordx2 v0, v[14:15], s[22:23]
                                        ; implicit-def: $vgpr12_vgpr13_vgpr14_vgpr15
.LBB273_203:
	s_andn2_saveexec_b64 s[2:3], s[2:3]
	s_cbranch_execz .LBB273_205
; %bb.204:
	s_waitcnt lgkmcnt(2)
	v_mov_b32_e32 v0, 0
	global_store_dwordx2 v0, v[12:13], s[22:23]
.LBB273_205:
	s_or_b64 exec, exec, s[2:3]
                                        ; implicit-def: $vgpr4_vgpr5_vgpr6_vgpr7
                                        ; implicit-def: $vgpr30_vgpr31
.LBB273_206:
	s_andn2_saveexec_b64 s[0:1], s[0:1]
	s_cbranch_execz .LBB273_211
; %bb.207:
	v_cmp_ne_u64_e32 vcc, 1, v[30:31]
	s_and_saveexec_b64 s[0:1], vcc
	s_xor_b64 s[0:1], exec, s[0:1]
	s_cbranch_execz .LBB273_209
; %bb.208:
	s_waitcnt lgkmcnt(2)
	v_mov_b32_e32 v0, 0
	global_store_dwordx2 v0, v[4:5], s[22:23]
                                        ; implicit-def: $vgpr4_vgpr5_vgpr6_vgpr7
.LBB273_209:
	s_andn2_saveexec_b64 s[0:1], s[0:1]
	s_cbranch_execz .LBB273_211
; %bb.210:
	s_waitcnt lgkmcnt(2)
	v_mov_b32_e32 v0, 0
	global_store_dwordx2 v0, v[6:7], s[22:23]
.LBB273_211:
	s_endpgm
	.section	.rodata,"a",@progbits
	.p2align	6, 0x0
	.amdhsa_kernel _ZN7rocprim17ROCPRIM_400000_NS6detail17trampoline_kernelINS0_14default_configENS1_20scan_config_selectorIN3c107complexIfEEEEZZNS1_9scan_implILNS1_25lookback_scan_determinismE0ELb0ELb0ES3_PKS7_PS7_S7_ZZZN2at6native31launch_logcumsumexp_cuda_kernelERKNSE_10TensorBaseESI_lENKUlvE_clEvENKUlvE2_clEvEUlS7_S7_E_S7_EEDaPvRmT3_T4_T5_mT6_P12ihipStream_tbENKUlT_T0_E_clISt17integral_constantIbLb0EESZ_EEDaSU_SV_EUlSU_E_NS1_11comp_targetILNS1_3genE5ELNS1_11target_archE942ELNS1_3gpuE9ELNS1_3repE0EEENS1_30default_config_static_selectorELNS0_4arch9wavefront6targetE1EEEvT1_
		.amdhsa_group_segment_fixed_size 30720
		.amdhsa_private_segment_fixed_size 0
		.amdhsa_kernarg_size 104
		.amdhsa_user_sgpr_count 2
		.amdhsa_user_sgpr_dispatch_ptr 0
		.amdhsa_user_sgpr_queue_ptr 0
		.amdhsa_user_sgpr_kernarg_segment_ptr 1
		.amdhsa_user_sgpr_dispatch_id 0
		.amdhsa_user_sgpr_kernarg_preload_length 0
		.amdhsa_user_sgpr_kernarg_preload_offset 0
		.amdhsa_user_sgpr_private_segment_size 0
		.amdhsa_uses_dynamic_stack 0
		.amdhsa_enable_private_segment 0
		.amdhsa_system_sgpr_workgroup_id_x 1
		.amdhsa_system_sgpr_workgroup_id_y 0
		.amdhsa_system_sgpr_workgroup_id_z 0
		.amdhsa_system_sgpr_workgroup_info 0
		.amdhsa_system_vgpr_workitem_id 0
		.amdhsa_next_free_vgpr 97
		.amdhsa_next_free_sgpr 53
		.amdhsa_accum_offset 100
		.amdhsa_reserve_vcc 1
		.amdhsa_float_round_mode_32 0
		.amdhsa_float_round_mode_16_64 0
		.amdhsa_float_denorm_mode_32 3
		.amdhsa_float_denorm_mode_16_64 3
		.amdhsa_dx10_clamp 1
		.amdhsa_ieee_mode 1
		.amdhsa_fp16_overflow 0
		.amdhsa_tg_split 0
		.amdhsa_exception_fp_ieee_invalid_op 0
		.amdhsa_exception_fp_denorm_src 0
		.amdhsa_exception_fp_ieee_div_zero 0
		.amdhsa_exception_fp_ieee_overflow 0
		.amdhsa_exception_fp_ieee_underflow 0
		.amdhsa_exception_fp_ieee_inexact 0
		.amdhsa_exception_int_div_zero 0
	.end_amdhsa_kernel
	.section	.text._ZN7rocprim17ROCPRIM_400000_NS6detail17trampoline_kernelINS0_14default_configENS1_20scan_config_selectorIN3c107complexIfEEEEZZNS1_9scan_implILNS1_25lookback_scan_determinismE0ELb0ELb0ES3_PKS7_PS7_S7_ZZZN2at6native31launch_logcumsumexp_cuda_kernelERKNSE_10TensorBaseESI_lENKUlvE_clEvENKUlvE2_clEvEUlS7_S7_E_S7_EEDaPvRmT3_T4_T5_mT6_P12ihipStream_tbENKUlT_T0_E_clISt17integral_constantIbLb0EESZ_EEDaSU_SV_EUlSU_E_NS1_11comp_targetILNS1_3genE5ELNS1_11target_archE942ELNS1_3gpuE9ELNS1_3repE0EEENS1_30default_config_static_selectorELNS0_4arch9wavefront6targetE1EEEvT1_,"axG",@progbits,_ZN7rocprim17ROCPRIM_400000_NS6detail17trampoline_kernelINS0_14default_configENS1_20scan_config_selectorIN3c107complexIfEEEEZZNS1_9scan_implILNS1_25lookback_scan_determinismE0ELb0ELb0ES3_PKS7_PS7_S7_ZZZN2at6native31launch_logcumsumexp_cuda_kernelERKNSE_10TensorBaseESI_lENKUlvE_clEvENKUlvE2_clEvEUlS7_S7_E_S7_EEDaPvRmT3_T4_T5_mT6_P12ihipStream_tbENKUlT_T0_E_clISt17integral_constantIbLb0EESZ_EEDaSU_SV_EUlSU_E_NS1_11comp_targetILNS1_3genE5ELNS1_11target_archE942ELNS1_3gpuE9ELNS1_3repE0EEENS1_30default_config_static_selectorELNS0_4arch9wavefront6targetE1EEEvT1_,comdat
.Lfunc_end273:
	.size	_ZN7rocprim17ROCPRIM_400000_NS6detail17trampoline_kernelINS0_14default_configENS1_20scan_config_selectorIN3c107complexIfEEEEZZNS1_9scan_implILNS1_25lookback_scan_determinismE0ELb0ELb0ES3_PKS7_PS7_S7_ZZZN2at6native31launch_logcumsumexp_cuda_kernelERKNSE_10TensorBaseESI_lENKUlvE_clEvENKUlvE2_clEvEUlS7_S7_E_S7_EEDaPvRmT3_T4_T5_mT6_P12ihipStream_tbENKUlT_T0_E_clISt17integral_constantIbLb0EESZ_EEDaSU_SV_EUlSU_E_NS1_11comp_targetILNS1_3genE5ELNS1_11target_archE942ELNS1_3gpuE9ELNS1_3repE0EEENS1_30default_config_static_selectorELNS0_4arch9wavefront6targetE1EEEvT1_, .Lfunc_end273-_ZN7rocprim17ROCPRIM_400000_NS6detail17trampoline_kernelINS0_14default_configENS1_20scan_config_selectorIN3c107complexIfEEEEZZNS1_9scan_implILNS1_25lookback_scan_determinismE0ELb0ELb0ES3_PKS7_PS7_S7_ZZZN2at6native31launch_logcumsumexp_cuda_kernelERKNSE_10TensorBaseESI_lENKUlvE_clEvENKUlvE2_clEvEUlS7_S7_E_S7_EEDaPvRmT3_T4_T5_mT6_P12ihipStream_tbENKUlT_T0_E_clISt17integral_constantIbLb0EESZ_EEDaSU_SV_EUlSU_E_NS1_11comp_targetILNS1_3genE5ELNS1_11target_archE942ELNS1_3gpuE9ELNS1_3repE0EEENS1_30default_config_static_selectorELNS0_4arch9wavefront6targetE1EEEvT1_
                                        ; -- End function
	.section	.AMDGPU.csdata,"",@progbits
; Kernel info:
; codeLenInByte = 8872
; NumSgprs: 59
; NumVgprs: 97
; NumAgprs: 0
; TotalNumVgprs: 97
; ScratchSize: 0
; MemoryBound: 0
; FloatMode: 240
; IeeeMode: 1
; LDSByteSize: 30720 bytes/workgroup (compile time only)
; SGPRBlocks: 7
; VGPRBlocks: 12
; NumSGPRsForWavesPerEU: 59
; NumVGPRsForWavesPerEU: 97
; AccumOffset: 100
; Occupancy: 2
; WaveLimiterHint : 0
; COMPUTE_PGM_RSRC2:SCRATCH_EN: 0
; COMPUTE_PGM_RSRC2:USER_SGPR: 2
; COMPUTE_PGM_RSRC2:TRAP_HANDLER: 0
; COMPUTE_PGM_RSRC2:TGID_X_EN: 1
; COMPUTE_PGM_RSRC2:TGID_Y_EN: 0
; COMPUTE_PGM_RSRC2:TGID_Z_EN: 0
; COMPUTE_PGM_RSRC2:TIDIG_COMP_CNT: 0
; COMPUTE_PGM_RSRC3_GFX90A:ACCUM_OFFSET: 24
; COMPUTE_PGM_RSRC3_GFX90A:TG_SPLIT: 0
	.section	.text._ZN7rocprim17ROCPRIM_400000_NS6detail17trampoline_kernelINS0_14default_configENS1_20scan_config_selectorIN3c107complexIfEEEEZZNS1_9scan_implILNS1_25lookback_scan_determinismE0ELb0ELb0ES3_PKS7_PS7_S7_ZZZN2at6native31launch_logcumsumexp_cuda_kernelERKNSE_10TensorBaseESI_lENKUlvE_clEvENKUlvE2_clEvEUlS7_S7_E_S7_EEDaPvRmT3_T4_T5_mT6_P12ihipStream_tbENKUlT_T0_E_clISt17integral_constantIbLb0EESZ_EEDaSU_SV_EUlSU_E_NS1_11comp_targetILNS1_3genE4ELNS1_11target_archE910ELNS1_3gpuE8ELNS1_3repE0EEENS1_30default_config_static_selectorELNS0_4arch9wavefront6targetE1EEEvT1_,"axG",@progbits,_ZN7rocprim17ROCPRIM_400000_NS6detail17trampoline_kernelINS0_14default_configENS1_20scan_config_selectorIN3c107complexIfEEEEZZNS1_9scan_implILNS1_25lookback_scan_determinismE0ELb0ELb0ES3_PKS7_PS7_S7_ZZZN2at6native31launch_logcumsumexp_cuda_kernelERKNSE_10TensorBaseESI_lENKUlvE_clEvENKUlvE2_clEvEUlS7_S7_E_S7_EEDaPvRmT3_T4_T5_mT6_P12ihipStream_tbENKUlT_T0_E_clISt17integral_constantIbLb0EESZ_EEDaSU_SV_EUlSU_E_NS1_11comp_targetILNS1_3genE4ELNS1_11target_archE910ELNS1_3gpuE8ELNS1_3repE0EEENS1_30default_config_static_selectorELNS0_4arch9wavefront6targetE1EEEvT1_,comdat
	.globl	_ZN7rocprim17ROCPRIM_400000_NS6detail17trampoline_kernelINS0_14default_configENS1_20scan_config_selectorIN3c107complexIfEEEEZZNS1_9scan_implILNS1_25lookback_scan_determinismE0ELb0ELb0ES3_PKS7_PS7_S7_ZZZN2at6native31launch_logcumsumexp_cuda_kernelERKNSE_10TensorBaseESI_lENKUlvE_clEvENKUlvE2_clEvEUlS7_S7_E_S7_EEDaPvRmT3_T4_T5_mT6_P12ihipStream_tbENKUlT_T0_E_clISt17integral_constantIbLb0EESZ_EEDaSU_SV_EUlSU_E_NS1_11comp_targetILNS1_3genE4ELNS1_11target_archE910ELNS1_3gpuE8ELNS1_3repE0EEENS1_30default_config_static_selectorELNS0_4arch9wavefront6targetE1EEEvT1_ ; -- Begin function _ZN7rocprim17ROCPRIM_400000_NS6detail17trampoline_kernelINS0_14default_configENS1_20scan_config_selectorIN3c107complexIfEEEEZZNS1_9scan_implILNS1_25lookback_scan_determinismE0ELb0ELb0ES3_PKS7_PS7_S7_ZZZN2at6native31launch_logcumsumexp_cuda_kernelERKNSE_10TensorBaseESI_lENKUlvE_clEvENKUlvE2_clEvEUlS7_S7_E_S7_EEDaPvRmT3_T4_T5_mT6_P12ihipStream_tbENKUlT_T0_E_clISt17integral_constantIbLb0EESZ_EEDaSU_SV_EUlSU_E_NS1_11comp_targetILNS1_3genE4ELNS1_11target_archE910ELNS1_3gpuE8ELNS1_3repE0EEENS1_30default_config_static_selectorELNS0_4arch9wavefront6targetE1EEEvT1_
	.p2align	8
	.type	_ZN7rocprim17ROCPRIM_400000_NS6detail17trampoline_kernelINS0_14default_configENS1_20scan_config_selectorIN3c107complexIfEEEEZZNS1_9scan_implILNS1_25lookback_scan_determinismE0ELb0ELb0ES3_PKS7_PS7_S7_ZZZN2at6native31launch_logcumsumexp_cuda_kernelERKNSE_10TensorBaseESI_lENKUlvE_clEvENKUlvE2_clEvEUlS7_S7_E_S7_EEDaPvRmT3_T4_T5_mT6_P12ihipStream_tbENKUlT_T0_E_clISt17integral_constantIbLb0EESZ_EEDaSU_SV_EUlSU_E_NS1_11comp_targetILNS1_3genE4ELNS1_11target_archE910ELNS1_3gpuE8ELNS1_3repE0EEENS1_30default_config_static_selectorELNS0_4arch9wavefront6targetE1EEEvT1_,@function
_ZN7rocprim17ROCPRIM_400000_NS6detail17trampoline_kernelINS0_14default_configENS1_20scan_config_selectorIN3c107complexIfEEEEZZNS1_9scan_implILNS1_25lookback_scan_determinismE0ELb0ELb0ES3_PKS7_PS7_S7_ZZZN2at6native31launch_logcumsumexp_cuda_kernelERKNSE_10TensorBaseESI_lENKUlvE_clEvENKUlvE2_clEvEUlS7_S7_E_S7_EEDaPvRmT3_T4_T5_mT6_P12ihipStream_tbENKUlT_T0_E_clISt17integral_constantIbLb0EESZ_EEDaSU_SV_EUlSU_E_NS1_11comp_targetILNS1_3genE4ELNS1_11target_archE910ELNS1_3gpuE8ELNS1_3repE0EEENS1_30default_config_static_selectorELNS0_4arch9wavefront6targetE1EEEvT1_: ; @_ZN7rocprim17ROCPRIM_400000_NS6detail17trampoline_kernelINS0_14default_configENS1_20scan_config_selectorIN3c107complexIfEEEEZZNS1_9scan_implILNS1_25lookback_scan_determinismE0ELb0ELb0ES3_PKS7_PS7_S7_ZZZN2at6native31launch_logcumsumexp_cuda_kernelERKNSE_10TensorBaseESI_lENKUlvE_clEvENKUlvE2_clEvEUlS7_S7_E_S7_EEDaPvRmT3_T4_T5_mT6_P12ihipStream_tbENKUlT_T0_E_clISt17integral_constantIbLb0EESZ_EEDaSU_SV_EUlSU_E_NS1_11comp_targetILNS1_3genE4ELNS1_11target_archE910ELNS1_3gpuE8ELNS1_3repE0EEENS1_30default_config_static_selectorELNS0_4arch9wavefront6targetE1EEEvT1_
; %bb.0:
	.section	.rodata,"a",@progbits
	.p2align	6, 0x0
	.amdhsa_kernel _ZN7rocprim17ROCPRIM_400000_NS6detail17trampoline_kernelINS0_14default_configENS1_20scan_config_selectorIN3c107complexIfEEEEZZNS1_9scan_implILNS1_25lookback_scan_determinismE0ELb0ELb0ES3_PKS7_PS7_S7_ZZZN2at6native31launch_logcumsumexp_cuda_kernelERKNSE_10TensorBaseESI_lENKUlvE_clEvENKUlvE2_clEvEUlS7_S7_E_S7_EEDaPvRmT3_T4_T5_mT6_P12ihipStream_tbENKUlT_T0_E_clISt17integral_constantIbLb0EESZ_EEDaSU_SV_EUlSU_E_NS1_11comp_targetILNS1_3genE4ELNS1_11target_archE910ELNS1_3gpuE8ELNS1_3repE0EEENS1_30default_config_static_selectorELNS0_4arch9wavefront6targetE1EEEvT1_
		.amdhsa_group_segment_fixed_size 0
		.amdhsa_private_segment_fixed_size 0
		.amdhsa_kernarg_size 104
		.amdhsa_user_sgpr_count 2
		.amdhsa_user_sgpr_dispatch_ptr 0
		.amdhsa_user_sgpr_queue_ptr 0
		.amdhsa_user_sgpr_kernarg_segment_ptr 1
		.amdhsa_user_sgpr_dispatch_id 0
		.amdhsa_user_sgpr_kernarg_preload_length 0
		.amdhsa_user_sgpr_kernarg_preload_offset 0
		.amdhsa_user_sgpr_private_segment_size 0
		.amdhsa_uses_dynamic_stack 0
		.amdhsa_enable_private_segment 0
		.amdhsa_system_sgpr_workgroup_id_x 1
		.amdhsa_system_sgpr_workgroup_id_y 0
		.amdhsa_system_sgpr_workgroup_id_z 0
		.amdhsa_system_sgpr_workgroup_info 0
		.amdhsa_system_vgpr_workitem_id 0
		.amdhsa_next_free_vgpr 1
		.amdhsa_next_free_sgpr 0
		.amdhsa_accum_offset 4
		.amdhsa_reserve_vcc 0
		.amdhsa_float_round_mode_32 0
		.amdhsa_float_round_mode_16_64 0
		.amdhsa_float_denorm_mode_32 3
		.amdhsa_float_denorm_mode_16_64 3
		.amdhsa_dx10_clamp 1
		.amdhsa_ieee_mode 1
		.amdhsa_fp16_overflow 0
		.amdhsa_tg_split 0
		.amdhsa_exception_fp_ieee_invalid_op 0
		.amdhsa_exception_fp_denorm_src 0
		.amdhsa_exception_fp_ieee_div_zero 0
		.amdhsa_exception_fp_ieee_overflow 0
		.amdhsa_exception_fp_ieee_underflow 0
		.amdhsa_exception_fp_ieee_inexact 0
		.amdhsa_exception_int_div_zero 0
	.end_amdhsa_kernel
	.section	.text._ZN7rocprim17ROCPRIM_400000_NS6detail17trampoline_kernelINS0_14default_configENS1_20scan_config_selectorIN3c107complexIfEEEEZZNS1_9scan_implILNS1_25lookback_scan_determinismE0ELb0ELb0ES3_PKS7_PS7_S7_ZZZN2at6native31launch_logcumsumexp_cuda_kernelERKNSE_10TensorBaseESI_lENKUlvE_clEvENKUlvE2_clEvEUlS7_S7_E_S7_EEDaPvRmT3_T4_T5_mT6_P12ihipStream_tbENKUlT_T0_E_clISt17integral_constantIbLb0EESZ_EEDaSU_SV_EUlSU_E_NS1_11comp_targetILNS1_3genE4ELNS1_11target_archE910ELNS1_3gpuE8ELNS1_3repE0EEENS1_30default_config_static_selectorELNS0_4arch9wavefront6targetE1EEEvT1_,"axG",@progbits,_ZN7rocprim17ROCPRIM_400000_NS6detail17trampoline_kernelINS0_14default_configENS1_20scan_config_selectorIN3c107complexIfEEEEZZNS1_9scan_implILNS1_25lookback_scan_determinismE0ELb0ELb0ES3_PKS7_PS7_S7_ZZZN2at6native31launch_logcumsumexp_cuda_kernelERKNSE_10TensorBaseESI_lENKUlvE_clEvENKUlvE2_clEvEUlS7_S7_E_S7_EEDaPvRmT3_T4_T5_mT6_P12ihipStream_tbENKUlT_T0_E_clISt17integral_constantIbLb0EESZ_EEDaSU_SV_EUlSU_E_NS1_11comp_targetILNS1_3genE4ELNS1_11target_archE910ELNS1_3gpuE8ELNS1_3repE0EEENS1_30default_config_static_selectorELNS0_4arch9wavefront6targetE1EEEvT1_,comdat
.Lfunc_end274:
	.size	_ZN7rocprim17ROCPRIM_400000_NS6detail17trampoline_kernelINS0_14default_configENS1_20scan_config_selectorIN3c107complexIfEEEEZZNS1_9scan_implILNS1_25lookback_scan_determinismE0ELb0ELb0ES3_PKS7_PS7_S7_ZZZN2at6native31launch_logcumsumexp_cuda_kernelERKNSE_10TensorBaseESI_lENKUlvE_clEvENKUlvE2_clEvEUlS7_S7_E_S7_EEDaPvRmT3_T4_T5_mT6_P12ihipStream_tbENKUlT_T0_E_clISt17integral_constantIbLb0EESZ_EEDaSU_SV_EUlSU_E_NS1_11comp_targetILNS1_3genE4ELNS1_11target_archE910ELNS1_3gpuE8ELNS1_3repE0EEENS1_30default_config_static_selectorELNS0_4arch9wavefront6targetE1EEEvT1_, .Lfunc_end274-_ZN7rocprim17ROCPRIM_400000_NS6detail17trampoline_kernelINS0_14default_configENS1_20scan_config_selectorIN3c107complexIfEEEEZZNS1_9scan_implILNS1_25lookback_scan_determinismE0ELb0ELb0ES3_PKS7_PS7_S7_ZZZN2at6native31launch_logcumsumexp_cuda_kernelERKNSE_10TensorBaseESI_lENKUlvE_clEvENKUlvE2_clEvEUlS7_S7_E_S7_EEDaPvRmT3_T4_T5_mT6_P12ihipStream_tbENKUlT_T0_E_clISt17integral_constantIbLb0EESZ_EEDaSU_SV_EUlSU_E_NS1_11comp_targetILNS1_3genE4ELNS1_11target_archE910ELNS1_3gpuE8ELNS1_3repE0EEENS1_30default_config_static_selectorELNS0_4arch9wavefront6targetE1EEEvT1_
                                        ; -- End function
	.section	.AMDGPU.csdata,"",@progbits
; Kernel info:
; codeLenInByte = 0
; NumSgprs: 6
; NumVgprs: 0
; NumAgprs: 0
; TotalNumVgprs: 0
; ScratchSize: 0
; MemoryBound: 0
; FloatMode: 240
; IeeeMode: 1
; LDSByteSize: 0 bytes/workgroup (compile time only)
; SGPRBlocks: 0
; VGPRBlocks: 0
; NumSGPRsForWavesPerEU: 6
; NumVGPRsForWavesPerEU: 1
; AccumOffset: 4
; Occupancy: 8
; WaveLimiterHint : 0
; COMPUTE_PGM_RSRC2:SCRATCH_EN: 0
; COMPUTE_PGM_RSRC2:USER_SGPR: 2
; COMPUTE_PGM_RSRC2:TRAP_HANDLER: 0
; COMPUTE_PGM_RSRC2:TGID_X_EN: 1
; COMPUTE_PGM_RSRC2:TGID_Y_EN: 0
; COMPUTE_PGM_RSRC2:TGID_Z_EN: 0
; COMPUTE_PGM_RSRC2:TIDIG_COMP_CNT: 0
; COMPUTE_PGM_RSRC3_GFX90A:ACCUM_OFFSET: 0
; COMPUTE_PGM_RSRC3_GFX90A:TG_SPLIT: 0
	.section	.text._ZN7rocprim17ROCPRIM_400000_NS6detail17trampoline_kernelINS0_14default_configENS1_20scan_config_selectorIN3c107complexIfEEEEZZNS1_9scan_implILNS1_25lookback_scan_determinismE0ELb0ELb0ES3_PKS7_PS7_S7_ZZZN2at6native31launch_logcumsumexp_cuda_kernelERKNSE_10TensorBaseESI_lENKUlvE_clEvENKUlvE2_clEvEUlS7_S7_E_S7_EEDaPvRmT3_T4_T5_mT6_P12ihipStream_tbENKUlT_T0_E_clISt17integral_constantIbLb0EESZ_EEDaSU_SV_EUlSU_E_NS1_11comp_targetILNS1_3genE3ELNS1_11target_archE908ELNS1_3gpuE7ELNS1_3repE0EEENS1_30default_config_static_selectorELNS0_4arch9wavefront6targetE1EEEvT1_,"axG",@progbits,_ZN7rocprim17ROCPRIM_400000_NS6detail17trampoline_kernelINS0_14default_configENS1_20scan_config_selectorIN3c107complexIfEEEEZZNS1_9scan_implILNS1_25lookback_scan_determinismE0ELb0ELb0ES3_PKS7_PS7_S7_ZZZN2at6native31launch_logcumsumexp_cuda_kernelERKNSE_10TensorBaseESI_lENKUlvE_clEvENKUlvE2_clEvEUlS7_S7_E_S7_EEDaPvRmT3_T4_T5_mT6_P12ihipStream_tbENKUlT_T0_E_clISt17integral_constantIbLb0EESZ_EEDaSU_SV_EUlSU_E_NS1_11comp_targetILNS1_3genE3ELNS1_11target_archE908ELNS1_3gpuE7ELNS1_3repE0EEENS1_30default_config_static_selectorELNS0_4arch9wavefront6targetE1EEEvT1_,comdat
	.globl	_ZN7rocprim17ROCPRIM_400000_NS6detail17trampoline_kernelINS0_14default_configENS1_20scan_config_selectorIN3c107complexIfEEEEZZNS1_9scan_implILNS1_25lookback_scan_determinismE0ELb0ELb0ES3_PKS7_PS7_S7_ZZZN2at6native31launch_logcumsumexp_cuda_kernelERKNSE_10TensorBaseESI_lENKUlvE_clEvENKUlvE2_clEvEUlS7_S7_E_S7_EEDaPvRmT3_T4_T5_mT6_P12ihipStream_tbENKUlT_T0_E_clISt17integral_constantIbLb0EESZ_EEDaSU_SV_EUlSU_E_NS1_11comp_targetILNS1_3genE3ELNS1_11target_archE908ELNS1_3gpuE7ELNS1_3repE0EEENS1_30default_config_static_selectorELNS0_4arch9wavefront6targetE1EEEvT1_ ; -- Begin function _ZN7rocprim17ROCPRIM_400000_NS6detail17trampoline_kernelINS0_14default_configENS1_20scan_config_selectorIN3c107complexIfEEEEZZNS1_9scan_implILNS1_25lookback_scan_determinismE0ELb0ELb0ES3_PKS7_PS7_S7_ZZZN2at6native31launch_logcumsumexp_cuda_kernelERKNSE_10TensorBaseESI_lENKUlvE_clEvENKUlvE2_clEvEUlS7_S7_E_S7_EEDaPvRmT3_T4_T5_mT6_P12ihipStream_tbENKUlT_T0_E_clISt17integral_constantIbLb0EESZ_EEDaSU_SV_EUlSU_E_NS1_11comp_targetILNS1_3genE3ELNS1_11target_archE908ELNS1_3gpuE7ELNS1_3repE0EEENS1_30default_config_static_selectorELNS0_4arch9wavefront6targetE1EEEvT1_
	.p2align	8
	.type	_ZN7rocprim17ROCPRIM_400000_NS6detail17trampoline_kernelINS0_14default_configENS1_20scan_config_selectorIN3c107complexIfEEEEZZNS1_9scan_implILNS1_25lookback_scan_determinismE0ELb0ELb0ES3_PKS7_PS7_S7_ZZZN2at6native31launch_logcumsumexp_cuda_kernelERKNSE_10TensorBaseESI_lENKUlvE_clEvENKUlvE2_clEvEUlS7_S7_E_S7_EEDaPvRmT3_T4_T5_mT6_P12ihipStream_tbENKUlT_T0_E_clISt17integral_constantIbLb0EESZ_EEDaSU_SV_EUlSU_E_NS1_11comp_targetILNS1_3genE3ELNS1_11target_archE908ELNS1_3gpuE7ELNS1_3repE0EEENS1_30default_config_static_selectorELNS0_4arch9wavefront6targetE1EEEvT1_,@function
_ZN7rocprim17ROCPRIM_400000_NS6detail17trampoline_kernelINS0_14default_configENS1_20scan_config_selectorIN3c107complexIfEEEEZZNS1_9scan_implILNS1_25lookback_scan_determinismE0ELb0ELb0ES3_PKS7_PS7_S7_ZZZN2at6native31launch_logcumsumexp_cuda_kernelERKNSE_10TensorBaseESI_lENKUlvE_clEvENKUlvE2_clEvEUlS7_S7_E_S7_EEDaPvRmT3_T4_T5_mT6_P12ihipStream_tbENKUlT_T0_E_clISt17integral_constantIbLb0EESZ_EEDaSU_SV_EUlSU_E_NS1_11comp_targetILNS1_3genE3ELNS1_11target_archE908ELNS1_3gpuE7ELNS1_3repE0EEENS1_30default_config_static_selectorELNS0_4arch9wavefront6targetE1EEEvT1_: ; @_ZN7rocprim17ROCPRIM_400000_NS6detail17trampoline_kernelINS0_14default_configENS1_20scan_config_selectorIN3c107complexIfEEEEZZNS1_9scan_implILNS1_25lookback_scan_determinismE0ELb0ELb0ES3_PKS7_PS7_S7_ZZZN2at6native31launch_logcumsumexp_cuda_kernelERKNSE_10TensorBaseESI_lENKUlvE_clEvENKUlvE2_clEvEUlS7_S7_E_S7_EEDaPvRmT3_T4_T5_mT6_P12ihipStream_tbENKUlT_T0_E_clISt17integral_constantIbLb0EESZ_EEDaSU_SV_EUlSU_E_NS1_11comp_targetILNS1_3genE3ELNS1_11target_archE908ELNS1_3gpuE7ELNS1_3repE0EEENS1_30default_config_static_selectorELNS0_4arch9wavefront6targetE1EEEvT1_
; %bb.0:
	.section	.rodata,"a",@progbits
	.p2align	6, 0x0
	.amdhsa_kernel _ZN7rocprim17ROCPRIM_400000_NS6detail17trampoline_kernelINS0_14default_configENS1_20scan_config_selectorIN3c107complexIfEEEEZZNS1_9scan_implILNS1_25lookback_scan_determinismE0ELb0ELb0ES3_PKS7_PS7_S7_ZZZN2at6native31launch_logcumsumexp_cuda_kernelERKNSE_10TensorBaseESI_lENKUlvE_clEvENKUlvE2_clEvEUlS7_S7_E_S7_EEDaPvRmT3_T4_T5_mT6_P12ihipStream_tbENKUlT_T0_E_clISt17integral_constantIbLb0EESZ_EEDaSU_SV_EUlSU_E_NS1_11comp_targetILNS1_3genE3ELNS1_11target_archE908ELNS1_3gpuE7ELNS1_3repE0EEENS1_30default_config_static_selectorELNS0_4arch9wavefront6targetE1EEEvT1_
		.amdhsa_group_segment_fixed_size 0
		.amdhsa_private_segment_fixed_size 0
		.amdhsa_kernarg_size 104
		.amdhsa_user_sgpr_count 2
		.amdhsa_user_sgpr_dispatch_ptr 0
		.amdhsa_user_sgpr_queue_ptr 0
		.amdhsa_user_sgpr_kernarg_segment_ptr 1
		.amdhsa_user_sgpr_dispatch_id 0
		.amdhsa_user_sgpr_kernarg_preload_length 0
		.amdhsa_user_sgpr_kernarg_preload_offset 0
		.amdhsa_user_sgpr_private_segment_size 0
		.amdhsa_uses_dynamic_stack 0
		.amdhsa_enable_private_segment 0
		.amdhsa_system_sgpr_workgroup_id_x 1
		.amdhsa_system_sgpr_workgroup_id_y 0
		.amdhsa_system_sgpr_workgroup_id_z 0
		.amdhsa_system_sgpr_workgroup_info 0
		.amdhsa_system_vgpr_workitem_id 0
		.amdhsa_next_free_vgpr 1
		.amdhsa_next_free_sgpr 0
		.amdhsa_accum_offset 4
		.amdhsa_reserve_vcc 0
		.amdhsa_float_round_mode_32 0
		.amdhsa_float_round_mode_16_64 0
		.amdhsa_float_denorm_mode_32 3
		.amdhsa_float_denorm_mode_16_64 3
		.amdhsa_dx10_clamp 1
		.amdhsa_ieee_mode 1
		.amdhsa_fp16_overflow 0
		.amdhsa_tg_split 0
		.amdhsa_exception_fp_ieee_invalid_op 0
		.amdhsa_exception_fp_denorm_src 0
		.amdhsa_exception_fp_ieee_div_zero 0
		.amdhsa_exception_fp_ieee_overflow 0
		.amdhsa_exception_fp_ieee_underflow 0
		.amdhsa_exception_fp_ieee_inexact 0
		.amdhsa_exception_int_div_zero 0
	.end_amdhsa_kernel
	.section	.text._ZN7rocprim17ROCPRIM_400000_NS6detail17trampoline_kernelINS0_14default_configENS1_20scan_config_selectorIN3c107complexIfEEEEZZNS1_9scan_implILNS1_25lookback_scan_determinismE0ELb0ELb0ES3_PKS7_PS7_S7_ZZZN2at6native31launch_logcumsumexp_cuda_kernelERKNSE_10TensorBaseESI_lENKUlvE_clEvENKUlvE2_clEvEUlS7_S7_E_S7_EEDaPvRmT3_T4_T5_mT6_P12ihipStream_tbENKUlT_T0_E_clISt17integral_constantIbLb0EESZ_EEDaSU_SV_EUlSU_E_NS1_11comp_targetILNS1_3genE3ELNS1_11target_archE908ELNS1_3gpuE7ELNS1_3repE0EEENS1_30default_config_static_selectorELNS0_4arch9wavefront6targetE1EEEvT1_,"axG",@progbits,_ZN7rocprim17ROCPRIM_400000_NS6detail17trampoline_kernelINS0_14default_configENS1_20scan_config_selectorIN3c107complexIfEEEEZZNS1_9scan_implILNS1_25lookback_scan_determinismE0ELb0ELb0ES3_PKS7_PS7_S7_ZZZN2at6native31launch_logcumsumexp_cuda_kernelERKNSE_10TensorBaseESI_lENKUlvE_clEvENKUlvE2_clEvEUlS7_S7_E_S7_EEDaPvRmT3_T4_T5_mT6_P12ihipStream_tbENKUlT_T0_E_clISt17integral_constantIbLb0EESZ_EEDaSU_SV_EUlSU_E_NS1_11comp_targetILNS1_3genE3ELNS1_11target_archE908ELNS1_3gpuE7ELNS1_3repE0EEENS1_30default_config_static_selectorELNS0_4arch9wavefront6targetE1EEEvT1_,comdat
.Lfunc_end275:
	.size	_ZN7rocprim17ROCPRIM_400000_NS6detail17trampoline_kernelINS0_14default_configENS1_20scan_config_selectorIN3c107complexIfEEEEZZNS1_9scan_implILNS1_25lookback_scan_determinismE0ELb0ELb0ES3_PKS7_PS7_S7_ZZZN2at6native31launch_logcumsumexp_cuda_kernelERKNSE_10TensorBaseESI_lENKUlvE_clEvENKUlvE2_clEvEUlS7_S7_E_S7_EEDaPvRmT3_T4_T5_mT6_P12ihipStream_tbENKUlT_T0_E_clISt17integral_constantIbLb0EESZ_EEDaSU_SV_EUlSU_E_NS1_11comp_targetILNS1_3genE3ELNS1_11target_archE908ELNS1_3gpuE7ELNS1_3repE0EEENS1_30default_config_static_selectorELNS0_4arch9wavefront6targetE1EEEvT1_, .Lfunc_end275-_ZN7rocprim17ROCPRIM_400000_NS6detail17trampoline_kernelINS0_14default_configENS1_20scan_config_selectorIN3c107complexIfEEEEZZNS1_9scan_implILNS1_25lookback_scan_determinismE0ELb0ELb0ES3_PKS7_PS7_S7_ZZZN2at6native31launch_logcumsumexp_cuda_kernelERKNSE_10TensorBaseESI_lENKUlvE_clEvENKUlvE2_clEvEUlS7_S7_E_S7_EEDaPvRmT3_T4_T5_mT6_P12ihipStream_tbENKUlT_T0_E_clISt17integral_constantIbLb0EESZ_EEDaSU_SV_EUlSU_E_NS1_11comp_targetILNS1_3genE3ELNS1_11target_archE908ELNS1_3gpuE7ELNS1_3repE0EEENS1_30default_config_static_selectorELNS0_4arch9wavefront6targetE1EEEvT1_
                                        ; -- End function
	.section	.AMDGPU.csdata,"",@progbits
; Kernel info:
; codeLenInByte = 0
; NumSgprs: 6
; NumVgprs: 0
; NumAgprs: 0
; TotalNumVgprs: 0
; ScratchSize: 0
; MemoryBound: 0
; FloatMode: 240
; IeeeMode: 1
; LDSByteSize: 0 bytes/workgroup (compile time only)
; SGPRBlocks: 0
; VGPRBlocks: 0
; NumSGPRsForWavesPerEU: 6
; NumVGPRsForWavesPerEU: 1
; AccumOffset: 4
; Occupancy: 8
; WaveLimiterHint : 0
; COMPUTE_PGM_RSRC2:SCRATCH_EN: 0
; COMPUTE_PGM_RSRC2:USER_SGPR: 2
; COMPUTE_PGM_RSRC2:TRAP_HANDLER: 0
; COMPUTE_PGM_RSRC2:TGID_X_EN: 1
; COMPUTE_PGM_RSRC2:TGID_Y_EN: 0
; COMPUTE_PGM_RSRC2:TGID_Z_EN: 0
; COMPUTE_PGM_RSRC2:TIDIG_COMP_CNT: 0
; COMPUTE_PGM_RSRC3_GFX90A:ACCUM_OFFSET: 0
; COMPUTE_PGM_RSRC3_GFX90A:TG_SPLIT: 0
	.section	.text._ZN7rocprim17ROCPRIM_400000_NS6detail17trampoline_kernelINS0_14default_configENS1_20scan_config_selectorIN3c107complexIfEEEEZZNS1_9scan_implILNS1_25lookback_scan_determinismE0ELb0ELb0ES3_PKS7_PS7_S7_ZZZN2at6native31launch_logcumsumexp_cuda_kernelERKNSE_10TensorBaseESI_lENKUlvE_clEvENKUlvE2_clEvEUlS7_S7_E_S7_EEDaPvRmT3_T4_T5_mT6_P12ihipStream_tbENKUlT_T0_E_clISt17integral_constantIbLb0EESZ_EEDaSU_SV_EUlSU_E_NS1_11comp_targetILNS1_3genE2ELNS1_11target_archE906ELNS1_3gpuE6ELNS1_3repE0EEENS1_30default_config_static_selectorELNS0_4arch9wavefront6targetE1EEEvT1_,"axG",@progbits,_ZN7rocprim17ROCPRIM_400000_NS6detail17trampoline_kernelINS0_14default_configENS1_20scan_config_selectorIN3c107complexIfEEEEZZNS1_9scan_implILNS1_25lookback_scan_determinismE0ELb0ELb0ES3_PKS7_PS7_S7_ZZZN2at6native31launch_logcumsumexp_cuda_kernelERKNSE_10TensorBaseESI_lENKUlvE_clEvENKUlvE2_clEvEUlS7_S7_E_S7_EEDaPvRmT3_T4_T5_mT6_P12ihipStream_tbENKUlT_T0_E_clISt17integral_constantIbLb0EESZ_EEDaSU_SV_EUlSU_E_NS1_11comp_targetILNS1_3genE2ELNS1_11target_archE906ELNS1_3gpuE6ELNS1_3repE0EEENS1_30default_config_static_selectorELNS0_4arch9wavefront6targetE1EEEvT1_,comdat
	.globl	_ZN7rocprim17ROCPRIM_400000_NS6detail17trampoline_kernelINS0_14default_configENS1_20scan_config_selectorIN3c107complexIfEEEEZZNS1_9scan_implILNS1_25lookback_scan_determinismE0ELb0ELb0ES3_PKS7_PS7_S7_ZZZN2at6native31launch_logcumsumexp_cuda_kernelERKNSE_10TensorBaseESI_lENKUlvE_clEvENKUlvE2_clEvEUlS7_S7_E_S7_EEDaPvRmT3_T4_T5_mT6_P12ihipStream_tbENKUlT_T0_E_clISt17integral_constantIbLb0EESZ_EEDaSU_SV_EUlSU_E_NS1_11comp_targetILNS1_3genE2ELNS1_11target_archE906ELNS1_3gpuE6ELNS1_3repE0EEENS1_30default_config_static_selectorELNS0_4arch9wavefront6targetE1EEEvT1_ ; -- Begin function _ZN7rocprim17ROCPRIM_400000_NS6detail17trampoline_kernelINS0_14default_configENS1_20scan_config_selectorIN3c107complexIfEEEEZZNS1_9scan_implILNS1_25lookback_scan_determinismE0ELb0ELb0ES3_PKS7_PS7_S7_ZZZN2at6native31launch_logcumsumexp_cuda_kernelERKNSE_10TensorBaseESI_lENKUlvE_clEvENKUlvE2_clEvEUlS7_S7_E_S7_EEDaPvRmT3_T4_T5_mT6_P12ihipStream_tbENKUlT_T0_E_clISt17integral_constantIbLb0EESZ_EEDaSU_SV_EUlSU_E_NS1_11comp_targetILNS1_3genE2ELNS1_11target_archE906ELNS1_3gpuE6ELNS1_3repE0EEENS1_30default_config_static_selectorELNS0_4arch9wavefront6targetE1EEEvT1_
	.p2align	8
	.type	_ZN7rocprim17ROCPRIM_400000_NS6detail17trampoline_kernelINS0_14default_configENS1_20scan_config_selectorIN3c107complexIfEEEEZZNS1_9scan_implILNS1_25lookback_scan_determinismE0ELb0ELb0ES3_PKS7_PS7_S7_ZZZN2at6native31launch_logcumsumexp_cuda_kernelERKNSE_10TensorBaseESI_lENKUlvE_clEvENKUlvE2_clEvEUlS7_S7_E_S7_EEDaPvRmT3_T4_T5_mT6_P12ihipStream_tbENKUlT_T0_E_clISt17integral_constantIbLb0EESZ_EEDaSU_SV_EUlSU_E_NS1_11comp_targetILNS1_3genE2ELNS1_11target_archE906ELNS1_3gpuE6ELNS1_3repE0EEENS1_30default_config_static_selectorELNS0_4arch9wavefront6targetE1EEEvT1_,@function
_ZN7rocprim17ROCPRIM_400000_NS6detail17trampoline_kernelINS0_14default_configENS1_20scan_config_selectorIN3c107complexIfEEEEZZNS1_9scan_implILNS1_25lookback_scan_determinismE0ELb0ELb0ES3_PKS7_PS7_S7_ZZZN2at6native31launch_logcumsumexp_cuda_kernelERKNSE_10TensorBaseESI_lENKUlvE_clEvENKUlvE2_clEvEUlS7_S7_E_S7_EEDaPvRmT3_T4_T5_mT6_P12ihipStream_tbENKUlT_T0_E_clISt17integral_constantIbLb0EESZ_EEDaSU_SV_EUlSU_E_NS1_11comp_targetILNS1_3genE2ELNS1_11target_archE906ELNS1_3gpuE6ELNS1_3repE0EEENS1_30default_config_static_selectorELNS0_4arch9wavefront6targetE1EEEvT1_: ; @_ZN7rocprim17ROCPRIM_400000_NS6detail17trampoline_kernelINS0_14default_configENS1_20scan_config_selectorIN3c107complexIfEEEEZZNS1_9scan_implILNS1_25lookback_scan_determinismE0ELb0ELb0ES3_PKS7_PS7_S7_ZZZN2at6native31launch_logcumsumexp_cuda_kernelERKNSE_10TensorBaseESI_lENKUlvE_clEvENKUlvE2_clEvEUlS7_S7_E_S7_EEDaPvRmT3_T4_T5_mT6_P12ihipStream_tbENKUlT_T0_E_clISt17integral_constantIbLb0EESZ_EEDaSU_SV_EUlSU_E_NS1_11comp_targetILNS1_3genE2ELNS1_11target_archE906ELNS1_3gpuE6ELNS1_3repE0EEENS1_30default_config_static_selectorELNS0_4arch9wavefront6targetE1EEEvT1_
; %bb.0:
	.section	.rodata,"a",@progbits
	.p2align	6, 0x0
	.amdhsa_kernel _ZN7rocprim17ROCPRIM_400000_NS6detail17trampoline_kernelINS0_14default_configENS1_20scan_config_selectorIN3c107complexIfEEEEZZNS1_9scan_implILNS1_25lookback_scan_determinismE0ELb0ELb0ES3_PKS7_PS7_S7_ZZZN2at6native31launch_logcumsumexp_cuda_kernelERKNSE_10TensorBaseESI_lENKUlvE_clEvENKUlvE2_clEvEUlS7_S7_E_S7_EEDaPvRmT3_T4_T5_mT6_P12ihipStream_tbENKUlT_T0_E_clISt17integral_constantIbLb0EESZ_EEDaSU_SV_EUlSU_E_NS1_11comp_targetILNS1_3genE2ELNS1_11target_archE906ELNS1_3gpuE6ELNS1_3repE0EEENS1_30default_config_static_selectorELNS0_4arch9wavefront6targetE1EEEvT1_
		.amdhsa_group_segment_fixed_size 0
		.amdhsa_private_segment_fixed_size 0
		.amdhsa_kernarg_size 104
		.amdhsa_user_sgpr_count 2
		.amdhsa_user_sgpr_dispatch_ptr 0
		.amdhsa_user_sgpr_queue_ptr 0
		.amdhsa_user_sgpr_kernarg_segment_ptr 1
		.amdhsa_user_sgpr_dispatch_id 0
		.amdhsa_user_sgpr_kernarg_preload_length 0
		.amdhsa_user_sgpr_kernarg_preload_offset 0
		.amdhsa_user_sgpr_private_segment_size 0
		.amdhsa_uses_dynamic_stack 0
		.amdhsa_enable_private_segment 0
		.amdhsa_system_sgpr_workgroup_id_x 1
		.amdhsa_system_sgpr_workgroup_id_y 0
		.amdhsa_system_sgpr_workgroup_id_z 0
		.amdhsa_system_sgpr_workgroup_info 0
		.amdhsa_system_vgpr_workitem_id 0
		.amdhsa_next_free_vgpr 1
		.amdhsa_next_free_sgpr 0
		.amdhsa_accum_offset 4
		.amdhsa_reserve_vcc 0
		.amdhsa_float_round_mode_32 0
		.amdhsa_float_round_mode_16_64 0
		.amdhsa_float_denorm_mode_32 3
		.amdhsa_float_denorm_mode_16_64 3
		.amdhsa_dx10_clamp 1
		.amdhsa_ieee_mode 1
		.amdhsa_fp16_overflow 0
		.amdhsa_tg_split 0
		.amdhsa_exception_fp_ieee_invalid_op 0
		.amdhsa_exception_fp_denorm_src 0
		.amdhsa_exception_fp_ieee_div_zero 0
		.amdhsa_exception_fp_ieee_overflow 0
		.amdhsa_exception_fp_ieee_underflow 0
		.amdhsa_exception_fp_ieee_inexact 0
		.amdhsa_exception_int_div_zero 0
	.end_amdhsa_kernel
	.section	.text._ZN7rocprim17ROCPRIM_400000_NS6detail17trampoline_kernelINS0_14default_configENS1_20scan_config_selectorIN3c107complexIfEEEEZZNS1_9scan_implILNS1_25lookback_scan_determinismE0ELb0ELb0ES3_PKS7_PS7_S7_ZZZN2at6native31launch_logcumsumexp_cuda_kernelERKNSE_10TensorBaseESI_lENKUlvE_clEvENKUlvE2_clEvEUlS7_S7_E_S7_EEDaPvRmT3_T4_T5_mT6_P12ihipStream_tbENKUlT_T0_E_clISt17integral_constantIbLb0EESZ_EEDaSU_SV_EUlSU_E_NS1_11comp_targetILNS1_3genE2ELNS1_11target_archE906ELNS1_3gpuE6ELNS1_3repE0EEENS1_30default_config_static_selectorELNS0_4arch9wavefront6targetE1EEEvT1_,"axG",@progbits,_ZN7rocprim17ROCPRIM_400000_NS6detail17trampoline_kernelINS0_14default_configENS1_20scan_config_selectorIN3c107complexIfEEEEZZNS1_9scan_implILNS1_25lookback_scan_determinismE0ELb0ELb0ES3_PKS7_PS7_S7_ZZZN2at6native31launch_logcumsumexp_cuda_kernelERKNSE_10TensorBaseESI_lENKUlvE_clEvENKUlvE2_clEvEUlS7_S7_E_S7_EEDaPvRmT3_T4_T5_mT6_P12ihipStream_tbENKUlT_T0_E_clISt17integral_constantIbLb0EESZ_EEDaSU_SV_EUlSU_E_NS1_11comp_targetILNS1_3genE2ELNS1_11target_archE906ELNS1_3gpuE6ELNS1_3repE0EEENS1_30default_config_static_selectorELNS0_4arch9wavefront6targetE1EEEvT1_,comdat
.Lfunc_end276:
	.size	_ZN7rocprim17ROCPRIM_400000_NS6detail17trampoline_kernelINS0_14default_configENS1_20scan_config_selectorIN3c107complexIfEEEEZZNS1_9scan_implILNS1_25lookback_scan_determinismE0ELb0ELb0ES3_PKS7_PS7_S7_ZZZN2at6native31launch_logcumsumexp_cuda_kernelERKNSE_10TensorBaseESI_lENKUlvE_clEvENKUlvE2_clEvEUlS7_S7_E_S7_EEDaPvRmT3_T4_T5_mT6_P12ihipStream_tbENKUlT_T0_E_clISt17integral_constantIbLb0EESZ_EEDaSU_SV_EUlSU_E_NS1_11comp_targetILNS1_3genE2ELNS1_11target_archE906ELNS1_3gpuE6ELNS1_3repE0EEENS1_30default_config_static_selectorELNS0_4arch9wavefront6targetE1EEEvT1_, .Lfunc_end276-_ZN7rocprim17ROCPRIM_400000_NS6detail17trampoline_kernelINS0_14default_configENS1_20scan_config_selectorIN3c107complexIfEEEEZZNS1_9scan_implILNS1_25lookback_scan_determinismE0ELb0ELb0ES3_PKS7_PS7_S7_ZZZN2at6native31launch_logcumsumexp_cuda_kernelERKNSE_10TensorBaseESI_lENKUlvE_clEvENKUlvE2_clEvEUlS7_S7_E_S7_EEDaPvRmT3_T4_T5_mT6_P12ihipStream_tbENKUlT_T0_E_clISt17integral_constantIbLb0EESZ_EEDaSU_SV_EUlSU_E_NS1_11comp_targetILNS1_3genE2ELNS1_11target_archE906ELNS1_3gpuE6ELNS1_3repE0EEENS1_30default_config_static_selectorELNS0_4arch9wavefront6targetE1EEEvT1_
                                        ; -- End function
	.section	.AMDGPU.csdata,"",@progbits
; Kernel info:
; codeLenInByte = 0
; NumSgprs: 6
; NumVgprs: 0
; NumAgprs: 0
; TotalNumVgprs: 0
; ScratchSize: 0
; MemoryBound: 0
; FloatMode: 240
; IeeeMode: 1
; LDSByteSize: 0 bytes/workgroup (compile time only)
; SGPRBlocks: 0
; VGPRBlocks: 0
; NumSGPRsForWavesPerEU: 6
; NumVGPRsForWavesPerEU: 1
; AccumOffset: 4
; Occupancy: 8
; WaveLimiterHint : 0
; COMPUTE_PGM_RSRC2:SCRATCH_EN: 0
; COMPUTE_PGM_RSRC2:USER_SGPR: 2
; COMPUTE_PGM_RSRC2:TRAP_HANDLER: 0
; COMPUTE_PGM_RSRC2:TGID_X_EN: 1
; COMPUTE_PGM_RSRC2:TGID_Y_EN: 0
; COMPUTE_PGM_RSRC2:TGID_Z_EN: 0
; COMPUTE_PGM_RSRC2:TIDIG_COMP_CNT: 0
; COMPUTE_PGM_RSRC3_GFX90A:ACCUM_OFFSET: 0
; COMPUTE_PGM_RSRC3_GFX90A:TG_SPLIT: 0
	.section	.text._ZN7rocprim17ROCPRIM_400000_NS6detail17trampoline_kernelINS0_14default_configENS1_20scan_config_selectorIN3c107complexIfEEEEZZNS1_9scan_implILNS1_25lookback_scan_determinismE0ELb0ELb0ES3_PKS7_PS7_S7_ZZZN2at6native31launch_logcumsumexp_cuda_kernelERKNSE_10TensorBaseESI_lENKUlvE_clEvENKUlvE2_clEvEUlS7_S7_E_S7_EEDaPvRmT3_T4_T5_mT6_P12ihipStream_tbENKUlT_T0_E_clISt17integral_constantIbLb0EESZ_EEDaSU_SV_EUlSU_E_NS1_11comp_targetILNS1_3genE10ELNS1_11target_archE1201ELNS1_3gpuE5ELNS1_3repE0EEENS1_30default_config_static_selectorELNS0_4arch9wavefront6targetE1EEEvT1_,"axG",@progbits,_ZN7rocprim17ROCPRIM_400000_NS6detail17trampoline_kernelINS0_14default_configENS1_20scan_config_selectorIN3c107complexIfEEEEZZNS1_9scan_implILNS1_25lookback_scan_determinismE0ELb0ELb0ES3_PKS7_PS7_S7_ZZZN2at6native31launch_logcumsumexp_cuda_kernelERKNSE_10TensorBaseESI_lENKUlvE_clEvENKUlvE2_clEvEUlS7_S7_E_S7_EEDaPvRmT3_T4_T5_mT6_P12ihipStream_tbENKUlT_T0_E_clISt17integral_constantIbLb0EESZ_EEDaSU_SV_EUlSU_E_NS1_11comp_targetILNS1_3genE10ELNS1_11target_archE1201ELNS1_3gpuE5ELNS1_3repE0EEENS1_30default_config_static_selectorELNS0_4arch9wavefront6targetE1EEEvT1_,comdat
	.globl	_ZN7rocprim17ROCPRIM_400000_NS6detail17trampoline_kernelINS0_14default_configENS1_20scan_config_selectorIN3c107complexIfEEEEZZNS1_9scan_implILNS1_25lookback_scan_determinismE0ELb0ELb0ES3_PKS7_PS7_S7_ZZZN2at6native31launch_logcumsumexp_cuda_kernelERKNSE_10TensorBaseESI_lENKUlvE_clEvENKUlvE2_clEvEUlS7_S7_E_S7_EEDaPvRmT3_T4_T5_mT6_P12ihipStream_tbENKUlT_T0_E_clISt17integral_constantIbLb0EESZ_EEDaSU_SV_EUlSU_E_NS1_11comp_targetILNS1_3genE10ELNS1_11target_archE1201ELNS1_3gpuE5ELNS1_3repE0EEENS1_30default_config_static_selectorELNS0_4arch9wavefront6targetE1EEEvT1_ ; -- Begin function _ZN7rocprim17ROCPRIM_400000_NS6detail17trampoline_kernelINS0_14default_configENS1_20scan_config_selectorIN3c107complexIfEEEEZZNS1_9scan_implILNS1_25lookback_scan_determinismE0ELb0ELb0ES3_PKS7_PS7_S7_ZZZN2at6native31launch_logcumsumexp_cuda_kernelERKNSE_10TensorBaseESI_lENKUlvE_clEvENKUlvE2_clEvEUlS7_S7_E_S7_EEDaPvRmT3_T4_T5_mT6_P12ihipStream_tbENKUlT_T0_E_clISt17integral_constantIbLb0EESZ_EEDaSU_SV_EUlSU_E_NS1_11comp_targetILNS1_3genE10ELNS1_11target_archE1201ELNS1_3gpuE5ELNS1_3repE0EEENS1_30default_config_static_selectorELNS0_4arch9wavefront6targetE1EEEvT1_
	.p2align	8
	.type	_ZN7rocprim17ROCPRIM_400000_NS6detail17trampoline_kernelINS0_14default_configENS1_20scan_config_selectorIN3c107complexIfEEEEZZNS1_9scan_implILNS1_25lookback_scan_determinismE0ELb0ELb0ES3_PKS7_PS7_S7_ZZZN2at6native31launch_logcumsumexp_cuda_kernelERKNSE_10TensorBaseESI_lENKUlvE_clEvENKUlvE2_clEvEUlS7_S7_E_S7_EEDaPvRmT3_T4_T5_mT6_P12ihipStream_tbENKUlT_T0_E_clISt17integral_constantIbLb0EESZ_EEDaSU_SV_EUlSU_E_NS1_11comp_targetILNS1_3genE10ELNS1_11target_archE1201ELNS1_3gpuE5ELNS1_3repE0EEENS1_30default_config_static_selectorELNS0_4arch9wavefront6targetE1EEEvT1_,@function
_ZN7rocprim17ROCPRIM_400000_NS6detail17trampoline_kernelINS0_14default_configENS1_20scan_config_selectorIN3c107complexIfEEEEZZNS1_9scan_implILNS1_25lookback_scan_determinismE0ELb0ELb0ES3_PKS7_PS7_S7_ZZZN2at6native31launch_logcumsumexp_cuda_kernelERKNSE_10TensorBaseESI_lENKUlvE_clEvENKUlvE2_clEvEUlS7_S7_E_S7_EEDaPvRmT3_T4_T5_mT6_P12ihipStream_tbENKUlT_T0_E_clISt17integral_constantIbLb0EESZ_EEDaSU_SV_EUlSU_E_NS1_11comp_targetILNS1_3genE10ELNS1_11target_archE1201ELNS1_3gpuE5ELNS1_3repE0EEENS1_30default_config_static_selectorELNS0_4arch9wavefront6targetE1EEEvT1_: ; @_ZN7rocprim17ROCPRIM_400000_NS6detail17trampoline_kernelINS0_14default_configENS1_20scan_config_selectorIN3c107complexIfEEEEZZNS1_9scan_implILNS1_25lookback_scan_determinismE0ELb0ELb0ES3_PKS7_PS7_S7_ZZZN2at6native31launch_logcumsumexp_cuda_kernelERKNSE_10TensorBaseESI_lENKUlvE_clEvENKUlvE2_clEvEUlS7_S7_E_S7_EEDaPvRmT3_T4_T5_mT6_P12ihipStream_tbENKUlT_T0_E_clISt17integral_constantIbLb0EESZ_EEDaSU_SV_EUlSU_E_NS1_11comp_targetILNS1_3genE10ELNS1_11target_archE1201ELNS1_3gpuE5ELNS1_3repE0EEENS1_30default_config_static_selectorELNS0_4arch9wavefront6targetE1EEEvT1_
; %bb.0:
	.section	.rodata,"a",@progbits
	.p2align	6, 0x0
	.amdhsa_kernel _ZN7rocprim17ROCPRIM_400000_NS6detail17trampoline_kernelINS0_14default_configENS1_20scan_config_selectorIN3c107complexIfEEEEZZNS1_9scan_implILNS1_25lookback_scan_determinismE0ELb0ELb0ES3_PKS7_PS7_S7_ZZZN2at6native31launch_logcumsumexp_cuda_kernelERKNSE_10TensorBaseESI_lENKUlvE_clEvENKUlvE2_clEvEUlS7_S7_E_S7_EEDaPvRmT3_T4_T5_mT6_P12ihipStream_tbENKUlT_T0_E_clISt17integral_constantIbLb0EESZ_EEDaSU_SV_EUlSU_E_NS1_11comp_targetILNS1_3genE10ELNS1_11target_archE1201ELNS1_3gpuE5ELNS1_3repE0EEENS1_30default_config_static_selectorELNS0_4arch9wavefront6targetE1EEEvT1_
		.amdhsa_group_segment_fixed_size 0
		.amdhsa_private_segment_fixed_size 0
		.amdhsa_kernarg_size 104
		.amdhsa_user_sgpr_count 2
		.amdhsa_user_sgpr_dispatch_ptr 0
		.amdhsa_user_sgpr_queue_ptr 0
		.amdhsa_user_sgpr_kernarg_segment_ptr 1
		.amdhsa_user_sgpr_dispatch_id 0
		.amdhsa_user_sgpr_kernarg_preload_length 0
		.amdhsa_user_sgpr_kernarg_preload_offset 0
		.amdhsa_user_sgpr_private_segment_size 0
		.amdhsa_uses_dynamic_stack 0
		.amdhsa_enable_private_segment 0
		.amdhsa_system_sgpr_workgroup_id_x 1
		.amdhsa_system_sgpr_workgroup_id_y 0
		.amdhsa_system_sgpr_workgroup_id_z 0
		.amdhsa_system_sgpr_workgroup_info 0
		.amdhsa_system_vgpr_workitem_id 0
		.amdhsa_next_free_vgpr 1
		.amdhsa_next_free_sgpr 0
		.amdhsa_accum_offset 4
		.amdhsa_reserve_vcc 0
		.amdhsa_float_round_mode_32 0
		.amdhsa_float_round_mode_16_64 0
		.amdhsa_float_denorm_mode_32 3
		.amdhsa_float_denorm_mode_16_64 3
		.amdhsa_dx10_clamp 1
		.amdhsa_ieee_mode 1
		.amdhsa_fp16_overflow 0
		.amdhsa_tg_split 0
		.amdhsa_exception_fp_ieee_invalid_op 0
		.amdhsa_exception_fp_denorm_src 0
		.amdhsa_exception_fp_ieee_div_zero 0
		.amdhsa_exception_fp_ieee_overflow 0
		.amdhsa_exception_fp_ieee_underflow 0
		.amdhsa_exception_fp_ieee_inexact 0
		.amdhsa_exception_int_div_zero 0
	.end_amdhsa_kernel
	.section	.text._ZN7rocprim17ROCPRIM_400000_NS6detail17trampoline_kernelINS0_14default_configENS1_20scan_config_selectorIN3c107complexIfEEEEZZNS1_9scan_implILNS1_25lookback_scan_determinismE0ELb0ELb0ES3_PKS7_PS7_S7_ZZZN2at6native31launch_logcumsumexp_cuda_kernelERKNSE_10TensorBaseESI_lENKUlvE_clEvENKUlvE2_clEvEUlS7_S7_E_S7_EEDaPvRmT3_T4_T5_mT6_P12ihipStream_tbENKUlT_T0_E_clISt17integral_constantIbLb0EESZ_EEDaSU_SV_EUlSU_E_NS1_11comp_targetILNS1_3genE10ELNS1_11target_archE1201ELNS1_3gpuE5ELNS1_3repE0EEENS1_30default_config_static_selectorELNS0_4arch9wavefront6targetE1EEEvT1_,"axG",@progbits,_ZN7rocprim17ROCPRIM_400000_NS6detail17trampoline_kernelINS0_14default_configENS1_20scan_config_selectorIN3c107complexIfEEEEZZNS1_9scan_implILNS1_25lookback_scan_determinismE0ELb0ELb0ES3_PKS7_PS7_S7_ZZZN2at6native31launch_logcumsumexp_cuda_kernelERKNSE_10TensorBaseESI_lENKUlvE_clEvENKUlvE2_clEvEUlS7_S7_E_S7_EEDaPvRmT3_T4_T5_mT6_P12ihipStream_tbENKUlT_T0_E_clISt17integral_constantIbLb0EESZ_EEDaSU_SV_EUlSU_E_NS1_11comp_targetILNS1_3genE10ELNS1_11target_archE1201ELNS1_3gpuE5ELNS1_3repE0EEENS1_30default_config_static_selectorELNS0_4arch9wavefront6targetE1EEEvT1_,comdat
.Lfunc_end277:
	.size	_ZN7rocprim17ROCPRIM_400000_NS6detail17trampoline_kernelINS0_14default_configENS1_20scan_config_selectorIN3c107complexIfEEEEZZNS1_9scan_implILNS1_25lookback_scan_determinismE0ELb0ELb0ES3_PKS7_PS7_S7_ZZZN2at6native31launch_logcumsumexp_cuda_kernelERKNSE_10TensorBaseESI_lENKUlvE_clEvENKUlvE2_clEvEUlS7_S7_E_S7_EEDaPvRmT3_T4_T5_mT6_P12ihipStream_tbENKUlT_T0_E_clISt17integral_constantIbLb0EESZ_EEDaSU_SV_EUlSU_E_NS1_11comp_targetILNS1_3genE10ELNS1_11target_archE1201ELNS1_3gpuE5ELNS1_3repE0EEENS1_30default_config_static_selectorELNS0_4arch9wavefront6targetE1EEEvT1_, .Lfunc_end277-_ZN7rocprim17ROCPRIM_400000_NS6detail17trampoline_kernelINS0_14default_configENS1_20scan_config_selectorIN3c107complexIfEEEEZZNS1_9scan_implILNS1_25lookback_scan_determinismE0ELb0ELb0ES3_PKS7_PS7_S7_ZZZN2at6native31launch_logcumsumexp_cuda_kernelERKNSE_10TensorBaseESI_lENKUlvE_clEvENKUlvE2_clEvEUlS7_S7_E_S7_EEDaPvRmT3_T4_T5_mT6_P12ihipStream_tbENKUlT_T0_E_clISt17integral_constantIbLb0EESZ_EEDaSU_SV_EUlSU_E_NS1_11comp_targetILNS1_3genE10ELNS1_11target_archE1201ELNS1_3gpuE5ELNS1_3repE0EEENS1_30default_config_static_selectorELNS0_4arch9wavefront6targetE1EEEvT1_
                                        ; -- End function
	.section	.AMDGPU.csdata,"",@progbits
; Kernel info:
; codeLenInByte = 0
; NumSgprs: 6
; NumVgprs: 0
; NumAgprs: 0
; TotalNumVgprs: 0
; ScratchSize: 0
; MemoryBound: 0
; FloatMode: 240
; IeeeMode: 1
; LDSByteSize: 0 bytes/workgroup (compile time only)
; SGPRBlocks: 0
; VGPRBlocks: 0
; NumSGPRsForWavesPerEU: 6
; NumVGPRsForWavesPerEU: 1
; AccumOffset: 4
; Occupancy: 8
; WaveLimiterHint : 0
; COMPUTE_PGM_RSRC2:SCRATCH_EN: 0
; COMPUTE_PGM_RSRC2:USER_SGPR: 2
; COMPUTE_PGM_RSRC2:TRAP_HANDLER: 0
; COMPUTE_PGM_RSRC2:TGID_X_EN: 1
; COMPUTE_PGM_RSRC2:TGID_Y_EN: 0
; COMPUTE_PGM_RSRC2:TGID_Z_EN: 0
; COMPUTE_PGM_RSRC2:TIDIG_COMP_CNT: 0
; COMPUTE_PGM_RSRC3_GFX90A:ACCUM_OFFSET: 0
; COMPUTE_PGM_RSRC3_GFX90A:TG_SPLIT: 0
	.section	.text._ZN7rocprim17ROCPRIM_400000_NS6detail17trampoline_kernelINS0_14default_configENS1_20scan_config_selectorIN3c107complexIfEEEEZZNS1_9scan_implILNS1_25lookback_scan_determinismE0ELb0ELb0ES3_PKS7_PS7_S7_ZZZN2at6native31launch_logcumsumexp_cuda_kernelERKNSE_10TensorBaseESI_lENKUlvE_clEvENKUlvE2_clEvEUlS7_S7_E_S7_EEDaPvRmT3_T4_T5_mT6_P12ihipStream_tbENKUlT_T0_E_clISt17integral_constantIbLb0EESZ_EEDaSU_SV_EUlSU_E_NS1_11comp_targetILNS1_3genE10ELNS1_11target_archE1200ELNS1_3gpuE4ELNS1_3repE0EEENS1_30default_config_static_selectorELNS0_4arch9wavefront6targetE1EEEvT1_,"axG",@progbits,_ZN7rocprim17ROCPRIM_400000_NS6detail17trampoline_kernelINS0_14default_configENS1_20scan_config_selectorIN3c107complexIfEEEEZZNS1_9scan_implILNS1_25lookback_scan_determinismE0ELb0ELb0ES3_PKS7_PS7_S7_ZZZN2at6native31launch_logcumsumexp_cuda_kernelERKNSE_10TensorBaseESI_lENKUlvE_clEvENKUlvE2_clEvEUlS7_S7_E_S7_EEDaPvRmT3_T4_T5_mT6_P12ihipStream_tbENKUlT_T0_E_clISt17integral_constantIbLb0EESZ_EEDaSU_SV_EUlSU_E_NS1_11comp_targetILNS1_3genE10ELNS1_11target_archE1200ELNS1_3gpuE4ELNS1_3repE0EEENS1_30default_config_static_selectorELNS0_4arch9wavefront6targetE1EEEvT1_,comdat
	.globl	_ZN7rocprim17ROCPRIM_400000_NS6detail17trampoline_kernelINS0_14default_configENS1_20scan_config_selectorIN3c107complexIfEEEEZZNS1_9scan_implILNS1_25lookback_scan_determinismE0ELb0ELb0ES3_PKS7_PS7_S7_ZZZN2at6native31launch_logcumsumexp_cuda_kernelERKNSE_10TensorBaseESI_lENKUlvE_clEvENKUlvE2_clEvEUlS7_S7_E_S7_EEDaPvRmT3_T4_T5_mT6_P12ihipStream_tbENKUlT_T0_E_clISt17integral_constantIbLb0EESZ_EEDaSU_SV_EUlSU_E_NS1_11comp_targetILNS1_3genE10ELNS1_11target_archE1200ELNS1_3gpuE4ELNS1_3repE0EEENS1_30default_config_static_selectorELNS0_4arch9wavefront6targetE1EEEvT1_ ; -- Begin function _ZN7rocprim17ROCPRIM_400000_NS6detail17trampoline_kernelINS0_14default_configENS1_20scan_config_selectorIN3c107complexIfEEEEZZNS1_9scan_implILNS1_25lookback_scan_determinismE0ELb0ELb0ES3_PKS7_PS7_S7_ZZZN2at6native31launch_logcumsumexp_cuda_kernelERKNSE_10TensorBaseESI_lENKUlvE_clEvENKUlvE2_clEvEUlS7_S7_E_S7_EEDaPvRmT3_T4_T5_mT6_P12ihipStream_tbENKUlT_T0_E_clISt17integral_constantIbLb0EESZ_EEDaSU_SV_EUlSU_E_NS1_11comp_targetILNS1_3genE10ELNS1_11target_archE1200ELNS1_3gpuE4ELNS1_3repE0EEENS1_30default_config_static_selectorELNS0_4arch9wavefront6targetE1EEEvT1_
	.p2align	8
	.type	_ZN7rocprim17ROCPRIM_400000_NS6detail17trampoline_kernelINS0_14default_configENS1_20scan_config_selectorIN3c107complexIfEEEEZZNS1_9scan_implILNS1_25lookback_scan_determinismE0ELb0ELb0ES3_PKS7_PS7_S7_ZZZN2at6native31launch_logcumsumexp_cuda_kernelERKNSE_10TensorBaseESI_lENKUlvE_clEvENKUlvE2_clEvEUlS7_S7_E_S7_EEDaPvRmT3_T4_T5_mT6_P12ihipStream_tbENKUlT_T0_E_clISt17integral_constantIbLb0EESZ_EEDaSU_SV_EUlSU_E_NS1_11comp_targetILNS1_3genE10ELNS1_11target_archE1200ELNS1_3gpuE4ELNS1_3repE0EEENS1_30default_config_static_selectorELNS0_4arch9wavefront6targetE1EEEvT1_,@function
_ZN7rocprim17ROCPRIM_400000_NS6detail17trampoline_kernelINS0_14default_configENS1_20scan_config_selectorIN3c107complexIfEEEEZZNS1_9scan_implILNS1_25lookback_scan_determinismE0ELb0ELb0ES3_PKS7_PS7_S7_ZZZN2at6native31launch_logcumsumexp_cuda_kernelERKNSE_10TensorBaseESI_lENKUlvE_clEvENKUlvE2_clEvEUlS7_S7_E_S7_EEDaPvRmT3_T4_T5_mT6_P12ihipStream_tbENKUlT_T0_E_clISt17integral_constantIbLb0EESZ_EEDaSU_SV_EUlSU_E_NS1_11comp_targetILNS1_3genE10ELNS1_11target_archE1200ELNS1_3gpuE4ELNS1_3repE0EEENS1_30default_config_static_selectorELNS0_4arch9wavefront6targetE1EEEvT1_: ; @_ZN7rocprim17ROCPRIM_400000_NS6detail17trampoline_kernelINS0_14default_configENS1_20scan_config_selectorIN3c107complexIfEEEEZZNS1_9scan_implILNS1_25lookback_scan_determinismE0ELb0ELb0ES3_PKS7_PS7_S7_ZZZN2at6native31launch_logcumsumexp_cuda_kernelERKNSE_10TensorBaseESI_lENKUlvE_clEvENKUlvE2_clEvEUlS7_S7_E_S7_EEDaPvRmT3_T4_T5_mT6_P12ihipStream_tbENKUlT_T0_E_clISt17integral_constantIbLb0EESZ_EEDaSU_SV_EUlSU_E_NS1_11comp_targetILNS1_3genE10ELNS1_11target_archE1200ELNS1_3gpuE4ELNS1_3repE0EEENS1_30default_config_static_selectorELNS0_4arch9wavefront6targetE1EEEvT1_
; %bb.0:
	.section	.rodata,"a",@progbits
	.p2align	6, 0x0
	.amdhsa_kernel _ZN7rocprim17ROCPRIM_400000_NS6detail17trampoline_kernelINS0_14default_configENS1_20scan_config_selectorIN3c107complexIfEEEEZZNS1_9scan_implILNS1_25lookback_scan_determinismE0ELb0ELb0ES3_PKS7_PS7_S7_ZZZN2at6native31launch_logcumsumexp_cuda_kernelERKNSE_10TensorBaseESI_lENKUlvE_clEvENKUlvE2_clEvEUlS7_S7_E_S7_EEDaPvRmT3_T4_T5_mT6_P12ihipStream_tbENKUlT_T0_E_clISt17integral_constantIbLb0EESZ_EEDaSU_SV_EUlSU_E_NS1_11comp_targetILNS1_3genE10ELNS1_11target_archE1200ELNS1_3gpuE4ELNS1_3repE0EEENS1_30default_config_static_selectorELNS0_4arch9wavefront6targetE1EEEvT1_
		.amdhsa_group_segment_fixed_size 0
		.amdhsa_private_segment_fixed_size 0
		.amdhsa_kernarg_size 104
		.amdhsa_user_sgpr_count 2
		.amdhsa_user_sgpr_dispatch_ptr 0
		.amdhsa_user_sgpr_queue_ptr 0
		.amdhsa_user_sgpr_kernarg_segment_ptr 1
		.amdhsa_user_sgpr_dispatch_id 0
		.amdhsa_user_sgpr_kernarg_preload_length 0
		.amdhsa_user_sgpr_kernarg_preload_offset 0
		.amdhsa_user_sgpr_private_segment_size 0
		.amdhsa_uses_dynamic_stack 0
		.amdhsa_enable_private_segment 0
		.amdhsa_system_sgpr_workgroup_id_x 1
		.amdhsa_system_sgpr_workgroup_id_y 0
		.amdhsa_system_sgpr_workgroup_id_z 0
		.amdhsa_system_sgpr_workgroup_info 0
		.amdhsa_system_vgpr_workitem_id 0
		.amdhsa_next_free_vgpr 1
		.amdhsa_next_free_sgpr 0
		.amdhsa_accum_offset 4
		.amdhsa_reserve_vcc 0
		.amdhsa_float_round_mode_32 0
		.amdhsa_float_round_mode_16_64 0
		.amdhsa_float_denorm_mode_32 3
		.amdhsa_float_denorm_mode_16_64 3
		.amdhsa_dx10_clamp 1
		.amdhsa_ieee_mode 1
		.amdhsa_fp16_overflow 0
		.amdhsa_tg_split 0
		.amdhsa_exception_fp_ieee_invalid_op 0
		.amdhsa_exception_fp_denorm_src 0
		.amdhsa_exception_fp_ieee_div_zero 0
		.amdhsa_exception_fp_ieee_overflow 0
		.amdhsa_exception_fp_ieee_underflow 0
		.amdhsa_exception_fp_ieee_inexact 0
		.amdhsa_exception_int_div_zero 0
	.end_amdhsa_kernel
	.section	.text._ZN7rocprim17ROCPRIM_400000_NS6detail17trampoline_kernelINS0_14default_configENS1_20scan_config_selectorIN3c107complexIfEEEEZZNS1_9scan_implILNS1_25lookback_scan_determinismE0ELb0ELb0ES3_PKS7_PS7_S7_ZZZN2at6native31launch_logcumsumexp_cuda_kernelERKNSE_10TensorBaseESI_lENKUlvE_clEvENKUlvE2_clEvEUlS7_S7_E_S7_EEDaPvRmT3_T4_T5_mT6_P12ihipStream_tbENKUlT_T0_E_clISt17integral_constantIbLb0EESZ_EEDaSU_SV_EUlSU_E_NS1_11comp_targetILNS1_3genE10ELNS1_11target_archE1200ELNS1_3gpuE4ELNS1_3repE0EEENS1_30default_config_static_selectorELNS0_4arch9wavefront6targetE1EEEvT1_,"axG",@progbits,_ZN7rocprim17ROCPRIM_400000_NS6detail17trampoline_kernelINS0_14default_configENS1_20scan_config_selectorIN3c107complexIfEEEEZZNS1_9scan_implILNS1_25lookback_scan_determinismE0ELb0ELb0ES3_PKS7_PS7_S7_ZZZN2at6native31launch_logcumsumexp_cuda_kernelERKNSE_10TensorBaseESI_lENKUlvE_clEvENKUlvE2_clEvEUlS7_S7_E_S7_EEDaPvRmT3_T4_T5_mT6_P12ihipStream_tbENKUlT_T0_E_clISt17integral_constantIbLb0EESZ_EEDaSU_SV_EUlSU_E_NS1_11comp_targetILNS1_3genE10ELNS1_11target_archE1200ELNS1_3gpuE4ELNS1_3repE0EEENS1_30default_config_static_selectorELNS0_4arch9wavefront6targetE1EEEvT1_,comdat
.Lfunc_end278:
	.size	_ZN7rocprim17ROCPRIM_400000_NS6detail17trampoline_kernelINS0_14default_configENS1_20scan_config_selectorIN3c107complexIfEEEEZZNS1_9scan_implILNS1_25lookback_scan_determinismE0ELb0ELb0ES3_PKS7_PS7_S7_ZZZN2at6native31launch_logcumsumexp_cuda_kernelERKNSE_10TensorBaseESI_lENKUlvE_clEvENKUlvE2_clEvEUlS7_S7_E_S7_EEDaPvRmT3_T4_T5_mT6_P12ihipStream_tbENKUlT_T0_E_clISt17integral_constantIbLb0EESZ_EEDaSU_SV_EUlSU_E_NS1_11comp_targetILNS1_3genE10ELNS1_11target_archE1200ELNS1_3gpuE4ELNS1_3repE0EEENS1_30default_config_static_selectorELNS0_4arch9wavefront6targetE1EEEvT1_, .Lfunc_end278-_ZN7rocprim17ROCPRIM_400000_NS6detail17trampoline_kernelINS0_14default_configENS1_20scan_config_selectorIN3c107complexIfEEEEZZNS1_9scan_implILNS1_25lookback_scan_determinismE0ELb0ELb0ES3_PKS7_PS7_S7_ZZZN2at6native31launch_logcumsumexp_cuda_kernelERKNSE_10TensorBaseESI_lENKUlvE_clEvENKUlvE2_clEvEUlS7_S7_E_S7_EEDaPvRmT3_T4_T5_mT6_P12ihipStream_tbENKUlT_T0_E_clISt17integral_constantIbLb0EESZ_EEDaSU_SV_EUlSU_E_NS1_11comp_targetILNS1_3genE10ELNS1_11target_archE1200ELNS1_3gpuE4ELNS1_3repE0EEENS1_30default_config_static_selectorELNS0_4arch9wavefront6targetE1EEEvT1_
                                        ; -- End function
	.section	.AMDGPU.csdata,"",@progbits
; Kernel info:
; codeLenInByte = 0
; NumSgprs: 6
; NumVgprs: 0
; NumAgprs: 0
; TotalNumVgprs: 0
; ScratchSize: 0
; MemoryBound: 0
; FloatMode: 240
; IeeeMode: 1
; LDSByteSize: 0 bytes/workgroup (compile time only)
; SGPRBlocks: 0
; VGPRBlocks: 0
; NumSGPRsForWavesPerEU: 6
; NumVGPRsForWavesPerEU: 1
; AccumOffset: 4
; Occupancy: 8
; WaveLimiterHint : 0
; COMPUTE_PGM_RSRC2:SCRATCH_EN: 0
; COMPUTE_PGM_RSRC2:USER_SGPR: 2
; COMPUTE_PGM_RSRC2:TRAP_HANDLER: 0
; COMPUTE_PGM_RSRC2:TGID_X_EN: 1
; COMPUTE_PGM_RSRC2:TGID_Y_EN: 0
; COMPUTE_PGM_RSRC2:TGID_Z_EN: 0
; COMPUTE_PGM_RSRC2:TIDIG_COMP_CNT: 0
; COMPUTE_PGM_RSRC3_GFX90A:ACCUM_OFFSET: 0
; COMPUTE_PGM_RSRC3_GFX90A:TG_SPLIT: 0
	.section	.text._ZN7rocprim17ROCPRIM_400000_NS6detail17trampoline_kernelINS0_14default_configENS1_20scan_config_selectorIN3c107complexIfEEEEZZNS1_9scan_implILNS1_25lookback_scan_determinismE0ELb0ELb0ES3_PKS7_PS7_S7_ZZZN2at6native31launch_logcumsumexp_cuda_kernelERKNSE_10TensorBaseESI_lENKUlvE_clEvENKUlvE2_clEvEUlS7_S7_E_S7_EEDaPvRmT3_T4_T5_mT6_P12ihipStream_tbENKUlT_T0_E_clISt17integral_constantIbLb0EESZ_EEDaSU_SV_EUlSU_E_NS1_11comp_targetILNS1_3genE9ELNS1_11target_archE1100ELNS1_3gpuE3ELNS1_3repE0EEENS1_30default_config_static_selectorELNS0_4arch9wavefront6targetE1EEEvT1_,"axG",@progbits,_ZN7rocprim17ROCPRIM_400000_NS6detail17trampoline_kernelINS0_14default_configENS1_20scan_config_selectorIN3c107complexIfEEEEZZNS1_9scan_implILNS1_25lookback_scan_determinismE0ELb0ELb0ES3_PKS7_PS7_S7_ZZZN2at6native31launch_logcumsumexp_cuda_kernelERKNSE_10TensorBaseESI_lENKUlvE_clEvENKUlvE2_clEvEUlS7_S7_E_S7_EEDaPvRmT3_T4_T5_mT6_P12ihipStream_tbENKUlT_T0_E_clISt17integral_constantIbLb0EESZ_EEDaSU_SV_EUlSU_E_NS1_11comp_targetILNS1_3genE9ELNS1_11target_archE1100ELNS1_3gpuE3ELNS1_3repE0EEENS1_30default_config_static_selectorELNS0_4arch9wavefront6targetE1EEEvT1_,comdat
	.globl	_ZN7rocprim17ROCPRIM_400000_NS6detail17trampoline_kernelINS0_14default_configENS1_20scan_config_selectorIN3c107complexIfEEEEZZNS1_9scan_implILNS1_25lookback_scan_determinismE0ELb0ELb0ES3_PKS7_PS7_S7_ZZZN2at6native31launch_logcumsumexp_cuda_kernelERKNSE_10TensorBaseESI_lENKUlvE_clEvENKUlvE2_clEvEUlS7_S7_E_S7_EEDaPvRmT3_T4_T5_mT6_P12ihipStream_tbENKUlT_T0_E_clISt17integral_constantIbLb0EESZ_EEDaSU_SV_EUlSU_E_NS1_11comp_targetILNS1_3genE9ELNS1_11target_archE1100ELNS1_3gpuE3ELNS1_3repE0EEENS1_30default_config_static_selectorELNS0_4arch9wavefront6targetE1EEEvT1_ ; -- Begin function _ZN7rocprim17ROCPRIM_400000_NS6detail17trampoline_kernelINS0_14default_configENS1_20scan_config_selectorIN3c107complexIfEEEEZZNS1_9scan_implILNS1_25lookback_scan_determinismE0ELb0ELb0ES3_PKS7_PS7_S7_ZZZN2at6native31launch_logcumsumexp_cuda_kernelERKNSE_10TensorBaseESI_lENKUlvE_clEvENKUlvE2_clEvEUlS7_S7_E_S7_EEDaPvRmT3_T4_T5_mT6_P12ihipStream_tbENKUlT_T0_E_clISt17integral_constantIbLb0EESZ_EEDaSU_SV_EUlSU_E_NS1_11comp_targetILNS1_3genE9ELNS1_11target_archE1100ELNS1_3gpuE3ELNS1_3repE0EEENS1_30default_config_static_selectorELNS0_4arch9wavefront6targetE1EEEvT1_
	.p2align	8
	.type	_ZN7rocprim17ROCPRIM_400000_NS6detail17trampoline_kernelINS0_14default_configENS1_20scan_config_selectorIN3c107complexIfEEEEZZNS1_9scan_implILNS1_25lookback_scan_determinismE0ELb0ELb0ES3_PKS7_PS7_S7_ZZZN2at6native31launch_logcumsumexp_cuda_kernelERKNSE_10TensorBaseESI_lENKUlvE_clEvENKUlvE2_clEvEUlS7_S7_E_S7_EEDaPvRmT3_T4_T5_mT6_P12ihipStream_tbENKUlT_T0_E_clISt17integral_constantIbLb0EESZ_EEDaSU_SV_EUlSU_E_NS1_11comp_targetILNS1_3genE9ELNS1_11target_archE1100ELNS1_3gpuE3ELNS1_3repE0EEENS1_30default_config_static_selectorELNS0_4arch9wavefront6targetE1EEEvT1_,@function
_ZN7rocprim17ROCPRIM_400000_NS6detail17trampoline_kernelINS0_14default_configENS1_20scan_config_selectorIN3c107complexIfEEEEZZNS1_9scan_implILNS1_25lookback_scan_determinismE0ELb0ELb0ES3_PKS7_PS7_S7_ZZZN2at6native31launch_logcumsumexp_cuda_kernelERKNSE_10TensorBaseESI_lENKUlvE_clEvENKUlvE2_clEvEUlS7_S7_E_S7_EEDaPvRmT3_T4_T5_mT6_P12ihipStream_tbENKUlT_T0_E_clISt17integral_constantIbLb0EESZ_EEDaSU_SV_EUlSU_E_NS1_11comp_targetILNS1_3genE9ELNS1_11target_archE1100ELNS1_3gpuE3ELNS1_3repE0EEENS1_30default_config_static_selectorELNS0_4arch9wavefront6targetE1EEEvT1_: ; @_ZN7rocprim17ROCPRIM_400000_NS6detail17trampoline_kernelINS0_14default_configENS1_20scan_config_selectorIN3c107complexIfEEEEZZNS1_9scan_implILNS1_25lookback_scan_determinismE0ELb0ELb0ES3_PKS7_PS7_S7_ZZZN2at6native31launch_logcumsumexp_cuda_kernelERKNSE_10TensorBaseESI_lENKUlvE_clEvENKUlvE2_clEvEUlS7_S7_E_S7_EEDaPvRmT3_T4_T5_mT6_P12ihipStream_tbENKUlT_T0_E_clISt17integral_constantIbLb0EESZ_EEDaSU_SV_EUlSU_E_NS1_11comp_targetILNS1_3genE9ELNS1_11target_archE1100ELNS1_3gpuE3ELNS1_3repE0EEENS1_30default_config_static_selectorELNS0_4arch9wavefront6targetE1EEEvT1_
; %bb.0:
	.section	.rodata,"a",@progbits
	.p2align	6, 0x0
	.amdhsa_kernel _ZN7rocprim17ROCPRIM_400000_NS6detail17trampoline_kernelINS0_14default_configENS1_20scan_config_selectorIN3c107complexIfEEEEZZNS1_9scan_implILNS1_25lookback_scan_determinismE0ELb0ELb0ES3_PKS7_PS7_S7_ZZZN2at6native31launch_logcumsumexp_cuda_kernelERKNSE_10TensorBaseESI_lENKUlvE_clEvENKUlvE2_clEvEUlS7_S7_E_S7_EEDaPvRmT3_T4_T5_mT6_P12ihipStream_tbENKUlT_T0_E_clISt17integral_constantIbLb0EESZ_EEDaSU_SV_EUlSU_E_NS1_11comp_targetILNS1_3genE9ELNS1_11target_archE1100ELNS1_3gpuE3ELNS1_3repE0EEENS1_30default_config_static_selectorELNS0_4arch9wavefront6targetE1EEEvT1_
		.amdhsa_group_segment_fixed_size 0
		.amdhsa_private_segment_fixed_size 0
		.amdhsa_kernarg_size 104
		.amdhsa_user_sgpr_count 2
		.amdhsa_user_sgpr_dispatch_ptr 0
		.amdhsa_user_sgpr_queue_ptr 0
		.amdhsa_user_sgpr_kernarg_segment_ptr 1
		.amdhsa_user_sgpr_dispatch_id 0
		.amdhsa_user_sgpr_kernarg_preload_length 0
		.amdhsa_user_sgpr_kernarg_preload_offset 0
		.amdhsa_user_sgpr_private_segment_size 0
		.amdhsa_uses_dynamic_stack 0
		.amdhsa_enable_private_segment 0
		.amdhsa_system_sgpr_workgroup_id_x 1
		.amdhsa_system_sgpr_workgroup_id_y 0
		.amdhsa_system_sgpr_workgroup_id_z 0
		.amdhsa_system_sgpr_workgroup_info 0
		.amdhsa_system_vgpr_workitem_id 0
		.amdhsa_next_free_vgpr 1
		.amdhsa_next_free_sgpr 0
		.amdhsa_accum_offset 4
		.amdhsa_reserve_vcc 0
		.amdhsa_float_round_mode_32 0
		.amdhsa_float_round_mode_16_64 0
		.amdhsa_float_denorm_mode_32 3
		.amdhsa_float_denorm_mode_16_64 3
		.amdhsa_dx10_clamp 1
		.amdhsa_ieee_mode 1
		.amdhsa_fp16_overflow 0
		.amdhsa_tg_split 0
		.amdhsa_exception_fp_ieee_invalid_op 0
		.amdhsa_exception_fp_denorm_src 0
		.amdhsa_exception_fp_ieee_div_zero 0
		.amdhsa_exception_fp_ieee_overflow 0
		.amdhsa_exception_fp_ieee_underflow 0
		.amdhsa_exception_fp_ieee_inexact 0
		.amdhsa_exception_int_div_zero 0
	.end_amdhsa_kernel
	.section	.text._ZN7rocprim17ROCPRIM_400000_NS6detail17trampoline_kernelINS0_14default_configENS1_20scan_config_selectorIN3c107complexIfEEEEZZNS1_9scan_implILNS1_25lookback_scan_determinismE0ELb0ELb0ES3_PKS7_PS7_S7_ZZZN2at6native31launch_logcumsumexp_cuda_kernelERKNSE_10TensorBaseESI_lENKUlvE_clEvENKUlvE2_clEvEUlS7_S7_E_S7_EEDaPvRmT3_T4_T5_mT6_P12ihipStream_tbENKUlT_T0_E_clISt17integral_constantIbLb0EESZ_EEDaSU_SV_EUlSU_E_NS1_11comp_targetILNS1_3genE9ELNS1_11target_archE1100ELNS1_3gpuE3ELNS1_3repE0EEENS1_30default_config_static_selectorELNS0_4arch9wavefront6targetE1EEEvT1_,"axG",@progbits,_ZN7rocprim17ROCPRIM_400000_NS6detail17trampoline_kernelINS0_14default_configENS1_20scan_config_selectorIN3c107complexIfEEEEZZNS1_9scan_implILNS1_25lookback_scan_determinismE0ELb0ELb0ES3_PKS7_PS7_S7_ZZZN2at6native31launch_logcumsumexp_cuda_kernelERKNSE_10TensorBaseESI_lENKUlvE_clEvENKUlvE2_clEvEUlS7_S7_E_S7_EEDaPvRmT3_T4_T5_mT6_P12ihipStream_tbENKUlT_T0_E_clISt17integral_constantIbLb0EESZ_EEDaSU_SV_EUlSU_E_NS1_11comp_targetILNS1_3genE9ELNS1_11target_archE1100ELNS1_3gpuE3ELNS1_3repE0EEENS1_30default_config_static_selectorELNS0_4arch9wavefront6targetE1EEEvT1_,comdat
.Lfunc_end279:
	.size	_ZN7rocprim17ROCPRIM_400000_NS6detail17trampoline_kernelINS0_14default_configENS1_20scan_config_selectorIN3c107complexIfEEEEZZNS1_9scan_implILNS1_25lookback_scan_determinismE0ELb0ELb0ES3_PKS7_PS7_S7_ZZZN2at6native31launch_logcumsumexp_cuda_kernelERKNSE_10TensorBaseESI_lENKUlvE_clEvENKUlvE2_clEvEUlS7_S7_E_S7_EEDaPvRmT3_T4_T5_mT6_P12ihipStream_tbENKUlT_T0_E_clISt17integral_constantIbLb0EESZ_EEDaSU_SV_EUlSU_E_NS1_11comp_targetILNS1_3genE9ELNS1_11target_archE1100ELNS1_3gpuE3ELNS1_3repE0EEENS1_30default_config_static_selectorELNS0_4arch9wavefront6targetE1EEEvT1_, .Lfunc_end279-_ZN7rocprim17ROCPRIM_400000_NS6detail17trampoline_kernelINS0_14default_configENS1_20scan_config_selectorIN3c107complexIfEEEEZZNS1_9scan_implILNS1_25lookback_scan_determinismE0ELb0ELb0ES3_PKS7_PS7_S7_ZZZN2at6native31launch_logcumsumexp_cuda_kernelERKNSE_10TensorBaseESI_lENKUlvE_clEvENKUlvE2_clEvEUlS7_S7_E_S7_EEDaPvRmT3_T4_T5_mT6_P12ihipStream_tbENKUlT_T0_E_clISt17integral_constantIbLb0EESZ_EEDaSU_SV_EUlSU_E_NS1_11comp_targetILNS1_3genE9ELNS1_11target_archE1100ELNS1_3gpuE3ELNS1_3repE0EEENS1_30default_config_static_selectorELNS0_4arch9wavefront6targetE1EEEvT1_
                                        ; -- End function
	.section	.AMDGPU.csdata,"",@progbits
; Kernel info:
; codeLenInByte = 0
; NumSgprs: 6
; NumVgprs: 0
; NumAgprs: 0
; TotalNumVgprs: 0
; ScratchSize: 0
; MemoryBound: 0
; FloatMode: 240
; IeeeMode: 1
; LDSByteSize: 0 bytes/workgroup (compile time only)
; SGPRBlocks: 0
; VGPRBlocks: 0
; NumSGPRsForWavesPerEU: 6
; NumVGPRsForWavesPerEU: 1
; AccumOffset: 4
; Occupancy: 8
; WaveLimiterHint : 0
; COMPUTE_PGM_RSRC2:SCRATCH_EN: 0
; COMPUTE_PGM_RSRC2:USER_SGPR: 2
; COMPUTE_PGM_RSRC2:TRAP_HANDLER: 0
; COMPUTE_PGM_RSRC2:TGID_X_EN: 1
; COMPUTE_PGM_RSRC2:TGID_Y_EN: 0
; COMPUTE_PGM_RSRC2:TGID_Z_EN: 0
; COMPUTE_PGM_RSRC2:TIDIG_COMP_CNT: 0
; COMPUTE_PGM_RSRC3_GFX90A:ACCUM_OFFSET: 0
; COMPUTE_PGM_RSRC3_GFX90A:TG_SPLIT: 0
	.section	.text._ZN7rocprim17ROCPRIM_400000_NS6detail17trampoline_kernelINS0_14default_configENS1_20scan_config_selectorIN3c107complexIfEEEEZZNS1_9scan_implILNS1_25lookback_scan_determinismE0ELb0ELb0ES3_PKS7_PS7_S7_ZZZN2at6native31launch_logcumsumexp_cuda_kernelERKNSE_10TensorBaseESI_lENKUlvE_clEvENKUlvE2_clEvEUlS7_S7_E_S7_EEDaPvRmT3_T4_T5_mT6_P12ihipStream_tbENKUlT_T0_E_clISt17integral_constantIbLb0EESZ_EEDaSU_SV_EUlSU_E_NS1_11comp_targetILNS1_3genE8ELNS1_11target_archE1030ELNS1_3gpuE2ELNS1_3repE0EEENS1_30default_config_static_selectorELNS0_4arch9wavefront6targetE1EEEvT1_,"axG",@progbits,_ZN7rocprim17ROCPRIM_400000_NS6detail17trampoline_kernelINS0_14default_configENS1_20scan_config_selectorIN3c107complexIfEEEEZZNS1_9scan_implILNS1_25lookback_scan_determinismE0ELb0ELb0ES3_PKS7_PS7_S7_ZZZN2at6native31launch_logcumsumexp_cuda_kernelERKNSE_10TensorBaseESI_lENKUlvE_clEvENKUlvE2_clEvEUlS7_S7_E_S7_EEDaPvRmT3_T4_T5_mT6_P12ihipStream_tbENKUlT_T0_E_clISt17integral_constantIbLb0EESZ_EEDaSU_SV_EUlSU_E_NS1_11comp_targetILNS1_3genE8ELNS1_11target_archE1030ELNS1_3gpuE2ELNS1_3repE0EEENS1_30default_config_static_selectorELNS0_4arch9wavefront6targetE1EEEvT1_,comdat
	.globl	_ZN7rocprim17ROCPRIM_400000_NS6detail17trampoline_kernelINS0_14default_configENS1_20scan_config_selectorIN3c107complexIfEEEEZZNS1_9scan_implILNS1_25lookback_scan_determinismE0ELb0ELb0ES3_PKS7_PS7_S7_ZZZN2at6native31launch_logcumsumexp_cuda_kernelERKNSE_10TensorBaseESI_lENKUlvE_clEvENKUlvE2_clEvEUlS7_S7_E_S7_EEDaPvRmT3_T4_T5_mT6_P12ihipStream_tbENKUlT_T0_E_clISt17integral_constantIbLb0EESZ_EEDaSU_SV_EUlSU_E_NS1_11comp_targetILNS1_3genE8ELNS1_11target_archE1030ELNS1_3gpuE2ELNS1_3repE0EEENS1_30default_config_static_selectorELNS0_4arch9wavefront6targetE1EEEvT1_ ; -- Begin function _ZN7rocprim17ROCPRIM_400000_NS6detail17trampoline_kernelINS0_14default_configENS1_20scan_config_selectorIN3c107complexIfEEEEZZNS1_9scan_implILNS1_25lookback_scan_determinismE0ELb0ELb0ES3_PKS7_PS7_S7_ZZZN2at6native31launch_logcumsumexp_cuda_kernelERKNSE_10TensorBaseESI_lENKUlvE_clEvENKUlvE2_clEvEUlS7_S7_E_S7_EEDaPvRmT3_T4_T5_mT6_P12ihipStream_tbENKUlT_T0_E_clISt17integral_constantIbLb0EESZ_EEDaSU_SV_EUlSU_E_NS1_11comp_targetILNS1_3genE8ELNS1_11target_archE1030ELNS1_3gpuE2ELNS1_3repE0EEENS1_30default_config_static_selectorELNS0_4arch9wavefront6targetE1EEEvT1_
	.p2align	8
	.type	_ZN7rocprim17ROCPRIM_400000_NS6detail17trampoline_kernelINS0_14default_configENS1_20scan_config_selectorIN3c107complexIfEEEEZZNS1_9scan_implILNS1_25lookback_scan_determinismE0ELb0ELb0ES3_PKS7_PS7_S7_ZZZN2at6native31launch_logcumsumexp_cuda_kernelERKNSE_10TensorBaseESI_lENKUlvE_clEvENKUlvE2_clEvEUlS7_S7_E_S7_EEDaPvRmT3_T4_T5_mT6_P12ihipStream_tbENKUlT_T0_E_clISt17integral_constantIbLb0EESZ_EEDaSU_SV_EUlSU_E_NS1_11comp_targetILNS1_3genE8ELNS1_11target_archE1030ELNS1_3gpuE2ELNS1_3repE0EEENS1_30default_config_static_selectorELNS0_4arch9wavefront6targetE1EEEvT1_,@function
_ZN7rocprim17ROCPRIM_400000_NS6detail17trampoline_kernelINS0_14default_configENS1_20scan_config_selectorIN3c107complexIfEEEEZZNS1_9scan_implILNS1_25lookback_scan_determinismE0ELb0ELb0ES3_PKS7_PS7_S7_ZZZN2at6native31launch_logcumsumexp_cuda_kernelERKNSE_10TensorBaseESI_lENKUlvE_clEvENKUlvE2_clEvEUlS7_S7_E_S7_EEDaPvRmT3_T4_T5_mT6_P12ihipStream_tbENKUlT_T0_E_clISt17integral_constantIbLb0EESZ_EEDaSU_SV_EUlSU_E_NS1_11comp_targetILNS1_3genE8ELNS1_11target_archE1030ELNS1_3gpuE2ELNS1_3repE0EEENS1_30default_config_static_selectorELNS0_4arch9wavefront6targetE1EEEvT1_: ; @_ZN7rocprim17ROCPRIM_400000_NS6detail17trampoline_kernelINS0_14default_configENS1_20scan_config_selectorIN3c107complexIfEEEEZZNS1_9scan_implILNS1_25lookback_scan_determinismE0ELb0ELb0ES3_PKS7_PS7_S7_ZZZN2at6native31launch_logcumsumexp_cuda_kernelERKNSE_10TensorBaseESI_lENKUlvE_clEvENKUlvE2_clEvEUlS7_S7_E_S7_EEDaPvRmT3_T4_T5_mT6_P12ihipStream_tbENKUlT_T0_E_clISt17integral_constantIbLb0EESZ_EEDaSU_SV_EUlSU_E_NS1_11comp_targetILNS1_3genE8ELNS1_11target_archE1030ELNS1_3gpuE2ELNS1_3repE0EEENS1_30default_config_static_selectorELNS0_4arch9wavefront6targetE1EEEvT1_
; %bb.0:
	.section	.rodata,"a",@progbits
	.p2align	6, 0x0
	.amdhsa_kernel _ZN7rocprim17ROCPRIM_400000_NS6detail17trampoline_kernelINS0_14default_configENS1_20scan_config_selectorIN3c107complexIfEEEEZZNS1_9scan_implILNS1_25lookback_scan_determinismE0ELb0ELb0ES3_PKS7_PS7_S7_ZZZN2at6native31launch_logcumsumexp_cuda_kernelERKNSE_10TensorBaseESI_lENKUlvE_clEvENKUlvE2_clEvEUlS7_S7_E_S7_EEDaPvRmT3_T4_T5_mT6_P12ihipStream_tbENKUlT_T0_E_clISt17integral_constantIbLb0EESZ_EEDaSU_SV_EUlSU_E_NS1_11comp_targetILNS1_3genE8ELNS1_11target_archE1030ELNS1_3gpuE2ELNS1_3repE0EEENS1_30default_config_static_selectorELNS0_4arch9wavefront6targetE1EEEvT1_
		.amdhsa_group_segment_fixed_size 0
		.amdhsa_private_segment_fixed_size 0
		.amdhsa_kernarg_size 104
		.amdhsa_user_sgpr_count 2
		.amdhsa_user_sgpr_dispatch_ptr 0
		.amdhsa_user_sgpr_queue_ptr 0
		.amdhsa_user_sgpr_kernarg_segment_ptr 1
		.amdhsa_user_sgpr_dispatch_id 0
		.amdhsa_user_sgpr_kernarg_preload_length 0
		.amdhsa_user_sgpr_kernarg_preload_offset 0
		.amdhsa_user_sgpr_private_segment_size 0
		.amdhsa_uses_dynamic_stack 0
		.amdhsa_enable_private_segment 0
		.amdhsa_system_sgpr_workgroup_id_x 1
		.amdhsa_system_sgpr_workgroup_id_y 0
		.amdhsa_system_sgpr_workgroup_id_z 0
		.amdhsa_system_sgpr_workgroup_info 0
		.amdhsa_system_vgpr_workitem_id 0
		.amdhsa_next_free_vgpr 1
		.amdhsa_next_free_sgpr 0
		.amdhsa_accum_offset 4
		.amdhsa_reserve_vcc 0
		.amdhsa_float_round_mode_32 0
		.amdhsa_float_round_mode_16_64 0
		.amdhsa_float_denorm_mode_32 3
		.amdhsa_float_denorm_mode_16_64 3
		.amdhsa_dx10_clamp 1
		.amdhsa_ieee_mode 1
		.amdhsa_fp16_overflow 0
		.amdhsa_tg_split 0
		.amdhsa_exception_fp_ieee_invalid_op 0
		.amdhsa_exception_fp_denorm_src 0
		.amdhsa_exception_fp_ieee_div_zero 0
		.amdhsa_exception_fp_ieee_overflow 0
		.amdhsa_exception_fp_ieee_underflow 0
		.amdhsa_exception_fp_ieee_inexact 0
		.amdhsa_exception_int_div_zero 0
	.end_amdhsa_kernel
	.section	.text._ZN7rocprim17ROCPRIM_400000_NS6detail17trampoline_kernelINS0_14default_configENS1_20scan_config_selectorIN3c107complexIfEEEEZZNS1_9scan_implILNS1_25lookback_scan_determinismE0ELb0ELb0ES3_PKS7_PS7_S7_ZZZN2at6native31launch_logcumsumexp_cuda_kernelERKNSE_10TensorBaseESI_lENKUlvE_clEvENKUlvE2_clEvEUlS7_S7_E_S7_EEDaPvRmT3_T4_T5_mT6_P12ihipStream_tbENKUlT_T0_E_clISt17integral_constantIbLb0EESZ_EEDaSU_SV_EUlSU_E_NS1_11comp_targetILNS1_3genE8ELNS1_11target_archE1030ELNS1_3gpuE2ELNS1_3repE0EEENS1_30default_config_static_selectorELNS0_4arch9wavefront6targetE1EEEvT1_,"axG",@progbits,_ZN7rocprim17ROCPRIM_400000_NS6detail17trampoline_kernelINS0_14default_configENS1_20scan_config_selectorIN3c107complexIfEEEEZZNS1_9scan_implILNS1_25lookback_scan_determinismE0ELb0ELb0ES3_PKS7_PS7_S7_ZZZN2at6native31launch_logcumsumexp_cuda_kernelERKNSE_10TensorBaseESI_lENKUlvE_clEvENKUlvE2_clEvEUlS7_S7_E_S7_EEDaPvRmT3_T4_T5_mT6_P12ihipStream_tbENKUlT_T0_E_clISt17integral_constantIbLb0EESZ_EEDaSU_SV_EUlSU_E_NS1_11comp_targetILNS1_3genE8ELNS1_11target_archE1030ELNS1_3gpuE2ELNS1_3repE0EEENS1_30default_config_static_selectorELNS0_4arch9wavefront6targetE1EEEvT1_,comdat
.Lfunc_end280:
	.size	_ZN7rocprim17ROCPRIM_400000_NS6detail17trampoline_kernelINS0_14default_configENS1_20scan_config_selectorIN3c107complexIfEEEEZZNS1_9scan_implILNS1_25lookback_scan_determinismE0ELb0ELb0ES3_PKS7_PS7_S7_ZZZN2at6native31launch_logcumsumexp_cuda_kernelERKNSE_10TensorBaseESI_lENKUlvE_clEvENKUlvE2_clEvEUlS7_S7_E_S7_EEDaPvRmT3_T4_T5_mT6_P12ihipStream_tbENKUlT_T0_E_clISt17integral_constantIbLb0EESZ_EEDaSU_SV_EUlSU_E_NS1_11comp_targetILNS1_3genE8ELNS1_11target_archE1030ELNS1_3gpuE2ELNS1_3repE0EEENS1_30default_config_static_selectorELNS0_4arch9wavefront6targetE1EEEvT1_, .Lfunc_end280-_ZN7rocprim17ROCPRIM_400000_NS6detail17trampoline_kernelINS0_14default_configENS1_20scan_config_selectorIN3c107complexIfEEEEZZNS1_9scan_implILNS1_25lookback_scan_determinismE0ELb0ELb0ES3_PKS7_PS7_S7_ZZZN2at6native31launch_logcumsumexp_cuda_kernelERKNSE_10TensorBaseESI_lENKUlvE_clEvENKUlvE2_clEvEUlS7_S7_E_S7_EEDaPvRmT3_T4_T5_mT6_P12ihipStream_tbENKUlT_T0_E_clISt17integral_constantIbLb0EESZ_EEDaSU_SV_EUlSU_E_NS1_11comp_targetILNS1_3genE8ELNS1_11target_archE1030ELNS1_3gpuE2ELNS1_3repE0EEENS1_30default_config_static_selectorELNS0_4arch9wavefront6targetE1EEEvT1_
                                        ; -- End function
	.section	.AMDGPU.csdata,"",@progbits
; Kernel info:
; codeLenInByte = 0
; NumSgprs: 6
; NumVgprs: 0
; NumAgprs: 0
; TotalNumVgprs: 0
; ScratchSize: 0
; MemoryBound: 0
; FloatMode: 240
; IeeeMode: 1
; LDSByteSize: 0 bytes/workgroup (compile time only)
; SGPRBlocks: 0
; VGPRBlocks: 0
; NumSGPRsForWavesPerEU: 6
; NumVGPRsForWavesPerEU: 1
; AccumOffset: 4
; Occupancy: 8
; WaveLimiterHint : 0
; COMPUTE_PGM_RSRC2:SCRATCH_EN: 0
; COMPUTE_PGM_RSRC2:USER_SGPR: 2
; COMPUTE_PGM_RSRC2:TRAP_HANDLER: 0
; COMPUTE_PGM_RSRC2:TGID_X_EN: 1
; COMPUTE_PGM_RSRC2:TGID_Y_EN: 0
; COMPUTE_PGM_RSRC2:TGID_Z_EN: 0
; COMPUTE_PGM_RSRC2:TIDIG_COMP_CNT: 0
; COMPUTE_PGM_RSRC3_GFX90A:ACCUM_OFFSET: 0
; COMPUTE_PGM_RSRC3_GFX90A:TG_SPLIT: 0
	.section	.text._ZN7rocprim17ROCPRIM_400000_NS6detail17trampoline_kernelINS0_14default_configENS1_25transform_config_selectorIN3c107complexIfEELb1EEEZNS1_14transform_implILb1ES3_S8_PS7_SA_NS0_8identityIS7_EEEE10hipError_tT2_T3_mT4_P12ihipStream_tbEUlT_E_NS1_11comp_targetILNS1_3genE0ELNS1_11target_archE4294967295ELNS1_3gpuE0ELNS1_3repE0EEENS1_30default_config_static_selectorELNS0_4arch9wavefront6targetE1EEEvT1_,"axG",@progbits,_ZN7rocprim17ROCPRIM_400000_NS6detail17trampoline_kernelINS0_14default_configENS1_25transform_config_selectorIN3c107complexIfEELb1EEEZNS1_14transform_implILb1ES3_S8_PS7_SA_NS0_8identityIS7_EEEE10hipError_tT2_T3_mT4_P12ihipStream_tbEUlT_E_NS1_11comp_targetILNS1_3genE0ELNS1_11target_archE4294967295ELNS1_3gpuE0ELNS1_3repE0EEENS1_30default_config_static_selectorELNS0_4arch9wavefront6targetE1EEEvT1_,comdat
	.protected	_ZN7rocprim17ROCPRIM_400000_NS6detail17trampoline_kernelINS0_14default_configENS1_25transform_config_selectorIN3c107complexIfEELb1EEEZNS1_14transform_implILb1ES3_S8_PS7_SA_NS0_8identityIS7_EEEE10hipError_tT2_T3_mT4_P12ihipStream_tbEUlT_E_NS1_11comp_targetILNS1_3genE0ELNS1_11target_archE4294967295ELNS1_3gpuE0ELNS1_3repE0EEENS1_30default_config_static_selectorELNS0_4arch9wavefront6targetE1EEEvT1_ ; -- Begin function _ZN7rocprim17ROCPRIM_400000_NS6detail17trampoline_kernelINS0_14default_configENS1_25transform_config_selectorIN3c107complexIfEELb1EEEZNS1_14transform_implILb1ES3_S8_PS7_SA_NS0_8identityIS7_EEEE10hipError_tT2_T3_mT4_P12ihipStream_tbEUlT_E_NS1_11comp_targetILNS1_3genE0ELNS1_11target_archE4294967295ELNS1_3gpuE0ELNS1_3repE0EEENS1_30default_config_static_selectorELNS0_4arch9wavefront6targetE1EEEvT1_
	.globl	_ZN7rocprim17ROCPRIM_400000_NS6detail17trampoline_kernelINS0_14default_configENS1_25transform_config_selectorIN3c107complexIfEELb1EEEZNS1_14transform_implILb1ES3_S8_PS7_SA_NS0_8identityIS7_EEEE10hipError_tT2_T3_mT4_P12ihipStream_tbEUlT_E_NS1_11comp_targetILNS1_3genE0ELNS1_11target_archE4294967295ELNS1_3gpuE0ELNS1_3repE0EEENS1_30default_config_static_selectorELNS0_4arch9wavefront6targetE1EEEvT1_
	.p2align	8
	.type	_ZN7rocprim17ROCPRIM_400000_NS6detail17trampoline_kernelINS0_14default_configENS1_25transform_config_selectorIN3c107complexIfEELb1EEEZNS1_14transform_implILb1ES3_S8_PS7_SA_NS0_8identityIS7_EEEE10hipError_tT2_T3_mT4_P12ihipStream_tbEUlT_E_NS1_11comp_targetILNS1_3genE0ELNS1_11target_archE4294967295ELNS1_3gpuE0ELNS1_3repE0EEENS1_30default_config_static_selectorELNS0_4arch9wavefront6targetE1EEEvT1_,@function
_ZN7rocprim17ROCPRIM_400000_NS6detail17trampoline_kernelINS0_14default_configENS1_25transform_config_selectorIN3c107complexIfEELb1EEEZNS1_14transform_implILb1ES3_S8_PS7_SA_NS0_8identityIS7_EEEE10hipError_tT2_T3_mT4_P12ihipStream_tbEUlT_E_NS1_11comp_targetILNS1_3genE0ELNS1_11target_archE4294967295ELNS1_3gpuE0ELNS1_3repE0EEENS1_30default_config_static_selectorELNS0_4arch9wavefront6targetE1EEEvT1_: ; @_ZN7rocprim17ROCPRIM_400000_NS6detail17trampoline_kernelINS0_14default_configENS1_25transform_config_selectorIN3c107complexIfEELb1EEEZNS1_14transform_implILb1ES3_S8_PS7_SA_NS0_8identityIS7_EEEE10hipError_tT2_T3_mT4_P12ihipStream_tbEUlT_E_NS1_11comp_targetILNS1_3genE0ELNS1_11target_archE4294967295ELNS1_3gpuE0ELNS1_3repE0EEENS1_30default_config_static_selectorELNS0_4arch9wavefront6targetE1EEEvT1_
; %bb.0:
	.section	.rodata,"a",@progbits
	.p2align	6, 0x0
	.amdhsa_kernel _ZN7rocprim17ROCPRIM_400000_NS6detail17trampoline_kernelINS0_14default_configENS1_25transform_config_selectorIN3c107complexIfEELb1EEEZNS1_14transform_implILb1ES3_S8_PS7_SA_NS0_8identityIS7_EEEE10hipError_tT2_T3_mT4_P12ihipStream_tbEUlT_E_NS1_11comp_targetILNS1_3genE0ELNS1_11target_archE4294967295ELNS1_3gpuE0ELNS1_3repE0EEENS1_30default_config_static_selectorELNS0_4arch9wavefront6targetE1EEEvT1_
		.amdhsa_group_segment_fixed_size 0
		.amdhsa_private_segment_fixed_size 0
		.amdhsa_kernarg_size 40
		.amdhsa_user_sgpr_count 2
		.amdhsa_user_sgpr_dispatch_ptr 0
		.amdhsa_user_sgpr_queue_ptr 0
		.amdhsa_user_sgpr_kernarg_segment_ptr 1
		.amdhsa_user_sgpr_dispatch_id 0
		.amdhsa_user_sgpr_kernarg_preload_length 0
		.amdhsa_user_sgpr_kernarg_preload_offset 0
		.amdhsa_user_sgpr_private_segment_size 0
		.amdhsa_uses_dynamic_stack 0
		.amdhsa_enable_private_segment 0
		.amdhsa_system_sgpr_workgroup_id_x 1
		.amdhsa_system_sgpr_workgroup_id_y 0
		.amdhsa_system_sgpr_workgroup_id_z 0
		.amdhsa_system_sgpr_workgroup_info 0
		.amdhsa_system_vgpr_workitem_id 0
		.amdhsa_next_free_vgpr 1
		.amdhsa_next_free_sgpr 0
		.amdhsa_accum_offset 4
		.amdhsa_reserve_vcc 0
		.amdhsa_float_round_mode_32 0
		.amdhsa_float_round_mode_16_64 0
		.amdhsa_float_denorm_mode_32 3
		.amdhsa_float_denorm_mode_16_64 3
		.amdhsa_dx10_clamp 1
		.amdhsa_ieee_mode 1
		.amdhsa_fp16_overflow 0
		.amdhsa_tg_split 0
		.amdhsa_exception_fp_ieee_invalid_op 0
		.amdhsa_exception_fp_denorm_src 0
		.amdhsa_exception_fp_ieee_div_zero 0
		.amdhsa_exception_fp_ieee_overflow 0
		.amdhsa_exception_fp_ieee_underflow 0
		.amdhsa_exception_fp_ieee_inexact 0
		.amdhsa_exception_int_div_zero 0
	.end_amdhsa_kernel
	.section	.text._ZN7rocprim17ROCPRIM_400000_NS6detail17trampoline_kernelINS0_14default_configENS1_25transform_config_selectorIN3c107complexIfEELb1EEEZNS1_14transform_implILb1ES3_S8_PS7_SA_NS0_8identityIS7_EEEE10hipError_tT2_T3_mT4_P12ihipStream_tbEUlT_E_NS1_11comp_targetILNS1_3genE0ELNS1_11target_archE4294967295ELNS1_3gpuE0ELNS1_3repE0EEENS1_30default_config_static_selectorELNS0_4arch9wavefront6targetE1EEEvT1_,"axG",@progbits,_ZN7rocprim17ROCPRIM_400000_NS6detail17trampoline_kernelINS0_14default_configENS1_25transform_config_selectorIN3c107complexIfEELb1EEEZNS1_14transform_implILb1ES3_S8_PS7_SA_NS0_8identityIS7_EEEE10hipError_tT2_T3_mT4_P12ihipStream_tbEUlT_E_NS1_11comp_targetILNS1_3genE0ELNS1_11target_archE4294967295ELNS1_3gpuE0ELNS1_3repE0EEENS1_30default_config_static_selectorELNS0_4arch9wavefront6targetE1EEEvT1_,comdat
.Lfunc_end281:
	.size	_ZN7rocprim17ROCPRIM_400000_NS6detail17trampoline_kernelINS0_14default_configENS1_25transform_config_selectorIN3c107complexIfEELb1EEEZNS1_14transform_implILb1ES3_S8_PS7_SA_NS0_8identityIS7_EEEE10hipError_tT2_T3_mT4_P12ihipStream_tbEUlT_E_NS1_11comp_targetILNS1_3genE0ELNS1_11target_archE4294967295ELNS1_3gpuE0ELNS1_3repE0EEENS1_30default_config_static_selectorELNS0_4arch9wavefront6targetE1EEEvT1_, .Lfunc_end281-_ZN7rocprim17ROCPRIM_400000_NS6detail17trampoline_kernelINS0_14default_configENS1_25transform_config_selectorIN3c107complexIfEELb1EEEZNS1_14transform_implILb1ES3_S8_PS7_SA_NS0_8identityIS7_EEEE10hipError_tT2_T3_mT4_P12ihipStream_tbEUlT_E_NS1_11comp_targetILNS1_3genE0ELNS1_11target_archE4294967295ELNS1_3gpuE0ELNS1_3repE0EEENS1_30default_config_static_selectorELNS0_4arch9wavefront6targetE1EEEvT1_
                                        ; -- End function
	.section	.AMDGPU.csdata,"",@progbits
; Kernel info:
; codeLenInByte = 0
; NumSgprs: 6
; NumVgprs: 0
; NumAgprs: 0
; TotalNumVgprs: 0
; ScratchSize: 0
; MemoryBound: 0
; FloatMode: 240
; IeeeMode: 1
; LDSByteSize: 0 bytes/workgroup (compile time only)
; SGPRBlocks: 0
; VGPRBlocks: 0
; NumSGPRsForWavesPerEU: 6
; NumVGPRsForWavesPerEU: 1
; AccumOffset: 4
; Occupancy: 8
; WaveLimiterHint : 0
; COMPUTE_PGM_RSRC2:SCRATCH_EN: 0
; COMPUTE_PGM_RSRC2:USER_SGPR: 2
; COMPUTE_PGM_RSRC2:TRAP_HANDLER: 0
; COMPUTE_PGM_RSRC2:TGID_X_EN: 1
; COMPUTE_PGM_RSRC2:TGID_Y_EN: 0
; COMPUTE_PGM_RSRC2:TGID_Z_EN: 0
; COMPUTE_PGM_RSRC2:TIDIG_COMP_CNT: 0
; COMPUTE_PGM_RSRC3_GFX90A:ACCUM_OFFSET: 0
; COMPUTE_PGM_RSRC3_GFX90A:TG_SPLIT: 0
	.section	.text._ZN7rocprim17ROCPRIM_400000_NS6detail17trampoline_kernelINS0_14default_configENS1_25transform_config_selectorIN3c107complexIfEELb1EEEZNS1_14transform_implILb1ES3_S8_PS7_SA_NS0_8identityIS7_EEEE10hipError_tT2_T3_mT4_P12ihipStream_tbEUlT_E_NS1_11comp_targetILNS1_3genE10ELNS1_11target_archE1201ELNS1_3gpuE5ELNS1_3repE0EEENS1_30default_config_static_selectorELNS0_4arch9wavefront6targetE1EEEvT1_,"axG",@progbits,_ZN7rocprim17ROCPRIM_400000_NS6detail17trampoline_kernelINS0_14default_configENS1_25transform_config_selectorIN3c107complexIfEELb1EEEZNS1_14transform_implILb1ES3_S8_PS7_SA_NS0_8identityIS7_EEEE10hipError_tT2_T3_mT4_P12ihipStream_tbEUlT_E_NS1_11comp_targetILNS1_3genE10ELNS1_11target_archE1201ELNS1_3gpuE5ELNS1_3repE0EEENS1_30default_config_static_selectorELNS0_4arch9wavefront6targetE1EEEvT1_,comdat
	.protected	_ZN7rocprim17ROCPRIM_400000_NS6detail17trampoline_kernelINS0_14default_configENS1_25transform_config_selectorIN3c107complexIfEELb1EEEZNS1_14transform_implILb1ES3_S8_PS7_SA_NS0_8identityIS7_EEEE10hipError_tT2_T3_mT4_P12ihipStream_tbEUlT_E_NS1_11comp_targetILNS1_3genE10ELNS1_11target_archE1201ELNS1_3gpuE5ELNS1_3repE0EEENS1_30default_config_static_selectorELNS0_4arch9wavefront6targetE1EEEvT1_ ; -- Begin function _ZN7rocprim17ROCPRIM_400000_NS6detail17trampoline_kernelINS0_14default_configENS1_25transform_config_selectorIN3c107complexIfEELb1EEEZNS1_14transform_implILb1ES3_S8_PS7_SA_NS0_8identityIS7_EEEE10hipError_tT2_T3_mT4_P12ihipStream_tbEUlT_E_NS1_11comp_targetILNS1_3genE10ELNS1_11target_archE1201ELNS1_3gpuE5ELNS1_3repE0EEENS1_30default_config_static_selectorELNS0_4arch9wavefront6targetE1EEEvT1_
	.globl	_ZN7rocprim17ROCPRIM_400000_NS6detail17trampoline_kernelINS0_14default_configENS1_25transform_config_selectorIN3c107complexIfEELb1EEEZNS1_14transform_implILb1ES3_S8_PS7_SA_NS0_8identityIS7_EEEE10hipError_tT2_T3_mT4_P12ihipStream_tbEUlT_E_NS1_11comp_targetILNS1_3genE10ELNS1_11target_archE1201ELNS1_3gpuE5ELNS1_3repE0EEENS1_30default_config_static_selectorELNS0_4arch9wavefront6targetE1EEEvT1_
	.p2align	8
	.type	_ZN7rocprim17ROCPRIM_400000_NS6detail17trampoline_kernelINS0_14default_configENS1_25transform_config_selectorIN3c107complexIfEELb1EEEZNS1_14transform_implILb1ES3_S8_PS7_SA_NS0_8identityIS7_EEEE10hipError_tT2_T3_mT4_P12ihipStream_tbEUlT_E_NS1_11comp_targetILNS1_3genE10ELNS1_11target_archE1201ELNS1_3gpuE5ELNS1_3repE0EEENS1_30default_config_static_selectorELNS0_4arch9wavefront6targetE1EEEvT1_,@function
_ZN7rocprim17ROCPRIM_400000_NS6detail17trampoline_kernelINS0_14default_configENS1_25transform_config_selectorIN3c107complexIfEELb1EEEZNS1_14transform_implILb1ES3_S8_PS7_SA_NS0_8identityIS7_EEEE10hipError_tT2_T3_mT4_P12ihipStream_tbEUlT_E_NS1_11comp_targetILNS1_3genE10ELNS1_11target_archE1201ELNS1_3gpuE5ELNS1_3repE0EEENS1_30default_config_static_selectorELNS0_4arch9wavefront6targetE1EEEvT1_: ; @_ZN7rocprim17ROCPRIM_400000_NS6detail17trampoline_kernelINS0_14default_configENS1_25transform_config_selectorIN3c107complexIfEELb1EEEZNS1_14transform_implILb1ES3_S8_PS7_SA_NS0_8identityIS7_EEEE10hipError_tT2_T3_mT4_P12ihipStream_tbEUlT_E_NS1_11comp_targetILNS1_3genE10ELNS1_11target_archE1201ELNS1_3gpuE5ELNS1_3repE0EEENS1_30default_config_static_selectorELNS0_4arch9wavefront6targetE1EEEvT1_
; %bb.0:
	.section	.rodata,"a",@progbits
	.p2align	6, 0x0
	.amdhsa_kernel _ZN7rocprim17ROCPRIM_400000_NS6detail17trampoline_kernelINS0_14default_configENS1_25transform_config_selectorIN3c107complexIfEELb1EEEZNS1_14transform_implILb1ES3_S8_PS7_SA_NS0_8identityIS7_EEEE10hipError_tT2_T3_mT4_P12ihipStream_tbEUlT_E_NS1_11comp_targetILNS1_3genE10ELNS1_11target_archE1201ELNS1_3gpuE5ELNS1_3repE0EEENS1_30default_config_static_selectorELNS0_4arch9wavefront6targetE1EEEvT1_
		.amdhsa_group_segment_fixed_size 0
		.amdhsa_private_segment_fixed_size 0
		.amdhsa_kernarg_size 40
		.amdhsa_user_sgpr_count 2
		.amdhsa_user_sgpr_dispatch_ptr 0
		.amdhsa_user_sgpr_queue_ptr 0
		.amdhsa_user_sgpr_kernarg_segment_ptr 1
		.amdhsa_user_sgpr_dispatch_id 0
		.amdhsa_user_sgpr_kernarg_preload_length 0
		.amdhsa_user_sgpr_kernarg_preload_offset 0
		.amdhsa_user_sgpr_private_segment_size 0
		.amdhsa_uses_dynamic_stack 0
		.amdhsa_enable_private_segment 0
		.amdhsa_system_sgpr_workgroup_id_x 1
		.amdhsa_system_sgpr_workgroup_id_y 0
		.amdhsa_system_sgpr_workgroup_id_z 0
		.amdhsa_system_sgpr_workgroup_info 0
		.amdhsa_system_vgpr_workitem_id 0
		.amdhsa_next_free_vgpr 1
		.amdhsa_next_free_sgpr 0
		.amdhsa_accum_offset 4
		.amdhsa_reserve_vcc 0
		.amdhsa_float_round_mode_32 0
		.amdhsa_float_round_mode_16_64 0
		.amdhsa_float_denorm_mode_32 3
		.amdhsa_float_denorm_mode_16_64 3
		.amdhsa_dx10_clamp 1
		.amdhsa_ieee_mode 1
		.amdhsa_fp16_overflow 0
		.amdhsa_tg_split 0
		.amdhsa_exception_fp_ieee_invalid_op 0
		.amdhsa_exception_fp_denorm_src 0
		.amdhsa_exception_fp_ieee_div_zero 0
		.amdhsa_exception_fp_ieee_overflow 0
		.amdhsa_exception_fp_ieee_underflow 0
		.amdhsa_exception_fp_ieee_inexact 0
		.amdhsa_exception_int_div_zero 0
	.end_amdhsa_kernel
	.section	.text._ZN7rocprim17ROCPRIM_400000_NS6detail17trampoline_kernelINS0_14default_configENS1_25transform_config_selectorIN3c107complexIfEELb1EEEZNS1_14transform_implILb1ES3_S8_PS7_SA_NS0_8identityIS7_EEEE10hipError_tT2_T3_mT4_P12ihipStream_tbEUlT_E_NS1_11comp_targetILNS1_3genE10ELNS1_11target_archE1201ELNS1_3gpuE5ELNS1_3repE0EEENS1_30default_config_static_selectorELNS0_4arch9wavefront6targetE1EEEvT1_,"axG",@progbits,_ZN7rocprim17ROCPRIM_400000_NS6detail17trampoline_kernelINS0_14default_configENS1_25transform_config_selectorIN3c107complexIfEELb1EEEZNS1_14transform_implILb1ES3_S8_PS7_SA_NS0_8identityIS7_EEEE10hipError_tT2_T3_mT4_P12ihipStream_tbEUlT_E_NS1_11comp_targetILNS1_3genE10ELNS1_11target_archE1201ELNS1_3gpuE5ELNS1_3repE0EEENS1_30default_config_static_selectorELNS0_4arch9wavefront6targetE1EEEvT1_,comdat
.Lfunc_end282:
	.size	_ZN7rocprim17ROCPRIM_400000_NS6detail17trampoline_kernelINS0_14default_configENS1_25transform_config_selectorIN3c107complexIfEELb1EEEZNS1_14transform_implILb1ES3_S8_PS7_SA_NS0_8identityIS7_EEEE10hipError_tT2_T3_mT4_P12ihipStream_tbEUlT_E_NS1_11comp_targetILNS1_3genE10ELNS1_11target_archE1201ELNS1_3gpuE5ELNS1_3repE0EEENS1_30default_config_static_selectorELNS0_4arch9wavefront6targetE1EEEvT1_, .Lfunc_end282-_ZN7rocprim17ROCPRIM_400000_NS6detail17trampoline_kernelINS0_14default_configENS1_25transform_config_selectorIN3c107complexIfEELb1EEEZNS1_14transform_implILb1ES3_S8_PS7_SA_NS0_8identityIS7_EEEE10hipError_tT2_T3_mT4_P12ihipStream_tbEUlT_E_NS1_11comp_targetILNS1_3genE10ELNS1_11target_archE1201ELNS1_3gpuE5ELNS1_3repE0EEENS1_30default_config_static_selectorELNS0_4arch9wavefront6targetE1EEEvT1_
                                        ; -- End function
	.section	.AMDGPU.csdata,"",@progbits
; Kernel info:
; codeLenInByte = 0
; NumSgprs: 6
; NumVgprs: 0
; NumAgprs: 0
; TotalNumVgprs: 0
; ScratchSize: 0
; MemoryBound: 0
; FloatMode: 240
; IeeeMode: 1
; LDSByteSize: 0 bytes/workgroup (compile time only)
; SGPRBlocks: 0
; VGPRBlocks: 0
; NumSGPRsForWavesPerEU: 6
; NumVGPRsForWavesPerEU: 1
; AccumOffset: 4
; Occupancy: 8
; WaveLimiterHint : 0
; COMPUTE_PGM_RSRC2:SCRATCH_EN: 0
; COMPUTE_PGM_RSRC2:USER_SGPR: 2
; COMPUTE_PGM_RSRC2:TRAP_HANDLER: 0
; COMPUTE_PGM_RSRC2:TGID_X_EN: 1
; COMPUTE_PGM_RSRC2:TGID_Y_EN: 0
; COMPUTE_PGM_RSRC2:TGID_Z_EN: 0
; COMPUTE_PGM_RSRC2:TIDIG_COMP_CNT: 0
; COMPUTE_PGM_RSRC3_GFX90A:ACCUM_OFFSET: 0
; COMPUTE_PGM_RSRC3_GFX90A:TG_SPLIT: 0
	.section	.text._ZN7rocprim17ROCPRIM_400000_NS6detail17trampoline_kernelINS0_14default_configENS1_25transform_config_selectorIN3c107complexIfEELb1EEEZNS1_14transform_implILb1ES3_S8_PS7_SA_NS0_8identityIS7_EEEE10hipError_tT2_T3_mT4_P12ihipStream_tbEUlT_E_NS1_11comp_targetILNS1_3genE5ELNS1_11target_archE942ELNS1_3gpuE9ELNS1_3repE0EEENS1_30default_config_static_selectorELNS0_4arch9wavefront6targetE1EEEvT1_,"axG",@progbits,_ZN7rocprim17ROCPRIM_400000_NS6detail17trampoline_kernelINS0_14default_configENS1_25transform_config_selectorIN3c107complexIfEELb1EEEZNS1_14transform_implILb1ES3_S8_PS7_SA_NS0_8identityIS7_EEEE10hipError_tT2_T3_mT4_P12ihipStream_tbEUlT_E_NS1_11comp_targetILNS1_3genE5ELNS1_11target_archE942ELNS1_3gpuE9ELNS1_3repE0EEENS1_30default_config_static_selectorELNS0_4arch9wavefront6targetE1EEEvT1_,comdat
	.protected	_ZN7rocprim17ROCPRIM_400000_NS6detail17trampoline_kernelINS0_14default_configENS1_25transform_config_selectorIN3c107complexIfEELb1EEEZNS1_14transform_implILb1ES3_S8_PS7_SA_NS0_8identityIS7_EEEE10hipError_tT2_T3_mT4_P12ihipStream_tbEUlT_E_NS1_11comp_targetILNS1_3genE5ELNS1_11target_archE942ELNS1_3gpuE9ELNS1_3repE0EEENS1_30default_config_static_selectorELNS0_4arch9wavefront6targetE1EEEvT1_ ; -- Begin function _ZN7rocprim17ROCPRIM_400000_NS6detail17trampoline_kernelINS0_14default_configENS1_25transform_config_selectorIN3c107complexIfEELb1EEEZNS1_14transform_implILb1ES3_S8_PS7_SA_NS0_8identityIS7_EEEE10hipError_tT2_T3_mT4_P12ihipStream_tbEUlT_E_NS1_11comp_targetILNS1_3genE5ELNS1_11target_archE942ELNS1_3gpuE9ELNS1_3repE0EEENS1_30default_config_static_selectorELNS0_4arch9wavefront6targetE1EEEvT1_
	.globl	_ZN7rocprim17ROCPRIM_400000_NS6detail17trampoline_kernelINS0_14default_configENS1_25transform_config_selectorIN3c107complexIfEELb1EEEZNS1_14transform_implILb1ES3_S8_PS7_SA_NS0_8identityIS7_EEEE10hipError_tT2_T3_mT4_P12ihipStream_tbEUlT_E_NS1_11comp_targetILNS1_3genE5ELNS1_11target_archE942ELNS1_3gpuE9ELNS1_3repE0EEENS1_30default_config_static_selectorELNS0_4arch9wavefront6targetE1EEEvT1_
	.p2align	8
	.type	_ZN7rocprim17ROCPRIM_400000_NS6detail17trampoline_kernelINS0_14default_configENS1_25transform_config_selectorIN3c107complexIfEELb1EEEZNS1_14transform_implILb1ES3_S8_PS7_SA_NS0_8identityIS7_EEEE10hipError_tT2_T3_mT4_P12ihipStream_tbEUlT_E_NS1_11comp_targetILNS1_3genE5ELNS1_11target_archE942ELNS1_3gpuE9ELNS1_3repE0EEENS1_30default_config_static_selectorELNS0_4arch9wavefront6targetE1EEEvT1_,@function
_ZN7rocprim17ROCPRIM_400000_NS6detail17trampoline_kernelINS0_14default_configENS1_25transform_config_selectorIN3c107complexIfEELb1EEEZNS1_14transform_implILb1ES3_S8_PS7_SA_NS0_8identityIS7_EEEE10hipError_tT2_T3_mT4_P12ihipStream_tbEUlT_E_NS1_11comp_targetILNS1_3genE5ELNS1_11target_archE942ELNS1_3gpuE9ELNS1_3repE0EEENS1_30default_config_static_selectorELNS0_4arch9wavefront6targetE1EEEvT1_: ; @_ZN7rocprim17ROCPRIM_400000_NS6detail17trampoline_kernelINS0_14default_configENS1_25transform_config_selectorIN3c107complexIfEELb1EEEZNS1_14transform_implILb1ES3_S8_PS7_SA_NS0_8identityIS7_EEEE10hipError_tT2_T3_mT4_P12ihipStream_tbEUlT_E_NS1_11comp_targetILNS1_3genE5ELNS1_11target_archE942ELNS1_3gpuE9ELNS1_3repE0EEENS1_30default_config_static_selectorELNS0_4arch9wavefront6targetE1EEEvT1_
; %bb.0:
	s_load_dwordx8 s[4:11], s[0:1], 0x0
	s_load_dword s3, s[0:1], 0x28
	s_waitcnt lgkmcnt(0)
	s_lshl_b64 s[0:1], s[6:7], 3
	s_add_u32 s6, s4, s0
	s_addc_u32 s7, s5, s1
	s_add_u32 s9, s10, s0
	s_addc_u32 s10, s11, s1
	s_lshl_b32 s0, s2, 10
	s_mov_b32 s1, 0
	s_add_i32 s3, s3, -1
	s_lshl_b64 s[4:5], s[0:1], 3
	s_add_u32 s6, s6, s4
	s_addc_u32 s7, s7, s5
	s_cmp_lg_u32 s2, s3
	s_mov_b64 s[2:3], -1
	s_cbranch_scc0 .LBB283_2
; %bb.1:
	v_lshlrev_b32_e32 v1, 4, v0
	global_load_dwordx4 v[2:5], v1, s[6:7]
	s_add_u32 s2, s9, s4
	s_addc_u32 s3, s10, s5
	s_waitcnt vmcnt(0)
	global_store_dwordx4 v1, v[2:5], s[2:3]
	s_mov_b64 s[2:3], 0
.LBB283_2:
	s_andn2_b64 vcc, exec, s[2:3]
	s_cbranch_vccnz .LBB283_11
; %bb.3:
	s_sub_i32 s2, s8, s0
	v_cmp_gt_u32_e32 vcc, s2, v0
	v_mov_b32_e32 v2, 0
	v_lshlrev_b32_e32 v6, 3, v0
	v_mov_b32_e32 v4, 0
	v_mov_b32_e32 v5, 0
	s_and_saveexec_b64 s[0:1], vcc
	s_cbranch_execz .LBB283_5
; %bb.4:
	global_load_dwordx2 v[4:5], v6, s[6:7]
.LBB283_5:
	s_or_b64 exec, exec, s[0:1]
	v_or_b32_e32 v0, 0x200, v0
	v_cmp_gt_u32_e64 s[0:1], s2, v0
	v_mov_b32_e32 v3, 0
	s_and_saveexec_b64 s[2:3], s[0:1]
	s_cbranch_execz .LBB283_7
; %bb.6:
	v_lshlrev_b32_e32 v0, 3, v0
	global_load_dwordx2 v[2:3], v0, s[6:7]
.LBB283_7:
	s_or_b64 exec, exec, s[2:3]
	s_add_u32 s2, s9, s4
	s_addc_u32 s3, s10, s5
	v_mov_b32_e32 v7, 0
	v_lshl_add_u64 v[0:1], s[2:3], 0, v[6:7]
	s_and_saveexec_b64 s[2:3], vcc
	s_cbranch_execz .LBB283_9
; %bb.8:
	s_waitcnt vmcnt(0)
	global_store_dwordx2 v[0:1], v[4:5], off
.LBB283_9:
	s_or_b64 exec, exec, s[2:3]
	s_and_saveexec_b64 s[2:3], s[0:1]
	s_cbranch_execz .LBB283_11
; %bb.10:
	v_add_co_u32_e32 v0, vcc, 0x1000, v0
	s_nop 1
	v_addc_co_u32_e32 v1, vcc, 0, v1, vcc
	s_waitcnt vmcnt(0)
	global_store_dwordx2 v[0:1], v[2:3], off
.LBB283_11:
	s_endpgm
	.section	.rodata,"a",@progbits
	.p2align	6, 0x0
	.amdhsa_kernel _ZN7rocprim17ROCPRIM_400000_NS6detail17trampoline_kernelINS0_14default_configENS1_25transform_config_selectorIN3c107complexIfEELb1EEEZNS1_14transform_implILb1ES3_S8_PS7_SA_NS0_8identityIS7_EEEE10hipError_tT2_T3_mT4_P12ihipStream_tbEUlT_E_NS1_11comp_targetILNS1_3genE5ELNS1_11target_archE942ELNS1_3gpuE9ELNS1_3repE0EEENS1_30default_config_static_selectorELNS0_4arch9wavefront6targetE1EEEvT1_
		.amdhsa_group_segment_fixed_size 0
		.amdhsa_private_segment_fixed_size 0
		.amdhsa_kernarg_size 296
		.amdhsa_user_sgpr_count 2
		.amdhsa_user_sgpr_dispatch_ptr 0
		.amdhsa_user_sgpr_queue_ptr 0
		.amdhsa_user_sgpr_kernarg_segment_ptr 1
		.amdhsa_user_sgpr_dispatch_id 0
		.amdhsa_user_sgpr_kernarg_preload_length 0
		.amdhsa_user_sgpr_kernarg_preload_offset 0
		.amdhsa_user_sgpr_private_segment_size 0
		.amdhsa_uses_dynamic_stack 0
		.amdhsa_enable_private_segment 0
		.amdhsa_system_sgpr_workgroup_id_x 1
		.amdhsa_system_sgpr_workgroup_id_y 0
		.amdhsa_system_sgpr_workgroup_id_z 0
		.amdhsa_system_sgpr_workgroup_info 0
		.amdhsa_system_vgpr_workitem_id 0
		.amdhsa_next_free_vgpr 8
		.amdhsa_next_free_sgpr 12
		.amdhsa_accum_offset 8
		.amdhsa_reserve_vcc 1
		.amdhsa_float_round_mode_32 0
		.amdhsa_float_round_mode_16_64 0
		.amdhsa_float_denorm_mode_32 3
		.amdhsa_float_denorm_mode_16_64 3
		.amdhsa_dx10_clamp 1
		.amdhsa_ieee_mode 1
		.amdhsa_fp16_overflow 0
		.amdhsa_tg_split 0
		.amdhsa_exception_fp_ieee_invalid_op 0
		.amdhsa_exception_fp_denorm_src 0
		.amdhsa_exception_fp_ieee_div_zero 0
		.amdhsa_exception_fp_ieee_overflow 0
		.amdhsa_exception_fp_ieee_underflow 0
		.amdhsa_exception_fp_ieee_inexact 0
		.amdhsa_exception_int_div_zero 0
	.end_amdhsa_kernel
	.section	.text._ZN7rocprim17ROCPRIM_400000_NS6detail17trampoline_kernelINS0_14default_configENS1_25transform_config_selectorIN3c107complexIfEELb1EEEZNS1_14transform_implILb1ES3_S8_PS7_SA_NS0_8identityIS7_EEEE10hipError_tT2_T3_mT4_P12ihipStream_tbEUlT_E_NS1_11comp_targetILNS1_3genE5ELNS1_11target_archE942ELNS1_3gpuE9ELNS1_3repE0EEENS1_30default_config_static_selectorELNS0_4arch9wavefront6targetE1EEEvT1_,"axG",@progbits,_ZN7rocprim17ROCPRIM_400000_NS6detail17trampoline_kernelINS0_14default_configENS1_25transform_config_selectorIN3c107complexIfEELb1EEEZNS1_14transform_implILb1ES3_S8_PS7_SA_NS0_8identityIS7_EEEE10hipError_tT2_T3_mT4_P12ihipStream_tbEUlT_E_NS1_11comp_targetILNS1_3genE5ELNS1_11target_archE942ELNS1_3gpuE9ELNS1_3repE0EEENS1_30default_config_static_selectorELNS0_4arch9wavefront6targetE1EEEvT1_,comdat
.Lfunc_end283:
	.size	_ZN7rocprim17ROCPRIM_400000_NS6detail17trampoline_kernelINS0_14default_configENS1_25transform_config_selectorIN3c107complexIfEELb1EEEZNS1_14transform_implILb1ES3_S8_PS7_SA_NS0_8identityIS7_EEEE10hipError_tT2_T3_mT4_P12ihipStream_tbEUlT_E_NS1_11comp_targetILNS1_3genE5ELNS1_11target_archE942ELNS1_3gpuE9ELNS1_3repE0EEENS1_30default_config_static_selectorELNS0_4arch9wavefront6targetE1EEEvT1_, .Lfunc_end283-_ZN7rocprim17ROCPRIM_400000_NS6detail17trampoline_kernelINS0_14default_configENS1_25transform_config_selectorIN3c107complexIfEELb1EEEZNS1_14transform_implILb1ES3_S8_PS7_SA_NS0_8identityIS7_EEEE10hipError_tT2_T3_mT4_P12ihipStream_tbEUlT_E_NS1_11comp_targetILNS1_3genE5ELNS1_11target_archE942ELNS1_3gpuE9ELNS1_3repE0EEENS1_30default_config_static_selectorELNS0_4arch9wavefront6targetE1EEEvT1_
                                        ; -- End function
	.section	.AMDGPU.csdata,"",@progbits
; Kernel info:
; codeLenInByte = 292
; NumSgprs: 18
; NumVgprs: 8
; NumAgprs: 0
; TotalNumVgprs: 8
; ScratchSize: 0
; MemoryBound: 0
; FloatMode: 240
; IeeeMode: 1
; LDSByteSize: 0 bytes/workgroup (compile time only)
; SGPRBlocks: 2
; VGPRBlocks: 0
; NumSGPRsForWavesPerEU: 18
; NumVGPRsForWavesPerEU: 8
; AccumOffset: 8
; Occupancy: 8
; WaveLimiterHint : 0
; COMPUTE_PGM_RSRC2:SCRATCH_EN: 0
; COMPUTE_PGM_RSRC2:USER_SGPR: 2
; COMPUTE_PGM_RSRC2:TRAP_HANDLER: 0
; COMPUTE_PGM_RSRC2:TGID_X_EN: 1
; COMPUTE_PGM_RSRC2:TGID_Y_EN: 0
; COMPUTE_PGM_RSRC2:TGID_Z_EN: 0
; COMPUTE_PGM_RSRC2:TIDIG_COMP_CNT: 0
; COMPUTE_PGM_RSRC3_GFX90A:ACCUM_OFFSET: 1
; COMPUTE_PGM_RSRC3_GFX90A:TG_SPLIT: 0
	.section	.text._ZN7rocprim17ROCPRIM_400000_NS6detail17trampoline_kernelINS0_14default_configENS1_25transform_config_selectorIN3c107complexIfEELb1EEEZNS1_14transform_implILb1ES3_S8_PS7_SA_NS0_8identityIS7_EEEE10hipError_tT2_T3_mT4_P12ihipStream_tbEUlT_E_NS1_11comp_targetILNS1_3genE4ELNS1_11target_archE910ELNS1_3gpuE8ELNS1_3repE0EEENS1_30default_config_static_selectorELNS0_4arch9wavefront6targetE1EEEvT1_,"axG",@progbits,_ZN7rocprim17ROCPRIM_400000_NS6detail17trampoline_kernelINS0_14default_configENS1_25transform_config_selectorIN3c107complexIfEELb1EEEZNS1_14transform_implILb1ES3_S8_PS7_SA_NS0_8identityIS7_EEEE10hipError_tT2_T3_mT4_P12ihipStream_tbEUlT_E_NS1_11comp_targetILNS1_3genE4ELNS1_11target_archE910ELNS1_3gpuE8ELNS1_3repE0EEENS1_30default_config_static_selectorELNS0_4arch9wavefront6targetE1EEEvT1_,comdat
	.protected	_ZN7rocprim17ROCPRIM_400000_NS6detail17trampoline_kernelINS0_14default_configENS1_25transform_config_selectorIN3c107complexIfEELb1EEEZNS1_14transform_implILb1ES3_S8_PS7_SA_NS0_8identityIS7_EEEE10hipError_tT2_T3_mT4_P12ihipStream_tbEUlT_E_NS1_11comp_targetILNS1_3genE4ELNS1_11target_archE910ELNS1_3gpuE8ELNS1_3repE0EEENS1_30default_config_static_selectorELNS0_4arch9wavefront6targetE1EEEvT1_ ; -- Begin function _ZN7rocprim17ROCPRIM_400000_NS6detail17trampoline_kernelINS0_14default_configENS1_25transform_config_selectorIN3c107complexIfEELb1EEEZNS1_14transform_implILb1ES3_S8_PS7_SA_NS0_8identityIS7_EEEE10hipError_tT2_T3_mT4_P12ihipStream_tbEUlT_E_NS1_11comp_targetILNS1_3genE4ELNS1_11target_archE910ELNS1_3gpuE8ELNS1_3repE0EEENS1_30default_config_static_selectorELNS0_4arch9wavefront6targetE1EEEvT1_
	.globl	_ZN7rocprim17ROCPRIM_400000_NS6detail17trampoline_kernelINS0_14default_configENS1_25transform_config_selectorIN3c107complexIfEELb1EEEZNS1_14transform_implILb1ES3_S8_PS7_SA_NS0_8identityIS7_EEEE10hipError_tT2_T3_mT4_P12ihipStream_tbEUlT_E_NS1_11comp_targetILNS1_3genE4ELNS1_11target_archE910ELNS1_3gpuE8ELNS1_3repE0EEENS1_30default_config_static_selectorELNS0_4arch9wavefront6targetE1EEEvT1_
	.p2align	8
	.type	_ZN7rocprim17ROCPRIM_400000_NS6detail17trampoline_kernelINS0_14default_configENS1_25transform_config_selectorIN3c107complexIfEELb1EEEZNS1_14transform_implILb1ES3_S8_PS7_SA_NS0_8identityIS7_EEEE10hipError_tT2_T3_mT4_P12ihipStream_tbEUlT_E_NS1_11comp_targetILNS1_3genE4ELNS1_11target_archE910ELNS1_3gpuE8ELNS1_3repE0EEENS1_30default_config_static_selectorELNS0_4arch9wavefront6targetE1EEEvT1_,@function
_ZN7rocprim17ROCPRIM_400000_NS6detail17trampoline_kernelINS0_14default_configENS1_25transform_config_selectorIN3c107complexIfEELb1EEEZNS1_14transform_implILb1ES3_S8_PS7_SA_NS0_8identityIS7_EEEE10hipError_tT2_T3_mT4_P12ihipStream_tbEUlT_E_NS1_11comp_targetILNS1_3genE4ELNS1_11target_archE910ELNS1_3gpuE8ELNS1_3repE0EEENS1_30default_config_static_selectorELNS0_4arch9wavefront6targetE1EEEvT1_: ; @_ZN7rocprim17ROCPRIM_400000_NS6detail17trampoline_kernelINS0_14default_configENS1_25transform_config_selectorIN3c107complexIfEELb1EEEZNS1_14transform_implILb1ES3_S8_PS7_SA_NS0_8identityIS7_EEEE10hipError_tT2_T3_mT4_P12ihipStream_tbEUlT_E_NS1_11comp_targetILNS1_3genE4ELNS1_11target_archE910ELNS1_3gpuE8ELNS1_3repE0EEENS1_30default_config_static_selectorELNS0_4arch9wavefront6targetE1EEEvT1_
; %bb.0:
	.section	.rodata,"a",@progbits
	.p2align	6, 0x0
	.amdhsa_kernel _ZN7rocprim17ROCPRIM_400000_NS6detail17trampoline_kernelINS0_14default_configENS1_25transform_config_selectorIN3c107complexIfEELb1EEEZNS1_14transform_implILb1ES3_S8_PS7_SA_NS0_8identityIS7_EEEE10hipError_tT2_T3_mT4_P12ihipStream_tbEUlT_E_NS1_11comp_targetILNS1_3genE4ELNS1_11target_archE910ELNS1_3gpuE8ELNS1_3repE0EEENS1_30default_config_static_selectorELNS0_4arch9wavefront6targetE1EEEvT1_
		.amdhsa_group_segment_fixed_size 0
		.amdhsa_private_segment_fixed_size 0
		.amdhsa_kernarg_size 40
		.amdhsa_user_sgpr_count 2
		.amdhsa_user_sgpr_dispatch_ptr 0
		.amdhsa_user_sgpr_queue_ptr 0
		.amdhsa_user_sgpr_kernarg_segment_ptr 1
		.amdhsa_user_sgpr_dispatch_id 0
		.amdhsa_user_sgpr_kernarg_preload_length 0
		.amdhsa_user_sgpr_kernarg_preload_offset 0
		.amdhsa_user_sgpr_private_segment_size 0
		.amdhsa_uses_dynamic_stack 0
		.amdhsa_enable_private_segment 0
		.amdhsa_system_sgpr_workgroup_id_x 1
		.amdhsa_system_sgpr_workgroup_id_y 0
		.amdhsa_system_sgpr_workgroup_id_z 0
		.amdhsa_system_sgpr_workgroup_info 0
		.amdhsa_system_vgpr_workitem_id 0
		.amdhsa_next_free_vgpr 1
		.amdhsa_next_free_sgpr 0
		.amdhsa_accum_offset 4
		.amdhsa_reserve_vcc 0
		.amdhsa_float_round_mode_32 0
		.amdhsa_float_round_mode_16_64 0
		.amdhsa_float_denorm_mode_32 3
		.amdhsa_float_denorm_mode_16_64 3
		.amdhsa_dx10_clamp 1
		.amdhsa_ieee_mode 1
		.amdhsa_fp16_overflow 0
		.amdhsa_tg_split 0
		.amdhsa_exception_fp_ieee_invalid_op 0
		.amdhsa_exception_fp_denorm_src 0
		.amdhsa_exception_fp_ieee_div_zero 0
		.amdhsa_exception_fp_ieee_overflow 0
		.amdhsa_exception_fp_ieee_underflow 0
		.amdhsa_exception_fp_ieee_inexact 0
		.amdhsa_exception_int_div_zero 0
	.end_amdhsa_kernel
	.section	.text._ZN7rocprim17ROCPRIM_400000_NS6detail17trampoline_kernelINS0_14default_configENS1_25transform_config_selectorIN3c107complexIfEELb1EEEZNS1_14transform_implILb1ES3_S8_PS7_SA_NS0_8identityIS7_EEEE10hipError_tT2_T3_mT4_P12ihipStream_tbEUlT_E_NS1_11comp_targetILNS1_3genE4ELNS1_11target_archE910ELNS1_3gpuE8ELNS1_3repE0EEENS1_30default_config_static_selectorELNS0_4arch9wavefront6targetE1EEEvT1_,"axG",@progbits,_ZN7rocprim17ROCPRIM_400000_NS6detail17trampoline_kernelINS0_14default_configENS1_25transform_config_selectorIN3c107complexIfEELb1EEEZNS1_14transform_implILb1ES3_S8_PS7_SA_NS0_8identityIS7_EEEE10hipError_tT2_T3_mT4_P12ihipStream_tbEUlT_E_NS1_11comp_targetILNS1_3genE4ELNS1_11target_archE910ELNS1_3gpuE8ELNS1_3repE0EEENS1_30default_config_static_selectorELNS0_4arch9wavefront6targetE1EEEvT1_,comdat
.Lfunc_end284:
	.size	_ZN7rocprim17ROCPRIM_400000_NS6detail17trampoline_kernelINS0_14default_configENS1_25transform_config_selectorIN3c107complexIfEELb1EEEZNS1_14transform_implILb1ES3_S8_PS7_SA_NS0_8identityIS7_EEEE10hipError_tT2_T3_mT4_P12ihipStream_tbEUlT_E_NS1_11comp_targetILNS1_3genE4ELNS1_11target_archE910ELNS1_3gpuE8ELNS1_3repE0EEENS1_30default_config_static_selectorELNS0_4arch9wavefront6targetE1EEEvT1_, .Lfunc_end284-_ZN7rocprim17ROCPRIM_400000_NS6detail17trampoline_kernelINS0_14default_configENS1_25transform_config_selectorIN3c107complexIfEELb1EEEZNS1_14transform_implILb1ES3_S8_PS7_SA_NS0_8identityIS7_EEEE10hipError_tT2_T3_mT4_P12ihipStream_tbEUlT_E_NS1_11comp_targetILNS1_3genE4ELNS1_11target_archE910ELNS1_3gpuE8ELNS1_3repE0EEENS1_30default_config_static_selectorELNS0_4arch9wavefront6targetE1EEEvT1_
                                        ; -- End function
	.section	.AMDGPU.csdata,"",@progbits
; Kernel info:
; codeLenInByte = 0
; NumSgprs: 6
; NumVgprs: 0
; NumAgprs: 0
; TotalNumVgprs: 0
; ScratchSize: 0
; MemoryBound: 0
; FloatMode: 240
; IeeeMode: 1
; LDSByteSize: 0 bytes/workgroup (compile time only)
; SGPRBlocks: 0
; VGPRBlocks: 0
; NumSGPRsForWavesPerEU: 6
; NumVGPRsForWavesPerEU: 1
; AccumOffset: 4
; Occupancy: 8
; WaveLimiterHint : 0
; COMPUTE_PGM_RSRC2:SCRATCH_EN: 0
; COMPUTE_PGM_RSRC2:USER_SGPR: 2
; COMPUTE_PGM_RSRC2:TRAP_HANDLER: 0
; COMPUTE_PGM_RSRC2:TGID_X_EN: 1
; COMPUTE_PGM_RSRC2:TGID_Y_EN: 0
; COMPUTE_PGM_RSRC2:TGID_Z_EN: 0
; COMPUTE_PGM_RSRC2:TIDIG_COMP_CNT: 0
; COMPUTE_PGM_RSRC3_GFX90A:ACCUM_OFFSET: 0
; COMPUTE_PGM_RSRC3_GFX90A:TG_SPLIT: 0
	.section	.text._ZN7rocprim17ROCPRIM_400000_NS6detail17trampoline_kernelINS0_14default_configENS1_25transform_config_selectorIN3c107complexIfEELb1EEEZNS1_14transform_implILb1ES3_S8_PS7_SA_NS0_8identityIS7_EEEE10hipError_tT2_T3_mT4_P12ihipStream_tbEUlT_E_NS1_11comp_targetILNS1_3genE3ELNS1_11target_archE908ELNS1_3gpuE7ELNS1_3repE0EEENS1_30default_config_static_selectorELNS0_4arch9wavefront6targetE1EEEvT1_,"axG",@progbits,_ZN7rocprim17ROCPRIM_400000_NS6detail17trampoline_kernelINS0_14default_configENS1_25transform_config_selectorIN3c107complexIfEELb1EEEZNS1_14transform_implILb1ES3_S8_PS7_SA_NS0_8identityIS7_EEEE10hipError_tT2_T3_mT4_P12ihipStream_tbEUlT_E_NS1_11comp_targetILNS1_3genE3ELNS1_11target_archE908ELNS1_3gpuE7ELNS1_3repE0EEENS1_30default_config_static_selectorELNS0_4arch9wavefront6targetE1EEEvT1_,comdat
	.protected	_ZN7rocprim17ROCPRIM_400000_NS6detail17trampoline_kernelINS0_14default_configENS1_25transform_config_selectorIN3c107complexIfEELb1EEEZNS1_14transform_implILb1ES3_S8_PS7_SA_NS0_8identityIS7_EEEE10hipError_tT2_T3_mT4_P12ihipStream_tbEUlT_E_NS1_11comp_targetILNS1_3genE3ELNS1_11target_archE908ELNS1_3gpuE7ELNS1_3repE0EEENS1_30default_config_static_selectorELNS0_4arch9wavefront6targetE1EEEvT1_ ; -- Begin function _ZN7rocprim17ROCPRIM_400000_NS6detail17trampoline_kernelINS0_14default_configENS1_25transform_config_selectorIN3c107complexIfEELb1EEEZNS1_14transform_implILb1ES3_S8_PS7_SA_NS0_8identityIS7_EEEE10hipError_tT2_T3_mT4_P12ihipStream_tbEUlT_E_NS1_11comp_targetILNS1_3genE3ELNS1_11target_archE908ELNS1_3gpuE7ELNS1_3repE0EEENS1_30default_config_static_selectorELNS0_4arch9wavefront6targetE1EEEvT1_
	.globl	_ZN7rocprim17ROCPRIM_400000_NS6detail17trampoline_kernelINS0_14default_configENS1_25transform_config_selectorIN3c107complexIfEELb1EEEZNS1_14transform_implILb1ES3_S8_PS7_SA_NS0_8identityIS7_EEEE10hipError_tT2_T3_mT4_P12ihipStream_tbEUlT_E_NS1_11comp_targetILNS1_3genE3ELNS1_11target_archE908ELNS1_3gpuE7ELNS1_3repE0EEENS1_30default_config_static_selectorELNS0_4arch9wavefront6targetE1EEEvT1_
	.p2align	8
	.type	_ZN7rocprim17ROCPRIM_400000_NS6detail17trampoline_kernelINS0_14default_configENS1_25transform_config_selectorIN3c107complexIfEELb1EEEZNS1_14transform_implILb1ES3_S8_PS7_SA_NS0_8identityIS7_EEEE10hipError_tT2_T3_mT4_P12ihipStream_tbEUlT_E_NS1_11comp_targetILNS1_3genE3ELNS1_11target_archE908ELNS1_3gpuE7ELNS1_3repE0EEENS1_30default_config_static_selectorELNS0_4arch9wavefront6targetE1EEEvT1_,@function
_ZN7rocprim17ROCPRIM_400000_NS6detail17trampoline_kernelINS0_14default_configENS1_25transform_config_selectorIN3c107complexIfEELb1EEEZNS1_14transform_implILb1ES3_S8_PS7_SA_NS0_8identityIS7_EEEE10hipError_tT2_T3_mT4_P12ihipStream_tbEUlT_E_NS1_11comp_targetILNS1_3genE3ELNS1_11target_archE908ELNS1_3gpuE7ELNS1_3repE0EEENS1_30default_config_static_selectorELNS0_4arch9wavefront6targetE1EEEvT1_: ; @_ZN7rocprim17ROCPRIM_400000_NS6detail17trampoline_kernelINS0_14default_configENS1_25transform_config_selectorIN3c107complexIfEELb1EEEZNS1_14transform_implILb1ES3_S8_PS7_SA_NS0_8identityIS7_EEEE10hipError_tT2_T3_mT4_P12ihipStream_tbEUlT_E_NS1_11comp_targetILNS1_3genE3ELNS1_11target_archE908ELNS1_3gpuE7ELNS1_3repE0EEENS1_30default_config_static_selectorELNS0_4arch9wavefront6targetE1EEEvT1_
; %bb.0:
	.section	.rodata,"a",@progbits
	.p2align	6, 0x0
	.amdhsa_kernel _ZN7rocprim17ROCPRIM_400000_NS6detail17trampoline_kernelINS0_14default_configENS1_25transform_config_selectorIN3c107complexIfEELb1EEEZNS1_14transform_implILb1ES3_S8_PS7_SA_NS0_8identityIS7_EEEE10hipError_tT2_T3_mT4_P12ihipStream_tbEUlT_E_NS1_11comp_targetILNS1_3genE3ELNS1_11target_archE908ELNS1_3gpuE7ELNS1_3repE0EEENS1_30default_config_static_selectorELNS0_4arch9wavefront6targetE1EEEvT1_
		.amdhsa_group_segment_fixed_size 0
		.amdhsa_private_segment_fixed_size 0
		.amdhsa_kernarg_size 40
		.amdhsa_user_sgpr_count 2
		.amdhsa_user_sgpr_dispatch_ptr 0
		.amdhsa_user_sgpr_queue_ptr 0
		.amdhsa_user_sgpr_kernarg_segment_ptr 1
		.amdhsa_user_sgpr_dispatch_id 0
		.amdhsa_user_sgpr_kernarg_preload_length 0
		.amdhsa_user_sgpr_kernarg_preload_offset 0
		.amdhsa_user_sgpr_private_segment_size 0
		.amdhsa_uses_dynamic_stack 0
		.amdhsa_enable_private_segment 0
		.amdhsa_system_sgpr_workgroup_id_x 1
		.amdhsa_system_sgpr_workgroup_id_y 0
		.amdhsa_system_sgpr_workgroup_id_z 0
		.amdhsa_system_sgpr_workgroup_info 0
		.amdhsa_system_vgpr_workitem_id 0
		.amdhsa_next_free_vgpr 1
		.amdhsa_next_free_sgpr 0
		.amdhsa_accum_offset 4
		.amdhsa_reserve_vcc 0
		.amdhsa_float_round_mode_32 0
		.amdhsa_float_round_mode_16_64 0
		.amdhsa_float_denorm_mode_32 3
		.amdhsa_float_denorm_mode_16_64 3
		.amdhsa_dx10_clamp 1
		.amdhsa_ieee_mode 1
		.amdhsa_fp16_overflow 0
		.amdhsa_tg_split 0
		.amdhsa_exception_fp_ieee_invalid_op 0
		.amdhsa_exception_fp_denorm_src 0
		.amdhsa_exception_fp_ieee_div_zero 0
		.amdhsa_exception_fp_ieee_overflow 0
		.amdhsa_exception_fp_ieee_underflow 0
		.amdhsa_exception_fp_ieee_inexact 0
		.amdhsa_exception_int_div_zero 0
	.end_amdhsa_kernel
	.section	.text._ZN7rocprim17ROCPRIM_400000_NS6detail17trampoline_kernelINS0_14default_configENS1_25transform_config_selectorIN3c107complexIfEELb1EEEZNS1_14transform_implILb1ES3_S8_PS7_SA_NS0_8identityIS7_EEEE10hipError_tT2_T3_mT4_P12ihipStream_tbEUlT_E_NS1_11comp_targetILNS1_3genE3ELNS1_11target_archE908ELNS1_3gpuE7ELNS1_3repE0EEENS1_30default_config_static_selectorELNS0_4arch9wavefront6targetE1EEEvT1_,"axG",@progbits,_ZN7rocprim17ROCPRIM_400000_NS6detail17trampoline_kernelINS0_14default_configENS1_25transform_config_selectorIN3c107complexIfEELb1EEEZNS1_14transform_implILb1ES3_S8_PS7_SA_NS0_8identityIS7_EEEE10hipError_tT2_T3_mT4_P12ihipStream_tbEUlT_E_NS1_11comp_targetILNS1_3genE3ELNS1_11target_archE908ELNS1_3gpuE7ELNS1_3repE0EEENS1_30default_config_static_selectorELNS0_4arch9wavefront6targetE1EEEvT1_,comdat
.Lfunc_end285:
	.size	_ZN7rocprim17ROCPRIM_400000_NS6detail17trampoline_kernelINS0_14default_configENS1_25transform_config_selectorIN3c107complexIfEELb1EEEZNS1_14transform_implILb1ES3_S8_PS7_SA_NS0_8identityIS7_EEEE10hipError_tT2_T3_mT4_P12ihipStream_tbEUlT_E_NS1_11comp_targetILNS1_3genE3ELNS1_11target_archE908ELNS1_3gpuE7ELNS1_3repE0EEENS1_30default_config_static_selectorELNS0_4arch9wavefront6targetE1EEEvT1_, .Lfunc_end285-_ZN7rocprim17ROCPRIM_400000_NS6detail17trampoline_kernelINS0_14default_configENS1_25transform_config_selectorIN3c107complexIfEELb1EEEZNS1_14transform_implILb1ES3_S8_PS7_SA_NS0_8identityIS7_EEEE10hipError_tT2_T3_mT4_P12ihipStream_tbEUlT_E_NS1_11comp_targetILNS1_3genE3ELNS1_11target_archE908ELNS1_3gpuE7ELNS1_3repE0EEENS1_30default_config_static_selectorELNS0_4arch9wavefront6targetE1EEEvT1_
                                        ; -- End function
	.section	.AMDGPU.csdata,"",@progbits
; Kernel info:
; codeLenInByte = 0
; NumSgprs: 6
; NumVgprs: 0
; NumAgprs: 0
; TotalNumVgprs: 0
; ScratchSize: 0
; MemoryBound: 0
; FloatMode: 240
; IeeeMode: 1
; LDSByteSize: 0 bytes/workgroup (compile time only)
; SGPRBlocks: 0
; VGPRBlocks: 0
; NumSGPRsForWavesPerEU: 6
; NumVGPRsForWavesPerEU: 1
; AccumOffset: 4
; Occupancy: 8
; WaveLimiterHint : 0
; COMPUTE_PGM_RSRC2:SCRATCH_EN: 0
; COMPUTE_PGM_RSRC2:USER_SGPR: 2
; COMPUTE_PGM_RSRC2:TRAP_HANDLER: 0
; COMPUTE_PGM_RSRC2:TGID_X_EN: 1
; COMPUTE_PGM_RSRC2:TGID_Y_EN: 0
; COMPUTE_PGM_RSRC2:TGID_Z_EN: 0
; COMPUTE_PGM_RSRC2:TIDIG_COMP_CNT: 0
; COMPUTE_PGM_RSRC3_GFX90A:ACCUM_OFFSET: 0
; COMPUTE_PGM_RSRC3_GFX90A:TG_SPLIT: 0
	.section	.text._ZN7rocprim17ROCPRIM_400000_NS6detail17trampoline_kernelINS0_14default_configENS1_25transform_config_selectorIN3c107complexIfEELb1EEEZNS1_14transform_implILb1ES3_S8_PS7_SA_NS0_8identityIS7_EEEE10hipError_tT2_T3_mT4_P12ihipStream_tbEUlT_E_NS1_11comp_targetILNS1_3genE2ELNS1_11target_archE906ELNS1_3gpuE6ELNS1_3repE0EEENS1_30default_config_static_selectorELNS0_4arch9wavefront6targetE1EEEvT1_,"axG",@progbits,_ZN7rocprim17ROCPRIM_400000_NS6detail17trampoline_kernelINS0_14default_configENS1_25transform_config_selectorIN3c107complexIfEELb1EEEZNS1_14transform_implILb1ES3_S8_PS7_SA_NS0_8identityIS7_EEEE10hipError_tT2_T3_mT4_P12ihipStream_tbEUlT_E_NS1_11comp_targetILNS1_3genE2ELNS1_11target_archE906ELNS1_3gpuE6ELNS1_3repE0EEENS1_30default_config_static_selectorELNS0_4arch9wavefront6targetE1EEEvT1_,comdat
	.protected	_ZN7rocprim17ROCPRIM_400000_NS6detail17trampoline_kernelINS0_14default_configENS1_25transform_config_selectorIN3c107complexIfEELb1EEEZNS1_14transform_implILb1ES3_S8_PS7_SA_NS0_8identityIS7_EEEE10hipError_tT2_T3_mT4_P12ihipStream_tbEUlT_E_NS1_11comp_targetILNS1_3genE2ELNS1_11target_archE906ELNS1_3gpuE6ELNS1_3repE0EEENS1_30default_config_static_selectorELNS0_4arch9wavefront6targetE1EEEvT1_ ; -- Begin function _ZN7rocprim17ROCPRIM_400000_NS6detail17trampoline_kernelINS0_14default_configENS1_25transform_config_selectorIN3c107complexIfEELb1EEEZNS1_14transform_implILb1ES3_S8_PS7_SA_NS0_8identityIS7_EEEE10hipError_tT2_T3_mT4_P12ihipStream_tbEUlT_E_NS1_11comp_targetILNS1_3genE2ELNS1_11target_archE906ELNS1_3gpuE6ELNS1_3repE0EEENS1_30default_config_static_selectorELNS0_4arch9wavefront6targetE1EEEvT1_
	.globl	_ZN7rocprim17ROCPRIM_400000_NS6detail17trampoline_kernelINS0_14default_configENS1_25transform_config_selectorIN3c107complexIfEELb1EEEZNS1_14transform_implILb1ES3_S8_PS7_SA_NS0_8identityIS7_EEEE10hipError_tT2_T3_mT4_P12ihipStream_tbEUlT_E_NS1_11comp_targetILNS1_3genE2ELNS1_11target_archE906ELNS1_3gpuE6ELNS1_3repE0EEENS1_30default_config_static_selectorELNS0_4arch9wavefront6targetE1EEEvT1_
	.p2align	8
	.type	_ZN7rocprim17ROCPRIM_400000_NS6detail17trampoline_kernelINS0_14default_configENS1_25transform_config_selectorIN3c107complexIfEELb1EEEZNS1_14transform_implILb1ES3_S8_PS7_SA_NS0_8identityIS7_EEEE10hipError_tT2_T3_mT4_P12ihipStream_tbEUlT_E_NS1_11comp_targetILNS1_3genE2ELNS1_11target_archE906ELNS1_3gpuE6ELNS1_3repE0EEENS1_30default_config_static_selectorELNS0_4arch9wavefront6targetE1EEEvT1_,@function
_ZN7rocprim17ROCPRIM_400000_NS6detail17trampoline_kernelINS0_14default_configENS1_25transform_config_selectorIN3c107complexIfEELb1EEEZNS1_14transform_implILb1ES3_S8_PS7_SA_NS0_8identityIS7_EEEE10hipError_tT2_T3_mT4_P12ihipStream_tbEUlT_E_NS1_11comp_targetILNS1_3genE2ELNS1_11target_archE906ELNS1_3gpuE6ELNS1_3repE0EEENS1_30default_config_static_selectorELNS0_4arch9wavefront6targetE1EEEvT1_: ; @_ZN7rocprim17ROCPRIM_400000_NS6detail17trampoline_kernelINS0_14default_configENS1_25transform_config_selectorIN3c107complexIfEELb1EEEZNS1_14transform_implILb1ES3_S8_PS7_SA_NS0_8identityIS7_EEEE10hipError_tT2_T3_mT4_P12ihipStream_tbEUlT_E_NS1_11comp_targetILNS1_3genE2ELNS1_11target_archE906ELNS1_3gpuE6ELNS1_3repE0EEENS1_30default_config_static_selectorELNS0_4arch9wavefront6targetE1EEEvT1_
; %bb.0:
	.section	.rodata,"a",@progbits
	.p2align	6, 0x0
	.amdhsa_kernel _ZN7rocprim17ROCPRIM_400000_NS6detail17trampoline_kernelINS0_14default_configENS1_25transform_config_selectorIN3c107complexIfEELb1EEEZNS1_14transform_implILb1ES3_S8_PS7_SA_NS0_8identityIS7_EEEE10hipError_tT2_T3_mT4_P12ihipStream_tbEUlT_E_NS1_11comp_targetILNS1_3genE2ELNS1_11target_archE906ELNS1_3gpuE6ELNS1_3repE0EEENS1_30default_config_static_selectorELNS0_4arch9wavefront6targetE1EEEvT1_
		.amdhsa_group_segment_fixed_size 0
		.amdhsa_private_segment_fixed_size 0
		.amdhsa_kernarg_size 40
		.amdhsa_user_sgpr_count 2
		.amdhsa_user_sgpr_dispatch_ptr 0
		.amdhsa_user_sgpr_queue_ptr 0
		.amdhsa_user_sgpr_kernarg_segment_ptr 1
		.amdhsa_user_sgpr_dispatch_id 0
		.amdhsa_user_sgpr_kernarg_preload_length 0
		.amdhsa_user_sgpr_kernarg_preload_offset 0
		.amdhsa_user_sgpr_private_segment_size 0
		.amdhsa_uses_dynamic_stack 0
		.amdhsa_enable_private_segment 0
		.amdhsa_system_sgpr_workgroup_id_x 1
		.amdhsa_system_sgpr_workgroup_id_y 0
		.amdhsa_system_sgpr_workgroup_id_z 0
		.amdhsa_system_sgpr_workgroup_info 0
		.amdhsa_system_vgpr_workitem_id 0
		.amdhsa_next_free_vgpr 1
		.amdhsa_next_free_sgpr 0
		.amdhsa_accum_offset 4
		.amdhsa_reserve_vcc 0
		.amdhsa_float_round_mode_32 0
		.amdhsa_float_round_mode_16_64 0
		.amdhsa_float_denorm_mode_32 3
		.amdhsa_float_denorm_mode_16_64 3
		.amdhsa_dx10_clamp 1
		.amdhsa_ieee_mode 1
		.amdhsa_fp16_overflow 0
		.amdhsa_tg_split 0
		.amdhsa_exception_fp_ieee_invalid_op 0
		.amdhsa_exception_fp_denorm_src 0
		.amdhsa_exception_fp_ieee_div_zero 0
		.amdhsa_exception_fp_ieee_overflow 0
		.amdhsa_exception_fp_ieee_underflow 0
		.amdhsa_exception_fp_ieee_inexact 0
		.amdhsa_exception_int_div_zero 0
	.end_amdhsa_kernel
	.section	.text._ZN7rocprim17ROCPRIM_400000_NS6detail17trampoline_kernelINS0_14default_configENS1_25transform_config_selectorIN3c107complexIfEELb1EEEZNS1_14transform_implILb1ES3_S8_PS7_SA_NS0_8identityIS7_EEEE10hipError_tT2_T3_mT4_P12ihipStream_tbEUlT_E_NS1_11comp_targetILNS1_3genE2ELNS1_11target_archE906ELNS1_3gpuE6ELNS1_3repE0EEENS1_30default_config_static_selectorELNS0_4arch9wavefront6targetE1EEEvT1_,"axG",@progbits,_ZN7rocprim17ROCPRIM_400000_NS6detail17trampoline_kernelINS0_14default_configENS1_25transform_config_selectorIN3c107complexIfEELb1EEEZNS1_14transform_implILb1ES3_S8_PS7_SA_NS0_8identityIS7_EEEE10hipError_tT2_T3_mT4_P12ihipStream_tbEUlT_E_NS1_11comp_targetILNS1_3genE2ELNS1_11target_archE906ELNS1_3gpuE6ELNS1_3repE0EEENS1_30default_config_static_selectorELNS0_4arch9wavefront6targetE1EEEvT1_,comdat
.Lfunc_end286:
	.size	_ZN7rocprim17ROCPRIM_400000_NS6detail17trampoline_kernelINS0_14default_configENS1_25transform_config_selectorIN3c107complexIfEELb1EEEZNS1_14transform_implILb1ES3_S8_PS7_SA_NS0_8identityIS7_EEEE10hipError_tT2_T3_mT4_P12ihipStream_tbEUlT_E_NS1_11comp_targetILNS1_3genE2ELNS1_11target_archE906ELNS1_3gpuE6ELNS1_3repE0EEENS1_30default_config_static_selectorELNS0_4arch9wavefront6targetE1EEEvT1_, .Lfunc_end286-_ZN7rocprim17ROCPRIM_400000_NS6detail17trampoline_kernelINS0_14default_configENS1_25transform_config_selectorIN3c107complexIfEELb1EEEZNS1_14transform_implILb1ES3_S8_PS7_SA_NS0_8identityIS7_EEEE10hipError_tT2_T3_mT4_P12ihipStream_tbEUlT_E_NS1_11comp_targetILNS1_3genE2ELNS1_11target_archE906ELNS1_3gpuE6ELNS1_3repE0EEENS1_30default_config_static_selectorELNS0_4arch9wavefront6targetE1EEEvT1_
                                        ; -- End function
	.section	.AMDGPU.csdata,"",@progbits
; Kernel info:
; codeLenInByte = 0
; NumSgprs: 6
; NumVgprs: 0
; NumAgprs: 0
; TotalNumVgprs: 0
; ScratchSize: 0
; MemoryBound: 0
; FloatMode: 240
; IeeeMode: 1
; LDSByteSize: 0 bytes/workgroup (compile time only)
; SGPRBlocks: 0
; VGPRBlocks: 0
; NumSGPRsForWavesPerEU: 6
; NumVGPRsForWavesPerEU: 1
; AccumOffset: 4
; Occupancy: 8
; WaveLimiterHint : 0
; COMPUTE_PGM_RSRC2:SCRATCH_EN: 0
; COMPUTE_PGM_RSRC2:USER_SGPR: 2
; COMPUTE_PGM_RSRC2:TRAP_HANDLER: 0
; COMPUTE_PGM_RSRC2:TGID_X_EN: 1
; COMPUTE_PGM_RSRC2:TGID_Y_EN: 0
; COMPUTE_PGM_RSRC2:TGID_Z_EN: 0
; COMPUTE_PGM_RSRC2:TIDIG_COMP_CNT: 0
; COMPUTE_PGM_RSRC3_GFX90A:ACCUM_OFFSET: 0
; COMPUTE_PGM_RSRC3_GFX90A:TG_SPLIT: 0
	.section	.text._ZN7rocprim17ROCPRIM_400000_NS6detail17trampoline_kernelINS0_14default_configENS1_25transform_config_selectorIN3c107complexIfEELb1EEEZNS1_14transform_implILb1ES3_S8_PS7_SA_NS0_8identityIS7_EEEE10hipError_tT2_T3_mT4_P12ihipStream_tbEUlT_E_NS1_11comp_targetILNS1_3genE9ELNS1_11target_archE1100ELNS1_3gpuE3ELNS1_3repE0EEENS1_30default_config_static_selectorELNS0_4arch9wavefront6targetE1EEEvT1_,"axG",@progbits,_ZN7rocprim17ROCPRIM_400000_NS6detail17trampoline_kernelINS0_14default_configENS1_25transform_config_selectorIN3c107complexIfEELb1EEEZNS1_14transform_implILb1ES3_S8_PS7_SA_NS0_8identityIS7_EEEE10hipError_tT2_T3_mT4_P12ihipStream_tbEUlT_E_NS1_11comp_targetILNS1_3genE9ELNS1_11target_archE1100ELNS1_3gpuE3ELNS1_3repE0EEENS1_30default_config_static_selectorELNS0_4arch9wavefront6targetE1EEEvT1_,comdat
	.protected	_ZN7rocprim17ROCPRIM_400000_NS6detail17trampoline_kernelINS0_14default_configENS1_25transform_config_selectorIN3c107complexIfEELb1EEEZNS1_14transform_implILb1ES3_S8_PS7_SA_NS0_8identityIS7_EEEE10hipError_tT2_T3_mT4_P12ihipStream_tbEUlT_E_NS1_11comp_targetILNS1_3genE9ELNS1_11target_archE1100ELNS1_3gpuE3ELNS1_3repE0EEENS1_30default_config_static_selectorELNS0_4arch9wavefront6targetE1EEEvT1_ ; -- Begin function _ZN7rocprim17ROCPRIM_400000_NS6detail17trampoline_kernelINS0_14default_configENS1_25transform_config_selectorIN3c107complexIfEELb1EEEZNS1_14transform_implILb1ES3_S8_PS7_SA_NS0_8identityIS7_EEEE10hipError_tT2_T3_mT4_P12ihipStream_tbEUlT_E_NS1_11comp_targetILNS1_3genE9ELNS1_11target_archE1100ELNS1_3gpuE3ELNS1_3repE0EEENS1_30default_config_static_selectorELNS0_4arch9wavefront6targetE1EEEvT1_
	.globl	_ZN7rocprim17ROCPRIM_400000_NS6detail17trampoline_kernelINS0_14default_configENS1_25transform_config_selectorIN3c107complexIfEELb1EEEZNS1_14transform_implILb1ES3_S8_PS7_SA_NS0_8identityIS7_EEEE10hipError_tT2_T3_mT4_P12ihipStream_tbEUlT_E_NS1_11comp_targetILNS1_3genE9ELNS1_11target_archE1100ELNS1_3gpuE3ELNS1_3repE0EEENS1_30default_config_static_selectorELNS0_4arch9wavefront6targetE1EEEvT1_
	.p2align	8
	.type	_ZN7rocprim17ROCPRIM_400000_NS6detail17trampoline_kernelINS0_14default_configENS1_25transform_config_selectorIN3c107complexIfEELb1EEEZNS1_14transform_implILb1ES3_S8_PS7_SA_NS0_8identityIS7_EEEE10hipError_tT2_T3_mT4_P12ihipStream_tbEUlT_E_NS1_11comp_targetILNS1_3genE9ELNS1_11target_archE1100ELNS1_3gpuE3ELNS1_3repE0EEENS1_30default_config_static_selectorELNS0_4arch9wavefront6targetE1EEEvT1_,@function
_ZN7rocprim17ROCPRIM_400000_NS6detail17trampoline_kernelINS0_14default_configENS1_25transform_config_selectorIN3c107complexIfEELb1EEEZNS1_14transform_implILb1ES3_S8_PS7_SA_NS0_8identityIS7_EEEE10hipError_tT2_T3_mT4_P12ihipStream_tbEUlT_E_NS1_11comp_targetILNS1_3genE9ELNS1_11target_archE1100ELNS1_3gpuE3ELNS1_3repE0EEENS1_30default_config_static_selectorELNS0_4arch9wavefront6targetE1EEEvT1_: ; @_ZN7rocprim17ROCPRIM_400000_NS6detail17trampoline_kernelINS0_14default_configENS1_25transform_config_selectorIN3c107complexIfEELb1EEEZNS1_14transform_implILb1ES3_S8_PS7_SA_NS0_8identityIS7_EEEE10hipError_tT2_T3_mT4_P12ihipStream_tbEUlT_E_NS1_11comp_targetILNS1_3genE9ELNS1_11target_archE1100ELNS1_3gpuE3ELNS1_3repE0EEENS1_30default_config_static_selectorELNS0_4arch9wavefront6targetE1EEEvT1_
; %bb.0:
	.section	.rodata,"a",@progbits
	.p2align	6, 0x0
	.amdhsa_kernel _ZN7rocprim17ROCPRIM_400000_NS6detail17trampoline_kernelINS0_14default_configENS1_25transform_config_selectorIN3c107complexIfEELb1EEEZNS1_14transform_implILb1ES3_S8_PS7_SA_NS0_8identityIS7_EEEE10hipError_tT2_T3_mT4_P12ihipStream_tbEUlT_E_NS1_11comp_targetILNS1_3genE9ELNS1_11target_archE1100ELNS1_3gpuE3ELNS1_3repE0EEENS1_30default_config_static_selectorELNS0_4arch9wavefront6targetE1EEEvT1_
		.amdhsa_group_segment_fixed_size 0
		.amdhsa_private_segment_fixed_size 0
		.amdhsa_kernarg_size 40
		.amdhsa_user_sgpr_count 2
		.amdhsa_user_sgpr_dispatch_ptr 0
		.amdhsa_user_sgpr_queue_ptr 0
		.amdhsa_user_sgpr_kernarg_segment_ptr 1
		.amdhsa_user_sgpr_dispatch_id 0
		.amdhsa_user_sgpr_kernarg_preload_length 0
		.amdhsa_user_sgpr_kernarg_preload_offset 0
		.amdhsa_user_sgpr_private_segment_size 0
		.amdhsa_uses_dynamic_stack 0
		.amdhsa_enable_private_segment 0
		.amdhsa_system_sgpr_workgroup_id_x 1
		.amdhsa_system_sgpr_workgroup_id_y 0
		.amdhsa_system_sgpr_workgroup_id_z 0
		.amdhsa_system_sgpr_workgroup_info 0
		.amdhsa_system_vgpr_workitem_id 0
		.amdhsa_next_free_vgpr 1
		.amdhsa_next_free_sgpr 0
		.amdhsa_accum_offset 4
		.amdhsa_reserve_vcc 0
		.amdhsa_float_round_mode_32 0
		.amdhsa_float_round_mode_16_64 0
		.amdhsa_float_denorm_mode_32 3
		.amdhsa_float_denorm_mode_16_64 3
		.amdhsa_dx10_clamp 1
		.amdhsa_ieee_mode 1
		.amdhsa_fp16_overflow 0
		.amdhsa_tg_split 0
		.amdhsa_exception_fp_ieee_invalid_op 0
		.amdhsa_exception_fp_denorm_src 0
		.amdhsa_exception_fp_ieee_div_zero 0
		.amdhsa_exception_fp_ieee_overflow 0
		.amdhsa_exception_fp_ieee_underflow 0
		.amdhsa_exception_fp_ieee_inexact 0
		.amdhsa_exception_int_div_zero 0
	.end_amdhsa_kernel
	.section	.text._ZN7rocprim17ROCPRIM_400000_NS6detail17trampoline_kernelINS0_14default_configENS1_25transform_config_selectorIN3c107complexIfEELb1EEEZNS1_14transform_implILb1ES3_S8_PS7_SA_NS0_8identityIS7_EEEE10hipError_tT2_T3_mT4_P12ihipStream_tbEUlT_E_NS1_11comp_targetILNS1_3genE9ELNS1_11target_archE1100ELNS1_3gpuE3ELNS1_3repE0EEENS1_30default_config_static_selectorELNS0_4arch9wavefront6targetE1EEEvT1_,"axG",@progbits,_ZN7rocprim17ROCPRIM_400000_NS6detail17trampoline_kernelINS0_14default_configENS1_25transform_config_selectorIN3c107complexIfEELb1EEEZNS1_14transform_implILb1ES3_S8_PS7_SA_NS0_8identityIS7_EEEE10hipError_tT2_T3_mT4_P12ihipStream_tbEUlT_E_NS1_11comp_targetILNS1_3genE9ELNS1_11target_archE1100ELNS1_3gpuE3ELNS1_3repE0EEENS1_30default_config_static_selectorELNS0_4arch9wavefront6targetE1EEEvT1_,comdat
.Lfunc_end287:
	.size	_ZN7rocprim17ROCPRIM_400000_NS6detail17trampoline_kernelINS0_14default_configENS1_25transform_config_selectorIN3c107complexIfEELb1EEEZNS1_14transform_implILb1ES3_S8_PS7_SA_NS0_8identityIS7_EEEE10hipError_tT2_T3_mT4_P12ihipStream_tbEUlT_E_NS1_11comp_targetILNS1_3genE9ELNS1_11target_archE1100ELNS1_3gpuE3ELNS1_3repE0EEENS1_30default_config_static_selectorELNS0_4arch9wavefront6targetE1EEEvT1_, .Lfunc_end287-_ZN7rocprim17ROCPRIM_400000_NS6detail17trampoline_kernelINS0_14default_configENS1_25transform_config_selectorIN3c107complexIfEELb1EEEZNS1_14transform_implILb1ES3_S8_PS7_SA_NS0_8identityIS7_EEEE10hipError_tT2_T3_mT4_P12ihipStream_tbEUlT_E_NS1_11comp_targetILNS1_3genE9ELNS1_11target_archE1100ELNS1_3gpuE3ELNS1_3repE0EEENS1_30default_config_static_selectorELNS0_4arch9wavefront6targetE1EEEvT1_
                                        ; -- End function
	.section	.AMDGPU.csdata,"",@progbits
; Kernel info:
; codeLenInByte = 0
; NumSgprs: 6
; NumVgprs: 0
; NumAgprs: 0
; TotalNumVgprs: 0
; ScratchSize: 0
; MemoryBound: 0
; FloatMode: 240
; IeeeMode: 1
; LDSByteSize: 0 bytes/workgroup (compile time only)
; SGPRBlocks: 0
; VGPRBlocks: 0
; NumSGPRsForWavesPerEU: 6
; NumVGPRsForWavesPerEU: 1
; AccumOffset: 4
; Occupancy: 8
; WaveLimiterHint : 0
; COMPUTE_PGM_RSRC2:SCRATCH_EN: 0
; COMPUTE_PGM_RSRC2:USER_SGPR: 2
; COMPUTE_PGM_RSRC2:TRAP_HANDLER: 0
; COMPUTE_PGM_RSRC2:TGID_X_EN: 1
; COMPUTE_PGM_RSRC2:TGID_Y_EN: 0
; COMPUTE_PGM_RSRC2:TGID_Z_EN: 0
; COMPUTE_PGM_RSRC2:TIDIG_COMP_CNT: 0
; COMPUTE_PGM_RSRC3_GFX90A:ACCUM_OFFSET: 0
; COMPUTE_PGM_RSRC3_GFX90A:TG_SPLIT: 0
	.section	.text._ZN7rocprim17ROCPRIM_400000_NS6detail17trampoline_kernelINS0_14default_configENS1_25transform_config_selectorIN3c107complexIfEELb1EEEZNS1_14transform_implILb1ES3_S8_PS7_SA_NS0_8identityIS7_EEEE10hipError_tT2_T3_mT4_P12ihipStream_tbEUlT_E_NS1_11comp_targetILNS1_3genE8ELNS1_11target_archE1030ELNS1_3gpuE2ELNS1_3repE0EEENS1_30default_config_static_selectorELNS0_4arch9wavefront6targetE1EEEvT1_,"axG",@progbits,_ZN7rocprim17ROCPRIM_400000_NS6detail17trampoline_kernelINS0_14default_configENS1_25transform_config_selectorIN3c107complexIfEELb1EEEZNS1_14transform_implILb1ES3_S8_PS7_SA_NS0_8identityIS7_EEEE10hipError_tT2_T3_mT4_P12ihipStream_tbEUlT_E_NS1_11comp_targetILNS1_3genE8ELNS1_11target_archE1030ELNS1_3gpuE2ELNS1_3repE0EEENS1_30default_config_static_selectorELNS0_4arch9wavefront6targetE1EEEvT1_,comdat
	.protected	_ZN7rocprim17ROCPRIM_400000_NS6detail17trampoline_kernelINS0_14default_configENS1_25transform_config_selectorIN3c107complexIfEELb1EEEZNS1_14transform_implILb1ES3_S8_PS7_SA_NS0_8identityIS7_EEEE10hipError_tT2_T3_mT4_P12ihipStream_tbEUlT_E_NS1_11comp_targetILNS1_3genE8ELNS1_11target_archE1030ELNS1_3gpuE2ELNS1_3repE0EEENS1_30default_config_static_selectorELNS0_4arch9wavefront6targetE1EEEvT1_ ; -- Begin function _ZN7rocprim17ROCPRIM_400000_NS6detail17trampoline_kernelINS0_14default_configENS1_25transform_config_selectorIN3c107complexIfEELb1EEEZNS1_14transform_implILb1ES3_S8_PS7_SA_NS0_8identityIS7_EEEE10hipError_tT2_T3_mT4_P12ihipStream_tbEUlT_E_NS1_11comp_targetILNS1_3genE8ELNS1_11target_archE1030ELNS1_3gpuE2ELNS1_3repE0EEENS1_30default_config_static_selectorELNS0_4arch9wavefront6targetE1EEEvT1_
	.globl	_ZN7rocprim17ROCPRIM_400000_NS6detail17trampoline_kernelINS0_14default_configENS1_25transform_config_selectorIN3c107complexIfEELb1EEEZNS1_14transform_implILb1ES3_S8_PS7_SA_NS0_8identityIS7_EEEE10hipError_tT2_T3_mT4_P12ihipStream_tbEUlT_E_NS1_11comp_targetILNS1_3genE8ELNS1_11target_archE1030ELNS1_3gpuE2ELNS1_3repE0EEENS1_30default_config_static_selectorELNS0_4arch9wavefront6targetE1EEEvT1_
	.p2align	8
	.type	_ZN7rocprim17ROCPRIM_400000_NS6detail17trampoline_kernelINS0_14default_configENS1_25transform_config_selectorIN3c107complexIfEELb1EEEZNS1_14transform_implILb1ES3_S8_PS7_SA_NS0_8identityIS7_EEEE10hipError_tT2_T3_mT4_P12ihipStream_tbEUlT_E_NS1_11comp_targetILNS1_3genE8ELNS1_11target_archE1030ELNS1_3gpuE2ELNS1_3repE0EEENS1_30default_config_static_selectorELNS0_4arch9wavefront6targetE1EEEvT1_,@function
_ZN7rocprim17ROCPRIM_400000_NS6detail17trampoline_kernelINS0_14default_configENS1_25transform_config_selectorIN3c107complexIfEELb1EEEZNS1_14transform_implILb1ES3_S8_PS7_SA_NS0_8identityIS7_EEEE10hipError_tT2_T3_mT4_P12ihipStream_tbEUlT_E_NS1_11comp_targetILNS1_3genE8ELNS1_11target_archE1030ELNS1_3gpuE2ELNS1_3repE0EEENS1_30default_config_static_selectorELNS0_4arch9wavefront6targetE1EEEvT1_: ; @_ZN7rocprim17ROCPRIM_400000_NS6detail17trampoline_kernelINS0_14default_configENS1_25transform_config_selectorIN3c107complexIfEELb1EEEZNS1_14transform_implILb1ES3_S8_PS7_SA_NS0_8identityIS7_EEEE10hipError_tT2_T3_mT4_P12ihipStream_tbEUlT_E_NS1_11comp_targetILNS1_3genE8ELNS1_11target_archE1030ELNS1_3gpuE2ELNS1_3repE0EEENS1_30default_config_static_selectorELNS0_4arch9wavefront6targetE1EEEvT1_
; %bb.0:
	.section	.rodata,"a",@progbits
	.p2align	6, 0x0
	.amdhsa_kernel _ZN7rocprim17ROCPRIM_400000_NS6detail17trampoline_kernelINS0_14default_configENS1_25transform_config_selectorIN3c107complexIfEELb1EEEZNS1_14transform_implILb1ES3_S8_PS7_SA_NS0_8identityIS7_EEEE10hipError_tT2_T3_mT4_P12ihipStream_tbEUlT_E_NS1_11comp_targetILNS1_3genE8ELNS1_11target_archE1030ELNS1_3gpuE2ELNS1_3repE0EEENS1_30default_config_static_selectorELNS0_4arch9wavefront6targetE1EEEvT1_
		.amdhsa_group_segment_fixed_size 0
		.amdhsa_private_segment_fixed_size 0
		.amdhsa_kernarg_size 40
		.amdhsa_user_sgpr_count 2
		.amdhsa_user_sgpr_dispatch_ptr 0
		.amdhsa_user_sgpr_queue_ptr 0
		.amdhsa_user_sgpr_kernarg_segment_ptr 1
		.amdhsa_user_sgpr_dispatch_id 0
		.amdhsa_user_sgpr_kernarg_preload_length 0
		.amdhsa_user_sgpr_kernarg_preload_offset 0
		.amdhsa_user_sgpr_private_segment_size 0
		.amdhsa_uses_dynamic_stack 0
		.amdhsa_enable_private_segment 0
		.amdhsa_system_sgpr_workgroup_id_x 1
		.amdhsa_system_sgpr_workgroup_id_y 0
		.amdhsa_system_sgpr_workgroup_id_z 0
		.amdhsa_system_sgpr_workgroup_info 0
		.amdhsa_system_vgpr_workitem_id 0
		.amdhsa_next_free_vgpr 1
		.amdhsa_next_free_sgpr 0
		.amdhsa_accum_offset 4
		.amdhsa_reserve_vcc 0
		.amdhsa_float_round_mode_32 0
		.amdhsa_float_round_mode_16_64 0
		.amdhsa_float_denorm_mode_32 3
		.amdhsa_float_denorm_mode_16_64 3
		.amdhsa_dx10_clamp 1
		.amdhsa_ieee_mode 1
		.amdhsa_fp16_overflow 0
		.amdhsa_tg_split 0
		.amdhsa_exception_fp_ieee_invalid_op 0
		.amdhsa_exception_fp_denorm_src 0
		.amdhsa_exception_fp_ieee_div_zero 0
		.amdhsa_exception_fp_ieee_overflow 0
		.amdhsa_exception_fp_ieee_underflow 0
		.amdhsa_exception_fp_ieee_inexact 0
		.amdhsa_exception_int_div_zero 0
	.end_amdhsa_kernel
	.section	.text._ZN7rocprim17ROCPRIM_400000_NS6detail17trampoline_kernelINS0_14default_configENS1_25transform_config_selectorIN3c107complexIfEELb1EEEZNS1_14transform_implILb1ES3_S8_PS7_SA_NS0_8identityIS7_EEEE10hipError_tT2_T3_mT4_P12ihipStream_tbEUlT_E_NS1_11comp_targetILNS1_3genE8ELNS1_11target_archE1030ELNS1_3gpuE2ELNS1_3repE0EEENS1_30default_config_static_selectorELNS0_4arch9wavefront6targetE1EEEvT1_,"axG",@progbits,_ZN7rocprim17ROCPRIM_400000_NS6detail17trampoline_kernelINS0_14default_configENS1_25transform_config_selectorIN3c107complexIfEELb1EEEZNS1_14transform_implILb1ES3_S8_PS7_SA_NS0_8identityIS7_EEEE10hipError_tT2_T3_mT4_P12ihipStream_tbEUlT_E_NS1_11comp_targetILNS1_3genE8ELNS1_11target_archE1030ELNS1_3gpuE2ELNS1_3repE0EEENS1_30default_config_static_selectorELNS0_4arch9wavefront6targetE1EEEvT1_,comdat
.Lfunc_end288:
	.size	_ZN7rocprim17ROCPRIM_400000_NS6detail17trampoline_kernelINS0_14default_configENS1_25transform_config_selectorIN3c107complexIfEELb1EEEZNS1_14transform_implILb1ES3_S8_PS7_SA_NS0_8identityIS7_EEEE10hipError_tT2_T3_mT4_P12ihipStream_tbEUlT_E_NS1_11comp_targetILNS1_3genE8ELNS1_11target_archE1030ELNS1_3gpuE2ELNS1_3repE0EEENS1_30default_config_static_selectorELNS0_4arch9wavefront6targetE1EEEvT1_, .Lfunc_end288-_ZN7rocprim17ROCPRIM_400000_NS6detail17trampoline_kernelINS0_14default_configENS1_25transform_config_selectorIN3c107complexIfEELb1EEEZNS1_14transform_implILb1ES3_S8_PS7_SA_NS0_8identityIS7_EEEE10hipError_tT2_T3_mT4_P12ihipStream_tbEUlT_E_NS1_11comp_targetILNS1_3genE8ELNS1_11target_archE1030ELNS1_3gpuE2ELNS1_3repE0EEENS1_30default_config_static_selectorELNS0_4arch9wavefront6targetE1EEEvT1_
                                        ; -- End function
	.section	.AMDGPU.csdata,"",@progbits
; Kernel info:
; codeLenInByte = 0
; NumSgprs: 6
; NumVgprs: 0
; NumAgprs: 0
; TotalNumVgprs: 0
; ScratchSize: 0
; MemoryBound: 0
; FloatMode: 240
; IeeeMode: 1
; LDSByteSize: 0 bytes/workgroup (compile time only)
; SGPRBlocks: 0
; VGPRBlocks: 0
; NumSGPRsForWavesPerEU: 6
; NumVGPRsForWavesPerEU: 1
; AccumOffset: 4
; Occupancy: 8
; WaveLimiterHint : 0
; COMPUTE_PGM_RSRC2:SCRATCH_EN: 0
; COMPUTE_PGM_RSRC2:USER_SGPR: 2
; COMPUTE_PGM_RSRC2:TRAP_HANDLER: 0
; COMPUTE_PGM_RSRC2:TGID_X_EN: 1
; COMPUTE_PGM_RSRC2:TGID_Y_EN: 0
; COMPUTE_PGM_RSRC2:TGID_Z_EN: 0
; COMPUTE_PGM_RSRC2:TIDIG_COMP_CNT: 0
; COMPUTE_PGM_RSRC3_GFX90A:ACCUM_OFFSET: 0
; COMPUTE_PGM_RSRC3_GFX90A:TG_SPLIT: 0
	.section	.text._ZN7rocprim17ROCPRIM_400000_NS6detail17trampoline_kernelINS0_14default_configENS1_20scan_config_selectorIN3c107complexIfEEEEZZNS1_9scan_implILNS1_25lookback_scan_determinismE0ELb0ELb0ES3_PKS7_PS7_S7_ZZZN2at6native31launch_logcumsumexp_cuda_kernelERKNSE_10TensorBaseESI_lENKUlvE_clEvENKUlvE2_clEvEUlS7_S7_E_S7_EEDaPvRmT3_T4_T5_mT6_P12ihipStream_tbENKUlT_T0_E_clISt17integral_constantIbLb0EESZ_EEDaSU_SV_EUlSU_E0_NS1_11comp_targetILNS1_3genE0ELNS1_11target_archE4294967295ELNS1_3gpuE0ELNS1_3repE0EEENS1_30default_config_static_selectorELNS0_4arch9wavefront6targetE1EEEvT1_,"axG",@progbits,_ZN7rocprim17ROCPRIM_400000_NS6detail17trampoline_kernelINS0_14default_configENS1_20scan_config_selectorIN3c107complexIfEEEEZZNS1_9scan_implILNS1_25lookback_scan_determinismE0ELb0ELb0ES3_PKS7_PS7_S7_ZZZN2at6native31launch_logcumsumexp_cuda_kernelERKNSE_10TensorBaseESI_lENKUlvE_clEvENKUlvE2_clEvEUlS7_S7_E_S7_EEDaPvRmT3_T4_T5_mT6_P12ihipStream_tbENKUlT_T0_E_clISt17integral_constantIbLb0EESZ_EEDaSU_SV_EUlSU_E0_NS1_11comp_targetILNS1_3genE0ELNS1_11target_archE4294967295ELNS1_3gpuE0ELNS1_3repE0EEENS1_30default_config_static_selectorELNS0_4arch9wavefront6targetE1EEEvT1_,comdat
	.globl	_ZN7rocprim17ROCPRIM_400000_NS6detail17trampoline_kernelINS0_14default_configENS1_20scan_config_selectorIN3c107complexIfEEEEZZNS1_9scan_implILNS1_25lookback_scan_determinismE0ELb0ELb0ES3_PKS7_PS7_S7_ZZZN2at6native31launch_logcumsumexp_cuda_kernelERKNSE_10TensorBaseESI_lENKUlvE_clEvENKUlvE2_clEvEUlS7_S7_E_S7_EEDaPvRmT3_T4_T5_mT6_P12ihipStream_tbENKUlT_T0_E_clISt17integral_constantIbLb0EESZ_EEDaSU_SV_EUlSU_E0_NS1_11comp_targetILNS1_3genE0ELNS1_11target_archE4294967295ELNS1_3gpuE0ELNS1_3repE0EEENS1_30default_config_static_selectorELNS0_4arch9wavefront6targetE1EEEvT1_ ; -- Begin function _ZN7rocprim17ROCPRIM_400000_NS6detail17trampoline_kernelINS0_14default_configENS1_20scan_config_selectorIN3c107complexIfEEEEZZNS1_9scan_implILNS1_25lookback_scan_determinismE0ELb0ELb0ES3_PKS7_PS7_S7_ZZZN2at6native31launch_logcumsumexp_cuda_kernelERKNSE_10TensorBaseESI_lENKUlvE_clEvENKUlvE2_clEvEUlS7_S7_E_S7_EEDaPvRmT3_T4_T5_mT6_P12ihipStream_tbENKUlT_T0_E_clISt17integral_constantIbLb0EESZ_EEDaSU_SV_EUlSU_E0_NS1_11comp_targetILNS1_3genE0ELNS1_11target_archE4294967295ELNS1_3gpuE0ELNS1_3repE0EEENS1_30default_config_static_selectorELNS0_4arch9wavefront6targetE1EEEvT1_
	.p2align	8
	.type	_ZN7rocprim17ROCPRIM_400000_NS6detail17trampoline_kernelINS0_14default_configENS1_20scan_config_selectorIN3c107complexIfEEEEZZNS1_9scan_implILNS1_25lookback_scan_determinismE0ELb0ELb0ES3_PKS7_PS7_S7_ZZZN2at6native31launch_logcumsumexp_cuda_kernelERKNSE_10TensorBaseESI_lENKUlvE_clEvENKUlvE2_clEvEUlS7_S7_E_S7_EEDaPvRmT3_T4_T5_mT6_P12ihipStream_tbENKUlT_T0_E_clISt17integral_constantIbLb0EESZ_EEDaSU_SV_EUlSU_E0_NS1_11comp_targetILNS1_3genE0ELNS1_11target_archE4294967295ELNS1_3gpuE0ELNS1_3repE0EEENS1_30default_config_static_selectorELNS0_4arch9wavefront6targetE1EEEvT1_,@function
_ZN7rocprim17ROCPRIM_400000_NS6detail17trampoline_kernelINS0_14default_configENS1_20scan_config_selectorIN3c107complexIfEEEEZZNS1_9scan_implILNS1_25lookback_scan_determinismE0ELb0ELb0ES3_PKS7_PS7_S7_ZZZN2at6native31launch_logcumsumexp_cuda_kernelERKNSE_10TensorBaseESI_lENKUlvE_clEvENKUlvE2_clEvEUlS7_S7_E_S7_EEDaPvRmT3_T4_T5_mT6_P12ihipStream_tbENKUlT_T0_E_clISt17integral_constantIbLb0EESZ_EEDaSU_SV_EUlSU_E0_NS1_11comp_targetILNS1_3genE0ELNS1_11target_archE4294967295ELNS1_3gpuE0ELNS1_3repE0EEENS1_30default_config_static_selectorELNS0_4arch9wavefront6targetE1EEEvT1_: ; @_ZN7rocprim17ROCPRIM_400000_NS6detail17trampoline_kernelINS0_14default_configENS1_20scan_config_selectorIN3c107complexIfEEEEZZNS1_9scan_implILNS1_25lookback_scan_determinismE0ELb0ELb0ES3_PKS7_PS7_S7_ZZZN2at6native31launch_logcumsumexp_cuda_kernelERKNSE_10TensorBaseESI_lENKUlvE_clEvENKUlvE2_clEvEUlS7_S7_E_S7_EEDaPvRmT3_T4_T5_mT6_P12ihipStream_tbENKUlT_T0_E_clISt17integral_constantIbLb0EESZ_EEDaSU_SV_EUlSU_E0_NS1_11comp_targetILNS1_3genE0ELNS1_11target_archE4294967295ELNS1_3gpuE0ELNS1_3repE0EEENS1_30default_config_static_selectorELNS0_4arch9wavefront6targetE1EEEvT1_
; %bb.0:
	.section	.rodata,"a",@progbits
	.p2align	6, 0x0
	.amdhsa_kernel _ZN7rocprim17ROCPRIM_400000_NS6detail17trampoline_kernelINS0_14default_configENS1_20scan_config_selectorIN3c107complexIfEEEEZZNS1_9scan_implILNS1_25lookback_scan_determinismE0ELb0ELb0ES3_PKS7_PS7_S7_ZZZN2at6native31launch_logcumsumexp_cuda_kernelERKNSE_10TensorBaseESI_lENKUlvE_clEvENKUlvE2_clEvEUlS7_S7_E_S7_EEDaPvRmT3_T4_T5_mT6_P12ihipStream_tbENKUlT_T0_E_clISt17integral_constantIbLb0EESZ_EEDaSU_SV_EUlSU_E0_NS1_11comp_targetILNS1_3genE0ELNS1_11target_archE4294967295ELNS1_3gpuE0ELNS1_3repE0EEENS1_30default_config_static_selectorELNS0_4arch9wavefront6targetE1EEEvT1_
		.amdhsa_group_segment_fixed_size 0
		.amdhsa_private_segment_fixed_size 0
		.amdhsa_kernarg_size 40
		.amdhsa_user_sgpr_count 2
		.amdhsa_user_sgpr_dispatch_ptr 0
		.amdhsa_user_sgpr_queue_ptr 0
		.amdhsa_user_sgpr_kernarg_segment_ptr 1
		.amdhsa_user_sgpr_dispatch_id 0
		.amdhsa_user_sgpr_kernarg_preload_length 0
		.amdhsa_user_sgpr_kernarg_preload_offset 0
		.amdhsa_user_sgpr_private_segment_size 0
		.amdhsa_uses_dynamic_stack 0
		.amdhsa_enable_private_segment 0
		.amdhsa_system_sgpr_workgroup_id_x 1
		.amdhsa_system_sgpr_workgroup_id_y 0
		.amdhsa_system_sgpr_workgroup_id_z 0
		.amdhsa_system_sgpr_workgroup_info 0
		.amdhsa_system_vgpr_workitem_id 0
		.amdhsa_next_free_vgpr 1
		.amdhsa_next_free_sgpr 0
		.amdhsa_accum_offset 4
		.amdhsa_reserve_vcc 0
		.amdhsa_float_round_mode_32 0
		.amdhsa_float_round_mode_16_64 0
		.amdhsa_float_denorm_mode_32 3
		.amdhsa_float_denorm_mode_16_64 3
		.amdhsa_dx10_clamp 1
		.amdhsa_ieee_mode 1
		.amdhsa_fp16_overflow 0
		.amdhsa_tg_split 0
		.amdhsa_exception_fp_ieee_invalid_op 0
		.amdhsa_exception_fp_denorm_src 0
		.amdhsa_exception_fp_ieee_div_zero 0
		.amdhsa_exception_fp_ieee_overflow 0
		.amdhsa_exception_fp_ieee_underflow 0
		.amdhsa_exception_fp_ieee_inexact 0
		.amdhsa_exception_int_div_zero 0
	.end_amdhsa_kernel
	.section	.text._ZN7rocprim17ROCPRIM_400000_NS6detail17trampoline_kernelINS0_14default_configENS1_20scan_config_selectorIN3c107complexIfEEEEZZNS1_9scan_implILNS1_25lookback_scan_determinismE0ELb0ELb0ES3_PKS7_PS7_S7_ZZZN2at6native31launch_logcumsumexp_cuda_kernelERKNSE_10TensorBaseESI_lENKUlvE_clEvENKUlvE2_clEvEUlS7_S7_E_S7_EEDaPvRmT3_T4_T5_mT6_P12ihipStream_tbENKUlT_T0_E_clISt17integral_constantIbLb0EESZ_EEDaSU_SV_EUlSU_E0_NS1_11comp_targetILNS1_3genE0ELNS1_11target_archE4294967295ELNS1_3gpuE0ELNS1_3repE0EEENS1_30default_config_static_selectorELNS0_4arch9wavefront6targetE1EEEvT1_,"axG",@progbits,_ZN7rocprim17ROCPRIM_400000_NS6detail17trampoline_kernelINS0_14default_configENS1_20scan_config_selectorIN3c107complexIfEEEEZZNS1_9scan_implILNS1_25lookback_scan_determinismE0ELb0ELb0ES3_PKS7_PS7_S7_ZZZN2at6native31launch_logcumsumexp_cuda_kernelERKNSE_10TensorBaseESI_lENKUlvE_clEvENKUlvE2_clEvEUlS7_S7_E_S7_EEDaPvRmT3_T4_T5_mT6_P12ihipStream_tbENKUlT_T0_E_clISt17integral_constantIbLb0EESZ_EEDaSU_SV_EUlSU_E0_NS1_11comp_targetILNS1_3genE0ELNS1_11target_archE4294967295ELNS1_3gpuE0ELNS1_3repE0EEENS1_30default_config_static_selectorELNS0_4arch9wavefront6targetE1EEEvT1_,comdat
.Lfunc_end289:
	.size	_ZN7rocprim17ROCPRIM_400000_NS6detail17trampoline_kernelINS0_14default_configENS1_20scan_config_selectorIN3c107complexIfEEEEZZNS1_9scan_implILNS1_25lookback_scan_determinismE0ELb0ELb0ES3_PKS7_PS7_S7_ZZZN2at6native31launch_logcumsumexp_cuda_kernelERKNSE_10TensorBaseESI_lENKUlvE_clEvENKUlvE2_clEvEUlS7_S7_E_S7_EEDaPvRmT3_T4_T5_mT6_P12ihipStream_tbENKUlT_T0_E_clISt17integral_constantIbLb0EESZ_EEDaSU_SV_EUlSU_E0_NS1_11comp_targetILNS1_3genE0ELNS1_11target_archE4294967295ELNS1_3gpuE0ELNS1_3repE0EEENS1_30default_config_static_selectorELNS0_4arch9wavefront6targetE1EEEvT1_, .Lfunc_end289-_ZN7rocprim17ROCPRIM_400000_NS6detail17trampoline_kernelINS0_14default_configENS1_20scan_config_selectorIN3c107complexIfEEEEZZNS1_9scan_implILNS1_25lookback_scan_determinismE0ELb0ELb0ES3_PKS7_PS7_S7_ZZZN2at6native31launch_logcumsumexp_cuda_kernelERKNSE_10TensorBaseESI_lENKUlvE_clEvENKUlvE2_clEvEUlS7_S7_E_S7_EEDaPvRmT3_T4_T5_mT6_P12ihipStream_tbENKUlT_T0_E_clISt17integral_constantIbLb0EESZ_EEDaSU_SV_EUlSU_E0_NS1_11comp_targetILNS1_3genE0ELNS1_11target_archE4294967295ELNS1_3gpuE0ELNS1_3repE0EEENS1_30default_config_static_selectorELNS0_4arch9wavefront6targetE1EEEvT1_
                                        ; -- End function
	.section	.AMDGPU.csdata,"",@progbits
; Kernel info:
; codeLenInByte = 0
; NumSgprs: 6
; NumVgprs: 0
; NumAgprs: 0
; TotalNumVgprs: 0
; ScratchSize: 0
; MemoryBound: 0
; FloatMode: 240
; IeeeMode: 1
; LDSByteSize: 0 bytes/workgroup (compile time only)
; SGPRBlocks: 0
; VGPRBlocks: 0
; NumSGPRsForWavesPerEU: 6
; NumVGPRsForWavesPerEU: 1
; AccumOffset: 4
; Occupancy: 8
; WaveLimiterHint : 0
; COMPUTE_PGM_RSRC2:SCRATCH_EN: 0
; COMPUTE_PGM_RSRC2:USER_SGPR: 2
; COMPUTE_PGM_RSRC2:TRAP_HANDLER: 0
; COMPUTE_PGM_RSRC2:TGID_X_EN: 1
; COMPUTE_PGM_RSRC2:TGID_Y_EN: 0
; COMPUTE_PGM_RSRC2:TGID_Z_EN: 0
; COMPUTE_PGM_RSRC2:TIDIG_COMP_CNT: 0
; COMPUTE_PGM_RSRC3_GFX90A:ACCUM_OFFSET: 0
; COMPUTE_PGM_RSRC3_GFX90A:TG_SPLIT: 0
	.section	.text._ZN7rocprim17ROCPRIM_400000_NS6detail17trampoline_kernelINS0_14default_configENS1_20scan_config_selectorIN3c107complexIfEEEEZZNS1_9scan_implILNS1_25lookback_scan_determinismE0ELb0ELb0ES3_PKS7_PS7_S7_ZZZN2at6native31launch_logcumsumexp_cuda_kernelERKNSE_10TensorBaseESI_lENKUlvE_clEvENKUlvE2_clEvEUlS7_S7_E_S7_EEDaPvRmT3_T4_T5_mT6_P12ihipStream_tbENKUlT_T0_E_clISt17integral_constantIbLb0EESZ_EEDaSU_SV_EUlSU_E0_NS1_11comp_targetILNS1_3genE5ELNS1_11target_archE942ELNS1_3gpuE9ELNS1_3repE0EEENS1_30default_config_static_selectorELNS0_4arch9wavefront6targetE1EEEvT1_,"axG",@progbits,_ZN7rocprim17ROCPRIM_400000_NS6detail17trampoline_kernelINS0_14default_configENS1_20scan_config_selectorIN3c107complexIfEEEEZZNS1_9scan_implILNS1_25lookback_scan_determinismE0ELb0ELb0ES3_PKS7_PS7_S7_ZZZN2at6native31launch_logcumsumexp_cuda_kernelERKNSE_10TensorBaseESI_lENKUlvE_clEvENKUlvE2_clEvEUlS7_S7_E_S7_EEDaPvRmT3_T4_T5_mT6_P12ihipStream_tbENKUlT_T0_E_clISt17integral_constantIbLb0EESZ_EEDaSU_SV_EUlSU_E0_NS1_11comp_targetILNS1_3genE5ELNS1_11target_archE942ELNS1_3gpuE9ELNS1_3repE0EEENS1_30default_config_static_selectorELNS0_4arch9wavefront6targetE1EEEvT1_,comdat
	.globl	_ZN7rocprim17ROCPRIM_400000_NS6detail17trampoline_kernelINS0_14default_configENS1_20scan_config_selectorIN3c107complexIfEEEEZZNS1_9scan_implILNS1_25lookback_scan_determinismE0ELb0ELb0ES3_PKS7_PS7_S7_ZZZN2at6native31launch_logcumsumexp_cuda_kernelERKNSE_10TensorBaseESI_lENKUlvE_clEvENKUlvE2_clEvEUlS7_S7_E_S7_EEDaPvRmT3_T4_T5_mT6_P12ihipStream_tbENKUlT_T0_E_clISt17integral_constantIbLb0EESZ_EEDaSU_SV_EUlSU_E0_NS1_11comp_targetILNS1_3genE5ELNS1_11target_archE942ELNS1_3gpuE9ELNS1_3repE0EEENS1_30default_config_static_selectorELNS0_4arch9wavefront6targetE1EEEvT1_ ; -- Begin function _ZN7rocprim17ROCPRIM_400000_NS6detail17trampoline_kernelINS0_14default_configENS1_20scan_config_selectorIN3c107complexIfEEEEZZNS1_9scan_implILNS1_25lookback_scan_determinismE0ELb0ELb0ES3_PKS7_PS7_S7_ZZZN2at6native31launch_logcumsumexp_cuda_kernelERKNSE_10TensorBaseESI_lENKUlvE_clEvENKUlvE2_clEvEUlS7_S7_E_S7_EEDaPvRmT3_T4_T5_mT6_P12ihipStream_tbENKUlT_T0_E_clISt17integral_constantIbLb0EESZ_EEDaSU_SV_EUlSU_E0_NS1_11comp_targetILNS1_3genE5ELNS1_11target_archE942ELNS1_3gpuE9ELNS1_3repE0EEENS1_30default_config_static_selectorELNS0_4arch9wavefront6targetE1EEEvT1_
	.p2align	8
	.type	_ZN7rocprim17ROCPRIM_400000_NS6detail17trampoline_kernelINS0_14default_configENS1_20scan_config_selectorIN3c107complexIfEEEEZZNS1_9scan_implILNS1_25lookback_scan_determinismE0ELb0ELb0ES3_PKS7_PS7_S7_ZZZN2at6native31launch_logcumsumexp_cuda_kernelERKNSE_10TensorBaseESI_lENKUlvE_clEvENKUlvE2_clEvEUlS7_S7_E_S7_EEDaPvRmT3_T4_T5_mT6_P12ihipStream_tbENKUlT_T0_E_clISt17integral_constantIbLb0EESZ_EEDaSU_SV_EUlSU_E0_NS1_11comp_targetILNS1_3genE5ELNS1_11target_archE942ELNS1_3gpuE9ELNS1_3repE0EEENS1_30default_config_static_selectorELNS0_4arch9wavefront6targetE1EEEvT1_,@function
_ZN7rocprim17ROCPRIM_400000_NS6detail17trampoline_kernelINS0_14default_configENS1_20scan_config_selectorIN3c107complexIfEEEEZZNS1_9scan_implILNS1_25lookback_scan_determinismE0ELb0ELb0ES3_PKS7_PS7_S7_ZZZN2at6native31launch_logcumsumexp_cuda_kernelERKNSE_10TensorBaseESI_lENKUlvE_clEvENKUlvE2_clEvEUlS7_S7_E_S7_EEDaPvRmT3_T4_T5_mT6_P12ihipStream_tbENKUlT_T0_E_clISt17integral_constantIbLb0EESZ_EEDaSU_SV_EUlSU_E0_NS1_11comp_targetILNS1_3genE5ELNS1_11target_archE942ELNS1_3gpuE9ELNS1_3repE0EEENS1_30default_config_static_selectorELNS0_4arch9wavefront6targetE1EEEvT1_: ; @_ZN7rocprim17ROCPRIM_400000_NS6detail17trampoline_kernelINS0_14default_configENS1_20scan_config_selectorIN3c107complexIfEEEEZZNS1_9scan_implILNS1_25lookback_scan_determinismE0ELb0ELb0ES3_PKS7_PS7_S7_ZZZN2at6native31launch_logcumsumexp_cuda_kernelERKNSE_10TensorBaseESI_lENKUlvE_clEvENKUlvE2_clEvEUlS7_S7_E_S7_EEDaPvRmT3_T4_T5_mT6_P12ihipStream_tbENKUlT_T0_E_clISt17integral_constantIbLb0EESZ_EEDaSU_SV_EUlSU_E0_NS1_11comp_targetILNS1_3genE5ELNS1_11target_archE942ELNS1_3gpuE9ELNS1_3repE0EEENS1_30default_config_static_selectorELNS0_4arch9wavefront6targetE1EEEvT1_
; %bb.0:
	s_mov_b64 s[50:51], s[0:1]
	s_load_dwordx4 s[0:3], s[0:1], 0x0
	v_mov_b32_e32 v27, v0
	v_lshlrev_b32_e32 v92, 3, v27
	s_mov_b32 s32, 0
	s_waitcnt lgkmcnt(0)
	s_load_dwordx2 s[4:5], s[0:1], 0x0
	v_cmp_gt_u32_e64 s[16:17], s2, v27
	s_waitcnt lgkmcnt(0)
	v_mov_b64_e32 v[0:1], s[4:5]
	s_and_saveexec_b64 s[6:7], s[16:17]
	s_cbranch_execz .LBB290_2
; %bb.1:
	global_load_dwordx2 v[0:1], v92, s[0:1]
.LBB290_2:
	s_or_b64 exec, exec, s[6:7]
	v_or_b32_e32 v2, 0x100, v27
	v_cmp_gt_u32_e64 s[18:19], s2, v2
	v_mov_b64_e32 v[2:3], s[4:5]
	s_and_saveexec_b64 s[6:7], s[18:19]
	s_cbranch_execz .LBB290_4
; %bb.3:
	global_load_dwordx2 v[2:3], v92, s[0:1] offset:2048
.LBB290_4:
	s_or_b64 exec, exec, s[6:7]
	v_or_b32_e32 v6, 0x200, v27
	v_cmp_gt_u32_e64 s[20:21], s2, v6
	v_mov_b64_e32 v[4:5], s[4:5]
	s_and_saveexec_b64 s[6:7], s[20:21]
	s_cbranch_execz .LBB290_6
; %bb.5:
	v_lshlrev_b32_e32 v4, 3, v6
	global_load_dwordx2 v[4:5], v4, s[0:1]
.LBB290_6:
	s_or_b64 exec, exec, s[6:7]
	v_or_b32_e32 v8, 0x300, v27
	v_cmp_gt_u32_e64 s[22:23], s2, v8
	v_mov_b64_e32 v[6:7], s[4:5]
	s_and_saveexec_b64 s[6:7], s[22:23]
	s_cbranch_execz .LBB290_8
; %bb.7:
	v_lshlrev_b32_e32 v6, 3, v8
	global_load_dwordx2 v[6:7], v6, s[0:1]
.LBB290_8:
	;; [unrolled: 10-line block ×13, first 2 shown]
	s_or_b64 exec, exec, s[2:3]
	s_movk_i32 s0, 0x70
	v_mad_u32_u24 v93, v27, s0, v92
	s_waitcnt vmcnt(0)
	ds_write2st64_b64 v92, v[0:1], v[2:3] offset1:4
	ds_write2st64_b64 v92, v[4:5], v[6:7] offset0:8 offset1:12
	ds_write2st64_b64 v92, v[8:9], v[10:11] offset0:16 offset1:20
	;; [unrolled: 1-line block ×6, first 2 shown]
	ds_write_b64 v92, v[30:31] offset:28672
	s_waitcnt lgkmcnt(0)
	s_barrier
	ds_read2_b64 v[28:31], v93 offset1:1
	ds_read2_b64 v[52:55], v93 offset0:2 offset1:3
	ds_read2_b64 v[48:51], v93 offset0:4 offset1:5
	;; [unrolled: 1-line block ×6, first 2 shown]
	ds_read_b64 v[74:75], v93 offset:112
	s_waitcnt lgkmcnt(7)
	v_mov_b32_e32 v0, v28
	v_mov_b32_e32 v1, v29
	;; [unrolled: 1-line block ×4, first 2 shown]
	s_waitcnt lgkmcnt(0)
	s_barrier
	s_getpc_b64 s[54:55]
	s_add_u32 s54, s54, _ZZZZN2at6native31launch_logcumsumexp_cuda_kernelERKNS_10TensorBaseES3_lENKUlvE_clEvENKUlvE2_clEvENKUlN3c107complexIfEES8_E_clES8_S8_@rel32@lo+4
	s_addc_u32 s55, s55, _ZZZZN2at6native31launch_logcumsumexp_cuda_kernelERKNS_10TensorBaseES3_lENKUlvE_clEvENKUlvE2_clEvENKUlN3c107complexIfEES8_E_clES8_S8_@rel32@hi+12
	s_swappc_b64 s[30:31], s[54:55]
	v_mov_b32_e32 v2, v52
	v_mov_b32_e32 v3, v53
	v_mov_b32_e32 v86, v0
	v_mov_b32_e32 v87, v1
	s_swappc_b64 s[30:31], s[54:55]
	v_mov_b32_e32 v2, v54
	v_mov_b32_e32 v3, v55
	v_mov_b32_e32 v56, v0
	v_mov_b32_e32 v57, v1
	;; [unrolled: 5-line block ×13, first 2 shown]
	s_swappc_b64 s[30:31], s[54:55]
	v_mov_b32_e32 v82, v0
	v_lshrrev_b32_e32 v0, 2, v27
	v_and_b32_e32 v0, 56, v0
	v_mov_b32_e32 v83, v1
	v_add_u32_e32 v0, v92, v0
	v_cmp_gt_u32_e32 vcc, 64, v27
	ds_write_b64 v0, v[82:83]
	s_waitcnt lgkmcnt(0)
	s_barrier
	s_and_saveexec_b64 s[52:53], vcc
	s_cbranch_execz .LBB290_44
; %bb.31:
	v_lshlrev_b32_e32 v0, 2, v27
	v_lshrrev_b32_e32 v1, 3, v27
	v_add_lshl_u32 v94, v1, v0, 3
	ds_read_b64 v[84:85], v94
	ds_read2_b64 v[88:91], v94 offset0:1 offset1:2
	s_waitcnt lgkmcnt(1)
	v_mov_b32_e32 v0, v84
	v_mov_b32_e32 v1, v85
	s_waitcnt lgkmcnt(0)
	v_mov_b32_e32 v2, v88
	v_mov_b32_e32 v3, v89
	s_swappc_b64 s[30:31], s[54:55]
	v_mov_b32_e32 v2, v90
	v_mov_b32_e32 v3, v91
	s_swappc_b64 s[30:31], s[54:55]
	ds_read_b64 v[2:3], v94 offset:24
	s_swappc_b64 s[30:31], s[54:55]
	v_mov_b32_e32 v2, v0
	v_mbcnt_lo_u32_b32 v0, -1, 0
	v_mbcnt_hi_u32_b32 v88, -1, v0
	v_mov_b32_e32 v3, v1
	v_and_b32_e32 v89, 15, v88
	v_mov_b32_dpp v0, v2 row_shr:1 row_mask:0xf bank_mask:0xf
	v_mov_b32_dpp v1, v3 row_shr:1 row_mask:0xf bank_mask:0xf
	v_cmp_ne_u32_e32 vcc, 0, v89
	s_and_saveexec_b64 s[54:55], vcc
	s_cbranch_execz .LBB290_33
; %bb.32:
	s_getpc_b64 s[0:1]
	s_add_u32 s0, s0, _ZZZZN2at6native31launch_logcumsumexp_cuda_kernelERKNS_10TensorBaseES3_lENKUlvE_clEvENKUlvE2_clEvENKUlN3c107complexIfEES8_E_clES8_S8_@rel32@lo+4
	s_addc_u32 s1, s1, _ZZZZN2at6native31launch_logcumsumexp_cuda_kernelERKNS_10TensorBaseES3_lENKUlvE_clEvENKUlvE2_clEvENKUlN3c107complexIfEES8_E_clES8_S8_@rel32@hi+12
	s_swappc_b64 s[30:31], s[0:1]
	v_mov_b32_e32 v2, v0
	v_mov_b32_e32 v3, v1
.LBB290_33:
	s_or_b64 exec, exec, s[54:55]
	v_mov_b32_dpp v0, v2 row_shr:2 row_mask:0xf bank_mask:0xf
	v_mov_b32_dpp v1, v3 row_shr:2 row_mask:0xf bank_mask:0xf
	v_cmp_lt_u32_e32 vcc, 1, v89
	s_and_saveexec_b64 s[54:55], vcc
	s_cbranch_execz .LBB290_35
; %bb.34:
	s_getpc_b64 s[0:1]
	s_add_u32 s0, s0, _ZZZZN2at6native31launch_logcumsumexp_cuda_kernelERKNS_10TensorBaseES3_lENKUlvE_clEvENKUlvE2_clEvENKUlN3c107complexIfEES8_E_clES8_S8_@rel32@lo+4
	s_addc_u32 s1, s1, _ZZZZN2at6native31launch_logcumsumexp_cuda_kernelERKNS_10TensorBaseES3_lENKUlvE_clEvENKUlvE2_clEvENKUlN3c107complexIfEES8_E_clES8_S8_@rel32@hi+12
	s_swappc_b64 s[30:31], s[0:1]
	v_mov_b32_e32 v2, v0
	v_mov_b32_e32 v3, v1
.LBB290_35:
	s_or_b64 exec, exec, s[54:55]
	v_mov_b32_dpp v0, v2 row_shr:4 row_mask:0xf bank_mask:0xf
	v_mov_b32_dpp v1, v3 row_shr:4 row_mask:0xf bank_mask:0xf
	v_cmp_lt_u32_e32 vcc, 3, v89
	s_and_saveexec_b64 s[54:55], vcc
	s_cbranch_execz .LBB290_37
; %bb.36:
	s_getpc_b64 s[0:1]
	s_add_u32 s0, s0, _ZZZZN2at6native31launch_logcumsumexp_cuda_kernelERKNS_10TensorBaseES3_lENKUlvE_clEvENKUlvE2_clEvENKUlN3c107complexIfEES8_E_clES8_S8_@rel32@lo+4
	s_addc_u32 s1, s1, _ZZZZN2at6native31launch_logcumsumexp_cuda_kernelERKNS_10TensorBaseES3_lENKUlvE_clEvENKUlvE2_clEvENKUlN3c107complexIfEES8_E_clES8_S8_@rel32@hi+12
	s_swappc_b64 s[30:31], s[0:1]
	v_mov_b32_e32 v2, v0
	v_mov_b32_e32 v3, v1
.LBB290_37:
	s_or_b64 exec, exec, s[54:55]
	v_mov_b32_dpp v0, v2 row_shr:8 row_mask:0xf bank_mask:0xf
	v_mov_b32_dpp v1, v3 row_shr:8 row_mask:0xf bank_mask:0xf
	v_cmp_lt_u32_e32 vcc, 7, v89
	s_and_saveexec_b64 s[54:55], vcc
	s_cbranch_execz .LBB290_39
; %bb.38:
	s_getpc_b64 s[0:1]
	s_add_u32 s0, s0, _ZZZZN2at6native31launch_logcumsumexp_cuda_kernelERKNS_10TensorBaseES3_lENKUlvE_clEvENKUlvE2_clEvENKUlN3c107complexIfEES8_E_clES8_S8_@rel32@lo+4
	s_addc_u32 s1, s1, _ZZZZN2at6native31launch_logcumsumexp_cuda_kernelERKNS_10TensorBaseES3_lENKUlvE_clEvENKUlvE2_clEvENKUlN3c107complexIfEES8_E_clES8_S8_@rel32@hi+12
	s_swappc_b64 s[30:31], s[0:1]
	v_mov_b32_e32 v2, v0
	v_mov_b32_e32 v3, v1
.LBB290_39:
	s_or_b64 exec, exec, s[54:55]
	v_and_b32_e32 v4, 16, v88
	v_mov_b32_dpp v0, v2 row_bcast:15 row_mask:0xf bank_mask:0xf
	v_mov_b32_dpp v1, v3 row_bcast:15 row_mask:0xf bank_mask:0xf
	v_cmp_ne_u32_e32 vcc, 0, v4
	s_and_saveexec_b64 s[54:55], vcc
	s_cbranch_execz .LBB290_41
; %bb.40:
	s_getpc_b64 s[0:1]
	s_add_u32 s0, s0, _ZZZZN2at6native31launch_logcumsumexp_cuda_kernelERKNS_10TensorBaseES3_lENKUlvE_clEvENKUlvE2_clEvENKUlN3c107complexIfEES8_E_clES8_S8_@rel32@lo+4
	s_addc_u32 s1, s1, _ZZZZN2at6native31launch_logcumsumexp_cuda_kernelERKNS_10TensorBaseES3_lENKUlvE_clEvENKUlvE2_clEvENKUlN3c107complexIfEES8_E_clES8_S8_@rel32@hi+12
	s_swappc_b64 s[30:31], s[0:1]
	v_mov_b32_e32 v2, v0
	v_mov_b32_e32 v3, v1
.LBB290_41:
	s_or_b64 exec, exec, s[54:55]
	v_mov_b32_dpp v0, v2 row_bcast:31 row_mask:0xf bank_mask:0xf
	v_mov_b32_dpp v1, v3 row_bcast:31 row_mask:0xf bank_mask:0xf
	v_cmp_lt_u32_e32 vcc, 31, v88
	s_and_saveexec_b64 s[54:55], vcc
	s_cbranch_execz .LBB290_43
; %bb.42:
	s_getpc_b64 s[0:1]
	s_add_u32 s0, s0, _ZZZZN2at6native31launch_logcumsumexp_cuda_kernelERKNS_10TensorBaseES3_lENKUlvE_clEvENKUlvE2_clEvENKUlN3c107complexIfEES8_E_clES8_S8_@rel32@lo+4
	s_addc_u32 s1, s1, _ZZZZN2at6native31launch_logcumsumexp_cuda_kernelERKNS_10TensorBaseES3_lENKUlvE_clEvENKUlvE2_clEvENKUlN3c107complexIfEES8_E_clES8_S8_@rel32@hi+12
	s_swappc_b64 s[30:31], s[0:1]
	v_mov_b32_e32 v2, v0
	v_mov_b32_e32 v3, v1
.LBB290_43:
	s_or_b64 exec, exec, s[54:55]
	v_add_u32_e32 v0, -1, v88
	v_and_b32_e32 v1, 64, v88
	v_cmp_lt_i32_e32 vcc, v0, v1
	s_getpc_b64 s[54:55]
	s_add_u32 s54, s54, _ZZZZN2at6native31launch_logcumsumexp_cuda_kernelERKNS_10TensorBaseES3_lENKUlvE_clEvENKUlvE2_clEvENKUlN3c107complexIfEES8_E_clES8_S8_@rel32@lo+4
	s_addc_u32 s55, s55, _ZZZZN2at6native31launch_logcumsumexp_cuda_kernelERKNS_10TensorBaseES3_lENKUlvE_clEvENKUlvE2_clEvENKUlN3c107complexIfEES8_E_clES8_S8_@rel32@hi+12
	v_cndmask_b32_e32 v0, v0, v88, vcc
	v_lshlrev_b32_e32 v1, 2, v0
	ds_bpermute_b32 v0, v1, v2
	ds_bpermute_b32 v1, v1, v3
	v_mov_b32_e32 v2, v84
	v_mov_b32_e32 v3, v85
	s_swappc_b64 s[30:31], s[54:55]
	v_cmp_eq_u32_e32 vcc, 0, v27
	; wave barrier
	s_nop 1
	v_cndmask_b32_e32 v0, v0, v82, vcc
	v_cndmask_b32_e32 v1, v1, v83, vcc
	ds_write_b64 v94, v[0:1]
	; wave barrier
	ds_read2_b64 v[88:91], v94 offset0:1 offset1:2
	s_waitcnt lgkmcnt(0)
	v_mov_b32_e32 v2, v88
	v_mov_b32_e32 v3, v89
	s_swappc_b64 s[30:31], s[54:55]
	v_mov_b32_e32 v2, v90
	v_mov_b32_e32 v3, v91
	;; [unrolled: 1-line block ×4, first 2 shown]
	s_swappc_b64 s[30:31], s[54:55]
	ds_read_b64 v[2:3], v94 offset:24
	ds_write2_b64 v94, v[84:85], v[0:1] offset0:1 offset1:2
	s_swappc_b64 s[30:31], s[54:55]
	ds_write_b64 v94, v[0:1] offset:24
.LBB290_44:
	s_or_b64 exec, exec, s[52:53]
	s_load_dwordx2 s[50:51], s[50:51], 0x20
	v_cmp_ne_u32_e32 vcc, 0, v27
	v_mov_b32_e32 v1, v83
	v_mov_b32_e32 v0, v82
	s_waitcnt lgkmcnt(0)
	s_barrier
	s_and_saveexec_b64 s[0:1], vcc
	s_cbranch_execnz .LBB290_64
; %bb.45:
	s_or_b64 exec, exec, s[0:1]
	s_and_saveexec_b64 s[0:1], vcc
	s_xor_b64 s[52:53], exec, s[0:1]
	s_cbranch_execnz .LBB290_65
.LBB290_46:
	s_andn2_saveexec_b64 s[0:1], s[52:53]
.LBB290_47:
	v_mov_b32_e32 v30, v86
	v_mov_b32_e32 v31, v87
.LBB290_48:
	s_or_b64 exec, exec, s[0:1]
	s_movk_i32 s0, 0xff90
	v_mad_i32_i24 v24, v27, s0, v93
	s_waitcnt lgkmcnt(0)
	s_barrier
	ds_write2_b64 v93, v[28:29], v[30:31] offset1:1
	ds_write2_b64 v93, v[56:57], v[58:59] offset0:2 offset1:3
	ds_write2_b64 v93, v[60:61], v[62:63] offset0:4 offset1:5
	;; [unrolled: 1-line block ×6, first 2 shown]
	ds_write_b64 v93, v[82:83] offset:112
	s_waitcnt lgkmcnt(0)
	s_barrier
	ds_read2st64_b64 v[20:23], v24 offset0:4 offset1:8
	ds_read2st64_b64 v[16:19], v24 offset0:12 offset1:20
	;; [unrolled: 1-line block ×6, first 2 shown]
	ds_read_b64 v[28:29], v92 offset:24576
	ds_read_b64 v[24:25], v24 offset:28672
	v_mov_b32_e32 v93, 0
	v_lshl_add_u64 v[26:27], s[50:51], 0, v[92:93]
	s_and_saveexec_b64 s[0:1], s[16:17]
	s_cbranch_execnz .LBB290_66
; %bb.49:
	s_or_b64 exec, exec, s[0:1]
	s_and_saveexec_b64 s[0:1], s[18:19]
	s_cbranch_execnz .LBB290_67
.LBB290_50:
	s_or_b64 exec, exec, s[0:1]
	s_and_saveexec_b64 s[0:1], s[20:21]
	s_cbranch_execnz .LBB290_68
.LBB290_51:
	s_or_b64 exec, exec, s[0:1]
	s_and_saveexec_b64 s[0:1], s[22:23]
	s_cbranch_execnz .LBB290_69
.LBB290_52:
	s_or_b64 exec, exec, s[0:1]
	s_and_saveexec_b64 s[0:1], s[24:25]
	s_cbranch_execnz .LBB290_70
.LBB290_53:
	s_or_b64 exec, exec, s[0:1]
	s_and_saveexec_b64 s[0:1], s[26:27]
	s_cbranch_execnz .LBB290_71
.LBB290_54:
	s_or_b64 exec, exec, s[0:1]
	s_and_saveexec_b64 s[0:1], s[28:29]
	s_cbranch_execnz .LBB290_72
.LBB290_55:
	s_or_b64 exec, exec, s[0:1]
	s_and_saveexec_b64 s[0:1], s[34:35]
	s_cbranch_execnz .LBB290_73
.LBB290_56:
	s_or_b64 exec, exec, s[0:1]
	s_and_saveexec_b64 s[0:1], s[36:37]
	s_cbranch_execnz .LBB290_74
.LBB290_57:
	s_or_b64 exec, exec, s[0:1]
	s_and_saveexec_b64 s[0:1], s[38:39]
	s_cbranch_execnz .LBB290_75
.LBB290_58:
	s_or_b64 exec, exec, s[0:1]
	s_and_saveexec_b64 s[0:1], s[40:41]
	s_cbranch_execnz .LBB290_76
.LBB290_59:
	s_or_b64 exec, exec, s[0:1]
	s_and_saveexec_b64 s[0:1], s[42:43]
	s_cbranch_execnz .LBB290_77
.LBB290_60:
	s_or_b64 exec, exec, s[0:1]
	s_and_saveexec_b64 s[0:1], s[44:45]
	s_cbranch_execnz .LBB290_78
.LBB290_61:
	s_or_b64 exec, exec, s[0:1]
	s_and_saveexec_b64 s[0:1], s[46:47]
	s_cbranch_execnz .LBB290_79
.LBB290_62:
	s_or_b64 exec, exec, s[0:1]
	s_and_saveexec_b64 s[0:1], s[48:49]
	s_cbranch_execnz .LBB290_80
.LBB290_63:
	s_endpgm
.LBB290_64:
	v_add_u32_e32 v0, -1, v27
	v_lshrrev_b32_e32 v1, 5, v0
	v_add_lshl_u32 v0, v1, v0, 3
	ds_read_b64 v[0:1], v0
	s_or_b64 exec, exec, s[0:1]
	s_and_saveexec_b64 s[0:1], vcc
	s_xor_b64 s[52:53], exec, s[0:1]
	s_cbranch_execz .LBB290_46
.LBB290_65:
	v_mov_b32_e32 v2, v28
	v_mov_b32_e32 v3, v29
	s_getpc_b64 s[54:55]
	s_add_u32 s54, s54, _ZZZZN2at6native31launch_logcumsumexp_cuda_kernelERKNS_10TensorBaseES3_lENKUlvE_clEvENKUlvE2_clEvENKUlN3c107complexIfEES8_E_clES8_S8_@rel32@lo+4
	s_addc_u32 s55, s55, _ZZZZN2at6native31launch_logcumsumexp_cuda_kernelERKNS_10TensorBaseES3_lENKUlvE_clEvENKUlvE2_clEvENKUlN3c107complexIfEES8_E_clES8_S8_@rel32@hi+12
	s_swappc_b64 s[30:31], s[54:55]
	v_mov_b32_e32 v2, v30
	v_mov_b32_e32 v3, v31
	;; [unrolled: 1-line block ×4, first 2 shown]
	;;#ASMSTART
	;;#ASMEND
	s_swappc_b64 s[30:31], s[54:55]
	v_mov_b32_e32 v2, v52
	v_mov_b32_e32 v3, v53
	v_mov_b32_e32 v30, v0
	v_mov_b32_e32 v31, v1
	s_swappc_b64 s[30:31], s[54:55]
	v_mov_b32_e32 v2, v54
	v_mov_b32_e32 v3, v55
	v_mov_b32_e32 v56, v0
	v_mov_b32_e32 v57, v1
	;; [unrolled: 5-line block ×13, first 2 shown]
	s_swappc_b64 s[30:31], s[54:55]
	v_mov_b32_e32 v82, v0
	v_mov_b32_e32 v83, v1
                                        ; implicit-def: $vgpr86
                                        ; implicit-def: $vgpr87
	s_andn2_saveexec_b64 s[0:1], s[52:53]
	s_cbranch_execnz .LBB290_47
	s_branch .LBB290_48
.LBB290_66:
	ds_read_b64 v[30:31], v92
	s_waitcnt lgkmcnt(0)
	global_store_dwordx2 v[26:27], v[30:31], off
	s_or_b64 exec, exec, s[0:1]
	s_and_saveexec_b64 s[0:1], s[18:19]
	s_cbranch_execz .LBB290_50
.LBB290_67:
	s_waitcnt lgkmcnt(7)
	global_store_dwordx2 v[26:27], v[20:21], off offset:2048
	s_or_b64 exec, exec, s[0:1]
	s_and_saveexec_b64 s[0:1], s[20:21]
	s_cbranch_execz .LBB290_51
.LBB290_68:
	s_waitcnt lgkmcnt(7)
	v_add_co_u32_e32 v20, vcc, 0x1000, v26
	s_nop 1
	v_addc_co_u32_e32 v21, vcc, 0, v27, vcc
	global_store_dwordx2 v[20:21], v[22:23], off
	s_or_b64 exec, exec, s[0:1]
	s_and_saveexec_b64 s[0:1], s[22:23]
	s_cbranch_execz .LBB290_52
.LBB290_69:
	s_waitcnt lgkmcnt(7)
	v_add_co_u32_e32 v20, vcc, 0x1000, v26
	s_nop 1
	v_addc_co_u32_e32 v21, vcc, 0, v27, vcc
	s_waitcnt lgkmcnt(6)
	global_store_dwordx2 v[20:21], v[16:17], off offset:2048
	s_or_b64 exec, exec, s[0:1]
	s_and_saveexec_b64 s[0:1], s[24:25]
	s_cbranch_execz .LBB290_53
.LBB290_70:
	s_waitcnt lgkmcnt(6)
	v_add_co_u32_e32 v16, vcc, 0x2000, v26
	s_nop 1
	v_addc_co_u32_e32 v17, vcc, 0, v27, vcc
	s_waitcnt lgkmcnt(5)
	global_store_dwordx2 v[16:17], v[8:9], off
	s_or_b64 exec, exec, s[0:1]
	s_and_saveexec_b64 s[0:1], s[26:27]
	s_cbranch_execz .LBB290_54
.LBB290_71:
	s_waitcnt lgkmcnt(5)
	v_add_co_u32_e32 v8, vcc, 0x2000, v26
	s_nop 1
	v_addc_co_u32_e32 v9, vcc, 0, v27, vcc
	global_store_dwordx2 v[8:9], v[18:19], off offset:2048
	s_or_b64 exec, exec, s[0:1]
	s_and_saveexec_b64 s[0:1], s[28:29]
	s_cbranch_execz .LBB290_55
.LBB290_72:
	s_waitcnt lgkmcnt(5)
	v_add_co_u32_e32 v8, vcc, 0x3000, v26
	s_nop 1
	v_addc_co_u32_e32 v9, vcc, 0, v27, vcc
	s_waitcnt lgkmcnt(4)
	global_store_dwordx2 v[8:9], v[12:13], off
	s_or_b64 exec, exec, s[0:1]
	s_and_saveexec_b64 s[0:1], s[34:35]
	s_cbranch_execz .LBB290_56
.LBB290_73:
	s_waitcnt lgkmcnt(5)
	v_add_co_u32_e32 v8, vcc, 0x3000, v26
	s_nop 1
	v_addc_co_u32_e32 v9, vcc, 0, v27, vcc
	s_waitcnt lgkmcnt(4)
	global_store_dwordx2 v[8:9], v[14:15], off offset:2048
	s_or_b64 exec, exec, s[0:1]
	s_and_saveexec_b64 s[0:1], s[36:37]
	s_cbranch_execz .LBB290_57
.LBB290_74:
	s_waitcnt lgkmcnt(5)
	v_add_co_u32_e32 v8, vcc, 0x4000, v26
	s_nop 1
	v_addc_co_u32_e32 v9, vcc, 0, v27, vcc
	global_store_dwordx2 v[8:9], v[10:11], off
	s_or_b64 exec, exec, s[0:1]
	s_and_saveexec_b64 s[0:1], s[38:39]
	s_cbranch_execz .LBB290_58
.LBB290_75:
	s_waitcnt lgkmcnt(5)
	v_add_co_u32_e32 v8, vcc, 0x4000, v26
	s_nop 1
	v_addc_co_u32_e32 v9, vcc, 0, v27, vcc
	s_waitcnt lgkmcnt(3)
	global_store_dwordx2 v[8:9], v[4:5], off offset:2048
	s_or_b64 exec, exec, s[0:1]
	s_and_saveexec_b64 s[0:1], s[40:41]
	s_cbranch_execz .LBB290_59
.LBB290_76:
	s_waitcnt lgkmcnt(3)
	v_add_co_u32_e32 v4, vcc, 0x5000, v26
	s_nop 1
	v_addc_co_u32_e32 v5, vcc, 0, v27, vcc
	global_store_dwordx2 v[4:5], v[6:7], off
	s_or_b64 exec, exec, s[0:1]
	s_and_saveexec_b64 s[0:1], s[42:43]
	s_cbranch_execz .LBB290_60
.LBB290_77:
	s_waitcnt lgkmcnt(3)
	v_add_co_u32_e32 v4, vcc, 0x5000, v26
	s_nop 1
	v_addc_co_u32_e32 v5, vcc, 0, v27, vcc
	s_waitcnt lgkmcnt(2)
	global_store_dwordx2 v[4:5], v[0:1], off offset:2048
	s_or_b64 exec, exec, s[0:1]
	s_and_saveexec_b64 s[0:1], s[44:45]
	s_cbranch_execz .LBB290_61
.LBB290_78:
	s_waitcnt lgkmcnt(2)
	v_add_co_u32_e32 v0, vcc, 0x6000, v26
	s_nop 1
	v_addc_co_u32_e32 v1, vcc, 0, v27, vcc
	s_waitcnt lgkmcnt(1)
	global_store_dwordx2 v[0:1], v[28:29], off
	s_or_b64 exec, exec, s[0:1]
	s_and_saveexec_b64 s[0:1], s[46:47]
	s_cbranch_execz .LBB290_62
.LBB290_79:
	s_waitcnt lgkmcnt(2)
	v_add_co_u32_e32 v0, vcc, 0x6000, v26
	s_nop 1
	v_addc_co_u32_e32 v1, vcc, 0, v27, vcc
	global_store_dwordx2 v[0:1], v[2:3], off offset:2048
	s_or_b64 exec, exec, s[0:1]
	s_and_saveexec_b64 s[0:1], s[48:49]
	s_cbranch_execz .LBB290_63
.LBB290_80:
	s_waitcnt lgkmcnt(2)
	v_add_co_u32_e32 v0, vcc, 0x7000, v26
	s_nop 1
	v_addc_co_u32_e32 v1, vcc, 0, v27, vcc
	s_waitcnt lgkmcnt(0)
	global_store_dwordx2 v[0:1], v[24:25], off
	s_endpgm
	.section	.rodata,"a",@progbits
	.p2align	6, 0x0
	.amdhsa_kernel _ZN7rocprim17ROCPRIM_400000_NS6detail17trampoline_kernelINS0_14default_configENS1_20scan_config_selectorIN3c107complexIfEEEEZZNS1_9scan_implILNS1_25lookback_scan_determinismE0ELb0ELb0ES3_PKS7_PS7_S7_ZZZN2at6native31launch_logcumsumexp_cuda_kernelERKNSE_10TensorBaseESI_lENKUlvE_clEvENKUlvE2_clEvEUlS7_S7_E_S7_EEDaPvRmT3_T4_T5_mT6_P12ihipStream_tbENKUlT_T0_E_clISt17integral_constantIbLb0EESZ_EEDaSU_SV_EUlSU_E0_NS1_11comp_targetILNS1_3genE5ELNS1_11target_archE942ELNS1_3gpuE9ELNS1_3repE0EEENS1_30default_config_static_selectorELNS0_4arch9wavefront6targetE1EEEvT1_
		.amdhsa_group_segment_fixed_size 30720
		.amdhsa_private_segment_fixed_size 0
		.amdhsa_kernarg_size 40
		.amdhsa_user_sgpr_count 2
		.amdhsa_user_sgpr_dispatch_ptr 0
		.amdhsa_user_sgpr_queue_ptr 0
		.amdhsa_user_sgpr_kernarg_segment_ptr 1
		.amdhsa_user_sgpr_dispatch_id 0
		.amdhsa_user_sgpr_kernarg_preload_length 0
		.amdhsa_user_sgpr_kernarg_preload_offset 0
		.amdhsa_user_sgpr_private_segment_size 0
		.amdhsa_uses_dynamic_stack 0
		.amdhsa_enable_private_segment 0
		.amdhsa_system_sgpr_workgroup_id_x 1
		.amdhsa_system_sgpr_workgroup_id_y 0
		.amdhsa_system_sgpr_workgroup_id_z 0
		.amdhsa_system_sgpr_workgroup_info 0
		.amdhsa_system_vgpr_workitem_id 0
		.amdhsa_next_free_vgpr 95
		.amdhsa_next_free_sgpr 56
		.amdhsa_accum_offset 96
		.amdhsa_reserve_vcc 1
		.amdhsa_float_round_mode_32 0
		.amdhsa_float_round_mode_16_64 0
		.amdhsa_float_denorm_mode_32 3
		.amdhsa_float_denorm_mode_16_64 3
		.amdhsa_dx10_clamp 1
		.amdhsa_ieee_mode 1
		.amdhsa_fp16_overflow 0
		.amdhsa_tg_split 0
		.amdhsa_exception_fp_ieee_invalid_op 0
		.amdhsa_exception_fp_denorm_src 0
		.amdhsa_exception_fp_ieee_div_zero 0
		.amdhsa_exception_fp_ieee_overflow 0
		.amdhsa_exception_fp_ieee_underflow 0
		.amdhsa_exception_fp_ieee_inexact 0
		.amdhsa_exception_int_div_zero 0
	.end_amdhsa_kernel
	.section	.text._ZN7rocprim17ROCPRIM_400000_NS6detail17trampoline_kernelINS0_14default_configENS1_20scan_config_selectorIN3c107complexIfEEEEZZNS1_9scan_implILNS1_25lookback_scan_determinismE0ELb0ELb0ES3_PKS7_PS7_S7_ZZZN2at6native31launch_logcumsumexp_cuda_kernelERKNSE_10TensorBaseESI_lENKUlvE_clEvENKUlvE2_clEvEUlS7_S7_E_S7_EEDaPvRmT3_T4_T5_mT6_P12ihipStream_tbENKUlT_T0_E_clISt17integral_constantIbLb0EESZ_EEDaSU_SV_EUlSU_E0_NS1_11comp_targetILNS1_3genE5ELNS1_11target_archE942ELNS1_3gpuE9ELNS1_3repE0EEENS1_30default_config_static_selectorELNS0_4arch9wavefront6targetE1EEEvT1_,"axG",@progbits,_ZN7rocprim17ROCPRIM_400000_NS6detail17trampoline_kernelINS0_14default_configENS1_20scan_config_selectorIN3c107complexIfEEEEZZNS1_9scan_implILNS1_25lookback_scan_determinismE0ELb0ELb0ES3_PKS7_PS7_S7_ZZZN2at6native31launch_logcumsumexp_cuda_kernelERKNSE_10TensorBaseESI_lENKUlvE_clEvENKUlvE2_clEvEUlS7_S7_E_S7_EEDaPvRmT3_T4_T5_mT6_P12ihipStream_tbENKUlT_T0_E_clISt17integral_constantIbLb0EESZ_EEDaSU_SV_EUlSU_E0_NS1_11comp_targetILNS1_3genE5ELNS1_11target_archE942ELNS1_3gpuE9ELNS1_3repE0EEENS1_30default_config_static_selectorELNS0_4arch9wavefront6targetE1EEEvT1_,comdat
.Lfunc_end290:
	.size	_ZN7rocprim17ROCPRIM_400000_NS6detail17trampoline_kernelINS0_14default_configENS1_20scan_config_selectorIN3c107complexIfEEEEZZNS1_9scan_implILNS1_25lookback_scan_determinismE0ELb0ELb0ES3_PKS7_PS7_S7_ZZZN2at6native31launch_logcumsumexp_cuda_kernelERKNSE_10TensorBaseESI_lENKUlvE_clEvENKUlvE2_clEvEUlS7_S7_E_S7_EEDaPvRmT3_T4_T5_mT6_P12ihipStream_tbENKUlT_T0_E_clISt17integral_constantIbLb0EESZ_EEDaSU_SV_EUlSU_E0_NS1_11comp_targetILNS1_3genE5ELNS1_11target_archE942ELNS1_3gpuE9ELNS1_3repE0EEENS1_30default_config_static_selectorELNS0_4arch9wavefront6targetE1EEEvT1_, .Lfunc_end290-_ZN7rocprim17ROCPRIM_400000_NS6detail17trampoline_kernelINS0_14default_configENS1_20scan_config_selectorIN3c107complexIfEEEEZZNS1_9scan_implILNS1_25lookback_scan_determinismE0ELb0ELb0ES3_PKS7_PS7_S7_ZZZN2at6native31launch_logcumsumexp_cuda_kernelERKNSE_10TensorBaseESI_lENKUlvE_clEvENKUlvE2_clEvEUlS7_S7_E_S7_EEDaPvRmT3_T4_T5_mT6_P12ihipStream_tbENKUlT_T0_E_clISt17integral_constantIbLb0EESZ_EEDaSU_SV_EUlSU_E0_NS1_11comp_targetILNS1_3genE5ELNS1_11target_archE942ELNS1_3gpuE9ELNS1_3repE0EEENS1_30default_config_static_selectorELNS0_4arch9wavefront6targetE1EEEvT1_
                                        ; -- End function
	.section	.AMDGPU.csdata,"",@progbits
; Kernel info:
; codeLenInByte = 3252
; NumSgprs: 62
; NumVgprs: 95
; NumAgprs: 0
; TotalNumVgprs: 95
; ScratchSize: 0
; MemoryBound: 0
; FloatMode: 240
; IeeeMode: 1
; LDSByteSize: 30720 bytes/workgroup (compile time only)
; SGPRBlocks: 7
; VGPRBlocks: 11
; NumSGPRsForWavesPerEU: 62
; NumVGPRsForWavesPerEU: 95
; AccumOffset: 96
; Occupancy: 2
; WaveLimiterHint : 0
; COMPUTE_PGM_RSRC2:SCRATCH_EN: 0
; COMPUTE_PGM_RSRC2:USER_SGPR: 2
; COMPUTE_PGM_RSRC2:TRAP_HANDLER: 0
; COMPUTE_PGM_RSRC2:TGID_X_EN: 1
; COMPUTE_PGM_RSRC2:TGID_Y_EN: 0
; COMPUTE_PGM_RSRC2:TGID_Z_EN: 0
; COMPUTE_PGM_RSRC2:TIDIG_COMP_CNT: 0
; COMPUTE_PGM_RSRC3_GFX90A:ACCUM_OFFSET: 23
; COMPUTE_PGM_RSRC3_GFX90A:TG_SPLIT: 0
	.section	.text._ZN7rocprim17ROCPRIM_400000_NS6detail17trampoline_kernelINS0_14default_configENS1_20scan_config_selectorIN3c107complexIfEEEEZZNS1_9scan_implILNS1_25lookback_scan_determinismE0ELb0ELb0ES3_PKS7_PS7_S7_ZZZN2at6native31launch_logcumsumexp_cuda_kernelERKNSE_10TensorBaseESI_lENKUlvE_clEvENKUlvE2_clEvEUlS7_S7_E_S7_EEDaPvRmT3_T4_T5_mT6_P12ihipStream_tbENKUlT_T0_E_clISt17integral_constantIbLb0EESZ_EEDaSU_SV_EUlSU_E0_NS1_11comp_targetILNS1_3genE4ELNS1_11target_archE910ELNS1_3gpuE8ELNS1_3repE0EEENS1_30default_config_static_selectorELNS0_4arch9wavefront6targetE1EEEvT1_,"axG",@progbits,_ZN7rocprim17ROCPRIM_400000_NS6detail17trampoline_kernelINS0_14default_configENS1_20scan_config_selectorIN3c107complexIfEEEEZZNS1_9scan_implILNS1_25lookback_scan_determinismE0ELb0ELb0ES3_PKS7_PS7_S7_ZZZN2at6native31launch_logcumsumexp_cuda_kernelERKNSE_10TensorBaseESI_lENKUlvE_clEvENKUlvE2_clEvEUlS7_S7_E_S7_EEDaPvRmT3_T4_T5_mT6_P12ihipStream_tbENKUlT_T0_E_clISt17integral_constantIbLb0EESZ_EEDaSU_SV_EUlSU_E0_NS1_11comp_targetILNS1_3genE4ELNS1_11target_archE910ELNS1_3gpuE8ELNS1_3repE0EEENS1_30default_config_static_selectorELNS0_4arch9wavefront6targetE1EEEvT1_,comdat
	.globl	_ZN7rocprim17ROCPRIM_400000_NS6detail17trampoline_kernelINS0_14default_configENS1_20scan_config_selectorIN3c107complexIfEEEEZZNS1_9scan_implILNS1_25lookback_scan_determinismE0ELb0ELb0ES3_PKS7_PS7_S7_ZZZN2at6native31launch_logcumsumexp_cuda_kernelERKNSE_10TensorBaseESI_lENKUlvE_clEvENKUlvE2_clEvEUlS7_S7_E_S7_EEDaPvRmT3_T4_T5_mT6_P12ihipStream_tbENKUlT_T0_E_clISt17integral_constantIbLb0EESZ_EEDaSU_SV_EUlSU_E0_NS1_11comp_targetILNS1_3genE4ELNS1_11target_archE910ELNS1_3gpuE8ELNS1_3repE0EEENS1_30default_config_static_selectorELNS0_4arch9wavefront6targetE1EEEvT1_ ; -- Begin function _ZN7rocprim17ROCPRIM_400000_NS6detail17trampoline_kernelINS0_14default_configENS1_20scan_config_selectorIN3c107complexIfEEEEZZNS1_9scan_implILNS1_25lookback_scan_determinismE0ELb0ELb0ES3_PKS7_PS7_S7_ZZZN2at6native31launch_logcumsumexp_cuda_kernelERKNSE_10TensorBaseESI_lENKUlvE_clEvENKUlvE2_clEvEUlS7_S7_E_S7_EEDaPvRmT3_T4_T5_mT6_P12ihipStream_tbENKUlT_T0_E_clISt17integral_constantIbLb0EESZ_EEDaSU_SV_EUlSU_E0_NS1_11comp_targetILNS1_3genE4ELNS1_11target_archE910ELNS1_3gpuE8ELNS1_3repE0EEENS1_30default_config_static_selectorELNS0_4arch9wavefront6targetE1EEEvT1_
	.p2align	8
	.type	_ZN7rocprim17ROCPRIM_400000_NS6detail17trampoline_kernelINS0_14default_configENS1_20scan_config_selectorIN3c107complexIfEEEEZZNS1_9scan_implILNS1_25lookback_scan_determinismE0ELb0ELb0ES3_PKS7_PS7_S7_ZZZN2at6native31launch_logcumsumexp_cuda_kernelERKNSE_10TensorBaseESI_lENKUlvE_clEvENKUlvE2_clEvEUlS7_S7_E_S7_EEDaPvRmT3_T4_T5_mT6_P12ihipStream_tbENKUlT_T0_E_clISt17integral_constantIbLb0EESZ_EEDaSU_SV_EUlSU_E0_NS1_11comp_targetILNS1_3genE4ELNS1_11target_archE910ELNS1_3gpuE8ELNS1_3repE0EEENS1_30default_config_static_selectorELNS0_4arch9wavefront6targetE1EEEvT1_,@function
_ZN7rocprim17ROCPRIM_400000_NS6detail17trampoline_kernelINS0_14default_configENS1_20scan_config_selectorIN3c107complexIfEEEEZZNS1_9scan_implILNS1_25lookback_scan_determinismE0ELb0ELb0ES3_PKS7_PS7_S7_ZZZN2at6native31launch_logcumsumexp_cuda_kernelERKNSE_10TensorBaseESI_lENKUlvE_clEvENKUlvE2_clEvEUlS7_S7_E_S7_EEDaPvRmT3_T4_T5_mT6_P12ihipStream_tbENKUlT_T0_E_clISt17integral_constantIbLb0EESZ_EEDaSU_SV_EUlSU_E0_NS1_11comp_targetILNS1_3genE4ELNS1_11target_archE910ELNS1_3gpuE8ELNS1_3repE0EEENS1_30default_config_static_selectorELNS0_4arch9wavefront6targetE1EEEvT1_: ; @_ZN7rocprim17ROCPRIM_400000_NS6detail17trampoline_kernelINS0_14default_configENS1_20scan_config_selectorIN3c107complexIfEEEEZZNS1_9scan_implILNS1_25lookback_scan_determinismE0ELb0ELb0ES3_PKS7_PS7_S7_ZZZN2at6native31launch_logcumsumexp_cuda_kernelERKNSE_10TensorBaseESI_lENKUlvE_clEvENKUlvE2_clEvEUlS7_S7_E_S7_EEDaPvRmT3_T4_T5_mT6_P12ihipStream_tbENKUlT_T0_E_clISt17integral_constantIbLb0EESZ_EEDaSU_SV_EUlSU_E0_NS1_11comp_targetILNS1_3genE4ELNS1_11target_archE910ELNS1_3gpuE8ELNS1_3repE0EEENS1_30default_config_static_selectorELNS0_4arch9wavefront6targetE1EEEvT1_
; %bb.0:
	.section	.rodata,"a",@progbits
	.p2align	6, 0x0
	.amdhsa_kernel _ZN7rocprim17ROCPRIM_400000_NS6detail17trampoline_kernelINS0_14default_configENS1_20scan_config_selectorIN3c107complexIfEEEEZZNS1_9scan_implILNS1_25lookback_scan_determinismE0ELb0ELb0ES3_PKS7_PS7_S7_ZZZN2at6native31launch_logcumsumexp_cuda_kernelERKNSE_10TensorBaseESI_lENKUlvE_clEvENKUlvE2_clEvEUlS7_S7_E_S7_EEDaPvRmT3_T4_T5_mT6_P12ihipStream_tbENKUlT_T0_E_clISt17integral_constantIbLb0EESZ_EEDaSU_SV_EUlSU_E0_NS1_11comp_targetILNS1_3genE4ELNS1_11target_archE910ELNS1_3gpuE8ELNS1_3repE0EEENS1_30default_config_static_selectorELNS0_4arch9wavefront6targetE1EEEvT1_
		.amdhsa_group_segment_fixed_size 0
		.amdhsa_private_segment_fixed_size 0
		.amdhsa_kernarg_size 40
		.amdhsa_user_sgpr_count 2
		.amdhsa_user_sgpr_dispatch_ptr 0
		.amdhsa_user_sgpr_queue_ptr 0
		.amdhsa_user_sgpr_kernarg_segment_ptr 1
		.amdhsa_user_sgpr_dispatch_id 0
		.amdhsa_user_sgpr_kernarg_preload_length 0
		.amdhsa_user_sgpr_kernarg_preload_offset 0
		.amdhsa_user_sgpr_private_segment_size 0
		.amdhsa_uses_dynamic_stack 0
		.amdhsa_enable_private_segment 0
		.amdhsa_system_sgpr_workgroup_id_x 1
		.amdhsa_system_sgpr_workgroup_id_y 0
		.amdhsa_system_sgpr_workgroup_id_z 0
		.amdhsa_system_sgpr_workgroup_info 0
		.amdhsa_system_vgpr_workitem_id 0
		.amdhsa_next_free_vgpr 1
		.amdhsa_next_free_sgpr 0
		.amdhsa_accum_offset 4
		.amdhsa_reserve_vcc 0
		.amdhsa_float_round_mode_32 0
		.amdhsa_float_round_mode_16_64 0
		.amdhsa_float_denorm_mode_32 3
		.amdhsa_float_denorm_mode_16_64 3
		.amdhsa_dx10_clamp 1
		.amdhsa_ieee_mode 1
		.amdhsa_fp16_overflow 0
		.amdhsa_tg_split 0
		.amdhsa_exception_fp_ieee_invalid_op 0
		.amdhsa_exception_fp_denorm_src 0
		.amdhsa_exception_fp_ieee_div_zero 0
		.amdhsa_exception_fp_ieee_overflow 0
		.amdhsa_exception_fp_ieee_underflow 0
		.amdhsa_exception_fp_ieee_inexact 0
		.amdhsa_exception_int_div_zero 0
	.end_amdhsa_kernel
	.section	.text._ZN7rocprim17ROCPRIM_400000_NS6detail17trampoline_kernelINS0_14default_configENS1_20scan_config_selectorIN3c107complexIfEEEEZZNS1_9scan_implILNS1_25lookback_scan_determinismE0ELb0ELb0ES3_PKS7_PS7_S7_ZZZN2at6native31launch_logcumsumexp_cuda_kernelERKNSE_10TensorBaseESI_lENKUlvE_clEvENKUlvE2_clEvEUlS7_S7_E_S7_EEDaPvRmT3_T4_T5_mT6_P12ihipStream_tbENKUlT_T0_E_clISt17integral_constantIbLb0EESZ_EEDaSU_SV_EUlSU_E0_NS1_11comp_targetILNS1_3genE4ELNS1_11target_archE910ELNS1_3gpuE8ELNS1_3repE0EEENS1_30default_config_static_selectorELNS0_4arch9wavefront6targetE1EEEvT1_,"axG",@progbits,_ZN7rocprim17ROCPRIM_400000_NS6detail17trampoline_kernelINS0_14default_configENS1_20scan_config_selectorIN3c107complexIfEEEEZZNS1_9scan_implILNS1_25lookback_scan_determinismE0ELb0ELb0ES3_PKS7_PS7_S7_ZZZN2at6native31launch_logcumsumexp_cuda_kernelERKNSE_10TensorBaseESI_lENKUlvE_clEvENKUlvE2_clEvEUlS7_S7_E_S7_EEDaPvRmT3_T4_T5_mT6_P12ihipStream_tbENKUlT_T0_E_clISt17integral_constantIbLb0EESZ_EEDaSU_SV_EUlSU_E0_NS1_11comp_targetILNS1_3genE4ELNS1_11target_archE910ELNS1_3gpuE8ELNS1_3repE0EEENS1_30default_config_static_selectorELNS0_4arch9wavefront6targetE1EEEvT1_,comdat
.Lfunc_end291:
	.size	_ZN7rocprim17ROCPRIM_400000_NS6detail17trampoline_kernelINS0_14default_configENS1_20scan_config_selectorIN3c107complexIfEEEEZZNS1_9scan_implILNS1_25lookback_scan_determinismE0ELb0ELb0ES3_PKS7_PS7_S7_ZZZN2at6native31launch_logcumsumexp_cuda_kernelERKNSE_10TensorBaseESI_lENKUlvE_clEvENKUlvE2_clEvEUlS7_S7_E_S7_EEDaPvRmT3_T4_T5_mT6_P12ihipStream_tbENKUlT_T0_E_clISt17integral_constantIbLb0EESZ_EEDaSU_SV_EUlSU_E0_NS1_11comp_targetILNS1_3genE4ELNS1_11target_archE910ELNS1_3gpuE8ELNS1_3repE0EEENS1_30default_config_static_selectorELNS0_4arch9wavefront6targetE1EEEvT1_, .Lfunc_end291-_ZN7rocprim17ROCPRIM_400000_NS6detail17trampoline_kernelINS0_14default_configENS1_20scan_config_selectorIN3c107complexIfEEEEZZNS1_9scan_implILNS1_25lookback_scan_determinismE0ELb0ELb0ES3_PKS7_PS7_S7_ZZZN2at6native31launch_logcumsumexp_cuda_kernelERKNSE_10TensorBaseESI_lENKUlvE_clEvENKUlvE2_clEvEUlS7_S7_E_S7_EEDaPvRmT3_T4_T5_mT6_P12ihipStream_tbENKUlT_T0_E_clISt17integral_constantIbLb0EESZ_EEDaSU_SV_EUlSU_E0_NS1_11comp_targetILNS1_3genE4ELNS1_11target_archE910ELNS1_3gpuE8ELNS1_3repE0EEENS1_30default_config_static_selectorELNS0_4arch9wavefront6targetE1EEEvT1_
                                        ; -- End function
	.section	.AMDGPU.csdata,"",@progbits
; Kernel info:
; codeLenInByte = 0
; NumSgprs: 6
; NumVgprs: 0
; NumAgprs: 0
; TotalNumVgprs: 0
; ScratchSize: 0
; MemoryBound: 0
; FloatMode: 240
; IeeeMode: 1
; LDSByteSize: 0 bytes/workgroup (compile time only)
; SGPRBlocks: 0
; VGPRBlocks: 0
; NumSGPRsForWavesPerEU: 6
; NumVGPRsForWavesPerEU: 1
; AccumOffset: 4
; Occupancy: 8
; WaveLimiterHint : 0
; COMPUTE_PGM_RSRC2:SCRATCH_EN: 0
; COMPUTE_PGM_RSRC2:USER_SGPR: 2
; COMPUTE_PGM_RSRC2:TRAP_HANDLER: 0
; COMPUTE_PGM_RSRC2:TGID_X_EN: 1
; COMPUTE_PGM_RSRC2:TGID_Y_EN: 0
; COMPUTE_PGM_RSRC2:TGID_Z_EN: 0
; COMPUTE_PGM_RSRC2:TIDIG_COMP_CNT: 0
; COMPUTE_PGM_RSRC3_GFX90A:ACCUM_OFFSET: 0
; COMPUTE_PGM_RSRC3_GFX90A:TG_SPLIT: 0
	.section	.text._ZN7rocprim17ROCPRIM_400000_NS6detail17trampoline_kernelINS0_14default_configENS1_20scan_config_selectorIN3c107complexIfEEEEZZNS1_9scan_implILNS1_25lookback_scan_determinismE0ELb0ELb0ES3_PKS7_PS7_S7_ZZZN2at6native31launch_logcumsumexp_cuda_kernelERKNSE_10TensorBaseESI_lENKUlvE_clEvENKUlvE2_clEvEUlS7_S7_E_S7_EEDaPvRmT3_T4_T5_mT6_P12ihipStream_tbENKUlT_T0_E_clISt17integral_constantIbLb0EESZ_EEDaSU_SV_EUlSU_E0_NS1_11comp_targetILNS1_3genE3ELNS1_11target_archE908ELNS1_3gpuE7ELNS1_3repE0EEENS1_30default_config_static_selectorELNS0_4arch9wavefront6targetE1EEEvT1_,"axG",@progbits,_ZN7rocprim17ROCPRIM_400000_NS6detail17trampoline_kernelINS0_14default_configENS1_20scan_config_selectorIN3c107complexIfEEEEZZNS1_9scan_implILNS1_25lookback_scan_determinismE0ELb0ELb0ES3_PKS7_PS7_S7_ZZZN2at6native31launch_logcumsumexp_cuda_kernelERKNSE_10TensorBaseESI_lENKUlvE_clEvENKUlvE2_clEvEUlS7_S7_E_S7_EEDaPvRmT3_T4_T5_mT6_P12ihipStream_tbENKUlT_T0_E_clISt17integral_constantIbLb0EESZ_EEDaSU_SV_EUlSU_E0_NS1_11comp_targetILNS1_3genE3ELNS1_11target_archE908ELNS1_3gpuE7ELNS1_3repE0EEENS1_30default_config_static_selectorELNS0_4arch9wavefront6targetE1EEEvT1_,comdat
	.globl	_ZN7rocprim17ROCPRIM_400000_NS6detail17trampoline_kernelINS0_14default_configENS1_20scan_config_selectorIN3c107complexIfEEEEZZNS1_9scan_implILNS1_25lookback_scan_determinismE0ELb0ELb0ES3_PKS7_PS7_S7_ZZZN2at6native31launch_logcumsumexp_cuda_kernelERKNSE_10TensorBaseESI_lENKUlvE_clEvENKUlvE2_clEvEUlS7_S7_E_S7_EEDaPvRmT3_T4_T5_mT6_P12ihipStream_tbENKUlT_T0_E_clISt17integral_constantIbLb0EESZ_EEDaSU_SV_EUlSU_E0_NS1_11comp_targetILNS1_3genE3ELNS1_11target_archE908ELNS1_3gpuE7ELNS1_3repE0EEENS1_30default_config_static_selectorELNS0_4arch9wavefront6targetE1EEEvT1_ ; -- Begin function _ZN7rocprim17ROCPRIM_400000_NS6detail17trampoline_kernelINS0_14default_configENS1_20scan_config_selectorIN3c107complexIfEEEEZZNS1_9scan_implILNS1_25lookback_scan_determinismE0ELb0ELb0ES3_PKS7_PS7_S7_ZZZN2at6native31launch_logcumsumexp_cuda_kernelERKNSE_10TensorBaseESI_lENKUlvE_clEvENKUlvE2_clEvEUlS7_S7_E_S7_EEDaPvRmT3_T4_T5_mT6_P12ihipStream_tbENKUlT_T0_E_clISt17integral_constantIbLb0EESZ_EEDaSU_SV_EUlSU_E0_NS1_11comp_targetILNS1_3genE3ELNS1_11target_archE908ELNS1_3gpuE7ELNS1_3repE0EEENS1_30default_config_static_selectorELNS0_4arch9wavefront6targetE1EEEvT1_
	.p2align	8
	.type	_ZN7rocprim17ROCPRIM_400000_NS6detail17trampoline_kernelINS0_14default_configENS1_20scan_config_selectorIN3c107complexIfEEEEZZNS1_9scan_implILNS1_25lookback_scan_determinismE0ELb0ELb0ES3_PKS7_PS7_S7_ZZZN2at6native31launch_logcumsumexp_cuda_kernelERKNSE_10TensorBaseESI_lENKUlvE_clEvENKUlvE2_clEvEUlS7_S7_E_S7_EEDaPvRmT3_T4_T5_mT6_P12ihipStream_tbENKUlT_T0_E_clISt17integral_constantIbLb0EESZ_EEDaSU_SV_EUlSU_E0_NS1_11comp_targetILNS1_3genE3ELNS1_11target_archE908ELNS1_3gpuE7ELNS1_3repE0EEENS1_30default_config_static_selectorELNS0_4arch9wavefront6targetE1EEEvT1_,@function
_ZN7rocprim17ROCPRIM_400000_NS6detail17trampoline_kernelINS0_14default_configENS1_20scan_config_selectorIN3c107complexIfEEEEZZNS1_9scan_implILNS1_25lookback_scan_determinismE0ELb0ELb0ES3_PKS7_PS7_S7_ZZZN2at6native31launch_logcumsumexp_cuda_kernelERKNSE_10TensorBaseESI_lENKUlvE_clEvENKUlvE2_clEvEUlS7_S7_E_S7_EEDaPvRmT3_T4_T5_mT6_P12ihipStream_tbENKUlT_T0_E_clISt17integral_constantIbLb0EESZ_EEDaSU_SV_EUlSU_E0_NS1_11comp_targetILNS1_3genE3ELNS1_11target_archE908ELNS1_3gpuE7ELNS1_3repE0EEENS1_30default_config_static_selectorELNS0_4arch9wavefront6targetE1EEEvT1_: ; @_ZN7rocprim17ROCPRIM_400000_NS6detail17trampoline_kernelINS0_14default_configENS1_20scan_config_selectorIN3c107complexIfEEEEZZNS1_9scan_implILNS1_25lookback_scan_determinismE0ELb0ELb0ES3_PKS7_PS7_S7_ZZZN2at6native31launch_logcumsumexp_cuda_kernelERKNSE_10TensorBaseESI_lENKUlvE_clEvENKUlvE2_clEvEUlS7_S7_E_S7_EEDaPvRmT3_T4_T5_mT6_P12ihipStream_tbENKUlT_T0_E_clISt17integral_constantIbLb0EESZ_EEDaSU_SV_EUlSU_E0_NS1_11comp_targetILNS1_3genE3ELNS1_11target_archE908ELNS1_3gpuE7ELNS1_3repE0EEENS1_30default_config_static_selectorELNS0_4arch9wavefront6targetE1EEEvT1_
; %bb.0:
	.section	.rodata,"a",@progbits
	.p2align	6, 0x0
	.amdhsa_kernel _ZN7rocprim17ROCPRIM_400000_NS6detail17trampoline_kernelINS0_14default_configENS1_20scan_config_selectorIN3c107complexIfEEEEZZNS1_9scan_implILNS1_25lookback_scan_determinismE0ELb0ELb0ES3_PKS7_PS7_S7_ZZZN2at6native31launch_logcumsumexp_cuda_kernelERKNSE_10TensorBaseESI_lENKUlvE_clEvENKUlvE2_clEvEUlS7_S7_E_S7_EEDaPvRmT3_T4_T5_mT6_P12ihipStream_tbENKUlT_T0_E_clISt17integral_constantIbLb0EESZ_EEDaSU_SV_EUlSU_E0_NS1_11comp_targetILNS1_3genE3ELNS1_11target_archE908ELNS1_3gpuE7ELNS1_3repE0EEENS1_30default_config_static_selectorELNS0_4arch9wavefront6targetE1EEEvT1_
		.amdhsa_group_segment_fixed_size 0
		.amdhsa_private_segment_fixed_size 0
		.amdhsa_kernarg_size 40
		.amdhsa_user_sgpr_count 2
		.amdhsa_user_sgpr_dispatch_ptr 0
		.amdhsa_user_sgpr_queue_ptr 0
		.amdhsa_user_sgpr_kernarg_segment_ptr 1
		.amdhsa_user_sgpr_dispatch_id 0
		.amdhsa_user_sgpr_kernarg_preload_length 0
		.amdhsa_user_sgpr_kernarg_preload_offset 0
		.amdhsa_user_sgpr_private_segment_size 0
		.amdhsa_uses_dynamic_stack 0
		.amdhsa_enable_private_segment 0
		.amdhsa_system_sgpr_workgroup_id_x 1
		.amdhsa_system_sgpr_workgroup_id_y 0
		.amdhsa_system_sgpr_workgroup_id_z 0
		.amdhsa_system_sgpr_workgroup_info 0
		.amdhsa_system_vgpr_workitem_id 0
		.amdhsa_next_free_vgpr 1
		.amdhsa_next_free_sgpr 0
		.amdhsa_accum_offset 4
		.amdhsa_reserve_vcc 0
		.amdhsa_float_round_mode_32 0
		.amdhsa_float_round_mode_16_64 0
		.amdhsa_float_denorm_mode_32 3
		.amdhsa_float_denorm_mode_16_64 3
		.amdhsa_dx10_clamp 1
		.amdhsa_ieee_mode 1
		.amdhsa_fp16_overflow 0
		.amdhsa_tg_split 0
		.amdhsa_exception_fp_ieee_invalid_op 0
		.amdhsa_exception_fp_denorm_src 0
		.amdhsa_exception_fp_ieee_div_zero 0
		.amdhsa_exception_fp_ieee_overflow 0
		.amdhsa_exception_fp_ieee_underflow 0
		.amdhsa_exception_fp_ieee_inexact 0
		.amdhsa_exception_int_div_zero 0
	.end_amdhsa_kernel
	.section	.text._ZN7rocprim17ROCPRIM_400000_NS6detail17trampoline_kernelINS0_14default_configENS1_20scan_config_selectorIN3c107complexIfEEEEZZNS1_9scan_implILNS1_25lookback_scan_determinismE0ELb0ELb0ES3_PKS7_PS7_S7_ZZZN2at6native31launch_logcumsumexp_cuda_kernelERKNSE_10TensorBaseESI_lENKUlvE_clEvENKUlvE2_clEvEUlS7_S7_E_S7_EEDaPvRmT3_T4_T5_mT6_P12ihipStream_tbENKUlT_T0_E_clISt17integral_constantIbLb0EESZ_EEDaSU_SV_EUlSU_E0_NS1_11comp_targetILNS1_3genE3ELNS1_11target_archE908ELNS1_3gpuE7ELNS1_3repE0EEENS1_30default_config_static_selectorELNS0_4arch9wavefront6targetE1EEEvT1_,"axG",@progbits,_ZN7rocprim17ROCPRIM_400000_NS6detail17trampoline_kernelINS0_14default_configENS1_20scan_config_selectorIN3c107complexIfEEEEZZNS1_9scan_implILNS1_25lookback_scan_determinismE0ELb0ELb0ES3_PKS7_PS7_S7_ZZZN2at6native31launch_logcumsumexp_cuda_kernelERKNSE_10TensorBaseESI_lENKUlvE_clEvENKUlvE2_clEvEUlS7_S7_E_S7_EEDaPvRmT3_T4_T5_mT6_P12ihipStream_tbENKUlT_T0_E_clISt17integral_constantIbLb0EESZ_EEDaSU_SV_EUlSU_E0_NS1_11comp_targetILNS1_3genE3ELNS1_11target_archE908ELNS1_3gpuE7ELNS1_3repE0EEENS1_30default_config_static_selectorELNS0_4arch9wavefront6targetE1EEEvT1_,comdat
.Lfunc_end292:
	.size	_ZN7rocprim17ROCPRIM_400000_NS6detail17trampoline_kernelINS0_14default_configENS1_20scan_config_selectorIN3c107complexIfEEEEZZNS1_9scan_implILNS1_25lookback_scan_determinismE0ELb0ELb0ES3_PKS7_PS7_S7_ZZZN2at6native31launch_logcumsumexp_cuda_kernelERKNSE_10TensorBaseESI_lENKUlvE_clEvENKUlvE2_clEvEUlS7_S7_E_S7_EEDaPvRmT3_T4_T5_mT6_P12ihipStream_tbENKUlT_T0_E_clISt17integral_constantIbLb0EESZ_EEDaSU_SV_EUlSU_E0_NS1_11comp_targetILNS1_3genE3ELNS1_11target_archE908ELNS1_3gpuE7ELNS1_3repE0EEENS1_30default_config_static_selectorELNS0_4arch9wavefront6targetE1EEEvT1_, .Lfunc_end292-_ZN7rocprim17ROCPRIM_400000_NS6detail17trampoline_kernelINS0_14default_configENS1_20scan_config_selectorIN3c107complexIfEEEEZZNS1_9scan_implILNS1_25lookback_scan_determinismE0ELb0ELb0ES3_PKS7_PS7_S7_ZZZN2at6native31launch_logcumsumexp_cuda_kernelERKNSE_10TensorBaseESI_lENKUlvE_clEvENKUlvE2_clEvEUlS7_S7_E_S7_EEDaPvRmT3_T4_T5_mT6_P12ihipStream_tbENKUlT_T0_E_clISt17integral_constantIbLb0EESZ_EEDaSU_SV_EUlSU_E0_NS1_11comp_targetILNS1_3genE3ELNS1_11target_archE908ELNS1_3gpuE7ELNS1_3repE0EEENS1_30default_config_static_selectorELNS0_4arch9wavefront6targetE1EEEvT1_
                                        ; -- End function
	.section	.AMDGPU.csdata,"",@progbits
; Kernel info:
; codeLenInByte = 0
; NumSgprs: 6
; NumVgprs: 0
; NumAgprs: 0
; TotalNumVgprs: 0
; ScratchSize: 0
; MemoryBound: 0
; FloatMode: 240
; IeeeMode: 1
; LDSByteSize: 0 bytes/workgroup (compile time only)
; SGPRBlocks: 0
; VGPRBlocks: 0
; NumSGPRsForWavesPerEU: 6
; NumVGPRsForWavesPerEU: 1
; AccumOffset: 4
; Occupancy: 8
; WaveLimiterHint : 0
; COMPUTE_PGM_RSRC2:SCRATCH_EN: 0
; COMPUTE_PGM_RSRC2:USER_SGPR: 2
; COMPUTE_PGM_RSRC2:TRAP_HANDLER: 0
; COMPUTE_PGM_RSRC2:TGID_X_EN: 1
; COMPUTE_PGM_RSRC2:TGID_Y_EN: 0
; COMPUTE_PGM_RSRC2:TGID_Z_EN: 0
; COMPUTE_PGM_RSRC2:TIDIG_COMP_CNT: 0
; COMPUTE_PGM_RSRC3_GFX90A:ACCUM_OFFSET: 0
; COMPUTE_PGM_RSRC3_GFX90A:TG_SPLIT: 0
	.section	.text._ZN7rocprim17ROCPRIM_400000_NS6detail17trampoline_kernelINS0_14default_configENS1_20scan_config_selectorIN3c107complexIfEEEEZZNS1_9scan_implILNS1_25lookback_scan_determinismE0ELb0ELb0ES3_PKS7_PS7_S7_ZZZN2at6native31launch_logcumsumexp_cuda_kernelERKNSE_10TensorBaseESI_lENKUlvE_clEvENKUlvE2_clEvEUlS7_S7_E_S7_EEDaPvRmT3_T4_T5_mT6_P12ihipStream_tbENKUlT_T0_E_clISt17integral_constantIbLb0EESZ_EEDaSU_SV_EUlSU_E0_NS1_11comp_targetILNS1_3genE2ELNS1_11target_archE906ELNS1_3gpuE6ELNS1_3repE0EEENS1_30default_config_static_selectorELNS0_4arch9wavefront6targetE1EEEvT1_,"axG",@progbits,_ZN7rocprim17ROCPRIM_400000_NS6detail17trampoline_kernelINS0_14default_configENS1_20scan_config_selectorIN3c107complexIfEEEEZZNS1_9scan_implILNS1_25lookback_scan_determinismE0ELb0ELb0ES3_PKS7_PS7_S7_ZZZN2at6native31launch_logcumsumexp_cuda_kernelERKNSE_10TensorBaseESI_lENKUlvE_clEvENKUlvE2_clEvEUlS7_S7_E_S7_EEDaPvRmT3_T4_T5_mT6_P12ihipStream_tbENKUlT_T0_E_clISt17integral_constantIbLb0EESZ_EEDaSU_SV_EUlSU_E0_NS1_11comp_targetILNS1_3genE2ELNS1_11target_archE906ELNS1_3gpuE6ELNS1_3repE0EEENS1_30default_config_static_selectorELNS0_4arch9wavefront6targetE1EEEvT1_,comdat
	.globl	_ZN7rocprim17ROCPRIM_400000_NS6detail17trampoline_kernelINS0_14default_configENS1_20scan_config_selectorIN3c107complexIfEEEEZZNS1_9scan_implILNS1_25lookback_scan_determinismE0ELb0ELb0ES3_PKS7_PS7_S7_ZZZN2at6native31launch_logcumsumexp_cuda_kernelERKNSE_10TensorBaseESI_lENKUlvE_clEvENKUlvE2_clEvEUlS7_S7_E_S7_EEDaPvRmT3_T4_T5_mT6_P12ihipStream_tbENKUlT_T0_E_clISt17integral_constantIbLb0EESZ_EEDaSU_SV_EUlSU_E0_NS1_11comp_targetILNS1_3genE2ELNS1_11target_archE906ELNS1_3gpuE6ELNS1_3repE0EEENS1_30default_config_static_selectorELNS0_4arch9wavefront6targetE1EEEvT1_ ; -- Begin function _ZN7rocprim17ROCPRIM_400000_NS6detail17trampoline_kernelINS0_14default_configENS1_20scan_config_selectorIN3c107complexIfEEEEZZNS1_9scan_implILNS1_25lookback_scan_determinismE0ELb0ELb0ES3_PKS7_PS7_S7_ZZZN2at6native31launch_logcumsumexp_cuda_kernelERKNSE_10TensorBaseESI_lENKUlvE_clEvENKUlvE2_clEvEUlS7_S7_E_S7_EEDaPvRmT3_T4_T5_mT6_P12ihipStream_tbENKUlT_T0_E_clISt17integral_constantIbLb0EESZ_EEDaSU_SV_EUlSU_E0_NS1_11comp_targetILNS1_3genE2ELNS1_11target_archE906ELNS1_3gpuE6ELNS1_3repE0EEENS1_30default_config_static_selectorELNS0_4arch9wavefront6targetE1EEEvT1_
	.p2align	8
	.type	_ZN7rocprim17ROCPRIM_400000_NS6detail17trampoline_kernelINS0_14default_configENS1_20scan_config_selectorIN3c107complexIfEEEEZZNS1_9scan_implILNS1_25lookback_scan_determinismE0ELb0ELb0ES3_PKS7_PS7_S7_ZZZN2at6native31launch_logcumsumexp_cuda_kernelERKNSE_10TensorBaseESI_lENKUlvE_clEvENKUlvE2_clEvEUlS7_S7_E_S7_EEDaPvRmT3_T4_T5_mT6_P12ihipStream_tbENKUlT_T0_E_clISt17integral_constantIbLb0EESZ_EEDaSU_SV_EUlSU_E0_NS1_11comp_targetILNS1_3genE2ELNS1_11target_archE906ELNS1_3gpuE6ELNS1_3repE0EEENS1_30default_config_static_selectorELNS0_4arch9wavefront6targetE1EEEvT1_,@function
_ZN7rocprim17ROCPRIM_400000_NS6detail17trampoline_kernelINS0_14default_configENS1_20scan_config_selectorIN3c107complexIfEEEEZZNS1_9scan_implILNS1_25lookback_scan_determinismE0ELb0ELb0ES3_PKS7_PS7_S7_ZZZN2at6native31launch_logcumsumexp_cuda_kernelERKNSE_10TensorBaseESI_lENKUlvE_clEvENKUlvE2_clEvEUlS7_S7_E_S7_EEDaPvRmT3_T4_T5_mT6_P12ihipStream_tbENKUlT_T0_E_clISt17integral_constantIbLb0EESZ_EEDaSU_SV_EUlSU_E0_NS1_11comp_targetILNS1_3genE2ELNS1_11target_archE906ELNS1_3gpuE6ELNS1_3repE0EEENS1_30default_config_static_selectorELNS0_4arch9wavefront6targetE1EEEvT1_: ; @_ZN7rocprim17ROCPRIM_400000_NS6detail17trampoline_kernelINS0_14default_configENS1_20scan_config_selectorIN3c107complexIfEEEEZZNS1_9scan_implILNS1_25lookback_scan_determinismE0ELb0ELb0ES3_PKS7_PS7_S7_ZZZN2at6native31launch_logcumsumexp_cuda_kernelERKNSE_10TensorBaseESI_lENKUlvE_clEvENKUlvE2_clEvEUlS7_S7_E_S7_EEDaPvRmT3_T4_T5_mT6_P12ihipStream_tbENKUlT_T0_E_clISt17integral_constantIbLb0EESZ_EEDaSU_SV_EUlSU_E0_NS1_11comp_targetILNS1_3genE2ELNS1_11target_archE906ELNS1_3gpuE6ELNS1_3repE0EEENS1_30default_config_static_selectorELNS0_4arch9wavefront6targetE1EEEvT1_
; %bb.0:
	.section	.rodata,"a",@progbits
	.p2align	6, 0x0
	.amdhsa_kernel _ZN7rocprim17ROCPRIM_400000_NS6detail17trampoline_kernelINS0_14default_configENS1_20scan_config_selectorIN3c107complexIfEEEEZZNS1_9scan_implILNS1_25lookback_scan_determinismE0ELb0ELb0ES3_PKS7_PS7_S7_ZZZN2at6native31launch_logcumsumexp_cuda_kernelERKNSE_10TensorBaseESI_lENKUlvE_clEvENKUlvE2_clEvEUlS7_S7_E_S7_EEDaPvRmT3_T4_T5_mT6_P12ihipStream_tbENKUlT_T0_E_clISt17integral_constantIbLb0EESZ_EEDaSU_SV_EUlSU_E0_NS1_11comp_targetILNS1_3genE2ELNS1_11target_archE906ELNS1_3gpuE6ELNS1_3repE0EEENS1_30default_config_static_selectorELNS0_4arch9wavefront6targetE1EEEvT1_
		.amdhsa_group_segment_fixed_size 0
		.amdhsa_private_segment_fixed_size 0
		.amdhsa_kernarg_size 40
		.amdhsa_user_sgpr_count 2
		.amdhsa_user_sgpr_dispatch_ptr 0
		.amdhsa_user_sgpr_queue_ptr 0
		.amdhsa_user_sgpr_kernarg_segment_ptr 1
		.amdhsa_user_sgpr_dispatch_id 0
		.amdhsa_user_sgpr_kernarg_preload_length 0
		.amdhsa_user_sgpr_kernarg_preload_offset 0
		.amdhsa_user_sgpr_private_segment_size 0
		.amdhsa_uses_dynamic_stack 0
		.amdhsa_enable_private_segment 0
		.amdhsa_system_sgpr_workgroup_id_x 1
		.amdhsa_system_sgpr_workgroup_id_y 0
		.amdhsa_system_sgpr_workgroup_id_z 0
		.amdhsa_system_sgpr_workgroup_info 0
		.amdhsa_system_vgpr_workitem_id 0
		.amdhsa_next_free_vgpr 1
		.amdhsa_next_free_sgpr 0
		.amdhsa_accum_offset 4
		.amdhsa_reserve_vcc 0
		.amdhsa_float_round_mode_32 0
		.amdhsa_float_round_mode_16_64 0
		.amdhsa_float_denorm_mode_32 3
		.amdhsa_float_denorm_mode_16_64 3
		.amdhsa_dx10_clamp 1
		.amdhsa_ieee_mode 1
		.amdhsa_fp16_overflow 0
		.amdhsa_tg_split 0
		.amdhsa_exception_fp_ieee_invalid_op 0
		.amdhsa_exception_fp_denorm_src 0
		.amdhsa_exception_fp_ieee_div_zero 0
		.amdhsa_exception_fp_ieee_overflow 0
		.amdhsa_exception_fp_ieee_underflow 0
		.amdhsa_exception_fp_ieee_inexact 0
		.amdhsa_exception_int_div_zero 0
	.end_amdhsa_kernel
	.section	.text._ZN7rocprim17ROCPRIM_400000_NS6detail17trampoline_kernelINS0_14default_configENS1_20scan_config_selectorIN3c107complexIfEEEEZZNS1_9scan_implILNS1_25lookback_scan_determinismE0ELb0ELb0ES3_PKS7_PS7_S7_ZZZN2at6native31launch_logcumsumexp_cuda_kernelERKNSE_10TensorBaseESI_lENKUlvE_clEvENKUlvE2_clEvEUlS7_S7_E_S7_EEDaPvRmT3_T4_T5_mT6_P12ihipStream_tbENKUlT_T0_E_clISt17integral_constantIbLb0EESZ_EEDaSU_SV_EUlSU_E0_NS1_11comp_targetILNS1_3genE2ELNS1_11target_archE906ELNS1_3gpuE6ELNS1_3repE0EEENS1_30default_config_static_selectorELNS0_4arch9wavefront6targetE1EEEvT1_,"axG",@progbits,_ZN7rocprim17ROCPRIM_400000_NS6detail17trampoline_kernelINS0_14default_configENS1_20scan_config_selectorIN3c107complexIfEEEEZZNS1_9scan_implILNS1_25lookback_scan_determinismE0ELb0ELb0ES3_PKS7_PS7_S7_ZZZN2at6native31launch_logcumsumexp_cuda_kernelERKNSE_10TensorBaseESI_lENKUlvE_clEvENKUlvE2_clEvEUlS7_S7_E_S7_EEDaPvRmT3_T4_T5_mT6_P12ihipStream_tbENKUlT_T0_E_clISt17integral_constantIbLb0EESZ_EEDaSU_SV_EUlSU_E0_NS1_11comp_targetILNS1_3genE2ELNS1_11target_archE906ELNS1_3gpuE6ELNS1_3repE0EEENS1_30default_config_static_selectorELNS0_4arch9wavefront6targetE1EEEvT1_,comdat
.Lfunc_end293:
	.size	_ZN7rocprim17ROCPRIM_400000_NS6detail17trampoline_kernelINS0_14default_configENS1_20scan_config_selectorIN3c107complexIfEEEEZZNS1_9scan_implILNS1_25lookback_scan_determinismE0ELb0ELb0ES3_PKS7_PS7_S7_ZZZN2at6native31launch_logcumsumexp_cuda_kernelERKNSE_10TensorBaseESI_lENKUlvE_clEvENKUlvE2_clEvEUlS7_S7_E_S7_EEDaPvRmT3_T4_T5_mT6_P12ihipStream_tbENKUlT_T0_E_clISt17integral_constantIbLb0EESZ_EEDaSU_SV_EUlSU_E0_NS1_11comp_targetILNS1_3genE2ELNS1_11target_archE906ELNS1_3gpuE6ELNS1_3repE0EEENS1_30default_config_static_selectorELNS0_4arch9wavefront6targetE1EEEvT1_, .Lfunc_end293-_ZN7rocprim17ROCPRIM_400000_NS6detail17trampoline_kernelINS0_14default_configENS1_20scan_config_selectorIN3c107complexIfEEEEZZNS1_9scan_implILNS1_25lookback_scan_determinismE0ELb0ELb0ES3_PKS7_PS7_S7_ZZZN2at6native31launch_logcumsumexp_cuda_kernelERKNSE_10TensorBaseESI_lENKUlvE_clEvENKUlvE2_clEvEUlS7_S7_E_S7_EEDaPvRmT3_T4_T5_mT6_P12ihipStream_tbENKUlT_T0_E_clISt17integral_constantIbLb0EESZ_EEDaSU_SV_EUlSU_E0_NS1_11comp_targetILNS1_3genE2ELNS1_11target_archE906ELNS1_3gpuE6ELNS1_3repE0EEENS1_30default_config_static_selectorELNS0_4arch9wavefront6targetE1EEEvT1_
                                        ; -- End function
	.section	.AMDGPU.csdata,"",@progbits
; Kernel info:
; codeLenInByte = 0
; NumSgprs: 6
; NumVgprs: 0
; NumAgprs: 0
; TotalNumVgprs: 0
; ScratchSize: 0
; MemoryBound: 0
; FloatMode: 240
; IeeeMode: 1
; LDSByteSize: 0 bytes/workgroup (compile time only)
; SGPRBlocks: 0
; VGPRBlocks: 0
; NumSGPRsForWavesPerEU: 6
; NumVGPRsForWavesPerEU: 1
; AccumOffset: 4
; Occupancy: 8
; WaveLimiterHint : 0
; COMPUTE_PGM_RSRC2:SCRATCH_EN: 0
; COMPUTE_PGM_RSRC2:USER_SGPR: 2
; COMPUTE_PGM_RSRC2:TRAP_HANDLER: 0
; COMPUTE_PGM_RSRC2:TGID_X_EN: 1
; COMPUTE_PGM_RSRC2:TGID_Y_EN: 0
; COMPUTE_PGM_RSRC2:TGID_Z_EN: 0
; COMPUTE_PGM_RSRC2:TIDIG_COMP_CNT: 0
; COMPUTE_PGM_RSRC3_GFX90A:ACCUM_OFFSET: 0
; COMPUTE_PGM_RSRC3_GFX90A:TG_SPLIT: 0
	.section	.text._ZN7rocprim17ROCPRIM_400000_NS6detail17trampoline_kernelINS0_14default_configENS1_20scan_config_selectorIN3c107complexIfEEEEZZNS1_9scan_implILNS1_25lookback_scan_determinismE0ELb0ELb0ES3_PKS7_PS7_S7_ZZZN2at6native31launch_logcumsumexp_cuda_kernelERKNSE_10TensorBaseESI_lENKUlvE_clEvENKUlvE2_clEvEUlS7_S7_E_S7_EEDaPvRmT3_T4_T5_mT6_P12ihipStream_tbENKUlT_T0_E_clISt17integral_constantIbLb0EESZ_EEDaSU_SV_EUlSU_E0_NS1_11comp_targetILNS1_3genE10ELNS1_11target_archE1201ELNS1_3gpuE5ELNS1_3repE0EEENS1_30default_config_static_selectorELNS0_4arch9wavefront6targetE1EEEvT1_,"axG",@progbits,_ZN7rocprim17ROCPRIM_400000_NS6detail17trampoline_kernelINS0_14default_configENS1_20scan_config_selectorIN3c107complexIfEEEEZZNS1_9scan_implILNS1_25lookback_scan_determinismE0ELb0ELb0ES3_PKS7_PS7_S7_ZZZN2at6native31launch_logcumsumexp_cuda_kernelERKNSE_10TensorBaseESI_lENKUlvE_clEvENKUlvE2_clEvEUlS7_S7_E_S7_EEDaPvRmT3_T4_T5_mT6_P12ihipStream_tbENKUlT_T0_E_clISt17integral_constantIbLb0EESZ_EEDaSU_SV_EUlSU_E0_NS1_11comp_targetILNS1_3genE10ELNS1_11target_archE1201ELNS1_3gpuE5ELNS1_3repE0EEENS1_30default_config_static_selectorELNS0_4arch9wavefront6targetE1EEEvT1_,comdat
	.globl	_ZN7rocprim17ROCPRIM_400000_NS6detail17trampoline_kernelINS0_14default_configENS1_20scan_config_selectorIN3c107complexIfEEEEZZNS1_9scan_implILNS1_25lookback_scan_determinismE0ELb0ELb0ES3_PKS7_PS7_S7_ZZZN2at6native31launch_logcumsumexp_cuda_kernelERKNSE_10TensorBaseESI_lENKUlvE_clEvENKUlvE2_clEvEUlS7_S7_E_S7_EEDaPvRmT3_T4_T5_mT6_P12ihipStream_tbENKUlT_T0_E_clISt17integral_constantIbLb0EESZ_EEDaSU_SV_EUlSU_E0_NS1_11comp_targetILNS1_3genE10ELNS1_11target_archE1201ELNS1_3gpuE5ELNS1_3repE0EEENS1_30default_config_static_selectorELNS0_4arch9wavefront6targetE1EEEvT1_ ; -- Begin function _ZN7rocprim17ROCPRIM_400000_NS6detail17trampoline_kernelINS0_14default_configENS1_20scan_config_selectorIN3c107complexIfEEEEZZNS1_9scan_implILNS1_25lookback_scan_determinismE0ELb0ELb0ES3_PKS7_PS7_S7_ZZZN2at6native31launch_logcumsumexp_cuda_kernelERKNSE_10TensorBaseESI_lENKUlvE_clEvENKUlvE2_clEvEUlS7_S7_E_S7_EEDaPvRmT3_T4_T5_mT6_P12ihipStream_tbENKUlT_T0_E_clISt17integral_constantIbLb0EESZ_EEDaSU_SV_EUlSU_E0_NS1_11comp_targetILNS1_3genE10ELNS1_11target_archE1201ELNS1_3gpuE5ELNS1_3repE0EEENS1_30default_config_static_selectorELNS0_4arch9wavefront6targetE1EEEvT1_
	.p2align	8
	.type	_ZN7rocprim17ROCPRIM_400000_NS6detail17trampoline_kernelINS0_14default_configENS1_20scan_config_selectorIN3c107complexIfEEEEZZNS1_9scan_implILNS1_25lookback_scan_determinismE0ELb0ELb0ES3_PKS7_PS7_S7_ZZZN2at6native31launch_logcumsumexp_cuda_kernelERKNSE_10TensorBaseESI_lENKUlvE_clEvENKUlvE2_clEvEUlS7_S7_E_S7_EEDaPvRmT3_T4_T5_mT6_P12ihipStream_tbENKUlT_T0_E_clISt17integral_constantIbLb0EESZ_EEDaSU_SV_EUlSU_E0_NS1_11comp_targetILNS1_3genE10ELNS1_11target_archE1201ELNS1_3gpuE5ELNS1_3repE0EEENS1_30default_config_static_selectorELNS0_4arch9wavefront6targetE1EEEvT1_,@function
_ZN7rocprim17ROCPRIM_400000_NS6detail17trampoline_kernelINS0_14default_configENS1_20scan_config_selectorIN3c107complexIfEEEEZZNS1_9scan_implILNS1_25lookback_scan_determinismE0ELb0ELb0ES3_PKS7_PS7_S7_ZZZN2at6native31launch_logcumsumexp_cuda_kernelERKNSE_10TensorBaseESI_lENKUlvE_clEvENKUlvE2_clEvEUlS7_S7_E_S7_EEDaPvRmT3_T4_T5_mT6_P12ihipStream_tbENKUlT_T0_E_clISt17integral_constantIbLb0EESZ_EEDaSU_SV_EUlSU_E0_NS1_11comp_targetILNS1_3genE10ELNS1_11target_archE1201ELNS1_3gpuE5ELNS1_3repE0EEENS1_30default_config_static_selectorELNS0_4arch9wavefront6targetE1EEEvT1_: ; @_ZN7rocprim17ROCPRIM_400000_NS6detail17trampoline_kernelINS0_14default_configENS1_20scan_config_selectorIN3c107complexIfEEEEZZNS1_9scan_implILNS1_25lookback_scan_determinismE0ELb0ELb0ES3_PKS7_PS7_S7_ZZZN2at6native31launch_logcumsumexp_cuda_kernelERKNSE_10TensorBaseESI_lENKUlvE_clEvENKUlvE2_clEvEUlS7_S7_E_S7_EEDaPvRmT3_T4_T5_mT6_P12ihipStream_tbENKUlT_T0_E_clISt17integral_constantIbLb0EESZ_EEDaSU_SV_EUlSU_E0_NS1_11comp_targetILNS1_3genE10ELNS1_11target_archE1201ELNS1_3gpuE5ELNS1_3repE0EEENS1_30default_config_static_selectorELNS0_4arch9wavefront6targetE1EEEvT1_
; %bb.0:
	.section	.rodata,"a",@progbits
	.p2align	6, 0x0
	.amdhsa_kernel _ZN7rocprim17ROCPRIM_400000_NS6detail17trampoline_kernelINS0_14default_configENS1_20scan_config_selectorIN3c107complexIfEEEEZZNS1_9scan_implILNS1_25lookback_scan_determinismE0ELb0ELb0ES3_PKS7_PS7_S7_ZZZN2at6native31launch_logcumsumexp_cuda_kernelERKNSE_10TensorBaseESI_lENKUlvE_clEvENKUlvE2_clEvEUlS7_S7_E_S7_EEDaPvRmT3_T4_T5_mT6_P12ihipStream_tbENKUlT_T0_E_clISt17integral_constantIbLb0EESZ_EEDaSU_SV_EUlSU_E0_NS1_11comp_targetILNS1_3genE10ELNS1_11target_archE1201ELNS1_3gpuE5ELNS1_3repE0EEENS1_30default_config_static_selectorELNS0_4arch9wavefront6targetE1EEEvT1_
		.amdhsa_group_segment_fixed_size 0
		.amdhsa_private_segment_fixed_size 0
		.amdhsa_kernarg_size 40
		.amdhsa_user_sgpr_count 2
		.amdhsa_user_sgpr_dispatch_ptr 0
		.amdhsa_user_sgpr_queue_ptr 0
		.amdhsa_user_sgpr_kernarg_segment_ptr 1
		.amdhsa_user_sgpr_dispatch_id 0
		.amdhsa_user_sgpr_kernarg_preload_length 0
		.amdhsa_user_sgpr_kernarg_preload_offset 0
		.amdhsa_user_sgpr_private_segment_size 0
		.amdhsa_uses_dynamic_stack 0
		.amdhsa_enable_private_segment 0
		.amdhsa_system_sgpr_workgroup_id_x 1
		.amdhsa_system_sgpr_workgroup_id_y 0
		.amdhsa_system_sgpr_workgroup_id_z 0
		.amdhsa_system_sgpr_workgroup_info 0
		.amdhsa_system_vgpr_workitem_id 0
		.amdhsa_next_free_vgpr 1
		.amdhsa_next_free_sgpr 0
		.amdhsa_accum_offset 4
		.amdhsa_reserve_vcc 0
		.amdhsa_float_round_mode_32 0
		.amdhsa_float_round_mode_16_64 0
		.amdhsa_float_denorm_mode_32 3
		.amdhsa_float_denorm_mode_16_64 3
		.amdhsa_dx10_clamp 1
		.amdhsa_ieee_mode 1
		.amdhsa_fp16_overflow 0
		.amdhsa_tg_split 0
		.amdhsa_exception_fp_ieee_invalid_op 0
		.amdhsa_exception_fp_denorm_src 0
		.amdhsa_exception_fp_ieee_div_zero 0
		.amdhsa_exception_fp_ieee_overflow 0
		.amdhsa_exception_fp_ieee_underflow 0
		.amdhsa_exception_fp_ieee_inexact 0
		.amdhsa_exception_int_div_zero 0
	.end_amdhsa_kernel
	.section	.text._ZN7rocprim17ROCPRIM_400000_NS6detail17trampoline_kernelINS0_14default_configENS1_20scan_config_selectorIN3c107complexIfEEEEZZNS1_9scan_implILNS1_25lookback_scan_determinismE0ELb0ELb0ES3_PKS7_PS7_S7_ZZZN2at6native31launch_logcumsumexp_cuda_kernelERKNSE_10TensorBaseESI_lENKUlvE_clEvENKUlvE2_clEvEUlS7_S7_E_S7_EEDaPvRmT3_T4_T5_mT6_P12ihipStream_tbENKUlT_T0_E_clISt17integral_constantIbLb0EESZ_EEDaSU_SV_EUlSU_E0_NS1_11comp_targetILNS1_3genE10ELNS1_11target_archE1201ELNS1_3gpuE5ELNS1_3repE0EEENS1_30default_config_static_selectorELNS0_4arch9wavefront6targetE1EEEvT1_,"axG",@progbits,_ZN7rocprim17ROCPRIM_400000_NS6detail17trampoline_kernelINS0_14default_configENS1_20scan_config_selectorIN3c107complexIfEEEEZZNS1_9scan_implILNS1_25lookback_scan_determinismE0ELb0ELb0ES3_PKS7_PS7_S7_ZZZN2at6native31launch_logcumsumexp_cuda_kernelERKNSE_10TensorBaseESI_lENKUlvE_clEvENKUlvE2_clEvEUlS7_S7_E_S7_EEDaPvRmT3_T4_T5_mT6_P12ihipStream_tbENKUlT_T0_E_clISt17integral_constantIbLb0EESZ_EEDaSU_SV_EUlSU_E0_NS1_11comp_targetILNS1_3genE10ELNS1_11target_archE1201ELNS1_3gpuE5ELNS1_3repE0EEENS1_30default_config_static_selectorELNS0_4arch9wavefront6targetE1EEEvT1_,comdat
.Lfunc_end294:
	.size	_ZN7rocprim17ROCPRIM_400000_NS6detail17trampoline_kernelINS0_14default_configENS1_20scan_config_selectorIN3c107complexIfEEEEZZNS1_9scan_implILNS1_25lookback_scan_determinismE0ELb0ELb0ES3_PKS7_PS7_S7_ZZZN2at6native31launch_logcumsumexp_cuda_kernelERKNSE_10TensorBaseESI_lENKUlvE_clEvENKUlvE2_clEvEUlS7_S7_E_S7_EEDaPvRmT3_T4_T5_mT6_P12ihipStream_tbENKUlT_T0_E_clISt17integral_constantIbLb0EESZ_EEDaSU_SV_EUlSU_E0_NS1_11comp_targetILNS1_3genE10ELNS1_11target_archE1201ELNS1_3gpuE5ELNS1_3repE0EEENS1_30default_config_static_selectorELNS0_4arch9wavefront6targetE1EEEvT1_, .Lfunc_end294-_ZN7rocprim17ROCPRIM_400000_NS6detail17trampoline_kernelINS0_14default_configENS1_20scan_config_selectorIN3c107complexIfEEEEZZNS1_9scan_implILNS1_25lookback_scan_determinismE0ELb0ELb0ES3_PKS7_PS7_S7_ZZZN2at6native31launch_logcumsumexp_cuda_kernelERKNSE_10TensorBaseESI_lENKUlvE_clEvENKUlvE2_clEvEUlS7_S7_E_S7_EEDaPvRmT3_T4_T5_mT6_P12ihipStream_tbENKUlT_T0_E_clISt17integral_constantIbLb0EESZ_EEDaSU_SV_EUlSU_E0_NS1_11comp_targetILNS1_3genE10ELNS1_11target_archE1201ELNS1_3gpuE5ELNS1_3repE0EEENS1_30default_config_static_selectorELNS0_4arch9wavefront6targetE1EEEvT1_
                                        ; -- End function
	.section	.AMDGPU.csdata,"",@progbits
; Kernel info:
; codeLenInByte = 0
; NumSgprs: 6
; NumVgprs: 0
; NumAgprs: 0
; TotalNumVgprs: 0
; ScratchSize: 0
; MemoryBound: 0
; FloatMode: 240
; IeeeMode: 1
; LDSByteSize: 0 bytes/workgroup (compile time only)
; SGPRBlocks: 0
; VGPRBlocks: 0
; NumSGPRsForWavesPerEU: 6
; NumVGPRsForWavesPerEU: 1
; AccumOffset: 4
; Occupancy: 8
; WaveLimiterHint : 0
; COMPUTE_PGM_RSRC2:SCRATCH_EN: 0
; COMPUTE_PGM_RSRC2:USER_SGPR: 2
; COMPUTE_PGM_RSRC2:TRAP_HANDLER: 0
; COMPUTE_PGM_RSRC2:TGID_X_EN: 1
; COMPUTE_PGM_RSRC2:TGID_Y_EN: 0
; COMPUTE_PGM_RSRC2:TGID_Z_EN: 0
; COMPUTE_PGM_RSRC2:TIDIG_COMP_CNT: 0
; COMPUTE_PGM_RSRC3_GFX90A:ACCUM_OFFSET: 0
; COMPUTE_PGM_RSRC3_GFX90A:TG_SPLIT: 0
	.section	.text._ZN7rocprim17ROCPRIM_400000_NS6detail17trampoline_kernelINS0_14default_configENS1_20scan_config_selectorIN3c107complexIfEEEEZZNS1_9scan_implILNS1_25lookback_scan_determinismE0ELb0ELb0ES3_PKS7_PS7_S7_ZZZN2at6native31launch_logcumsumexp_cuda_kernelERKNSE_10TensorBaseESI_lENKUlvE_clEvENKUlvE2_clEvEUlS7_S7_E_S7_EEDaPvRmT3_T4_T5_mT6_P12ihipStream_tbENKUlT_T0_E_clISt17integral_constantIbLb0EESZ_EEDaSU_SV_EUlSU_E0_NS1_11comp_targetILNS1_3genE10ELNS1_11target_archE1200ELNS1_3gpuE4ELNS1_3repE0EEENS1_30default_config_static_selectorELNS0_4arch9wavefront6targetE1EEEvT1_,"axG",@progbits,_ZN7rocprim17ROCPRIM_400000_NS6detail17trampoline_kernelINS0_14default_configENS1_20scan_config_selectorIN3c107complexIfEEEEZZNS1_9scan_implILNS1_25lookback_scan_determinismE0ELb0ELb0ES3_PKS7_PS7_S7_ZZZN2at6native31launch_logcumsumexp_cuda_kernelERKNSE_10TensorBaseESI_lENKUlvE_clEvENKUlvE2_clEvEUlS7_S7_E_S7_EEDaPvRmT3_T4_T5_mT6_P12ihipStream_tbENKUlT_T0_E_clISt17integral_constantIbLb0EESZ_EEDaSU_SV_EUlSU_E0_NS1_11comp_targetILNS1_3genE10ELNS1_11target_archE1200ELNS1_3gpuE4ELNS1_3repE0EEENS1_30default_config_static_selectorELNS0_4arch9wavefront6targetE1EEEvT1_,comdat
	.globl	_ZN7rocprim17ROCPRIM_400000_NS6detail17trampoline_kernelINS0_14default_configENS1_20scan_config_selectorIN3c107complexIfEEEEZZNS1_9scan_implILNS1_25lookback_scan_determinismE0ELb0ELb0ES3_PKS7_PS7_S7_ZZZN2at6native31launch_logcumsumexp_cuda_kernelERKNSE_10TensorBaseESI_lENKUlvE_clEvENKUlvE2_clEvEUlS7_S7_E_S7_EEDaPvRmT3_T4_T5_mT6_P12ihipStream_tbENKUlT_T0_E_clISt17integral_constantIbLb0EESZ_EEDaSU_SV_EUlSU_E0_NS1_11comp_targetILNS1_3genE10ELNS1_11target_archE1200ELNS1_3gpuE4ELNS1_3repE0EEENS1_30default_config_static_selectorELNS0_4arch9wavefront6targetE1EEEvT1_ ; -- Begin function _ZN7rocprim17ROCPRIM_400000_NS6detail17trampoline_kernelINS0_14default_configENS1_20scan_config_selectorIN3c107complexIfEEEEZZNS1_9scan_implILNS1_25lookback_scan_determinismE0ELb0ELb0ES3_PKS7_PS7_S7_ZZZN2at6native31launch_logcumsumexp_cuda_kernelERKNSE_10TensorBaseESI_lENKUlvE_clEvENKUlvE2_clEvEUlS7_S7_E_S7_EEDaPvRmT3_T4_T5_mT6_P12ihipStream_tbENKUlT_T0_E_clISt17integral_constantIbLb0EESZ_EEDaSU_SV_EUlSU_E0_NS1_11comp_targetILNS1_3genE10ELNS1_11target_archE1200ELNS1_3gpuE4ELNS1_3repE0EEENS1_30default_config_static_selectorELNS0_4arch9wavefront6targetE1EEEvT1_
	.p2align	8
	.type	_ZN7rocprim17ROCPRIM_400000_NS6detail17trampoline_kernelINS0_14default_configENS1_20scan_config_selectorIN3c107complexIfEEEEZZNS1_9scan_implILNS1_25lookback_scan_determinismE0ELb0ELb0ES3_PKS7_PS7_S7_ZZZN2at6native31launch_logcumsumexp_cuda_kernelERKNSE_10TensorBaseESI_lENKUlvE_clEvENKUlvE2_clEvEUlS7_S7_E_S7_EEDaPvRmT3_T4_T5_mT6_P12ihipStream_tbENKUlT_T0_E_clISt17integral_constantIbLb0EESZ_EEDaSU_SV_EUlSU_E0_NS1_11comp_targetILNS1_3genE10ELNS1_11target_archE1200ELNS1_3gpuE4ELNS1_3repE0EEENS1_30default_config_static_selectorELNS0_4arch9wavefront6targetE1EEEvT1_,@function
_ZN7rocprim17ROCPRIM_400000_NS6detail17trampoline_kernelINS0_14default_configENS1_20scan_config_selectorIN3c107complexIfEEEEZZNS1_9scan_implILNS1_25lookback_scan_determinismE0ELb0ELb0ES3_PKS7_PS7_S7_ZZZN2at6native31launch_logcumsumexp_cuda_kernelERKNSE_10TensorBaseESI_lENKUlvE_clEvENKUlvE2_clEvEUlS7_S7_E_S7_EEDaPvRmT3_T4_T5_mT6_P12ihipStream_tbENKUlT_T0_E_clISt17integral_constantIbLb0EESZ_EEDaSU_SV_EUlSU_E0_NS1_11comp_targetILNS1_3genE10ELNS1_11target_archE1200ELNS1_3gpuE4ELNS1_3repE0EEENS1_30default_config_static_selectorELNS0_4arch9wavefront6targetE1EEEvT1_: ; @_ZN7rocprim17ROCPRIM_400000_NS6detail17trampoline_kernelINS0_14default_configENS1_20scan_config_selectorIN3c107complexIfEEEEZZNS1_9scan_implILNS1_25lookback_scan_determinismE0ELb0ELb0ES3_PKS7_PS7_S7_ZZZN2at6native31launch_logcumsumexp_cuda_kernelERKNSE_10TensorBaseESI_lENKUlvE_clEvENKUlvE2_clEvEUlS7_S7_E_S7_EEDaPvRmT3_T4_T5_mT6_P12ihipStream_tbENKUlT_T0_E_clISt17integral_constantIbLb0EESZ_EEDaSU_SV_EUlSU_E0_NS1_11comp_targetILNS1_3genE10ELNS1_11target_archE1200ELNS1_3gpuE4ELNS1_3repE0EEENS1_30default_config_static_selectorELNS0_4arch9wavefront6targetE1EEEvT1_
; %bb.0:
	.section	.rodata,"a",@progbits
	.p2align	6, 0x0
	.amdhsa_kernel _ZN7rocprim17ROCPRIM_400000_NS6detail17trampoline_kernelINS0_14default_configENS1_20scan_config_selectorIN3c107complexIfEEEEZZNS1_9scan_implILNS1_25lookback_scan_determinismE0ELb0ELb0ES3_PKS7_PS7_S7_ZZZN2at6native31launch_logcumsumexp_cuda_kernelERKNSE_10TensorBaseESI_lENKUlvE_clEvENKUlvE2_clEvEUlS7_S7_E_S7_EEDaPvRmT3_T4_T5_mT6_P12ihipStream_tbENKUlT_T0_E_clISt17integral_constantIbLb0EESZ_EEDaSU_SV_EUlSU_E0_NS1_11comp_targetILNS1_3genE10ELNS1_11target_archE1200ELNS1_3gpuE4ELNS1_3repE0EEENS1_30default_config_static_selectorELNS0_4arch9wavefront6targetE1EEEvT1_
		.amdhsa_group_segment_fixed_size 0
		.amdhsa_private_segment_fixed_size 0
		.amdhsa_kernarg_size 40
		.amdhsa_user_sgpr_count 2
		.amdhsa_user_sgpr_dispatch_ptr 0
		.amdhsa_user_sgpr_queue_ptr 0
		.amdhsa_user_sgpr_kernarg_segment_ptr 1
		.amdhsa_user_sgpr_dispatch_id 0
		.amdhsa_user_sgpr_kernarg_preload_length 0
		.amdhsa_user_sgpr_kernarg_preload_offset 0
		.amdhsa_user_sgpr_private_segment_size 0
		.amdhsa_uses_dynamic_stack 0
		.amdhsa_enable_private_segment 0
		.amdhsa_system_sgpr_workgroup_id_x 1
		.amdhsa_system_sgpr_workgroup_id_y 0
		.amdhsa_system_sgpr_workgroup_id_z 0
		.amdhsa_system_sgpr_workgroup_info 0
		.amdhsa_system_vgpr_workitem_id 0
		.amdhsa_next_free_vgpr 1
		.amdhsa_next_free_sgpr 0
		.amdhsa_accum_offset 4
		.amdhsa_reserve_vcc 0
		.amdhsa_float_round_mode_32 0
		.amdhsa_float_round_mode_16_64 0
		.amdhsa_float_denorm_mode_32 3
		.amdhsa_float_denorm_mode_16_64 3
		.amdhsa_dx10_clamp 1
		.amdhsa_ieee_mode 1
		.amdhsa_fp16_overflow 0
		.amdhsa_tg_split 0
		.amdhsa_exception_fp_ieee_invalid_op 0
		.amdhsa_exception_fp_denorm_src 0
		.amdhsa_exception_fp_ieee_div_zero 0
		.amdhsa_exception_fp_ieee_overflow 0
		.amdhsa_exception_fp_ieee_underflow 0
		.amdhsa_exception_fp_ieee_inexact 0
		.amdhsa_exception_int_div_zero 0
	.end_amdhsa_kernel
	.section	.text._ZN7rocprim17ROCPRIM_400000_NS6detail17trampoline_kernelINS0_14default_configENS1_20scan_config_selectorIN3c107complexIfEEEEZZNS1_9scan_implILNS1_25lookback_scan_determinismE0ELb0ELb0ES3_PKS7_PS7_S7_ZZZN2at6native31launch_logcumsumexp_cuda_kernelERKNSE_10TensorBaseESI_lENKUlvE_clEvENKUlvE2_clEvEUlS7_S7_E_S7_EEDaPvRmT3_T4_T5_mT6_P12ihipStream_tbENKUlT_T0_E_clISt17integral_constantIbLb0EESZ_EEDaSU_SV_EUlSU_E0_NS1_11comp_targetILNS1_3genE10ELNS1_11target_archE1200ELNS1_3gpuE4ELNS1_3repE0EEENS1_30default_config_static_selectorELNS0_4arch9wavefront6targetE1EEEvT1_,"axG",@progbits,_ZN7rocprim17ROCPRIM_400000_NS6detail17trampoline_kernelINS0_14default_configENS1_20scan_config_selectorIN3c107complexIfEEEEZZNS1_9scan_implILNS1_25lookback_scan_determinismE0ELb0ELb0ES3_PKS7_PS7_S7_ZZZN2at6native31launch_logcumsumexp_cuda_kernelERKNSE_10TensorBaseESI_lENKUlvE_clEvENKUlvE2_clEvEUlS7_S7_E_S7_EEDaPvRmT3_T4_T5_mT6_P12ihipStream_tbENKUlT_T0_E_clISt17integral_constantIbLb0EESZ_EEDaSU_SV_EUlSU_E0_NS1_11comp_targetILNS1_3genE10ELNS1_11target_archE1200ELNS1_3gpuE4ELNS1_3repE0EEENS1_30default_config_static_selectorELNS0_4arch9wavefront6targetE1EEEvT1_,comdat
.Lfunc_end295:
	.size	_ZN7rocprim17ROCPRIM_400000_NS6detail17trampoline_kernelINS0_14default_configENS1_20scan_config_selectorIN3c107complexIfEEEEZZNS1_9scan_implILNS1_25lookback_scan_determinismE0ELb0ELb0ES3_PKS7_PS7_S7_ZZZN2at6native31launch_logcumsumexp_cuda_kernelERKNSE_10TensorBaseESI_lENKUlvE_clEvENKUlvE2_clEvEUlS7_S7_E_S7_EEDaPvRmT3_T4_T5_mT6_P12ihipStream_tbENKUlT_T0_E_clISt17integral_constantIbLb0EESZ_EEDaSU_SV_EUlSU_E0_NS1_11comp_targetILNS1_3genE10ELNS1_11target_archE1200ELNS1_3gpuE4ELNS1_3repE0EEENS1_30default_config_static_selectorELNS0_4arch9wavefront6targetE1EEEvT1_, .Lfunc_end295-_ZN7rocprim17ROCPRIM_400000_NS6detail17trampoline_kernelINS0_14default_configENS1_20scan_config_selectorIN3c107complexIfEEEEZZNS1_9scan_implILNS1_25lookback_scan_determinismE0ELb0ELb0ES3_PKS7_PS7_S7_ZZZN2at6native31launch_logcumsumexp_cuda_kernelERKNSE_10TensorBaseESI_lENKUlvE_clEvENKUlvE2_clEvEUlS7_S7_E_S7_EEDaPvRmT3_T4_T5_mT6_P12ihipStream_tbENKUlT_T0_E_clISt17integral_constantIbLb0EESZ_EEDaSU_SV_EUlSU_E0_NS1_11comp_targetILNS1_3genE10ELNS1_11target_archE1200ELNS1_3gpuE4ELNS1_3repE0EEENS1_30default_config_static_selectorELNS0_4arch9wavefront6targetE1EEEvT1_
                                        ; -- End function
	.section	.AMDGPU.csdata,"",@progbits
; Kernel info:
; codeLenInByte = 0
; NumSgprs: 6
; NumVgprs: 0
; NumAgprs: 0
; TotalNumVgprs: 0
; ScratchSize: 0
; MemoryBound: 0
; FloatMode: 240
; IeeeMode: 1
; LDSByteSize: 0 bytes/workgroup (compile time only)
; SGPRBlocks: 0
; VGPRBlocks: 0
; NumSGPRsForWavesPerEU: 6
; NumVGPRsForWavesPerEU: 1
; AccumOffset: 4
; Occupancy: 8
; WaveLimiterHint : 0
; COMPUTE_PGM_RSRC2:SCRATCH_EN: 0
; COMPUTE_PGM_RSRC2:USER_SGPR: 2
; COMPUTE_PGM_RSRC2:TRAP_HANDLER: 0
; COMPUTE_PGM_RSRC2:TGID_X_EN: 1
; COMPUTE_PGM_RSRC2:TGID_Y_EN: 0
; COMPUTE_PGM_RSRC2:TGID_Z_EN: 0
; COMPUTE_PGM_RSRC2:TIDIG_COMP_CNT: 0
; COMPUTE_PGM_RSRC3_GFX90A:ACCUM_OFFSET: 0
; COMPUTE_PGM_RSRC3_GFX90A:TG_SPLIT: 0
	.section	.text._ZN7rocprim17ROCPRIM_400000_NS6detail17trampoline_kernelINS0_14default_configENS1_20scan_config_selectorIN3c107complexIfEEEEZZNS1_9scan_implILNS1_25lookback_scan_determinismE0ELb0ELb0ES3_PKS7_PS7_S7_ZZZN2at6native31launch_logcumsumexp_cuda_kernelERKNSE_10TensorBaseESI_lENKUlvE_clEvENKUlvE2_clEvEUlS7_S7_E_S7_EEDaPvRmT3_T4_T5_mT6_P12ihipStream_tbENKUlT_T0_E_clISt17integral_constantIbLb0EESZ_EEDaSU_SV_EUlSU_E0_NS1_11comp_targetILNS1_3genE9ELNS1_11target_archE1100ELNS1_3gpuE3ELNS1_3repE0EEENS1_30default_config_static_selectorELNS0_4arch9wavefront6targetE1EEEvT1_,"axG",@progbits,_ZN7rocprim17ROCPRIM_400000_NS6detail17trampoline_kernelINS0_14default_configENS1_20scan_config_selectorIN3c107complexIfEEEEZZNS1_9scan_implILNS1_25lookback_scan_determinismE0ELb0ELb0ES3_PKS7_PS7_S7_ZZZN2at6native31launch_logcumsumexp_cuda_kernelERKNSE_10TensorBaseESI_lENKUlvE_clEvENKUlvE2_clEvEUlS7_S7_E_S7_EEDaPvRmT3_T4_T5_mT6_P12ihipStream_tbENKUlT_T0_E_clISt17integral_constantIbLb0EESZ_EEDaSU_SV_EUlSU_E0_NS1_11comp_targetILNS1_3genE9ELNS1_11target_archE1100ELNS1_3gpuE3ELNS1_3repE0EEENS1_30default_config_static_selectorELNS0_4arch9wavefront6targetE1EEEvT1_,comdat
	.globl	_ZN7rocprim17ROCPRIM_400000_NS6detail17trampoline_kernelINS0_14default_configENS1_20scan_config_selectorIN3c107complexIfEEEEZZNS1_9scan_implILNS1_25lookback_scan_determinismE0ELb0ELb0ES3_PKS7_PS7_S7_ZZZN2at6native31launch_logcumsumexp_cuda_kernelERKNSE_10TensorBaseESI_lENKUlvE_clEvENKUlvE2_clEvEUlS7_S7_E_S7_EEDaPvRmT3_T4_T5_mT6_P12ihipStream_tbENKUlT_T0_E_clISt17integral_constantIbLb0EESZ_EEDaSU_SV_EUlSU_E0_NS1_11comp_targetILNS1_3genE9ELNS1_11target_archE1100ELNS1_3gpuE3ELNS1_3repE0EEENS1_30default_config_static_selectorELNS0_4arch9wavefront6targetE1EEEvT1_ ; -- Begin function _ZN7rocprim17ROCPRIM_400000_NS6detail17trampoline_kernelINS0_14default_configENS1_20scan_config_selectorIN3c107complexIfEEEEZZNS1_9scan_implILNS1_25lookback_scan_determinismE0ELb0ELb0ES3_PKS7_PS7_S7_ZZZN2at6native31launch_logcumsumexp_cuda_kernelERKNSE_10TensorBaseESI_lENKUlvE_clEvENKUlvE2_clEvEUlS7_S7_E_S7_EEDaPvRmT3_T4_T5_mT6_P12ihipStream_tbENKUlT_T0_E_clISt17integral_constantIbLb0EESZ_EEDaSU_SV_EUlSU_E0_NS1_11comp_targetILNS1_3genE9ELNS1_11target_archE1100ELNS1_3gpuE3ELNS1_3repE0EEENS1_30default_config_static_selectorELNS0_4arch9wavefront6targetE1EEEvT1_
	.p2align	8
	.type	_ZN7rocprim17ROCPRIM_400000_NS6detail17trampoline_kernelINS0_14default_configENS1_20scan_config_selectorIN3c107complexIfEEEEZZNS1_9scan_implILNS1_25lookback_scan_determinismE0ELb0ELb0ES3_PKS7_PS7_S7_ZZZN2at6native31launch_logcumsumexp_cuda_kernelERKNSE_10TensorBaseESI_lENKUlvE_clEvENKUlvE2_clEvEUlS7_S7_E_S7_EEDaPvRmT3_T4_T5_mT6_P12ihipStream_tbENKUlT_T0_E_clISt17integral_constantIbLb0EESZ_EEDaSU_SV_EUlSU_E0_NS1_11comp_targetILNS1_3genE9ELNS1_11target_archE1100ELNS1_3gpuE3ELNS1_3repE0EEENS1_30default_config_static_selectorELNS0_4arch9wavefront6targetE1EEEvT1_,@function
_ZN7rocprim17ROCPRIM_400000_NS6detail17trampoline_kernelINS0_14default_configENS1_20scan_config_selectorIN3c107complexIfEEEEZZNS1_9scan_implILNS1_25lookback_scan_determinismE0ELb0ELb0ES3_PKS7_PS7_S7_ZZZN2at6native31launch_logcumsumexp_cuda_kernelERKNSE_10TensorBaseESI_lENKUlvE_clEvENKUlvE2_clEvEUlS7_S7_E_S7_EEDaPvRmT3_T4_T5_mT6_P12ihipStream_tbENKUlT_T0_E_clISt17integral_constantIbLb0EESZ_EEDaSU_SV_EUlSU_E0_NS1_11comp_targetILNS1_3genE9ELNS1_11target_archE1100ELNS1_3gpuE3ELNS1_3repE0EEENS1_30default_config_static_selectorELNS0_4arch9wavefront6targetE1EEEvT1_: ; @_ZN7rocprim17ROCPRIM_400000_NS6detail17trampoline_kernelINS0_14default_configENS1_20scan_config_selectorIN3c107complexIfEEEEZZNS1_9scan_implILNS1_25lookback_scan_determinismE0ELb0ELb0ES3_PKS7_PS7_S7_ZZZN2at6native31launch_logcumsumexp_cuda_kernelERKNSE_10TensorBaseESI_lENKUlvE_clEvENKUlvE2_clEvEUlS7_S7_E_S7_EEDaPvRmT3_T4_T5_mT6_P12ihipStream_tbENKUlT_T0_E_clISt17integral_constantIbLb0EESZ_EEDaSU_SV_EUlSU_E0_NS1_11comp_targetILNS1_3genE9ELNS1_11target_archE1100ELNS1_3gpuE3ELNS1_3repE0EEENS1_30default_config_static_selectorELNS0_4arch9wavefront6targetE1EEEvT1_
; %bb.0:
	.section	.rodata,"a",@progbits
	.p2align	6, 0x0
	.amdhsa_kernel _ZN7rocprim17ROCPRIM_400000_NS6detail17trampoline_kernelINS0_14default_configENS1_20scan_config_selectorIN3c107complexIfEEEEZZNS1_9scan_implILNS1_25lookback_scan_determinismE0ELb0ELb0ES3_PKS7_PS7_S7_ZZZN2at6native31launch_logcumsumexp_cuda_kernelERKNSE_10TensorBaseESI_lENKUlvE_clEvENKUlvE2_clEvEUlS7_S7_E_S7_EEDaPvRmT3_T4_T5_mT6_P12ihipStream_tbENKUlT_T0_E_clISt17integral_constantIbLb0EESZ_EEDaSU_SV_EUlSU_E0_NS1_11comp_targetILNS1_3genE9ELNS1_11target_archE1100ELNS1_3gpuE3ELNS1_3repE0EEENS1_30default_config_static_selectorELNS0_4arch9wavefront6targetE1EEEvT1_
		.amdhsa_group_segment_fixed_size 0
		.amdhsa_private_segment_fixed_size 0
		.amdhsa_kernarg_size 40
		.amdhsa_user_sgpr_count 2
		.amdhsa_user_sgpr_dispatch_ptr 0
		.amdhsa_user_sgpr_queue_ptr 0
		.amdhsa_user_sgpr_kernarg_segment_ptr 1
		.amdhsa_user_sgpr_dispatch_id 0
		.amdhsa_user_sgpr_kernarg_preload_length 0
		.amdhsa_user_sgpr_kernarg_preload_offset 0
		.amdhsa_user_sgpr_private_segment_size 0
		.amdhsa_uses_dynamic_stack 0
		.amdhsa_enable_private_segment 0
		.amdhsa_system_sgpr_workgroup_id_x 1
		.amdhsa_system_sgpr_workgroup_id_y 0
		.amdhsa_system_sgpr_workgroup_id_z 0
		.amdhsa_system_sgpr_workgroup_info 0
		.amdhsa_system_vgpr_workitem_id 0
		.amdhsa_next_free_vgpr 1
		.amdhsa_next_free_sgpr 0
		.amdhsa_accum_offset 4
		.amdhsa_reserve_vcc 0
		.amdhsa_float_round_mode_32 0
		.amdhsa_float_round_mode_16_64 0
		.amdhsa_float_denorm_mode_32 3
		.amdhsa_float_denorm_mode_16_64 3
		.amdhsa_dx10_clamp 1
		.amdhsa_ieee_mode 1
		.amdhsa_fp16_overflow 0
		.amdhsa_tg_split 0
		.amdhsa_exception_fp_ieee_invalid_op 0
		.amdhsa_exception_fp_denorm_src 0
		.amdhsa_exception_fp_ieee_div_zero 0
		.amdhsa_exception_fp_ieee_overflow 0
		.amdhsa_exception_fp_ieee_underflow 0
		.amdhsa_exception_fp_ieee_inexact 0
		.amdhsa_exception_int_div_zero 0
	.end_amdhsa_kernel
	.section	.text._ZN7rocprim17ROCPRIM_400000_NS6detail17trampoline_kernelINS0_14default_configENS1_20scan_config_selectorIN3c107complexIfEEEEZZNS1_9scan_implILNS1_25lookback_scan_determinismE0ELb0ELb0ES3_PKS7_PS7_S7_ZZZN2at6native31launch_logcumsumexp_cuda_kernelERKNSE_10TensorBaseESI_lENKUlvE_clEvENKUlvE2_clEvEUlS7_S7_E_S7_EEDaPvRmT3_T4_T5_mT6_P12ihipStream_tbENKUlT_T0_E_clISt17integral_constantIbLb0EESZ_EEDaSU_SV_EUlSU_E0_NS1_11comp_targetILNS1_3genE9ELNS1_11target_archE1100ELNS1_3gpuE3ELNS1_3repE0EEENS1_30default_config_static_selectorELNS0_4arch9wavefront6targetE1EEEvT1_,"axG",@progbits,_ZN7rocprim17ROCPRIM_400000_NS6detail17trampoline_kernelINS0_14default_configENS1_20scan_config_selectorIN3c107complexIfEEEEZZNS1_9scan_implILNS1_25lookback_scan_determinismE0ELb0ELb0ES3_PKS7_PS7_S7_ZZZN2at6native31launch_logcumsumexp_cuda_kernelERKNSE_10TensorBaseESI_lENKUlvE_clEvENKUlvE2_clEvEUlS7_S7_E_S7_EEDaPvRmT3_T4_T5_mT6_P12ihipStream_tbENKUlT_T0_E_clISt17integral_constantIbLb0EESZ_EEDaSU_SV_EUlSU_E0_NS1_11comp_targetILNS1_3genE9ELNS1_11target_archE1100ELNS1_3gpuE3ELNS1_3repE0EEENS1_30default_config_static_selectorELNS0_4arch9wavefront6targetE1EEEvT1_,comdat
.Lfunc_end296:
	.size	_ZN7rocprim17ROCPRIM_400000_NS6detail17trampoline_kernelINS0_14default_configENS1_20scan_config_selectorIN3c107complexIfEEEEZZNS1_9scan_implILNS1_25lookback_scan_determinismE0ELb0ELb0ES3_PKS7_PS7_S7_ZZZN2at6native31launch_logcumsumexp_cuda_kernelERKNSE_10TensorBaseESI_lENKUlvE_clEvENKUlvE2_clEvEUlS7_S7_E_S7_EEDaPvRmT3_T4_T5_mT6_P12ihipStream_tbENKUlT_T0_E_clISt17integral_constantIbLb0EESZ_EEDaSU_SV_EUlSU_E0_NS1_11comp_targetILNS1_3genE9ELNS1_11target_archE1100ELNS1_3gpuE3ELNS1_3repE0EEENS1_30default_config_static_selectorELNS0_4arch9wavefront6targetE1EEEvT1_, .Lfunc_end296-_ZN7rocprim17ROCPRIM_400000_NS6detail17trampoline_kernelINS0_14default_configENS1_20scan_config_selectorIN3c107complexIfEEEEZZNS1_9scan_implILNS1_25lookback_scan_determinismE0ELb0ELb0ES3_PKS7_PS7_S7_ZZZN2at6native31launch_logcumsumexp_cuda_kernelERKNSE_10TensorBaseESI_lENKUlvE_clEvENKUlvE2_clEvEUlS7_S7_E_S7_EEDaPvRmT3_T4_T5_mT6_P12ihipStream_tbENKUlT_T0_E_clISt17integral_constantIbLb0EESZ_EEDaSU_SV_EUlSU_E0_NS1_11comp_targetILNS1_3genE9ELNS1_11target_archE1100ELNS1_3gpuE3ELNS1_3repE0EEENS1_30default_config_static_selectorELNS0_4arch9wavefront6targetE1EEEvT1_
                                        ; -- End function
	.section	.AMDGPU.csdata,"",@progbits
; Kernel info:
; codeLenInByte = 0
; NumSgprs: 6
; NumVgprs: 0
; NumAgprs: 0
; TotalNumVgprs: 0
; ScratchSize: 0
; MemoryBound: 0
; FloatMode: 240
; IeeeMode: 1
; LDSByteSize: 0 bytes/workgroup (compile time only)
; SGPRBlocks: 0
; VGPRBlocks: 0
; NumSGPRsForWavesPerEU: 6
; NumVGPRsForWavesPerEU: 1
; AccumOffset: 4
; Occupancy: 8
; WaveLimiterHint : 0
; COMPUTE_PGM_RSRC2:SCRATCH_EN: 0
; COMPUTE_PGM_RSRC2:USER_SGPR: 2
; COMPUTE_PGM_RSRC2:TRAP_HANDLER: 0
; COMPUTE_PGM_RSRC2:TGID_X_EN: 1
; COMPUTE_PGM_RSRC2:TGID_Y_EN: 0
; COMPUTE_PGM_RSRC2:TGID_Z_EN: 0
; COMPUTE_PGM_RSRC2:TIDIG_COMP_CNT: 0
; COMPUTE_PGM_RSRC3_GFX90A:ACCUM_OFFSET: 0
; COMPUTE_PGM_RSRC3_GFX90A:TG_SPLIT: 0
	.section	.text._ZN7rocprim17ROCPRIM_400000_NS6detail17trampoline_kernelINS0_14default_configENS1_20scan_config_selectorIN3c107complexIfEEEEZZNS1_9scan_implILNS1_25lookback_scan_determinismE0ELb0ELb0ES3_PKS7_PS7_S7_ZZZN2at6native31launch_logcumsumexp_cuda_kernelERKNSE_10TensorBaseESI_lENKUlvE_clEvENKUlvE2_clEvEUlS7_S7_E_S7_EEDaPvRmT3_T4_T5_mT6_P12ihipStream_tbENKUlT_T0_E_clISt17integral_constantIbLb0EESZ_EEDaSU_SV_EUlSU_E0_NS1_11comp_targetILNS1_3genE8ELNS1_11target_archE1030ELNS1_3gpuE2ELNS1_3repE0EEENS1_30default_config_static_selectorELNS0_4arch9wavefront6targetE1EEEvT1_,"axG",@progbits,_ZN7rocprim17ROCPRIM_400000_NS6detail17trampoline_kernelINS0_14default_configENS1_20scan_config_selectorIN3c107complexIfEEEEZZNS1_9scan_implILNS1_25lookback_scan_determinismE0ELb0ELb0ES3_PKS7_PS7_S7_ZZZN2at6native31launch_logcumsumexp_cuda_kernelERKNSE_10TensorBaseESI_lENKUlvE_clEvENKUlvE2_clEvEUlS7_S7_E_S7_EEDaPvRmT3_T4_T5_mT6_P12ihipStream_tbENKUlT_T0_E_clISt17integral_constantIbLb0EESZ_EEDaSU_SV_EUlSU_E0_NS1_11comp_targetILNS1_3genE8ELNS1_11target_archE1030ELNS1_3gpuE2ELNS1_3repE0EEENS1_30default_config_static_selectorELNS0_4arch9wavefront6targetE1EEEvT1_,comdat
	.globl	_ZN7rocprim17ROCPRIM_400000_NS6detail17trampoline_kernelINS0_14default_configENS1_20scan_config_selectorIN3c107complexIfEEEEZZNS1_9scan_implILNS1_25lookback_scan_determinismE0ELb0ELb0ES3_PKS7_PS7_S7_ZZZN2at6native31launch_logcumsumexp_cuda_kernelERKNSE_10TensorBaseESI_lENKUlvE_clEvENKUlvE2_clEvEUlS7_S7_E_S7_EEDaPvRmT3_T4_T5_mT6_P12ihipStream_tbENKUlT_T0_E_clISt17integral_constantIbLb0EESZ_EEDaSU_SV_EUlSU_E0_NS1_11comp_targetILNS1_3genE8ELNS1_11target_archE1030ELNS1_3gpuE2ELNS1_3repE0EEENS1_30default_config_static_selectorELNS0_4arch9wavefront6targetE1EEEvT1_ ; -- Begin function _ZN7rocprim17ROCPRIM_400000_NS6detail17trampoline_kernelINS0_14default_configENS1_20scan_config_selectorIN3c107complexIfEEEEZZNS1_9scan_implILNS1_25lookback_scan_determinismE0ELb0ELb0ES3_PKS7_PS7_S7_ZZZN2at6native31launch_logcumsumexp_cuda_kernelERKNSE_10TensorBaseESI_lENKUlvE_clEvENKUlvE2_clEvEUlS7_S7_E_S7_EEDaPvRmT3_T4_T5_mT6_P12ihipStream_tbENKUlT_T0_E_clISt17integral_constantIbLb0EESZ_EEDaSU_SV_EUlSU_E0_NS1_11comp_targetILNS1_3genE8ELNS1_11target_archE1030ELNS1_3gpuE2ELNS1_3repE0EEENS1_30default_config_static_selectorELNS0_4arch9wavefront6targetE1EEEvT1_
	.p2align	8
	.type	_ZN7rocprim17ROCPRIM_400000_NS6detail17trampoline_kernelINS0_14default_configENS1_20scan_config_selectorIN3c107complexIfEEEEZZNS1_9scan_implILNS1_25lookback_scan_determinismE0ELb0ELb0ES3_PKS7_PS7_S7_ZZZN2at6native31launch_logcumsumexp_cuda_kernelERKNSE_10TensorBaseESI_lENKUlvE_clEvENKUlvE2_clEvEUlS7_S7_E_S7_EEDaPvRmT3_T4_T5_mT6_P12ihipStream_tbENKUlT_T0_E_clISt17integral_constantIbLb0EESZ_EEDaSU_SV_EUlSU_E0_NS1_11comp_targetILNS1_3genE8ELNS1_11target_archE1030ELNS1_3gpuE2ELNS1_3repE0EEENS1_30default_config_static_selectorELNS0_4arch9wavefront6targetE1EEEvT1_,@function
_ZN7rocprim17ROCPRIM_400000_NS6detail17trampoline_kernelINS0_14default_configENS1_20scan_config_selectorIN3c107complexIfEEEEZZNS1_9scan_implILNS1_25lookback_scan_determinismE0ELb0ELb0ES3_PKS7_PS7_S7_ZZZN2at6native31launch_logcumsumexp_cuda_kernelERKNSE_10TensorBaseESI_lENKUlvE_clEvENKUlvE2_clEvEUlS7_S7_E_S7_EEDaPvRmT3_T4_T5_mT6_P12ihipStream_tbENKUlT_T0_E_clISt17integral_constantIbLb0EESZ_EEDaSU_SV_EUlSU_E0_NS1_11comp_targetILNS1_3genE8ELNS1_11target_archE1030ELNS1_3gpuE2ELNS1_3repE0EEENS1_30default_config_static_selectorELNS0_4arch9wavefront6targetE1EEEvT1_: ; @_ZN7rocprim17ROCPRIM_400000_NS6detail17trampoline_kernelINS0_14default_configENS1_20scan_config_selectorIN3c107complexIfEEEEZZNS1_9scan_implILNS1_25lookback_scan_determinismE0ELb0ELb0ES3_PKS7_PS7_S7_ZZZN2at6native31launch_logcumsumexp_cuda_kernelERKNSE_10TensorBaseESI_lENKUlvE_clEvENKUlvE2_clEvEUlS7_S7_E_S7_EEDaPvRmT3_T4_T5_mT6_P12ihipStream_tbENKUlT_T0_E_clISt17integral_constantIbLb0EESZ_EEDaSU_SV_EUlSU_E0_NS1_11comp_targetILNS1_3genE8ELNS1_11target_archE1030ELNS1_3gpuE2ELNS1_3repE0EEENS1_30default_config_static_selectorELNS0_4arch9wavefront6targetE1EEEvT1_
; %bb.0:
	.section	.rodata,"a",@progbits
	.p2align	6, 0x0
	.amdhsa_kernel _ZN7rocprim17ROCPRIM_400000_NS6detail17trampoline_kernelINS0_14default_configENS1_20scan_config_selectorIN3c107complexIfEEEEZZNS1_9scan_implILNS1_25lookback_scan_determinismE0ELb0ELb0ES3_PKS7_PS7_S7_ZZZN2at6native31launch_logcumsumexp_cuda_kernelERKNSE_10TensorBaseESI_lENKUlvE_clEvENKUlvE2_clEvEUlS7_S7_E_S7_EEDaPvRmT3_T4_T5_mT6_P12ihipStream_tbENKUlT_T0_E_clISt17integral_constantIbLb0EESZ_EEDaSU_SV_EUlSU_E0_NS1_11comp_targetILNS1_3genE8ELNS1_11target_archE1030ELNS1_3gpuE2ELNS1_3repE0EEENS1_30default_config_static_selectorELNS0_4arch9wavefront6targetE1EEEvT1_
		.amdhsa_group_segment_fixed_size 0
		.amdhsa_private_segment_fixed_size 0
		.amdhsa_kernarg_size 40
		.amdhsa_user_sgpr_count 2
		.amdhsa_user_sgpr_dispatch_ptr 0
		.amdhsa_user_sgpr_queue_ptr 0
		.amdhsa_user_sgpr_kernarg_segment_ptr 1
		.amdhsa_user_sgpr_dispatch_id 0
		.amdhsa_user_sgpr_kernarg_preload_length 0
		.amdhsa_user_sgpr_kernarg_preload_offset 0
		.amdhsa_user_sgpr_private_segment_size 0
		.amdhsa_uses_dynamic_stack 0
		.amdhsa_enable_private_segment 0
		.amdhsa_system_sgpr_workgroup_id_x 1
		.amdhsa_system_sgpr_workgroup_id_y 0
		.amdhsa_system_sgpr_workgroup_id_z 0
		.amdhsa_system_sgpr_workgroup_info 0
		.amdhsa_system_vgpr_workitem_id 0
		.amdhsa_next_free_vgpr 1
		.amdhsa_next_free_sgpr 0
		.amdhsa_accum_offset 4
		.amdhsa_reserve_vcc 0
		.amdhsa_float_round_mode_32 0
		.amdhsa_float_round_mode_16_64 0
		.amdhsa_float_denorm_mode_32 3
		.amdhsa_float_denorm_mode_16_64 3
		.amdhsa_dx10_clamp 1
		.amdhsa_ieee_mode 1
		.amdhsa_fp16_overflow 0
		.amdhsa_tg_split 0
		.amdhsa_exception_fp_ieee_invalid_op 0
		.amdhsa_exception_fp_denorm_src 0
		.amdhsa_exception_fp_ieee_div_zero 0
		.amdhsa_exception_fp_ieee_overflow 0
		.amdhsa_exception_fp_ieee_underflow 0
		.amdhsa_exception_fp_ieee_inexact 0
		.amdhsa_exception_int_div_zero 0
	.end_amdhsa_kernel
	.section	.text._ZN7rocprim17ROCPRIM_400000_NS6detail17trampoline_kernelINS0_14default_configENS1_20scan_config_selectorIN3c107complexIfEEEEZZNS1_9scan_implILNS1_25lookback_scan_determinismE0ELb0ELb0ES3_PKS7_PS7_S7_ZZZN2at6native31launch_logcumsumexp_cuda_kernelERKNSE_10TensorBaseESI_lENKUlvE_clEvENKUlvE2_clEvEUlS7_S7_E_S7_EEDaPvRmT3_T4_T5_mT6_P12ihipStream_tbENKUlT_T0_E_clISt17integral_constantIbLb0EESZ_EEDaSU_SV_EUlSU_E0_NS1_11comp_targetILNS1_3genE8ELNS1_11target_archE1030ELNS1_3gpuE2ELNS1_3repE0EEENS1_30default_config_static_selectorELNS0_4arch9wavefront6targetE1EEEvT1_,"axG",@progbits,_ZN7rocprim17ROCPRIM_400000_NS6detail17trampoline_kernelINS0_14default_configENS1_20scan_config_selectorIN3c107complexIfEEEEZZNS1_9scan_implILNS1_25lookback_scan_determinismE0ELb0ELb0ES3_PKS7_PS7_S7_ZZZN2at6native31launch_logcumsumexp_cuda_kernelERKNSE_10TensorBaseESI_lENKUlvE_clEvENKUlvE2_clEvEUlS7_S7_E_S7_EEDaPvRmT3_T4_T5_mT6_P12ihipStream_tbENKUlT_T0_E_clISt17integral_constantIbLb0EESZ_EEDaSU_SV_EUlSU_E0_NS1_11comp_targetILNS1_3genE8ELNS1_11target_archE1030ELNS1_3gpuE2ELNS1_3repE0EEENS1_30default_config_static_selectorELNS0_4arch9wavefront6targetE1EEEvT1_,comdat
.Lfunc_end297:
	.size	_ZN7rocprim17ROCPRIM_400000_NS6detail17trampoline_kernelINS0_14default_configENS1_20scan_config_selectorIN3c107complexIfEEEEZZNS1_9scan_implILNS1_25lookback_scan_determinismE0ELb0ELb0ES3_PKS7_PS7_S7_ZZZN2at6native31launch_logcumsumexp_cuda_kernelERKNSE_10TensorBaseESI_lENKUlvE_clEvENKUlvE2_clEvEUlS7_S7_E_S7_EEDaPvRmT3_T4_T5_mT6_P12ihipStream_tbENKUlT_T0_E_clISt17integral_constantIbLb0EESZ_EEDaSU_SV_EUlSU_E0_NS1_11comp_targetILNS1_3genE8ELNS1_11target_archE1030ELNS1_3gpuE2ELNS1_3repE0EEENS1_30default_config_static_selectorELNS0_4arch9wavefront6targetE1EEEvT1_, .Lfunc_end297-_ZN7rocprim17ROCPRIM_400000_NS6detail17trampoline_kernelINS0_14default_configENS1_20scan_config_selectorIN3c107complexIfEEEEZZNS1_9scan_implILNS1_25lookback_scan_determinismE0ELb0ELb0ES3_PKS7_PS7_S7_ZZZN2at6native31launch_logcumsumexp_cuda_kernelERKNSE_10TensorBaseESI_lENKUlvE_clEvENKUlvE2_clEvEUlS7_S7_E_S7_EEDaPvRmT3_T4_T5_mT6_P12ihipStream_tbENKUlT_T0_E_clISt17integral_constantIbLb0EESZ_EEDaSU_SV_EUlSU_E0_NS1_11comp_targetILNS1_3genE8ELNS1_11target_archE1030ELNS1_3gpuE2ELNS1_3repE0EEENS1_30default_config_static_selectorELNS0_4arch9wavefront6targetE1EEEvT1_
                                        ; -- End function
	.section	.AMDGPU.csdata,"",@progbits
; Kernel info:
; codeLenInByte = 0
; NumSgprs: 6
; NumVgprs: 0
; NumAgprs: 0
; TotalNumVgprs: 0
; ScratchSize: 0
; MemoryBound: 0
; FloatMode: 240
; IeeeMode: 1
; LDSByteSize: 0 bytes/workgroup (compile time only)
; SGPRBlocks: 0
; VGPRBlocks: 0
; NumSGPRsForWavesPerEU: 6
; NumVGPRsForWavesPerEU: 1
; AccumOffset: 4
; Occupancy: 8
; WaveLimiterHint : 0
; COMPUTE_PGM_RSRC2:SCRATCH_EN: 0
; COMPUTE_PGM_RSRC2:USER_SGPR: 2
; COMPUTE_PGM_RSRC2:TRAP_HANDLER: 0
; COMPUTE_PGM_RSRC2:TGID_X_EN: 1
; COMPUTE_PGM_RSRC2:TGID_Y_EN: 0
; COMPUTE_PGM_RSRC2:TGID_Z_EN: 0
; COMPUTE_PGM_RSRC2:TIDIG_COMP_CNT: 0
; COMPUTE_PGM_RSRC3_GFX90A:ACCUM_OFFSET: 0
; COMPUTE_PGM_RSRC3_GFX90A:TG_SPLIT: 0
	.section	.text._ZN7rocprim17ROCPRIM_400000_NS6detail31init_lookback_scan_state_kernelINS1_19lookback_scan_stateIN3c107complexIfEELb1ELb1EEENS1_16block_id_wrapperIjLb1EEEEEvT_jT0_jPNSA_10value_typeE,"axG",@progbits,_ZN7rocprim17ROCPRIM_400000_NS6detail31init_lookback_scan_state_kernelINS1_19lookback_scan_stateIN3c107complexIfEELb1ELb1EEENS1_16block_id_wrapperIjLb1EEEEEvT_jT0_jPNSA_10value_typeE,comdat
	.protected	_ZN7rocprim17ROCPRIM_400000_NS6detail31init_lookback_scan_state_kernelINS1_19lookback_scan_stateIN3c107complexIfEELb1ELb1EEENS1_16block_id_wrapperIjLb1EEEEEvT_jT0_jPNSA_10value_typeE ; -- Begin function _ZN7rocprim17ROCPRIM_400000_NS6detail31init_lookback_scan_state_kernelINS1_19lookback_scan_stateIN3c107complexIfEELb1ELb1EEENS1_16block_id_wrapperIjLb1EEEEEvT_jT0_jPNSA_10value_typeE
	.globl	_ZN7rocprim17ROCPRIM_400000_NS6detail31init_lookback_scan_state_kernelINS1_19lookback_scan_stateIN3c107complexIfEELb1ELb1EEENS1_16block_id_wrapperIjLb1EEEEEvT_jT0_jPNSA_10value_typeE
	.p2align	8
	.type	_ZN7rocprim17ROCPRIM_400000_NS6detail31init_lookback_scan_state_kernelINS1_19lookback_scan_stateIN3c107complexIfEELb1ELb1EEENS1_16block_id_wrapperIjLb1EEEEEvT_jT0_jPNSA_10value_typeE,@function
_ZN7rocprim17ROCPRIM_400000_NS6detail31init_lookback_scan_state_kernelINS1_19lookback_scan_stateIN3c107complexIfEELb1ELb1EEENS1_16block_id_wrapperIjLb1EEEEEvT_jT0_jPNSA_10value_typeE: ; @_ZN7rocprim17ROCPRIM_400000_NS6detail31init_lookback_scan_state_kernelINS1_19lookback_scan_stateIN3c107complexIfEELb1ELb1EEENS1_16block_id_wrapperIjLb1EEEEEvT_jT0_jPNSA_10value_typeE
; %bb.0:
	s_load_dword s3, s[0:1], 0x34
	s_load_dwordx2 s[6:7], s[0:1], 0x20
	s_load_dwordx2 s[4:5], s[0:1], 0x0
	s_load_dword s14, s[0:1], 0x8
	s_waitcnt lgkmcnt(0)
	s_and_b32 s3, s3, 0xffff
	s_mul_i32 s2, s2, s3
	s_cmp_eq_u64 s[6:7], 0
	v_add_u32_e32 v0, s2, v0
	s_cbranch_scc1 .LBB298_10
; %bb.1:
	s_load_dword s8, s[0:1], 0x18
	s_mov_b32 s9, 0
	s_waitcnt lgkmcnt(0)
	s_cmp_lt_u32 s8, s14
	s_cselect_b32 s2, s8, 0
	v_cmp_eq_u32_e32 vcc, s2, v0
	s_and_saveexec_b64 s[2:3], vcc
	s_cbranch_execz .LBB298_9
; %bb.2:
	s_add_i32 s8, s8, 64
	s_lshl_b64 s[8:9], s[8:9], 4
	s_add_u32 s12, s4, s8
	s_addc_u32 s13, s5, s9
	v_mov_b64_e32 v[2:3], s[12:13]
	;;#ASMSTART
	global_load_dwordx4 v[2:5], v[2:3] off sc1	
s_waitcnt vmcnt(0)
	;;#ASMEND
	v_mov_b32_e32 v7, 0
	v_and_b32_e32 v6, 0xff, v4
	v_mov_b32_e32 v8, v3
	s_mov_b64 s[10:11], 0
	v_cmp_eq_u64_e32 vcc, 0, v[6:7]
	s_and_saveexec_b64 s[8:9], vcc
	s_cbranch_execz .LBB298_8
; %bb.3:
	s_mov_b32 s15, 1
	v_mov_b64_e32 v[8:9], s[12:13]
.LBB298_4:                              ; =>This Loop Header: Depth=1
                                        ;     Child Loop BB298_5 Depth 2
	s_max_u32 s12, s15, 1
.LBB298_5:                              ;   Parent Loop BB298_4 Depth=1
                                        ; =>  This Inner Loop Header: Depth=2
	s_add_i32 s12, s12, -1
	s_cmp_eq_u32 s12, 0
	s_sleep 1
	s_cbranch_scc0 .LBB298_5
; %bb.6:                                ;   in Loop: Header=BB298_4 Depth=1
	s_cmp_lt_u32 s15, 32
	s_cselect_b64 s[12:13], -1, 0
	s_cmp_lg_u64 s[12:13], 0
	;;#ASMSTART
	global_load_dwordx4 v[2:5], v[8:9] off sc1	
s_waitcnt vmcnt(0)
	;;#ASMEND
	s_addc_u32 s15, s15, 0
	v_and_b32_e32 v6, 0xff, v4
	v_cmp_ne_u64_e32 vcc, 0, v[6:7]
	s_or_b64 s[10:11], vcc, s[10:11]
	s_andn2_b64 exec, exec, s[10:11]
	s_cbranch_execnz .LBB298_4
; %bb.7:
	s_or_b64 exec, exec, s[10:11]
	v_mov_b32_e32 v8, v3
.LBB298_8:
	s_or_b64 exec, exec, s[8:9]
	v_mov_b32_e32 v3, v8
	v_mov_b32_e32 v1, 0
	global_store_dwordx2 v1, v[2:3], s[6:7]
.LBB298_9:
	s_or_b64 exec, exec, s[2:3]
.LBB298_10:
	v_cmp_eq_u32_e32 vcc, 0, v0
	s_and_saveexec_b64 s[2:3], vcc
	s_cbranch_execnz .LBB298_14
; %bb.11:
	s_or_b64 exec, exec, s[2:3]
	v_cmp_gt_u32_e32 vcc, s14, v0
	s_and_saveexec_b64 s[0:1], vcc
	s_cbranch_execnz .LBB298_15
.LBB298_12:
	s_or_b64 exec, exec, s[0:1]
	v_cmp_gt_u32_e32 vcc, 64, v0
	s_and_saveexec_b64 s[0:1], vcc
	s_cbranch_execnz .LBB298_16
.LBB298_13:
	s_endpgm
.LBB298_14:
	s_load_dwordx2 s[0:1], s[0:1], 0x10
	v_mov_b32_e32 v1, 0
	s_waitcnt lgkmcnt(0)
	global_store_dword v1, v1, s[0:1]
	s_or_b64 exec, exec, s[2:3]
	v_cmp_gt_u32_e32 vcc, s14, v0
	s_and_saveexec_b64 s[0:1], vcc
	s_cbranch_execz .LBB298_12
.LBB298_15:
	v_add_u32_e32 v2, 64, v0
	v_mov_b32_e32 v3, 0
	v_lshl_add_u64 v[6:7], v[2:3], 4, s[4:5]
	v_mov_b32_e32 v2, v3
	v_mov_b32_e32 v4, v3
	;; [unrolled: 1-line block ×3, first 2 shown]
	global_store_dwordx4 v[6:7], v[2:5], off
	s_or_b64 exec, exec, s[0:1]
	v_cmp_gt_u32_e32 vcc, 64, v0
	s_and_saveexec_b64 s[0:1], vcc
	s_cbranch_execz .LBB298_13
.LBB298_16:
	v_mov_b32_e32 v1, 0
	v_lshl_add_u64 v[4:5], v[0:1], 4, s[4:5]
	v_mov_b32_e32 v2, 0xff
	v_mov_b32_e32 v0, v1
	;; [unrolled: 1-line block ×3, first 2 shown]
	global_store_dwordx4 v[4:5], v[0:3], off
	s_endpgm
	.section	.rodata,"a",@progbits
	.p2align	6, 0x0
	.amdhsa_kernel _ZN7rocprim17ROCPRIM_400000_NS6detail31init_lookback_scan_state_kernelINS1_19lookback_scan_stateIN3c107complexIfEELb1ELb1EEENS1_16block_id_wrapperIjLb1EEEEEvT_jT0_jPNSA_10value_typeE
		.amdhsa_group_segment_fixed_size 0
		.amdhsa_private_segment_fixed_size 0
		.amdhsa_kernarg_size 296
		.amdhsa_user_sgpr_count 2
		.amdhsa_user_sgpr_dispatch_ptr 0
		.amdhsa_user_sgpr_queue_ptr 0
		.amdhsa_user_sgpr_kernarg_segment_ptr 1
		.amdhsa_user_sgpr_dispatch_id 0
		.amdhsa_user_sgpr_kernarg_preload_length 0
		.amdhsa_user_sgpr_kernarg_preload_offset 0
		.amdhsa_user_sgpr_private_segment_size 0
		.amdhsa_uses_dynamic_stack 0
		.amdhsa_enable_private_segment 0
		.amdhsa_system_sgpr_workgroup_id_x 1
		.amdhsa_system_sgpr_workgroup_id_y 0
		.amdhsa_system_sgpr_workgroup_id_z 0
		.amdhsa_system_sgpr_workgroup_info 0
		.amdhsa_system_vgpr_workitem_id 0
		.amdhsa_next_free_vgpr 10
		.amdhsa_next_free_sgpr 16
		.amdhsa_accum_offset 12
		.amdhsa_reserve_vcc 1
		.amdhsa_float_round_mode_32 0
		.amdhsa_float_round_mode_16_64 0
		.amdhsa_float_denorm_mode_32 3
		.amdhsa_float_denorm_mode_16_64 3
		.amdhsa_dx10_clamp 1
		.amdhsa_ieee_mode 1
		.amdhsa_fp16_overflow 0
		.amdhsa_tg_split 0
		.amdhsa_exception_fp_ieee_invalid_op 0
		.amdhsa_exception_fp_denorm_src 0
		.amdhsa_exception_fp_ieee_div_zero 0
		.amdhsa_exception_fp_ieee_overflow 0
		.amdhsa_exception_fp_ieee_underflow 0
		.amdhsa_exception_fp_ieee_inexact 0
		.amdhsa_exception_int_div_zero 0
	.end_amdhsa_kernel
	.section	.text._ZN7rocprim17ROCPRIM_400000_NS6detail31init_lookback_scan_state_kernelINS1_19lookback_scan_stateIN3c107complexIfEELb1ELb1EEENS1_16block_id_wrapperIjLb1EEEEEvT_jT0_jPNSA_10value_typeE,"axG",@progbits,_ZN7rocprim17ROCPRIM_400000_NS6detail31init_lookback_scan_state_kernelINS1_19lookback_scan_stateIN3c107complexIfEELb1ELb1EEENS1_16block_id_wrapperIjLb1EEEEEvT_jT0_jPNSA_10value_typeE,comdat
.Lfunc_end298:
	.size	_ZN7rocprim17ROCPRIM_400000_NS6detail31init_lookback_scan_state_kernelINS1_19lookback_scan_stateIN3c107complexIfEELb1ELb1EEENS1_16block_id_wrapperIjLb1EEEEEvT_jT0_jPNSA_10value_typeE, .Lfunc_end298-_ZN7rocprim17ROCPRIM_400000_NS6detail31init_lookback_scan_state_kernelINS1_19lookback_scan_stateIN3c107complexIfEELb1ELb1EEENS1_16block_id_wrapperIjLb1EEEEEvT_jT0_jPNSA_10value_typeE
                                        ; -- End function
	.section	.AMDGPU.csdata,"",@progbits
; Kernel info:
; codeLenInByte = 460
; NumSgprs: 22
; NumVgprs: 10
; NumAgprs: 0
; TotalNumVgprs: 10
; ScratchSize: 0
; MemoryBound: 0
; FloatMode: 240
; IeeeMode: 1
; LDSByteSize: 0 bytes/workgroup (compile time only)
; SGPRBlocks: 2
; VGPRBlocks: 1
; NumSGPRsForWavesPerEU: 22
; NumVGPRsForWavesPerEU: 10
; AccumOffset: 12
; Occupancy: 8
; WaveLimiterHint : 0
; COMPUTE_PGM_RSRC2:SCRATCH_EN: 0
; COMPUTE_PGM_RSRC2:USER_SGPR: 2
; COMPUTE_PGM_RSRC2:TRAP_HANDLER: 0
; COMPUTE_PGM_RSRC2:TGID_X_EN: 1
; COMPUTE_PGM_RSRC2:TGID_Y_EN: 0
; COMPUTE_PGM_RSRC2:TGID_Z_EN: 0
; COMPUTE_PGM_RSRC2:TIDIG_COMP_CNT: 0
; COMPUTE_PGM_RSRC3_GFX90A:ACCUM_OFFSET: 2
; COMPUTE_PGM_RSRC3_GFX90A:TG_SPLIT: 0
	.section	.text._ZN7rocprim17ROCPRIM_400000_NS6detail17trampoline_kernelINS0_14default_configENS1_20scan_config_selectorIN3c107complexIfEEEEZZNS1_9scan_implILNS1_25lookback_scan_determinismE0ELb0ELb0ES3_PKS7_PS7_S7_ZZZN2at6native31launch_logcumsumexp_cuda_kernelERKNSE_10TensorBaseESI_lENKUlvE_clEvENKUlvE2_clEvEUlS7_S7_E_S7_EEDaPvRmT3_T4_T5_mT6_P12ihipStream_tbENKUlT_T0_E_clISt17integral_constantIbLb1EESZ_EEDaSU_SV_EUlSU_E_NS1_11comp_targetILNS1_3genE0ELNS1_11target_archE4294967295ELNS1_3gpuE0ELNS1_3repE0EEENS1_30default_config_static_selectorELNS0_4arch9wavefront6targetE1EEEvT1_,"axG",@progbits,_ZN7rocprim17ROCPRIM_400000_NS6detail17trampoline_kernelINS0_14default_configENS1_20scan_config_selectorIN3c107complexIfEEEEZZNS1_9scan_implILNS1_25lookback_scan_determinismE0ELb0ELb0ES3_PKS7_PS7_S7_ZZZN2at6native31launch_logcumsumexp_cuda_kernelERKNSE_10TensorBaseESI_lENKUlvE_clEvENKUlvE2_clEvEUlS7_S7_E_S7_EEDaPvRmT3_T4_T5_mT6_P12ihipStream_tbENKUlT_T0_E_clISt17integral_constantIbLb1EESZ_EEDaSU_SV_EUlSU_E_NS1_11comp_targetILNS1_3genE0ELNS1_11target_archE4294967295ELNS1_3gpuE0ELNS1_3repE0EEENS1_30default_config_static_selectorELNS0_4arch9wavefront6targetE1EEEvT1_,comdat
	.globl	_ZN7rocprim17ROCPRIM_400000_NS6detail17trampoline_kernelINS0_14default_configENS1_20scan_config_selectorIN3c107complexIfEEEEZZNS1_9scan_implILNS1_25lookback_scan_determinismE0ELb0ELb0ES3_PKS7_PS7_S7_ZZZN2at6native31launch_logcumsumexp_cuda_kernelERKNSE_10TensorBaseESI_lENKUlvE_clEvENKUlvE2_clEvEUlS7_S7_E_S7_EEDaPvRmT3_T4_T5_mT6_P12ihipStream_tbENKUlT_T0_E_clISt17integral_constantIbLb1EESZ_EEDaSU_SV_EUlSU_E_NS1_11comp_targetILNS1_3genE0ELNS1_11target_archE4294967295ELNS1_3gpuE0ELNS1_3repE0EEENS1_30default_config_static_selectorELNS0_4arch9wavefront6targetE1EEEvT1_ ; -- Begin function _ZN7rocprim17ROCPRIM_400000_NS6detail17trampoline_kernelINS0_14default_configENS1_20scan_config_selectorIN3c107complexIfEEEEZZNS1_9scan_implILNS1_25lookback_scan_determinismE0ELb0ELb0ES3_PKS7_PS7_S7_ZZZN2at6native31launch_logcumsumexp_cuda_kernelERKNSE_10TensorBaseESI_lENKUlvE_clEvENKUlvE2_clEvEUlS7_S7_E_S7_EEDaPvRmT3_T4_T5_mT6_P12ihipStream_tbENKUlT_T0_E_clISt17integral_constantIbLb1EESZ_EEDaSU_SV_EUlSU_E_NS1_11comp_targetILNS1_3genE0ELNS1_11target_archE4294967295ELNS1_3gpuE0ELNS1_3repE0EEENS1_30default_config_static_selectorELNS0_4arch9wavefront6targetE1EEEvT1_
	.p2align	8
	.type	_ZN7rocprim17ROCPRIM_400000_NS6detail17trampoline_kernelINS0_14default_configENS1_20scan_config_selectorIN3c107complexIfEEEEZZNS1_9scan_implILNS1_25lookback_scan_determinismE0ELb0ELb0ES3_PKS7_PS7_S7_ZZZN2at6native31launch_logcumsumexp_cuda_kernelERKNSE_10TensorBaseESI_lENKUlvE_clEvENKUlvE2_clEvEUlS7_S7_E_S7_EEDaPvRmT3_T4_T5_mT6_P12ihipStream_tbENKUlT_T0_E_clISt17integral_constantIbLb1EESZ_EEDaSU_SV_EUlSU_E_NS1_11comp_targetILNS1_3genE0ELNS1_11target_archE4294967295ELNS1_3gpuE0ELNS1_3repE0EEENS1_30default_config_static_selectorELNS0_4arch9wavefront6targetE1EEEvT1_,@function
_ZN7rocprim17ROCPRIM_400000_NS6detail17trampoline_kernelINS0_14default_configENS1_20scan_config_selectorIN3c107complexIfEEEEZZNS1_9scan_implILNS1_25lookback_scan_determinismE0ELb0ELb0ES3_PKS7_PS7_S7_ZZZN2at6native31launch_logcumsumexp_cuda_kernelERKNSE_10TensorBaseESI_lENKUlvE_clEvENKUlvE2_clEvEUlS7_S7_E_S7_EEDaPvRmT3_T4_T5_mT6_P12ihipStream_tbENKUlT_T0_E_clISt17integral_constantIbLb1EESZ_EEDaSU_SV_EUlSU_E_NS1_11comp_targetILNS1_3genE0ELNS1_11target_archE4294967295ELNS1_3gpuE0ELNS1_3repE0EEENS1_30default_config_static_selectorELNS0_4arch9wavefront6targetE1EEEvT1_: ; @_ZN7rocprim17ROCPRIM_400000_NS6detail17trampoline_kernelINS0_14default_configENS1_20scan_config_selectorIN3c107complexIfEEEEZZNS1_9scan_implILNS1_25lookback_scan_determinismE0ELb0ELb0ES3_PKS7_PS7_S7_ZZZN2at6native31launch_logcumsumexp_cuda_kernelERKNSE_10TensorBaseESI_lENKUlvE_clEvENKUlvE2_clEvEUlS7_S7_E_S7_EEDaPvRmT3_T4_T5_mT6_P12ihipStream_tbENKUlT_T0_E_clISt17integral_constantIbLb1EESZ_EEDaSU_SV_EUlSU_E_NS1_11comp_targetILNS1_3genE0ELNS1_11target_archE4294967295ELNS1_3gpuE0ELNS1_3repE0EEENS1_30default_config_static_selectorELNS0_4arch9wavefront6targetE1EEEvT1_
; %bb.0:
	.section	.rodata,"a",@progbits
	.p2align	6, 0x0
	.amdhsa_kernel _ZN7rocprim17ROCPRIM_400000_NS6detail17trampoline_kernelINS0_14default_configENS1_20scan_config_selectorIN3c107complexIfEEEEZZNS1_9scan_implILNS1_25lookback_scan_determinismE0ELb0ELb0ES3_PKS7_PS7_S7_ZZZN2at6native31launch_logcumsumexp_cuda_kernelERKNSE_10TensorBaseESI_lENKUlvE_clEvENKUlvE2_clEvEUlS7_S7_E_S7_EEDaPvRmT3_T4_T5_mT6_P12ihipStream_tbENKUlT_T0_E_clISt17integral_constantIbLb1EESZ_EEDaSU_SV_EUlSU_E_NS1_11comp_targetILNS1_3genE0ELNS1_11target_archE4294967295ELNS1_3gpuE0ELNS1_3repE0EEENS1_30default_config_static_selectorELNS0_4arch9wavefront6targetE1EEEvT1_
		.amdhsa_group_segment_fixed_size 0
		.amdhsa_private_segment_fixed_size 0
		.amdhsa_kernarg_size 104
		.amdhsa_user_sgpr_count 2
		.amdhsa_user_sgpr_dispatch_ptr 0
		.amdhsa_user_sgpr_queue_ptr 0
		.amdhsa_user_sgpr_kernarg_segment_ptr 1
		.amdhsa_user_sgpr_dispatch_id 0
		.amdhsa_user_sgpr_kernarg_preload_length 0
		.amdhsa_user_sgpr_kernarg_preload_offset 0
		.amdhsa_user_sgpr_private_segment_size 0
		.amdhsa_uses_dynamic_stack 0
		.amdhsa_enable_private_segment 0
		.amdhsa_system_sgpr_workgroup_id_x 1
		.amdhsa_system_sgpr_workgroup_id_y 0
		.amdhsa_system_sgpr_workgroup_id_z 0
		.amdhsa_system_sgpr_workgroup_info 0
		.amdhsa_system_vgpr_workitem_id 0
		.amdhsa_next_free_vgpr 1
		.amdhsa_next_free_sgpr 0
		.amdhsa_accum_offset 4
		.amdhsa_reserve_vcc 0
		.amdhsa_float_round_mode_32 0
		.amdhsa_float_round_mode_16_64 0
		.amdhsa_float_denorm_mode_32 3
		.amdhsa_float_denorm_mode_16_64 3
		.amdhsa_dx10_clamp 1
		.amdhsa_ieee_mode 1
		.amdhsa_fp16_overflow 0
		.amdhsa_tg_split 0
		.amdhsa_exception_fp_ieee_invalid_op 0
		.amdhsa_exception_fp_denorm_src 0
		.amdhsa_exception_fp_ieee_div_zero 0
		.amdhsa_exception_fp_ieee_overflow 0
		.amdhsa_exception_fp_ieee_underflow 0
		.amdhsa_exception_fp_ieee_inexact 0
		.amdhsa_exception_int_div_zero 0
	.end_amdhsa_kernel
	.section	.text._ZN7rocprim17ROCPRIM_400000_NS6detail17trampoline_kernelINS0_14default_configENS1_20scan_config_selectorIN3c107complexIfEEEEZZNS1_9scan_implILNS1_25lookback_scan_determinismE0ELb0ELb0ES3_PKS7_PS7_S7_ZZZN2at6native31launch_logcumsumexp_cuda_kernelERKNSE_10TensorBaseESI_lENKUlvE_clEvENKUlvE2_clEvEUlS7_S7_E_S7_EEDaPvRmT3_T4_T5_mT6_P12ihipStream_tbENKUlT_T0_E_clISt17integral_constantIbLb1EESZ_EEDaSU_SV_EUlSU_E_NS1_11comp_targetILNS1_3genE0ELNS1_11target_archE4294967295ELNS1_3gpuE0ELNS1_3repE0EEENS1_30default_config_static_selectorELNS0_4arch9wavefront6targetE1EEEvT1_,"axG",@progbits,_ZN7rocprim17ROCPRIM_400000_NS6detail17trampoline_kernelINS0_14default_configENS1_20scan_config_selectorIN3c107complexIfEEEEZZNS1_9scan_implILNS1_25lookback_scan_determinismE0ELb0ELb0ES3_PKS7_PS7_S7_ZZZN2at6native31launch_logcumsumexp_cuda_kernelERKNSE_10TensorBaseESI_lENKUlvE_clEvENKUlvE2_clEvEUlS7_S7_E_S7_EEDaPvRmT3_T4_T5_mT6_P12ihipStream_tbENKUlT_T0_E_clISt17integral_constantIbLb1EESZ_EEDaSU_SV_EUlSU_E_NS1_11comp_targetILNS1_3genE0ELNS1_11target_archE4294967295ELNS1_3gpuE0ELNS1_3repE0EEENS1_30default_config_static_selectorELNS0_4arch9wavefront6targetE1EEEvT1_,comdat
.Lfunc_end299:
	.size	_ZN7rocprim17ROCPRIM_400000_NS6detail17trampoline_kernelINS0_14default_configENS1_20scan_config_selectorIN3c107complexIfEEEEZZNS1_9scan_implILNS1_25lookback_scan_determinismE0ELb0ELb0ES3_PKS7_PS7_S7_ZZZN2at6native31launch_logcumsumexp_cuda_kernelERKNSE_10TensorBaseESI_lENKUlvE_clEvENKUlvE2_clEvEUlS7_S7_E_S7_EEDaPvRmT3_T4_T5_mT6_P12ihipStream_tbENKUlT_T0_E_clISt17integral_constantIbLb1EESZ_EEDaSU_SV_EUlSU_E_NS1_11comp_targetILNS1_3genE0ELNS1_11target_archE4294967295ELNS1_3gpuE0ELNS1_3repE0EEENS1_30default_config_static_selectorELNS0_4arch9wavefront6targetE1EEEvT1_, .Lfunc_end299-_ZN7rocprim17ROCPRIM_400000_NS6detail17trampoline_kernelINS0_14default_configENS1_20scan_config_selectorIN3c107complexIfEEEEZZNS1_9scan_implILNS1_25lookback_scan_determinismE0ELb0ELb0ES3_PKS7_PS7_S7_ZZZN2at6native31launch_logcumsumexp_cuda_kernelERKNSE_10TensorBaseESI_lENKUlvE_clEvENKUlvE2_clEvEUlS7_S7_E_S7_EEDaPvRmT3_T4_T5_mT6_P12ihipStream_tbENKUlT_T0_E_clISt17integral_constantIbLb1EESZ_EEDaSU_SV_EUlSU_E_NS1_11comp_targetILNS1_3genE0ELNS1_11target_archE4294967295ELNS1_3gpuE0ELNS1_3repE0EEENS1_30default_config_static_selectorELNS0_4arch9wavefront6targetE1EEEvT1_
                                        ; -- End function
	.section	.AMDGPU.csdata,"",@progbits
; Kernel info:
; codeLenInByte = 0
; NumSgprs: 6
; NumVgprs: 0
; NumAgprs: 0
; TotalNumVgprs: 0
; ScratchSize: 0
; MemoryBound: 0
; FloatMode: 240
; IeeeMode: 1
; LDSByteSize: 0 bytes/workgroup (compile time only)
; SGPRBlocks: 0
; VGPRBlocks: 0
; NumSGPRsForWavesPerEU: 6
; NumVGPRsForWavesPerEU: 1
; AccumOffset: 4
; Occupancy: 8
; WaveLimiterHint : 0
; COMPUTE_PGM_RSRC2:SCRATCH_EN: 0
; COMPUTE_PGM_RSRC2:USER_SGPR: 2
; COMPUTE_PGM_RSRC2:TRAP_HANDLER: 0
; COMPUTE_PGM_RSRC2:TGID_X_EN: 1
; COMPUTE_PGM_RSRC2:TGID_Y_EN: 0
; COMPUTE_PGM_RSRC2:TGID_Z_EN: 0
; COMPUTE_PGM_RSRC2:TIDIG_COMP_CNT: 0
; COMPUTE_PGM_RSRC3_GFX90A:ACCUM_OFFSET: 0
; COMPUTE_PGM_RSRC3_GFX90A:TG_SPLIT: 0
	.section	.text._ZN7rocprim17ROCPRIM_400000_NS6detail17trampoline_kernelINS0_14default_configENS1_20scan_config_selectorIN3c107complexIfEEEEZZNS1_9scan_implILNS1_25lookback_scan_determinismE0ELb0ELb0ES3_PKS7_PS7_S7_ZZZN2at6native31launch_logcumsumexp_cuda_kernelERKNSE_10TensorBaseESI_lENKUlvE_clEvENKUlvE2_clEvEUlS7_S7_E_S7_EEDaPvRmT3_T4_T5_mT6_P12ihipStream_tbENKUlT_T0_E_clISt17integral_constantIbLb1EESZ_EEDaSU_SV_EUlSU_E_NS1_11comp_targetILNS1_3genE5ELNS1_11target_archE942ELNS1_3gpuE9ELNS1_3repE0EEENS1_30default_config_static_selectorELNS0_4arch9wavefront6targetE1EEEvT1_,"axG",@progbits,_ZN7rocprim17ROCPRIM_400000_NS6detail17trampoline_kernelINS0_14default_configENS1_20scan_config_selectorIN3c107complexIfEEEEZZNS1_9scan_implILNS1_25lookback_scan_determinismE0ELb0ELb0ES3_PKS7_PS7_S7_ZZZN2at6native31launch_logcumsumexp_cuda_kernelERKNSE_10TensorBaseESI_lENKUlvE_clEvENKUlvE2_clEvEUlS7_S7_E_S7_EEDaPvRmT3_T4_T5_mT6_P12ihipStream_tbENKUlT_T0_E_clISt17integral_constantIbLb1EESZ_EEDaSU_SV_EUlSU_E_NS1_11comp_targetILNS1_3genE5ELNS1_11target_archE942ELNS1_3gpuE9ELNS1_3repE0EEENS1_30default_config_static_selectorELNS0_4arch9wavefront6targetE1EEEvT1_,comdat
	.globl	_ZN7rocprim17ROCPRIM_400000_NS6detail17trampoline_kernelINS0_14default_configENS1_20scan_config_selectorIN3c107complexIfEEEEZZNS1_9scan_implILNS1_25lookback_scan_determinismE0ELb0ELb0ES3_PKS7_PS7_S7_ZZZN2at6native31launch_logcumsumexp_cuda_kernelERKNSE_10TensorBaseESI_lENKUlvE_clEvENKUlvE2_clEvEUlS7_S7_E_S7_EEDaPvRmT3_T4_T5_mT6_P12ihipStream_tbENKUlT_T0_E_clISt17integral_constantIbLb1EESZ_EEDaSU_SV_EUlSU_E_NS1_11comp_targetILNS1_3genE5ELNS1_11target_archE942ELNS1_3gpuE9ELNS1_3repE0EEENS1_30default_config_static_selectorELNS0_4arch9wavefront6targetE1EEEvT1_ ; -- Begin function _ZN7rocprim17ROCPRIM_400000_NS6detail17trampoline_kernelINS0_14default_configENS1_20scan_config_selectorIN3c107complexIfEEEEZZNS1_9scan_implILNS1_25lookback_scan_determinismE0ELb0ELb0ES3_PKS7_PS7_S7_ZZZN2at6native31launch_logcumsumexp_cuda_kernelERKNSE_10TensorBaseESI_lENKUlvE_clEvENKUlvE2_clEvEUlS7_S7_E_S7_EEDaPvRmT3_T4_T5_mT6_P12ihipStream_tbENKUlT_T0_E_clISt17integral_constantIbLb1EESZ_EEDaSU_SV_EUlSU_E_NS1_11comp_targetILNS1_3genE5ELNS1_11target_archE942ELNS1_3gpuE9ELNS1_3repE0EEENS1_30default_config_static_selectorELNS0_4arch9wavefront6targetE1EEEvT1_
	.p2align	8
	.type	_ZN7rocprim17ROCPRIM_400000_NS6detail17trampoline_kernelINS0_14default_configENS1_20scan_config_selectorIN3c107complexIfEEEEZZNS1_9scan_implILNS1_25lookback_scan_determinismE0ELb0ELb0ES3_PKS7_PS7_S7_ZZZN2at6native31launch_logcumsumexp_cuda_kernelERKNSE_10TensorBaseESI_lENKUlvE_clEvENKUlvE2_clEvEUlS7_S7_E_S7_EEDaPvRmT3_T4_T5_mT6_P12ihipStream_tbENKUlT_T0_E_clISt17integral_constantIbLb1EESZ_EEDaSU_SV_EUlSU_E_NS1_11comp_targetILNS1_3genE5ELNS1_11target_archE942ELNS1_3gpuE9ELNS1_3repE0EEENS1_30default_config_static_selectorELNS0_4arch9wavefront6targetE1EEEvT1_,@function
_ZN7rocprim17ROCPRIM_400000_NS6detail17trampoline_kernelINS0_14default_configENS1_20scan_config_selectorIN3c107complexIfEEEEZZNS1_9scan_implILNS1_25lookback_scan_determinismE0ELb0ELb0ES3_PKS7_PS7_S7_ZZZN2at6native31launch_logcumsumexp_cuda_kernelERKNSE_10TensorBaseESI_lENKUlvE_clEvENKUlvE2_clEvEUlS7_S7_E_S7_EEDaPvRmT3_T4_T5_mT6_P12ihipStream_tbENKUlT_T0_E_clISt17integral_constantIbLb1EESZ_EEDaSU_SV_EUlSU_E_NS1_11comp_targetILNS1_3genE5ELNS1_11target_archE942ELNS1_3gpuE9ELNS1_3repE0EEENS1_30default_config_static_selectorELNS0_4arch9wavefront6targetE1EEEvT1_: ; @_ZN7rocprim17ROCPRIM_400000_NS6detail17trampoline_kernelINS0_14default_configENS1_20scan_config_selectorIN3c107complexIfEEEEZZNS1_9scan_implILNS1_25lookback_scan_determinismE0ELb0ELb0ES3_PKS7_PS7_S7_ZZZN2at6native31launch_logcumsumexp_cuda_kernelERKNSE_10TensorBaseESI_lENKUlvE_clEvENKUlvE2_clEvEUlS7_S7_E_S7_EEDaPvRmT3_T4_T5_mT6_P12ihipStream_tbENKUlT_T0_E_clISt17integral_constantIbLb1EESZ_EEDaSU_SV_EUlSU_E_NS1_11comp_targetILNS1_3genE5ELNS1_11target_archE942ELNS1_3gpuE9ELNS1_3repE0EEENS1_30default_config_static_selectorELNS0_4arch9wavefront6targetE1EEEvT1_
; %bb.0:
	s_load_dwordx2 s[34:35], s[0:1], 0x30
	v_mov_b32_e32 v64, v0
	v_cmp_ne_u32_e64 s[16:17], 0, v64
	v_cmp_eq_u32_e64 s[18:19], 0, v64
	s_mov_b32 s32, 0
	s_and_saveexec_b64 s[2:3], s[18:19]
	s_cbranch_execz .LBB300_4
; %bb.1:
	s_mov_b64 s[6:7], exec
	v_mbcnt_lo_u32_b32 v0, s6, 0
	v_mbcnt_hi_u32_b32 v0, s7, v0
	v_cmp_eq_u32_e32 vcc, 0, v0
                                        ; implicit-def: $vgpr1
	s_and_saveexec_b64 s[4:5], vcc
	s_cbranch_execz .LBB300_3
; %bb.2:
	s_load_dwordx2 s[8:9], s[0:1], 0x60
	s_bcnt1_i32_b64 s6, s[6:7]
	v_mov_b32_e32 v1, 0
	v_mov_b32_e32 v2, s6
	s_waitcnt lgkmcnt(0)
	global_atomic_add v1, v1, v2, s[8:9] sc0
.LBB300_3:
	s_or_b64 exec, exec, s[4:5]
	s_waitcnt vmcnt(0)
	v_readfirstlane_b32 s4, v1
	v_mov_b32_e32 v1, 0
	s_nop 0
	v_add_u32_e32 v0, s4, v0
	ds_write_b32 v1, v0
.LBB300_4:
	s_or_b64 exec, exec, s[2:3]
	s_load_dwordx8 s[20:27], s[0:1], 0x0
	s_load_dword s2, s[0:1], 0x38
	s_load_dwordx8 s[36:43], s[0:1], 0x40
	v_mov_b32_e32 v95, 0
	s_waitcnt lgkmcnt(0)
	s_barrier
	ds_read_b32 v0, v95
	s_lshl_b64 s[22:23], s[22:23], 3
	s_add_u32 s3, s20, s22
	s_addc_u32 s4, s21, s23
	s_add_i32 s2, s2, -1
	s_mul_i32 s5, s2, 0xf00
	s_sub_u32 s33, s26, s5
	s_waitcnt lgkmcnt(0)
	v_readfirstlane_b32 s53, v0
	s_subb_u32 s52, s27, 0
	s_mov_b32 s1, 0
	s_mul_i32 s0, s53, 0xf00
	s_cmp_lg_u32 s53, s2
	s_cselect_b64 s[26:27], -1, 0
	s_lshl_b64 s[28:29], s[0:1], 3
	s_add_u32 s2, s3, s28
	s_addc_u32 s3, s4, s29
	s_mov_b64 s[0:1], -1
	s_and_b64 vcc, exec, s[26:27]
	v_lshlrev_b32_e32 v94, 3, v64
	s_barrier
	s_cbranch_vccz .LBB300_6
; %bb.5:
	v_lshl_add_u64 v[0:1], s[2:3], 0, v[94:95]
	v_add_co_u32_e32 v6, vcc, 0x1000, v0
	global_load_dwordx2 v[2:3], v94, s[2:3]
	global_load_dwordx2 v[4:5], v94, s[2:3] offset:2048
	v_addc_co_u32_e32 v7, vcc, 0, v1, vcc
	v_add_co_u32_e32 v8, vcc, 0x2000, v0
	s_mov_b64 s[0:1], 0
	s_nop 0
	v_addc_co_u32_e32 v9, vcc, 0, v1, vcc
	global_load_dwordx2 v[10:11], v[6:7], off
	global_load_dwordx2 v[12:13], v[6:7], off offset:2048
	global_load_dwordx2 v[14:15], v[8:9], off
	global_load_dwordx2 v[16:17], v[8:9], off offset:2048
	v_add_co_u32_e32 v6, vcc, 0x3000, v0
	s_nop 1
	v_addc_co_u32_e32 v7, vcc, 0, v1, vcc
	v_add_co_u32_e32 v8, vcc, 0x4000, v0
	s_nop 1
	v_addc_co_u32_e32 v9, vcc, 0, v1, vcc
	global_load_dwordx2 v[18:19], v[6:7], off
	global_load_dwordx2 v[20:21], v[6:7], off offset:2048
	global_load_dwordx2 v[22:23], v[8:9], off
	global_load_dwordx2 v[24:25], v[8:9], off offset:2048
	v_add_co_u32_e32 v6, vcc, 0x5000, v0
	s_nop 1
	v_addc_co_u32_e32 v7, vcc, 0, v1, vcc
	v_add_co_u32_e32 v8, vcc, 0x6000, v0
	s_nop 1
	v_addc_co_u32_e32 v9, vcc, 0, v1, vcc
	global_load_dwordx2 v[26:27], v[6:7], off
	global_load_dwordx2 v[28:29], v[6:7], off offset:2048
	global_load_dwordx2 v[30:31], v[8:9], off
	global_load_dwordx2 v[32:33], v[8:9], off offset:2048
	v_add_co_u32_e32 v0, vcc, 0x7000, v0
	s_nop 1
	v_addc_co_u32_e32 v1, vcc, 0, v1, vcc
	global_load_dwordx2 v[0:1], v[0:1], off
	s_waitcnt vmcnt(13)
	ds_write2st64_b64 v94, v[2:3], v[4:5] offset1:4
	s_waitcnt vmcnt(11)
	ds_write2st64_b64 v94, v[10:11], v[12:13] offset0:8 offset1:12
	s_waitcnt vmcnt(9)
	ds_write2st64_b64 v94, v[14:15], v[16:17] offset0:16 offset1:20
	;; [unrolled: 2-line block ×6, first 2 shown]
	s_waitcnt vmcnt(0)
	ds_write_b64 v94, v[0:1] offset:28672
	s_waitcnt lgkmcnt(0)
	s_barrier
.LBB300_6:
	s_andn2_b64 vcc, exec, s[0:1]
	v_cmp_gt_u32_e64 s[0:1], s33, v64
	s_cbranch_vccnz .LBB300_38
; %bb.7:
	v_mov_b32_e32 v0, 0
	global_load_dwordx2 v[0:1], v0, s[2:3]
	s_waitcnt vmcnt(0)
	v_mov_b64_e32 v[2:3], v[0:1]
	s_and_saveexec_b64 s[4:5], s[0:1]
	s_cbranch_execz .LBB300_9
; %bb.8:
	global_load_dwordx2 v[2:3], v94, s[2:3]
.LBB300_9:
	s_or_b64 exec, exec, s[4:5]
	v_or_b32_e32 v4, 0x100, v64
	v_cmp_gt_u32_e32 vcc, s33, v4
	v_mov_b64_e32 v[4:5], v[0:1]
	s_and_saveexec_b64 s[0:1], vcc
	s_cbranch_execz .LBB300_11
; %bb.10:
	global_load_dwordx2 v[4:5], v94, s[2:3] offset:2048
.LBB300_11:
	s_or_b64 exec, exec, s[0:1]
	v_or_b32_e32 v8, 0x200, v64
	v_cmp_gt_u32_e32 vcc, s33, v8
	v_mov_b64_e32 v[6:7], v[0:1]
	s_and_saveexec_b64 s[0:1], vcc
	s_cbranch_execz .LBB300_13
; %bb.12:
	v_lshlrev_b32_e32 v6, 3, v8
	global_load_dwordx2 v[6:7], v6, s[2:3]
.LBB300_13:
	s_or_b64 exec, exec, s[0:1]
	v_or_b32_e32 v10, 0x300, v64
	v_cmp_gt_u32_e32 vcc, s33, v10
	v_mov_b64_e32 v[8:9], v[0:1]
	s_and_saveexec_b64 s[0:1], vcc
	s_cbranch_execz .LBB300_15
; %bb.14:
	v_lshlrev_b32_e32 v8, 3, v10
	global_load_dwordx2 v[8:9], v8, s[2:3]
.LBB300_15:
	;; [unrolled: 10-line block ×12, first 2 shown]
	s_or_b64 exec, exec, s[0:1]
	v_or_b32_e32 v30, 0xe00, v64
	v_cmp_gt_u32_e32 vcc, s33, v30
	s_and_saveexec_b64 s[0:1], vcc
	s_cbranch_execz .LBB300_37
; %bb.36:
	v_lshlrev_b32_e32 v0, 3, v30
	global_load_dwordx2 v[0:1], v0, s[2:3]
.LBB300_37:
	s_or_b64 exec, exec, s[0:1]
	s_waitcnt vmcnt(0)
	ds_write2st64_b64 v94, v[2:3], v[4:5] offset1:4
	ds_write2st64_b64 v94, v[6:7], v[8:9] offset0:8 offset1:12
	ds_write2st64_b64 v94, v[10:11], v[12:13] offset0:16 offset1:20
	;; [unrolled: 1-line block ×6, first 2 shown]
	ds_write_b64 v94, v[0:1] offset:28672
	s_waitcnt lgkmcnt(0)
	s_barrier
.LBB300_38:
	v_mul_u32_u24_e32 v96, 15, v64
	v_lshlrev_b32_e32 v65, 3, v96
	ds_read2_b64 v[28:31], v65 offset1:1
	ds_read2_b64 v[52:55], v65 offset0:2 offset1:3
	ds_read2_b64 v[48:51], v65 offset0:4 offset1:5
	;; [unrolled: 1-line block ×6, first 2 shown]
	ds_read_b64 v[66:67], v65 offset:112
	s_cmp_lg_u32 s53, 0
	s_waitcnt lgkmcnt(0)
	s_barrier
	s_cbranch_scc0 .LBB300_100
; %bb.39:
	v_mov_b32_e32 v0, v28
	v_mov_b32_e32 v1, v29
	;; [unrolled: 1-line block ×4, first 2 shown]
	s_getpc_b64 s[46:47]
	s_add_u32 s46, s46, _ZZZZN2at6native31launch_logcumsumexp_cuda_kernelERKNS_10TensorBaseES3_lENKUlvE_clEvENKUlvE2_clEvENKUlN3c107complexIfEES8_E_clES8_S8_@rel32@lo+4
	s_addc_u32 s47, s47, _ZZZZN2at6native31launch_logcumsumexp_cuda_kernelERKNS_10TensorBaseES3_lENKUlvE_clEvENKUlvE2_clEvENKUlN3c107complexIfEES8_E_clES8_S8_@rel32@hi+12
	s_swappc_b64 s[30:31], s[46:47]
	v_mov_b32_e32 v2, v52
	v_mov_b32_e32 v3, v53
	s_swappc_b64 s[30:31], s[46:47]
	v_mov_b32_e32 v2, v54
	v_mov_b32_e32 v3, v55
	s_swappc_b64 s[30:31], s[46:47]
	v_mov_b32_e32 v2, v48
	v_mov_b32_e32 v3, v49
	s_swappc_b64 s[30:31], s[46:47]
	v_mov_b32_e32 v2, v50
	v_mov_b32_e32 v3, v51
	s_swappc_b64 s[30:31], s[46:47]
	v_mov_b32_e32 v2, v44
	v_mov_b32_e32 v3, v45
	s_swappc_b64 s[30:31], s[46:47]
	v_mov_b32_e32 v2, v46
	v_mov_b32_e32 v3, v47
	s_swappc_b64 s[30:31], s[46:47]
	v_mov_b32_e32 v2, v40
	v_mov_b32_e32 v3, v41
	s_swappc_b64 s[30:31], s[46:47]
	v_mov_b32_e32 v2, v42
	v_mov_b32_e32 v3, v43
	s_swappc_b64 s[30:31], s[46:47]
	v_mov_b32_e32 v2, v36
	v_mov_b32_e32 v3, v37
	s_swappc_b64 s[30:31], s[46:47]
	v_mov_b32_e32 v2, v38
	v_mov_b32_e32 v3, v39
	s_swappc_b64 s[30:31], s[46:47]
	v_mov_b32_e32 v2, v32
	v_mov_b32_e32 v3, v33
	s_swappc_b64 s[30:31], s[46:47]
	v_mov_b32_e32 v2, v34
	v_mov_b32_e32 v3, v35
	s_swappc_b64 s[30:31], s[46:47]
	v_mov_b32_e32 v2, v66
	v_mov_b32_e32 v3, v67
	s_swappc_b64 s[30:31], s[46:47]
	v_mov_b32_e32 v68, v0
	v_lshrrev_b32_e32 v0, 5, v64
	v_mov_b32_e32 v69, v1
	v_add_lshl_u32 v0, v0, v64, 3
	v_cmp_gt_u32_e64 s[20:21], 64, v64
	ds_write_b64 v0, v[68:69]
	s_waitcnt lgkmcnt(0)
	s_barrier
	s_and_saveexec_b64 s[44:45], s[20:21]
	s_cbranch_execz .LBB300_53
; %bb.40:
	v_lshlrev_b32_e32 v0, 2, v64
	v_lshrrev_b32_e32 v1, 3, v64
	v_add_lshl_u32 v27, v1, v0, 3
	ds_read_b64 v[56:57], v27
	ds_read2_b64 v[58:61], v27 offset0:1 offset1:2
	s_waitcnt lgkmcnt(1)
	v_mov_b32_e32 v0, v56
	v_mov_b32_e32 v1, v57
	s_waitcnt lgkmcnt(0)
	v_mov_b32_e32 v2, v58
	v_mov_b32_e32 v3, v59
	s_swappc_b64 s[30:31], s[46:47]
	v_mov_b32_e32 v2, v60
	v_mov_b32_e32 v3, v61
	s_swappc_b64 s[30:31], s[46:47]
	ds_read_b64 v[2:3], v27 offset:24
	s_swappc_b64 s[30:31], s[46:47]
	v_mov_b32_e32 v2, v0
	v_mbcnt_lo_u32_b32 v0, -1, 0
	v_mbcnt_hi_u32_b32 v58, -1, v0
	v_mov_b32_e32 v3, v1
	v_and_b32_e32 v59, 15, v58
	v_mov_b32_dpp v0, v2 row_shr:1 row_mask:0xf bank_mask:0xf
	v_mov_b32_dpp v1, v3 row_shr:1 row_mask:0xf bank_mask:0xf
	v_cmp_ne_u32_e32 vcc, 0, v59
	s_and_saveexec_b64 s[46:47], vcc
	s_cbranch_execz .LBB300_42
; %bb.41:
	s_getpc_b64 s[0:1]
	s_add_u32 s0, s0, _ZZZZN2at6native31launch_logcumsumexp_cuda_kernelERKNS_10TensorBaseES3_lENKUlvE_clEvENKUlvE2_clEvENKUlN3c107complexIfEES8_E_clES8_S8_@rel32@lo+4
	s_addc_u32 s1, s1, _ZZZZN2at6native31launch_logcumsumexp_cuda_kernelERKNS_10TensorBaseES3_lENKUlvE_clEvENKUlvE2_clEvENKUlN3c107complexIfEES8_E_clES8_S8_@rel32@hi+12
	s_swappc_b64 s[30:31], s[0:1]
	v_mov_b32_e32 v2, v0
	v_mov_b32_e32 v3, v1
.LBB300_42:
	s_or_b64 exec, exec, s[46:47]
	v_mov_b32_dpp v0, v2 row_shr:2 row_mask:0xf bank_mask:0xf
	v_mov_b32_dpp v1, v3 row_shr:2 row_mask:0xf bank_mask:0xf
	v_cmp_lt_u32_e32 vcc, 1, v59
	s_and_saveexec_b64 s[46:47], vcc
	s_cbranch_execz .LBB300_44
; %bb.43:
	s_getpc_b64 s[0:1]
	s_add_u32 s0, s0, _ZZZZN2at6native31launch_logcumsumexp_cuda_kernelERKNS_10TensorBaseES3_lENKUlvE_clEvENKUlvE2_clEvENKUlN3c107complexIfEES8_E_clES8_S8_@rel32@lo+4
	s_addc_u32 s1, s1, _ZZZZN2at6native31launch_logcumsumexp_cuda_kernelERKNS_10TensorBaseES3_lENKUlvE_clEvENKUlvE2_clEvENKUlN3c107complexIfEES8_E_clES8_S8_@rel32@hi+12
	s_swappc_b64 s[30:31], s[0:1]
	v_mov_b32_e32 v2, v0
	v_mov_b32_e32 v3, v1
.LBB300_44:
	s_or_b64 exec, exec, s[46:47]
	v_mov_b32_dpp v0, v2 row_shr:4 row_mask:0xf bank_mask:0xf
	v_mov_b32_dpp v1, v3 row_shr:4 row_mask:0xf bank_mask:0xf
	v_cmp_lt_u32_e32 vcc, 3, v59
	;; [unrolled: 14-line block ×3, first 2 shown]
	s_and_saveexec_b64 s[46:47], vcc
	s_cbranch_execz .LBB300_48
; %bb.47:
	s_getpc_b64 s[0:1]
	s_add_u32 s0, s0, _ZZZZN2at6native31launch_logcumsumexp_cuda_kernelERKNS_10TensorBaseES3_lENKUlvE_clEvENKUlvE2_clEvENKUlN3c107complexIfEES8_E_clES8_S8_@rel32@lo+4
	s_addc_u32 s1, s1, _ZZZZN2at6native31launch_logcumsumexp_cuda_kernelERKNS_10TensorBaseES3_lENKUlvE_clEvENKUlvE2_clEvENKUlN3c107complexIfEES8_E_clES8_S8_@rel32@hi+12
	s_swappc_b64 s[30:31], s[0:1]
	v_mov_b32_e32 v2, v0
	v_mov_b32_e32 v3, v1
.LBB300_48:
	s_or_b64 exec, exec, s[46:47]
	v_and_b32_e32 v4, 16, v58
	v_mov_b32_dpp v0, v2 row_bcast:15 row_mask:0xf bank_mask:0xf
	v_mov_b32_dpp v1, v3 row_bcast:15 row_mask:0xf bank_mask:0xf
	v_cmp_ne_u32_e32 vcc, 0, v4
	s_and_saveexec_b64 s[46:47], vcc
	s_cbranch_execz .LBB300_50
; %bb.49:
	s_getpc_b64 s[0:1]
	s_add_u32 s0, s0, _ZZZZN2at6native31launch_logcumsumexp_cuda_kernelERKNS_10TensorBaseES3_lENKUlvE_clEvENKUlvE2_clEvENKUlN3c107complexIfEES8_E_clES8_S8_@rel32@lo+4
	s_addc_u32 s1, s1, _ZZZZN2at6native31launch_logcumsumexp_cuda_kernelERKNS_10TensorBaseES3_lENKUlvE_clEvENKUlvE2_clEvENKUlN3c107complexIfEES8_E_clES8_S8_@rel32@hi+12
	s_swappc_b64 s[30:31], s[0:1]
	v_mov_b32_e32 v2, v0
	v_mov_b32_e32 v3, v1
.LBB300_50:
	s_or_b64 exec, exec, s[46:47]
	v_mov_b32_dpp v0, v2 row_bcast:31 row_mask:0xf bank_mask:0xf
	v_mov_b32_dpp v1, v3 row_bcast:31 row_mask:0xf bank_mask:0xf
	v_cmp_lt_u32_e32 vcc, 31, v58
	s_and_saveexec_b64 s[46:47], vcc
	s_cbranch_execz .LBB300_52
; %bb.51:
	s_getpc_b64 s[0:1]
	s_add_u32 s0, s0, _ZZZZN2at6native31launch_logcumsumexp_cuda_kernelERKNS_10TensorBaseES3_lENKUlvE_clEvENKUlvE2_clEvENKUlN3c107complexIfEES8_E_clES8_S8_@rel32@lo+4
	s_addc_u32 s1, s1, _ZZZZN2at6native31launch_logcumsumexp_cuda_kernelERKNS_10TensorBaseES3_lENKUlvE_clEvENKUlvE2_clEvENKUlN3c107complexIfEES8_E_clES8_S8_@rel32@hi+12
	s_swappc_b64 s[30:31], s[0:1]
	v_mov_b32_e32 v2, v0
	v_mov_b32_e32 v3, v1
.LBB300_52:
	s_or_b64 exec, exec, s[46:47]
	v_add_u32_e32 v0, -1, v58
	v_and_b32_e32 v1, 64, v58
	v_cmp_lt_i32_e32 vcc, v0, v1
	s_getpc_b64 s[46:47]
	s_add_u32 s46, s46, _ZZZZN2at6native31launch_logcumsumexp_cuda_kernelERKNS_10TensorBaseES3_lENKUlvE_clEvENKUlvE2_clEvENKUlN3c107complexIfEES8_E_clES8_S8_@rel32@lo+4
	s_addc_u32 s47, s47, _ZZZZN2at6native31launch_logcumsumexp_cuda_kernelERKNS_10TensorBaseES3_lENKUlvE_clEvENKUlvE2_clEvENKUlN3c107complexIfEES8_E_clES8_S8_@rel32@hi+12
	v_cndmask_b32_e32 v0, v0, v58, vcc
	v_lshlrev_b32_e32 v1, 2, v0
	ds_bpermute_b32 v0, v1, v2
	ds_bpermute_b32 v1, v1, v3
	v_mov_b32_e32 v2, v56
	v_mov_b32_e32 v3, v57
	s_swappc_b64 s[30:31], s[46:47]
	v_cndmask_b32_e64 v0, v0, v68, s[18:19]
	v_cndmask_b32_e64 v1, v1, v69, s[18:19]
	; wave barrier
	ds_write_b64 v27, v[0:1]
	; wave barrier
	ds_read2_b64 v[56:59], v27 offset0:1 offset1:2
	s_waitcnt lgkmcnt(0)
	v_mov_b32_e32 v2, v56
	v_mov_b32_e32 v3, v57
	s_swappc_b64 s[30:31], s[46:47]
	v_mov_b32_e32 v2, v58
	v_mov_b32_e32 v3, v59
	;; [unrolled: 1-line block ×4, first 2 shown]
	s_swappc_b64 s[30:31], s[46:47]
	ds_read_b64 v[2:3], v27 offset:24
	ds_write2_b64 v27, v[56:57], v[0:1] offset0:1 offset1:2
	s_swappc_b64 s[30:31], s[46:47]
	ds_write_b64 v27, v[0:1] offset:24
.LBB300_53:
	s_or_b64 exec, exec, s[44:45]
	s_waitcnt lgkmcnt(0)
	s_barrier
	s_and_saveexec_b64 s[0:1], s[16:17]
	s_cbranch_execz .LBB300_55
; %bb.54:
	v_add_u32_e32 v0, -1, v64
	v_lshrrev_b32_e32 v1, 5, v0
	v_add_lshl_u32 v0, v1, v0, 3
	ds_read_b64 v[68:69], v0
.LBB300_55:
	s_or_b64 exec, exec, s[0:1]
	s_and_saveexec_b64 s[44:45], s[20:21]
	s_cbranch_execz .LBB300_105
; %bb.56:
	v_mov_b32_e32 v59, 0
	ds_read_b64 v[56:57], v59 offset:2096
	v_mbcnt_lo_u32_b32 v0, -1, 0
	v_mbcnt_hi_u32_b32 v71, -1, v0
	s_mov_b32 s3, 0
	v_cmp_eq_u32_e64 s[20:21], 0, v71
	s_waitcnt lgkmcnt(0)
	v_readfirstlane_b32 s54, v57
	s_and_saveexec_b64 s[0:1], s[20:21]
	s_cbranch_execz .LBB300_58
; %bb.57:
	s_add_i32 s2, s53, 64
	s_lshl_b64 s[4:5], s[2:3], 4
	s_add_u32 s4, s34, s4
	s_addc_u32 s5, s35, s5
	s_and_b32 s7, s54, 0xff000000
	s_mov_b32 s6, s3
	s_and_b32 s9, s54, 0xff0000
	s_mov_b32 s8, s3
	s_or_b64 s[6:7], s[8:9], s[6:7]
	s_and_b32 s9, s54, 0xff00
	s_or_b64 s[6:7], s[6:7], s[8:9]
	s_and_b32 s9, s54, 0xff
	s_or_b64 s[2:3], s[6:7], s[8:9]
	v_mov_b32_e32 v57, s3
	v_mov_b32_e32 v58, 1
	v_mov_b64_e32 v[0:1], s[4:5]
	;;#ASMSTART
	global_store_dwordx4 v[0:1], v[56:59] off sc1	
s_waitcnt vmcnt(0)
	;;#ASMEND
.LBB300_58:
	s_or_b64 exec, exec, s[0:1]
	v_xad_u32 v70, v71, -1, s53
	v_add_u32_e32 v58, 64, v70
	s_mov_b32 s0, 0x1000706
	v_lshl_add_u64 v[0:1], v[58:59], 4, s[34:35]
	;;#ASMSTART
	global_load_dwordx4 v[60:63], v[0:1] off sc1	
s_waitcnt vmcnt(0)
	;;#ASMEND
	s_mov_b32 s1, 0x7020504
	v_perm_b32 v2, v61, v62, s0
	s_mov_b32 s2, 0x3060504
	v_lshlrev_b32_e32 v2, 16, v2
	v_perm_b32 v27, v61, v2, s1
	v_perm_b32 v61, v60, v60, s2
	v_cmp_eq_u16_sdwa s[2:3], v62, v59 src0_sel:BYTE_0 src1_sel:DWORD
	s_and_saveexec_b64 s[0:1], s[2:3]
	s_cbranch_execz .LBB300_64
; %bb.59:
	s_mov_b32 s4, 1
	s_mov_b64 s[2:3], 0
	v_mov_b32_e32 v2, 0
.LBB300_60:                             ; =>This Loop Header: Depth=1
                                        ;     Child Loop BB300_61 Depth 2
	s_max_u32 s5, s4, 1
.LBB300_61:                             ;   Parent Loop BB300_60 Depth=1
                                        ; =>  This Inner Loop Header: Depth=2
	s_add_i32 s5, s5, -1
	s_cmp_eq_u32 s5, 0
	s_sleep 1
	s_cbranch_scc0 .LBB300_61
; %bb.62:                               ;   in Loop: Header=BB300_60 Depth=1
	s_cmp_lt_u32 s4, 32
	s_cselect_b64 s[6:7], -1, 0
	s_cmp_lg_u64 s[6:7], 0
	s_addc_u32 s4, s4, 0
	;;#ASMSTART
	global_load_dwordx4 v[60:63], v[0:1] off sc1	
s_waitcnt vmcnt(0)
	;;#ASMEND
	s_nop 0
	v_cmp_ne_u16_sdwa s[6:7], v62, v2 src0_sel:BYTE_0 src1_sel:DWORD
	s_or_b64 s[2:3], s[6:7], s[2:3]
	s_andn2_b64 exec, exec, s[2:3]
	s_cbranch_execnz .LBB300_60
; %bb.63:
	s_or_b64 exec, exec, s[2:3]
	s_mov_b32 s2, 0x2010007
	v_perm_b32 v0, v61, v62, s2
	s_mov_b32 s2, 0x1000706
	v_perm_b32 v1, v61, v62, s2
	v_lshlrev_b32_e32 v1, 16, v1
	s_mov_b32 s2, 0xc060100
	v_perm_b32 v1, v1, v61, s2
	s_mov_b32 s2, 0x3020504
	v_lshl_or_b32 v27, v0, 24, v1
	v_perm_b32 v61, v60, v60, s2
.LBB300_64:
	s_or_b64 exec, exec, s[0:1]
	v_mov_b32_e32 v0, 2
	v_cmp_eq_u16_sdwa s[0:1], v62, v0 src0_sel:BYTE_0 src1_sel:DWORD
	v_lshlrev_b64 v[72:73], v71, -1
	v_and_b32_e32 v74, 63, v71
	v_and_b32_e32 v0, s1, v73
	v_or_b32_e32 v0, 0x80000000, v0
	v_cmp_ne_u32_e32 vcc, 63, v74
	v_ffbl_b32_e32 v3, v0
	v_and_b32_e32 v2, s0, v72
	v_addc_co_u32_e32 v0, vcc, 0, v71, vcc
	v_lshlrev_b32_e32 v75, 2, v0
	ds_bpermute_b32 v0, v75, v61
	ds_bpermute_b32 v1, v75, v27
	v_add_u32_e32 v3, 32, v3
	v_ffbl_b32_e32 v2, v2
	v_min_u32_e32 v58, v2, v3
	v_cmp_lt_u32_e32 vcc, v74, v58
	s_and_saveexec_b64 s[46:47], vcc
	s_cbranch_execz .LBB300_66
; %bb.65:
	v_mov_b32_e32 v2, v61
	v_mov_b32_e32 v3, v27
	s_getpc_b64 s[0:1]
	s_add_u32 s0, s0, _ZZZZN2at6native31launch_logcumsumexp_cuda_kernelERKNS_10TensorBaseES3_lENKUlvE_clEvENKUlvE2_clEvENKUlN3c107complexIfEES8_E_clES8_S8_@rel32@lo+4
	s_addc_u32 s1, s1, _ZZZZN2at6native31launch_logcumsumexp_cuda_kernelERKNS_10TensorBaseES3_lENKUlvE_clEvENKUlvE2_clEvENKUlN3c107complexIfEES8_E_clES8_S8_@rel32@hi+12
	s_swappc_b64 s[30:31], s[0:1]
	v_mov_b32_e32 v61, v0
	v_mov_b32_e32 v27, v1
.LBB300_66:
	s_or_b64 exec, exec, s[46:47]
	v_cmp_gt_u32_e32 vcc, 62, v74
	v_add_u32_e32 v77, 2, v74
	s_waitcnt lgkmcnt(1)
	v_cndmask_b32_e64 v0, 0, 1, vcc
	v_lshlrev_b32_e32 v0, 1, v0
	v_add_lshl_u32 v76, v0, v71, 2
	ds_bpermute_b32 v0, v76, v61
	s_waitcnt lgkmcnt(1)
	ds_bpermute_b32 v1, v76, v27
	v_cmp_le_u32_e32 vcc, v77, v58
	s_and_saveexec_b64 s[46:47], vcc
	s_cbranch_execz .LBB300_68
; %bb.67:
	v_mov_b32_e32 v2, v61
	v_mov_b32_e32 v3, v27
	s_getpc_b64 s[0:1]
	s_add_u32 s0, s0, _ZZZZN2at6native31launch_logcumsumexp_cuda_kernelERKNS_10TensorBaseES3_lENKUlvE_clEvENKUlvE2_clEvENKUlN3c107complexIfEES8_E_clES8_S8_@rel32@lo+4
	s_addc_u32 s1, s1, _ZZZZN2at6native31launch_logcumsumexp_cuda_kernelERKNS_10TensorBaseES3_lENKUlvE_clEvENKUlvE2_clEvENKUlN3c107complexIfEES8_E_clES8_S8_@rel32@hi+12
	s_swappc_b64 s[30:31], s[0:1]
	v_mov_b32_e32 v61, v0
	v_mov_b32_e32 v27, v1
.LBB300_68:
	s_or_b64 exec, exec, s[46:47]
	v_cmp_gt_u32_e32 vcc, 60, v74
	v_add_u32_e32 v79, 4, v74
	s_waitcnt lgkmcnt(1)
	v_cndmask_b32_e64 v0, 0, 1, vcc
	v_lshlrev_b32_e32 v0, 2, v0
	v_add_lshl_u32 v78, v0, v71, 2
	ds_bpermute_b32 v0, v78, v61
	s_waitcnt lgkmcnt(1)
	ds_bpermute_b32 v1, v78, v27
	v_cmp_le_u32_e32 vcc, v79, v58
	;; [unrolled: 23-line block ×4, first 2 shown]
	s_and_saveexec_b64 s[46:47], vcc
	s_cbranch_execz .LBB300_74
; %bb.73:
	v_mov_b32_e32 v2, v61
	v_mov_b32_e32 v3, v27
	s_getpc_b64 s[0:1]
	s_add_u32 s0, s0, _ZZZZN2at6native31launch_logcumsumexp_cuda_kernelERKNS_10TensorBaseES3_lENKUlvE_clEvENKUlvE2_clEvENKUlN3c107complexIfEES8_E_clES8_S8_@rel32@lo+4
	s_addc_u32 s1, s1, _ZZZZN2at6native31launch_logcumsumexp_cuda_kernelERKNS_10TensorBaseES3_lENKUlvE_clEvENKUlvE2_clEvENKUlN3c107complexIfEES8_E_clES8_S8_@rel32@hi+12
	s_swappc_b64 s[30:31], s[0:1]
	v_mov_b32_e32 v61, v0
	v_mov_b32_e32 v27, v1
.LBB300_74:
	s_or_b64 exec, exec, s[46:47]
	v_cmp_gt_u32_e32 vcc, 32, v74
	v_add_u32_e32 v84, 32, v74
	v_cmp_gt_u32_e64 s[0:1], v84, v58
	s_waitcnt lgkmcnt(1)
	v_cndmask_b32_e64 v0, 0, 1, vcc
	v_lshlrev_b32_e32 v0, 5, v0
	v_add_lshl_u32 v85, v0, v71, 2
	ds_bpermute_b32 v60, v85, v61
	ds_bpermute_b32 v57, v85, v27
	s_mov_b64 s[46:47], 0
	v_mov_b32_e32 v71, 0
	s_mov_b32 s55, 0x70605
	s_mov_b32 s56, 0x1000706
	;; [unrolled: 1-line block ×4, first 2 shown]
	v_mov_b32_e32 v86, 2
	s_waitcnt lgkmcnt(2)
	v_mov_b32_e32 v1, v27
	v_mov_b32_e32 v0, v61
                                        ; implicit-def: $sgpr48_sgpr49
	s_branch .LBB300_77
.LBB300_75:                             ;   in Loop: Header=BB300_77 Depth=1
	s_or_b64 exec, exec, s[46:47]
	v_subrev_u32_e32 v70, 64, v70
	s_mov_b64 s[0:1], 0
.LBB300_76:                             ;   in Loop: Header=BB300_77 Depth=1
	s_and_b64 vcc, exec, s[0:1]
	s_mov_b64 s[46:47], 0
	v_mov_b32_e32 v27, v59
	v_mov_b32_e32 v61, v58
                                        ; implicit-def: $sgpr48_sgpr49
                                        ; implicit-def: $vgpr1
                                        ; implicit-def: $vgpr0
	s_cbranch_vccnz .LBB300_101
.LBB300_77:                             ; =>This Loop Header: Depth=1
                                        ;     Child Loop BB300_83 Depth 2
                                        ;       Child Loop BB300_84 Depth 3
	s_waitcnt lgkmcnt(1)
	v_mov_b32_e32 v58, v0
	s_waitcnt lgkmcnt(0)
	v_mov_b32_e32 v59, v1
	s_xor_b64 s[4:5], s[0:1], -1
	s_or_b64 s[48:49], s[48:49], exec
                                        ; implicit-def: $sgpr2_sgpr3
                                        ; implicit-def: $vgpr0
                                        ; implicit-def: $vgpr1
	s_and_saveexec_b64 s[6:7], s[4:5]
	s_xor_b64 s[50:51], exec, s[6:7]
	s_cbranch_execz .LBB300_79
; %bb.78:                               ;   in Loop: Header=BB300_77 Depth=1
	s_waitcnt lgkmcnt(1)
	v_mov_b32_e32 v0, v60
	s_waitcnt lgkmcnt(0)
	v_mov_b32_e32 v1, v57
	v_mov_b32_e32 v2, v61
	;; [unrolled: 1-line block ×3, first 2 shown]
	s_getpc_b64 s[0:1]
	s_add_u32 s0, s0, _ZZZZN2at6native31launch_logcumsumexp_cuda_kernelERKNS_10TensorBaseES3_lENKUlvE_clEvENKUlvE2_clEvENKUlN3c107complexIfEES8_E_clES8_S8_@rel32@lo+4
	s_addc_u32 s1, s1, _ZZZZN2at6native31launch_logcumsumexp_cuda_kernelERKNS_10TensorBaseES3_lENKUlvE_clEvENKUlvE2_clEvENKUlN3c107complexIfEES8_E_clES8_S8_@rel32@hi+12
	s_swappc_b64 s[30:31], s[0:1]
	s_mov_b64 s[2:3], -1
	s_andn2_b64 s[48:49], s[48:49], exec
                                        ; implicit-def: $sgpr0_sgpr1
.LBB300_79:                             ;   in Loop: Header=BB300_77 Depth=1
	s_or_b64 exec, exec, s[50:51]
	s_and_b64 s[4:5], exec, s[48:49]
	s_or_b64 s[46:47], s[4:5], s[46:47]
	s_andn2_b64 s[0:1], s[0:1], exec
	s_and_b64 s[2:3], s[2:3], exec
	s_or_b64 s[0:1], s[0:1], s[2:3]
	s_andn2_b64 exec, exec, s[46:47]
	s_cbranch_execnz .LBB300_77
; %bb.80:                               ;   in Loop: Header=BB300_77 Depth=1
	s_or_b64 exec, exec, s[46:47]
	v_cmp_ne_u16_sdwa s[0:1], v62, v86 src0_sel:BYTE_0 src1_sel:DWORD
	s_nop 1
	v_cndmask_b32_e64 v0, 0, 1, s[0:1]
	;;#ASMSTART
	;;#ASMEND
	s_nop 0
	v_cmp_ne_u32_e32 vcc, 0, v0
	s_cmp_lg_u64 vcc, exec
	s_cbranch_scc1 .LBB300_99
; %bb.81:                               ;   in Loop: Header=BB300_77 Depth=1
	v_lshl_add_u64 v[0:1], v[70:71], 4, s[34:35]
	s_waitcnt lgkmcnt(1)
	;;#ASMSTART
	global_load_dwordx4 v[60:63], v[0:1] off sc1	
s_waitcnt vmcnt(0)
	;;#ASMEND
	s_nop 0
	v_perm_b32 v2, v61, v62, s55
	v_perm_b32 v3, v61, v62, s56
	;; [unrolled: 1-line block ×3, first 2 shown]
	v_lshlrev_b32_e32 v2, 8, v2
	v_lshlrev_b32_e32 v3, 16, v3
	v_perm_b32 v2, v2, v61, s58
	v_and_b32_e32 v3, 0xff0000, v3
	v_lshlrev_b32_e32 v4, 24, v4
	s_waitcnt lgkmcnt(0)
	v_or3_b32 v57, v2, v3, v4
	v_cmp_eq_u16_sdwa s[2:3], v62, v71 src0_sel:BYTE_0 src1_sel:DWORD
	s_and_saveexec_b64 s[0:1], s[2:3]
	s_cbranch_execz .LBB300_87
; %bb.82:                               ;   in Loop: Header=BB300_77 Depth=1
	s_mov_b32 s4, 1
	s_mov_b64 s[2:3], 0
.LBB300_83:                             ;   Parent Loop BB300_77 Depth=1
                                        ; =>  This Loop Header: Depth=2
                                        ;       Child Loop BB300_84 Depth 3
	s_max_u32 s5, s4, 1
.LBB300_84:                             ;   Parent Loop BB300_77 Depth=1
                                        ;     Parent Loop BB300_83 Depth=2
                                        ; =>    This Inner Loop Header: Depth=3
	s_add_i32 s5, s5, -1
	s_cmp_eq_u32 s5, 0
	s_sleep 1
	s_cbranch_scc0 .LBB300_84
; %bb.85:                               ;   in Loop: Header=BB300_83 Depth=2
	s_cmp_lt_u32 s4, 32
	s_cselect_b64 s[6:7], -1, 0
	s_cmp_lg_u64 s[6:7], 0
	s_addc_u32 s4, s4, 0
	;;#ASMSTART
	global_load_dwordx4 v[60:63], v[0:1] off sc1	
s_waitcnt vmcnt(0)
	;;#ASMEND
	s_nop 0
	v_cmp_ne_u16_sdwa s[6:7], v62, v71 src0_sel:BYTE_0 src1_sel:DWORD
	s_or_b64 s[2:3], s[6:7], s[2:3]
	s_andn2_b64 exec, exec, s[2:3]
	s_cbranch_execnz .LBB300_83
; %bb.86:                               ;   in Loop: Header=BB300_77 Depth=1
	s_or_b64 exec, exec, s[2:3]
	v_perm_b32 v0, v61, v62, s55
	v_perm_b32 v1, v61, v62, s56
	;; [unrolled: 1-line block ×3, first 2 shown]
	v_lshlrev_b32_e32 v0, 8, v0
	v_lshlrev_b32_e32 v1, 16, v1
	v_perm_b32 v0, v0, v61, s58
	v_and_b32_e32 v1, 0xff0000, v1
	v_lshlrev_b32_e32 v2, 24, v2
	v_or3_b32 v57, v0, v1, v2
.LBB300_87:                             ;   in Loop: Header=BB300_77 Depth=1
	s_or_b64 exec, exec, s[0:1]
	v_cmp_eq_u16_sdwa s[0:1], v62, v86 src0_sel:BYTE_0 src1_sel:DWORD
	ds_bpermute_b32 v1, v75, v57
	s_nop 0
	v_and_b32_e32 v0, s1, v73
	v_or_b32_e32 v0, 0x80000000, v0
	v_ffbl_b32_e32 v3, v0
	ds_bpermute_b32 v0, v75, v60
	v_and_b32_e32 v2, s0, v72
	v_add_u32_e32 v3, 32, v3
	v_ffbl_b32_e32 v2, v2
	v_min_u32_e32 v27, v2, v3
	v_cmp_lt_u32_e32 vcc, v74, v27
	s_and_saveexec_b64 s[46:47], vcc
	s_cbranch_execz .LBB300_89
; %bb.88:                               ;   in Loop: Header=BB300_77 Depth=1
	v_mov_b32_e32 v2, v60
	v_mov_b32_e32 v3, v57
	s_getpc_b64 s[0:1]
	s_add_u32 s0, s0, _ZZZZN2at6native31launch_logcumsumexp_cuda_kernelERKNS_10TensorBaseES3_lENKUlvE_clEvENKUlvE2_clEvENKUlN3c107complexIfEES8_E_clES8_S8_@rel32@lo+4
	s_addc_u32 s1, s1, _ZZZZN2at6native31launch_logcumsumexp_cuda_kernelERKNS_10TensorBaseES3_lENKUlvE_clEvENKUlvE2_clEvENKUlN3c107complexIfEES8_E_clES8_S8_@rel32@hi+12
	s_swappc_b64 s[30:31], s[0:1]
	v_mov_b32_e32 v60, v0
	v_mov_b32_e32 v57, v1
.LBB300_89:                             ;   in Loop: Header=BB300_77 Depth=1
	s_or_b64 exec, exec, s[46:47]
	s_waitcnt lgkmcnt(0)
	ds_bpermute_b32 v0, v76, v60
	ds_bpermute_b32 v1, v76, v57
	v_cmp_le_u32_e32 vcc, v77, v27
	s_and_saveexec_b64 s[46:47], vcc
	s_cbranch_execz .LBB300_91
; %bb.90:                               ;   in Loop: Header=BB300_77 Depth=1
	v_mov_b32_e32 v2, v60
	v_mov_b32_e32 v3, v57
	s_getpc_b64 s[0:1]
	s_add_u32 s0, s0, _ZZZZN2at6native31launch_logcumsumexp_cuda_kernelERKNS_10TensorBaseES3_lENKUlvE_clEvENKUlvE2_clEvENKUlN3c107complexIfEES8_E_clES8_S8_@rel32@lo+4
	s_addc_u32 s1, s1, _ZZZZN2at6native31launch_logcumsumexp_cuda_kernelERKNS_10TensorBaseES3_lENKUlvE_clEvENKUlvE2_clEvENKUlN3c107complexIfEES8_E_clES8_S8_@rel32@hi+12
	s_swappc_b64 s[30:31], s[0:1]
	v_mov_b32_e32 v60, v0
	v_mov_b32_e32 v57, v1
.LBB300_91:                             ;   in Loop: Header=BB300_77 Depth=1
	s_or_b64 exec, exec, s[46:47]
	s_waitcnt lgkmcnt(1)
	ds_bpermute_b32 v0, v78, v60
	s_waitcnt lgkmcnt(1)
	ds_bpermute_b32 v1, v78, v57
	v_cmp_le_u32_e32 vcc, v79, v27
	s_and_saveexec_b64 s[46:47], vcc
	s_cbranch_execz .LBB300_93
; %bb.92:                               ;   in Loop: Header=BB300_77 Depth=1
	v_mov_b32_e32 v2, v60
	v_mov_b32_e32 v3, v57
	s_getpc_b64 s[0:1]
	s_add_u32 s0, s0, _ZZZZN2at6native31launch_logcumsumexp_cuda_kernelERKNS_10TensorBaseES3_lENKUlvE_clEvENKUlvE2_clEvENKUlN3c107complexIfEES8_E_clES8_S8_@rel32@lo+4
	s_addc_u32 s1, s1, _ZZZZN2at6native31launch_logcumsumexp_cuda_kernelERKNS_10TensorBaseES3_lENKUlvE_clEvENKUlvE2_clEvENKUlN3c107complexIfEES8_E_clES8_S8_@rel32@hi+12
	s_swappc_b64 s[30:31], s[0:1]
	v_mov_b32_e32 v60, v0
	v_mov_b32_e32 v57, v1
.LBB300_93:                             ;   in Loop: Header=BB300_77 Depth=1
	s_or_b64 exec, exec, s[46:47]
	s_waitcnt lgkmcnt(1)
	ds_bpermute_b32 v0, v80, v60
	s_waitcnt lgkmcnt(1)
	;; [unrolled: 18-line block ×4, first 2 shown]
	ds_bpermute_b32 v1, v85, v57
	v_cmp_le_u32_e32 vcc, v84, v27
	s_and_saveexec_b64 s[46:47], vcc
	s_cbranch_execz .LBB300_75
; %bb.98:                               ;   in Loop: Header=BB300_77 Depth=1
	v_mov_b32_e32 v2, v60
	v_mov_b32_e32 v3, v57
	s_getpc_b64 s[0:1]
	s_add_u32 s0, s0, _ZZZZN2at6native31launch_logcumsumexp_cuda_kernelERKNS_10TensorBaseES3_lENKUlvE_clEvENKUlvE2_clEvENKUlN3c107complexIfEES8_E_clES8_S8_@rel32@lo+4
	s_addc_u32 s1, s1, _ZZZZN2at6native31launch_logcumsumexp_cuda_kernelERKNS_10TensorBaseES3_lENKUlvE_clEvENKUlvE2_clEvENKUlN3c107complexIfEES8_E_clES8_S8_@rel32@hi+12
	s_swappc_b64 s[30:31], s[0:1]
	v_mov_b32_e32 v60, v0
	v_mov_b32_e32 v57, v1
	s_branch .LBB300_75
.LBB300_99:                             ;   in Loop: Header=BB300_77 Depth=1
	s_mov_b64 s[0:1], -1
                                        ; implicit-def: $vgpr60
                                        ; implicit-def: $vgpr57
	s_branch .LBB300_76
.LBB300_100:
                                        ; implicit-def: $vgpr90_vgpr91_vgpr92_vgpr93
                                        ; implicit-def: $vgpr88_vgpr89_vgpr90_vgpr91
                                        ; implicit-def: $vgpr73
                                        ; implicit-def: $vgpr75
                                        ; implicit-def: $vgpr56
                                        ; implicit-def: $vgpr58
                                        ; implicit-def: $vgpr60
                                        ; implicit-def: $vgpr62
                                        ; implicit-def: $vgpr68
                                        ; implicit-def: $vgpr70
                                        ; implicit-def: $vgpr86_vgpr87_vgpr88_vgpr89
                                        ; implicit-def: $vgpr84_vgpr85_vgpr86_vgpr87
                                        ; implicit-def: $vgpr82_vgpr83_vgpr84_vgpr85
                                        ; implicit-def: $vgpr80_vgpr81_vgpr82_vgpr83
                                        ; implicit-def: $vgpr78_vgpr79_vgpr80_vgpr81
	s_cbranch_execnz .LBB300_108
	s_branch .LBB300_131
.LBB300_101:
	s_and_saveexec_b64 s[46:47], s[20:21]
	s_cbranch_execz .LBB300_103
; %bb.102:
	s_waitcnt lgkmcnt(1)
	v_mov_b32_e32 v0, v58
	s_waitcnt lgkmcnt(0)
	v_mov_b32_e32 v1, v59
	v_mov_b32_e32 v2, v56
	;; [unrolled: 1-line block ×3, first 2 shown]
	s_getpc_b64 s[0:1]
	s_add_u32 s0, s0, _ZZZZN2at6native31launch_logcumsumexp_cuda_kernelERKNS_10TensorBaseES3_lENKUlvE_clEvENKUlvE2_clEvENKUlN3c107complexIfEES8_E_clES8_S8_@rel32@lo+4
	s_addc_u32 s1, s1, _ZZZZN2at6native31launch_logcumsumexp_cuda_kernelERKNS_10TensorBaseES3_lENKUlvE_clEvENKUlvE2_clEvENKUlN3c107complexIfEES8_E_clES8_S8_@rel32@hi+12
	s_swappc_b64 s[30:31], s[0:1]
	s_add_i32 s0, s53, 64
	s_mov_b32 s1, 0
	s_lshl_b64 s[0:1], s[0:1], 4
	s_add_u32 s0, s34, s0
	v_and_b32_e32 v2, 0xff000000, v1
	v_and_b32_e32 v4, 0xff0000, v1
	s_addc_u32 s1, s35, s1
	v_or_b32_e32 v2, v4, v2
	v_and_b32_e32 v4, 0xff00, v1
	v_and_b32_e32 v1, 0xff, v1
	v_mov_b32_e32 v3, 0
	v_or3_b32 v1, v2, v4, v1
	v_mov_b32_e32 v2, 2
	v_mov_b64_e32 v[4:5], s[0:1]
	;;#ASMSTART
	global_store_dwordx4 v[4:5], v[0:3] off sc1	
s_waitcnt vmcnt(0)
	;;#ASMEND
.LBB300_103:
	s_or_b64 exec, exec, s[46:47]
	s_and_b64 exec, exec, s[18:19]
	s_cbranch_execz .LBB300_105
; %bb.104:
	s_waitcnt lgkmcnt(1)
	v_mov_b32_e32 v0, 0
	ds_write_b64 v0, v[58:59]
.LBB300_105:
	s_or_b64 exec, exec, s[44:45]
	s_waitcnt lgkmcnt(1)
	v_mov_b32_e32 v0, 0
	s_waitcnt lgkmcnt(0)
	s_barrier
	ds_read_b64 v[56:57], v0
	v_mov_b32_e32 v2, v28
	v_mov_b32_e32 v3, v29
	s_and_saveexec_b64 s[20:21], s[16:17]
	s_cbranch_execz .LBB300_107
; %bb.106:
	v_mov_b32_e32 v0, v68
	v_mov_b32_e32 v1, v69
	;; [unrolled: 1-line block ×4, first 2 shown]
	s_getpc_b64 s[0:1]
	s_add_u32 s0, s0, _ZZZZN2at6native31launch_logcumsumexp_cuda_kernelERKNS_10TensorBaseES3_lENKUlvE_clEvENKUlvE2_clEvENKUlN3c107complexIfEES8_E_clES8_S8_@rel32@lo+4
	s_addc_u32 s1, s1, _ZZZZN2at6native31launch_logcumsumexp_cuda_kernelERKNS_10TensorBaseES3_lENKUlvE_clEvENKUlvE2_clEvENKUlN3c107complexIfEES8_E_clES8_S8_@rel32@hi+12
	s_swappc_b64 s[30:31], s[0:1]
	v_mov_b32_e32 v2, v0
	v_mov_b32_e32 v3, v1
.LBB300_107:
	s_or_b64 exec, exec, s[20:21]
	s_waitcnt lgkmcnt(0)
	v_mov_b32_e32 v0, v56
	v_mov_b32_e32 v1, v57
	s_getpc_b64 s[20:21]
	s_add_u32 s20, s20, _ZZZZN2at6native31launch_logcumsumexp_cuda_kernelERKNS_10TensorBaseES3_lENKUlvE_clEvENKUlvE2_clEvENKUlN3c107complexIfEES8_E_clES8_S8_@rel32@lo+4
	s_addc_u32 s21, s21, _ZZZZN2at6native31launch_logcumsumexp_cuda_kernelERKNS_10TensorBaseES3_lENKUlvE_clEvENKUlvE2_clEvENKUlN3c107complexIfEES8_E_clES8_S8_@rel32@hi+12
	s_swappc_b64 s[30:31], s[20:21]
	v_mov_b32_e32 v2, v30
	v_mov_b32_e32 v3, v31
	v_mov_b32_e32 v74, v0
	v_mov_b32_e32 v75, v1
	s_swappc_b64 s[30:31], s[20:21]
	v_mov_b32_e32 v2, v52
	v_mov_b32_e32 v3, v53
	v_mov_b32_e32 v80, v0
	v_mov_b32_e32 v81, v1
	;; [unrolled: 5-line block ×14, first 2 shown]
	s_swappc_b64 s[30:31], s[20:21]
	v_mov_b32_e32 v72, v0
	v_mov_b32_e32 v73, v1
	s_branch .LBB300_131
.LBB300_108:
	s_cmp_lg_u64 s[40:41], 0
	s_cselect_b64 s[0:1], -1, 0
	s_and_b64 s[0:1], s[18:19], s[0:1]
	s_and_saveexec_b64 s[20:21], s[0:1]
	s_cbranch_execz .LBB300_110
; %bb.109:
	v_mov_b32_e32 v0, 0
	global_load_dwordx2 v[0:1], v0, s[36:37]
	v_mov_b32_e32 v2, v28
	v_mov_b32_e32 v3, v29
	s_getpc_b64 s[0:1]
	s_add_u32 s0, s0, _ZZZZN2at6native31launch_logcumsumexp_cuda_kernelERKNS_10TensorBaseES3_lENKUlvE_clEvENKUlvE2_clEvENKUlN3c107complexIfEES8_E_clES8_S8_@rel32@lo+4
	s_addc_u32 s1, s1, _ZZZZN2at6native31launch_logcumsumexp_cuda_kernelERKNS_10TensorBaseES3_lENKUlvE_clEvENKUlvE2_clEvENKUlN3c107complexIfEES8_E_clES8_S8_@rel32@hi+12
	s_swappc_b64 s[30:31], s[0:1]
	v_mov_b32_e32 v28, v0
	v_mov_b32_e32 v29, v1
.LBB300_110:
	s_or_b64 exec, exec, s[20:21]
	v_mov_b32_e32 v0, v28
	v_mov_b32_e32 v1, v29
	;; [unrolled: 1-line block ×4, first 2 shown]
	s_getpc_b64 s[36:37]
	s_add_u32 s36, s36, _ZZZZN2at6native31launch_logcumsumexp_cuda_kernelERKNS_10TensorBaseES3_lENKUlvE_clEvENKUlvE2_clEvENKUlN3c107complexIfEES8_E_clES8_S8_@rel32@lo+4
	s_addc_u32 s37, s37, _ZZZZN2at6native31launch_logcumsumexp_cuda_kernelERKNS_10TensorBaseES3_lENKUlvE_clEvENKUlvE2_clEvENKUlN3c107complexIfEES8_E_clES8_S8_@rel32@hi+12
	s_swappc_b64 s[30:31], s[36:37]
	v_mov_b32_e32 v2, v52
	v_mov_b32_e32 v3, v53
	v_mov_b32_e32 v80, v0
	v_mov_b32_e32 v81, v1
	s_swappc_b64 s[30:31], s[36:37]
	v_mov_b32_e32 v2, v54
	v_mov_b32_e32 v3, v55
	v_mov_b32_e32 v56, v0
	v_mov_b32_e32 v57, v1
	;; [unrolled: 5-line block ×13, first 2 shown]
	s_swappc_b64 s[30:31], s[36:37]
	v_mov_b32_e32 v72, v0
	v_lshrrev_b32_e32 v0, 5, v64
	v_mov_b32_e32 v73, v1
	v_add_lshl_u32 v0, v0, v64, 3
	v_cmp_gt_u32_e32 vcc, 64, v64
	ds_write_b64 v0, v[72:73]
	s_waitcnt lgkmcnt(0)
	s_barrier
	s_and_saveexec_b64 s[20:21], vcc
	s_cbranch_execz .LBB300_124
; %bb.111:
	v_lshlrev_b32_e32 v0, 2, v64
	v_lshrrev_b32_e32 v1, 3, v64
	v_add_lshl_u32 v27, v1, v0, 3
	ds_read_b64 v[74:75], v27
	ds_read2_b64 v[76:79], v27 offset0:1 offset1:2
	s_waitcnt lgkmcnt(1)
	v_mov_b32_e32 v0, v74
	v_mov_b32_e32 v1, v75
	s_waitcnt lgkmcnt(0)
	v_mov_b32_e32 v2, v76
	v_mov_b32_e32 v3, v77
	s_swappc_b64 s[30:31], s[36:37]
	v_mov_b32_e32 v2, v78
	v_mov_b32_e32 v3, v79
	s_swappc_b64 s[30:31], s[36:37]
	ds_read_b64 v[2:3], v27 offset:24
	s_swappc_b64 s[30:31], s[36:37]
	v_mov_b32_e32 v2, v0
	v_mbcnt_lo_u32_b32 v0, -1, 0
	v_mbcnt_hi_u32_b32 v76, -1, v0
	v_mov_b32_e32 v3, v1
	v_and_b32_e32 v77, 15, v76
	v_mov_b32_dpp v0, v2 row_shr:1 row_mask:0xf bank_mask:0xf
	v_mov_b32_dpp v1, v3 row_shr:1 row_mask:0xf bank_mask:0xf
	v_cmp_ne_u32_e32 vcc, 0, v77
	s_and_saveexec_b64 s[36:37], vcc
	s_cbranch_execz .LBB300_113
; %bb.112:
	s_getpc_b64 s[0:1]
	s_add_u32 s0, s0, _ZZZZN2at6native31launch_logcumsumexp_cuda_kernelERKNS_10TensorBaseES3_lENKUlvE_clEvENKUlvE2_clEvENKUlN3c107complexIfEES8_E_clES8_S8_@rel32@lo+4
	s_addc_u32 s1, s1, _ZZZZN2at6native31launch_logcumsumexp_cuda_kernelERKNS_10TensorBaseES3_lENKUlvE_clEvENKUlvE2_clEvENKUlN3c107complexIfEES8_E_clES8_S8_@rel32@hi+12
	s_swappc_b64 s[30:31], s[0:1]
	v_mov_b32_e32 v2, v0
	v_mov_b32_e32 v3, v1
.LBB300_113:
	s_or_b64 exec, exec, s[36:37]
	v_mov_b32_dpp v0, v2 row_shr:2 row_mask:0xf bank_mask:0xf
	v_mov_b32_dpp v1, v3 row_shr:2 row_mask:0xf bank_mask:0xf
	v_cmp_lt_u32_e32 vcc, 1, v77
	s_and_saveexec_b64 s[36:37], vcc
	s_cbranch_execz .LBB300_115
; %bb.114:
	s_getpc_b64 s[0:1]
	s_add_u32 s0, s0, _ZZZZN2at6native31launch_logcumsumexp_cuda_kernelERKNS_10TensorBaseES3_lENKUlvE_clEvENKUlvE2_clEvENKUlN3c107complexIfEES8_E_clES8_S8_@rel32@lo+4
	s_addc_u32 s1, s1, _ZZZZN2at6native31launch_logcumsumexp_cuda_kernelERKNS_10TensorBaseES3_lENKUlvE_clEvENKUlvE2_clEvENKUlN3c107complexIfEES8_E_clES8_S8_@rel32@hi+12
	s_swappc_b64 s[30:31], s[0:1]
	v_mov_b32_e32 v2, v0
	v_mov_b32_e32 v3, v1
.LBB300_115:
	s_or_b64 exec, exec, s[36:37]
	v_mov_b32_dpp v0, v2 row_shr:4 row_mask:0xf bank_mask:0xf
	v_mov_b32_dpp v1, v3 row_shr:4 row_mask:0xf bank_mask:0xf
	v_cmp_lt_u32_e32 vcc, 3, v77
	;; [unrolled: 14-line block ×3, first 2 shown]
	s_and_saveexec_b64 s[36:37], vcc
	s_cbranch_execz .LBB300_119
; %bb.118:
	s_getpc_b64 s[0:1]
	s_add_u32 s0, s0, _ZZZZN2at6native31launch_logcumsumexp_cuda_kernelERKNS_10TensorBaseES3_lENKUlvE_clEvENKUlvE2_clEvENKUlN3c107complexIfEES8_E_clES8_S8_@rel32@lo+4
	s_addc_u32 s1, s1, _ZZZZN2at6native31launch_logcumsumexp_cuda_kernelERKNS_10TensorBaseES3_lENKUlvE_clEvENKUlvE2_clEvENKUlN3c107complexIfEES8_E_clES8_S8_@rel32@hi+12
	s_swappc_b64 s[30:31], s[0:1]
	v_mov_b32_e32 v2, v0
	v_mov_b32_e32 v3, v1
.LBB300_119:
	s_or_b64 exec, exec, s[36:37]
	v_and_b32_e32 v4, 16, v76
	v_mov_b32_dpp v0, v2 row_bcast:15 row_mask:0xf bank_mask:0xf
	v_mov_b32_dpp v1, v3 row_bcast:15 row_mask:0xf bank_mask:0xf
	v_cmp_ne_u32_e32 vcc, 0, v4
	s_and_saveexec_b64 s[36:37], vcc
	s_cbranch_execz .LBB300_121
; %bb.120:
	s_getpc_b64 s[0:1]
	s_add_u32 s0, s0, _ZZZZN2at6native31launch_logcumsumexp_cuda_kernelERKNS_10TensorBaseES3_lENKUlvE_clEvENKUlvE2_clEvENKUlN3c107complexIfEES8_E_clES8_S8_@rel32@lo+4
	s_addc_u32 s1, s1, _ZZZZN2at6native31launch_logcumsumexp_cuda_kernelERKNS_10TensorBaseES3_lENKUlvE_clEvENKUlvE2_clEvENKUlN3c107complexIfEES8_E_clES8_S8_@rel32@hi+12
	s_swappc_b64 s[30:31], s[0:1]
	v_mov_b32_e32 v2, v0
	v_mov_b32_e32 v3, v1
.LBB300_121:
	s_or_b64 exec, exec, s[36:37]
	v_mov_b32_dpp v0, v2 row_bcast:31 row_mask:0xf bank_mask:0xf
	v_mov_b32_dpp v1, v3 row_bcast:31 row_mask:0xf bank_mask:0xf
	v_cmp_lt_u32_e32 vcc, 31, v76
	s_and_saveexec_b64 s[36:37], vcc
	s_cbranch_execz .LBB300_123
; %bb.122:
	s_getpc_b64 s[0:1]
	s_add_u32 s0, s0, _ZZZZN2at6native31launch_logcumsumexp_cuda_kernelERKNS_10TensorBaseES3_lENKUlvE_clEvENKUlvE2_clEvENKUlN3c107complexIfEES8_E_clES8_S8_@rel32@lo+4
	s_addc_u32 s1, s1, _ZZZZN2at6native31launch_logcumsumexp_cuda_kernelERKNS_10TensorBaseES3_lENKUlvE_clEvENKUlvE2_clEvENKUlN3c107complexIfEES8_E_clES8_S8_@rel32@hi+12
	s_swappc_b64 s[30:31], s[0:1]
	v_mov_b32_e32 v2, v0
	v_mov_b32_e32 v3, v1
.LBB300_123:
	s_or_b64 exec, exec, s[36:37]
	v_add_u32_e32 v0, -1, v76
	v_and_b32_e32 v1, 64, v76
	v_cmp_lt_i32_e32 vcc, v0, v1
	s_getpc_b64 s[36:37]
	s_add_u32 s36, s36, _ZZZZN2at6native31launch_logcumsumexp_cuda_kernelERKNS_10TensorBaseES3_lENKUlvE_clEvENKUlvE2_clEvENKUlN3c107complexIfEES8_E_clES8_S8_@rel32@lo+4
	s_addc_u32 s37, s37, _ZZZZN2at6native31launch_logcumsumexp_cuda_kernelERKNS_10TensorBaseES3_lENKUlvE_clEvENKUlvE2_clEvENKUlN3c107complexIfEES8_E_clES8_S8_@rel32@hi+12
	v_cndmask_b32_e32 v0, v0, v76, vcc
	v_lshlrev_b32_e32 v1, 2, v0
	ds_bpermute_b32 v0, v1, v2
	ds_bpermute_b32 v1, v1, v3
	v_mov_b32_e32 v2, v74
	v_mov_b32_e32 v3, v75
	s_swappc_b64 s[30:31], s[36:37]
	v_cndmask_b32_e64 v0, v0, v72, s[18:19]
	v_cndmask_b32_e64 v1, v1, v73, s[18:19]
	; wave barrier
	ds_write_b64 v27, v[0:1]
	; wave barrier
	ds_read2_b64 v[74:77], v27 offset0:1 offset1:2
	s_waitcnt lgkmcnt(0)
	v_mov_b32_e32 v2, v74
	v_mov_b32_e32 v3, v75
	s_swappc_b64 s[30:31], s[36:37]
	v_mov_b32_e32 v2, v76
	v_mov_b32_e32 v3, v77
	v_mov_b32_e32 v74, v0
	v_mov_b32_e32 v75, v1
	s_swappc_b64 s[30:31], s[36:37]
	ds_read_b64 v[2:3], v27 offset:24
	ds_write2_b64 v27, v[74:75], v[0:1] offset0:1 offset1:2
	s_swappc_b64 s[30:31], s[36:37]
	ds_write_b64 v27, v[0:1] offset:24
.LBB300_124:
	s_or_b64 exec, exec, s[20:21]
	v_mov_b32_e32 v1, v73
	v_mov_b32_e32 v0, v72
	s_waitcnt lgkmcnt(0)
	s_barrier
	s_and_saveexec_b64 s[0:1], s[16:17]
	s_cbranch_execz .LBB300_126
; %bb.125:
	v_add_u32_e32 v0, -1, v64
	v_lshrrev_b32_e32 v1, 5, v0
	v_add_lshl_u32 v0, v1, v0, 3
	ds_read_b64 v[0:1], v0
.LBB300_126:
	s_or_b64 exec, exec, s[0:1]
	s_and_saveexec_b64 s[18:19], s[16:17]
	s_cbranch_execz .LBB300_128
; %bb.127:
	v_mov_b32_e32 v2, v28
	v_mov_b32_e32 v3, v29
	s_getpc_b64 s[16:17]
	s_add_u32 s16, s16, _ZZZZN2at6native31launch_logcumsumexp_cuda_kernelERKNS_10TensorBaseES3_lENKUlvE_clEvENKUlvE2_clEvENKUlN3c107complexIfEES8_E_clES8_S8_@rel32@lo+4
	s_addc_u32 s17, s17, _ZZZZN2at6native31launch_logcumsumexp_cuda_kernelERKNS_10TensorBaseES3_lENKUlvE_clEvENKUlvE2_clEvENKUlN3c107complexIfEES8_E_clES8_S8_@rel32@hi+12
	s_swappc_b64 s[30:31], s[16:17]
	v_mov_b32_e32 v2, v30
	v_mov_b32_e32 v3, v31
	;; [unrolled: 1-line block ×4, first 2 shown]
	;;#ASMSTART
	;;#ASMEND
	s_swappc_b64 s[30:31], s[16:17]
	v_mov_b32_e32 v2, v52
	v_mov_b32_e32 v3, v53
	v_mov_b32_e32 v80, v0
	v_mov_b32_e32 v81, v1
	s_swappc_b64 s[30:31], s[16:17]
	v_mov_b32_e32 v2, v54
	v_mov_b32_e32 v3, v55
	v_mov_b32_e32 v56, v0
	v_mov_b32_e32 v57, v1
	;; [unrolled: 5-line block ×13, first 2 shown]
	s_swappc_b64 s[30:31], s[16:17]
	v_mov_b32_e32 v72, v0
	v_mov_b32_e32 v73, v1
.LBB300_128:
	s_or_b64 exec, exec, s[18:19]
	s_movk_i32 s0, 0xff
	v_cmp_eq_u32_e32 vcc, s0, v64
	s_and_saveexec_b64 s[0:1], vcc
	s_cbranch_execz .LBB300_130
; %bb.129:
	s_add_u32 s2, s34, 0x400
	s_waitcnt lgkmcnt(0)
	v_and_b32_e32 v0, 0xff000000, v73
	v_and_b32_e32 v1, 0xff0000, v73
	s_addc_u32 s3, s35, 0
	v_or_b32_e32 v0, v1, v0
	v_and_b32_e32 v1, 0xff00, v73
	v_and_b32_e32 v2, 0xff, v73
	v_mov_b32_e32 v3, 0
	v_or3_b32 v1, v0, v1, v2
	v_mov_b32_e32 v2, 2
	v_mov_b32_e32 v0, v72
	v_mov_b64_e32 v[4:5], s[2:3]
	;;#ASMSTART
	global_store_dwordx4 v[4:5], v[0:3] off sc1	
s_waitcnt vmcnt(0)
	;;#ASMEND
.LBB300_130:
	s_or_b64 exec, exec, s[0:1]
	v_mov_b32_e32 v75, v29
	v_mov_b32_e32 v74, v28
.LBB300_131:
	s_add_u32 s0, s24, s22
	s_addc_u32 s1, s25, s23
	s_add_u32 s0, s0, s28
	s_addc_u32 s1, s1, s29
	s_mov_b64 s[2:3], -1
	s_and_b64 vcc, exec, s[26:27]
	s_waitcnt lgkmcnt(0)
	s_barrier
	s_cbranch_vccz .LBB300_133
; %bb.132:
	v_mul_u32_u24_e32 v0, 0x78, v64
	s_movk_i32 s2, 0x78
	ds_write2_b64 v0, v[74:75], v[80:81] offset1:1
	ds_write2_b64 v0, v[56:57], v[82:83] offset0:2 offset1:3
	ds_write2_b64 v0, v[58:59], v[84:85] offset0:4 offset1:5
	;; [unrolled: 1-line block ×6, first 2 shown]
	ds_write_b64 v0, v[72:73] offset:112
	v_mul_i32_i24_e32 v0, 0xffffff90, v64
	v_mad_u32_u24 v28, v64, s2, v0
	v_mov_b32_e32 v95, 0
	s_waitcnt lgkmcnt(0)
	s_barrier
	ds_read2st64_b64 v[0:3], v28 offset1:4
	ds_read2st64_b64 v[4:7], v28 offset0:8 offset1:12
	ds_read2st64_b64 v[8:11], v28 offset0:16 offset1:20
	;; [unrolled: 1-line block ×6, first 2 shown]
	ds_read_b64 v[28:29], v28 offset:28672
	v_lshl_add_u64 v[30:31], s[0:1], 0, v[94:95]
	s_movk_i32 s2, 0x1000
	s_waitcnt lgkmcnt(7)
	global_store_dwordx2 v94, v[0:1], s[0:1]
	global_store_dwordx2 v94, v[2:3], s[0:1] offset:2048
	v_add_co_u32_e32 v0, vcc, s2, v30
	s_movk_i32 s2, 0x2000
	s_nop 0
	v_addc_co_u32_e32 v1, vcc, 0, v31, vcc
	v_add_co_u32_e32 v2, vcc, s2, v30
	s_movk_i32 s2, 0x3000
	s_nop 0
	v_addc_co_u32_e32 v3, vcc, 0, v31, vcc
	s_waitcnt lgkmcnt(6)
	global_store_dwordx2 v[2:3], v[4:5], off offset:-4096
	global_store_dwordx2 v[0:1], v[6:7], off offset:2048
	s_waitcnt lgkmcnt(5)
	global_store_dwordx2 v[2:3], v[8:9], off
	global_store_dwordx2 v[2:3], v[10:11], off offset:2048
	v_add_co_u32_e32 v0, vcc, s2, v30
	s_movk_i32 s2, 0x4000
	s_nop 0
	v_addc_co_u32_e32 v1, vcc, 0, v31, vcc
	v_add_co_u32_e32 v2, vcc, s2, v30
	s_movk_i32 s2, 0x5000
	s_nop 0
	v_addc_co_u32_e32 v3, vcc, 0, v31, vcc
	s_waitcnt lgkmcnt(4)
	global_store_dwordx2 v[2:3], v[12:13], off offset:-4096
	global_store_dwordx2 v[0:1], v[14:15], off offset:2048
	s_waitcnt lgkmcnt(3)
	global_store_dwordx2 v[2:3], v[16:17], off
	global_store_dwordx2 v[2:3], v[18:19], off offset:2048
	v_add_co_u32_e32 v0, vcc, s2, v30
	s_mov_b64 s[2:3], 0
	s_nop 0
	v_addc_co_u32_e32 v1, vcc, 0, v31, vcc
	s_waitcnt lgkmcnt(2)
	global_store_dwordx2 v[0:1], v[20:21], off
	global_store_dwordx2 v[0:1], v[22:23], off offset:2048
	v_add_co_u32_e32 v0, vcc, 0x6000, v30
	s_nop 1
	v_addc_co_u32_e32 v1, vcc, 0, v31, vcc
	s_waitcnt lgkmcnt(1)
	global_store_dwordx2 v[0:1], v[24:25], off
	global_store_dwordx2 v[0:1], v[26:27], off offset:2048
	v_add_co_u32_e32 v0, vcc, 0x7000, v30
	s_nop 1
	v_addc_co_u32_e32 v1, vcc, 0, v31, vcc
	s_waitcnt lgkmcnt(0)
	global_store_dwordx2 v[0:1], v[28:29], off
.LBB300_133:
	s_andn2_b64 vcc, exec, s[2:3]
	s_cbranch_vccnz .LBB300_219
; %bb.134:
	s_movk_i32 s2, 0xff90
	v_mad_i32_i24 v28, v64, s2, v65
	ds_write2_b64 v65, v[74:75], v[80:81] offset1:1
	ds_write2_b64 v65, v[56:57], v[82:83] offset0:2 offset1:3
	ds_write2_b64 v65, v[58:59], v[84:85] offset0:4 offset1:5
	;; [unrolled: 1-line block ×6, first 2 shown]
	ds_write_b64 v65, v[72:73] offset:112
	s_waitcnt lgkmcnt(0)
	s_barrier
	ds_read2st64_b64 v[4:7], v28 offset1:4
	ds_read2st64_b64 v[12:15], v28 offset0:8 offset1:12
	ds_read2st64_b64 v[8:11], v28 offset0:16 offset1:20
	;; [unrolled: 1-line block ×6, first 2 shown]
	ds_read_b64 v[28:29], v28 offset:28672
	v_mov_b32_e32 v95, 0
	v_lshl_add_u64 v[30:31], s[0:1], 0, v[94:95]
	v_cmp_gt_u32_e32 vcc, s33, v64
	s_and_saveexec_b64 s[0:1], vcc
	s_cbranch_execz .LBB300_136
; %bb.135:
	s_waitcnt lgkmcnt(7)
	global_store_dwordx2 v[30:31], v[4:5], off
.LBB300_136:
	s_or_b64 exec, exec, s[0:1]
	v_or_b32_e32 v32, 0x100, v64
	v_cmp_gt_u32_e32 vcc, s33, v32
	s_and_saveexec_b64 s[0:1], vcc
	s_cbranch_execz .LBB300_138
; %bb.137:
	s_waitcnt lgkmcnt(7)
	global_store_dwordx2 v[30:31], v[6:7], off offset:2048
.LBB300_138:
	s_or_b64 exec, exec, s[0:1]
	v_or_b32_e32 v32, 0x200, v64
	v_cmp_gt_u32_e32 vcc, s33, v32
	s_and_saveexec_b64 s[0:1], vcc
	s_cbranch_execz .LBB300_140
; %bb.139:
	v_add_co_u32_e32 v32, vcc, 0x1000, v30
	s_nop 1
	v_addc_co_u32_e32 v33, vcc, 0, v31, vcc
	s_waitcnt lgkmcnt(6)
	global_store_dwordx2 v[32:33], v[12:13], off
.LBB300_140:
	s_or_b64 exec, exec, s[0:1]
	v_or_b32_e32 v32, 0x300, v64
	v_cmp_gt_u32_e32 vcc, s33, v32
	s_and_saveexec_b64 s[0:1], vcc
	s_cbranch_execz .LBB300_142
; %bb.141:
	v_add_co_u32_e32 v32, vcc, 0x1000, v30
	s_nop 1
	v_addc_co_u32_e32 v33, vcc, 0, v31, vcc
	s_waitcnt lgkmcnt(6)
	global_store_dwordx2 v[32:33], v[14:15], off offset:2048
.LBB300_142:
	s_or_b64 exec, exec, s[0:1]
	v_or_b32_e32 v32, 0x400, v64
	v_cmp_gt_u32_e32 vcc, s33, v32
	s_and_saveexec_b64 s[0:1], vcc
	s_cbranch_execz .LBB300_144
; %bb.143:
	v_add_co_u32_e32 v32, vcc, 0x2000, v30
	s_nop 1
	v_addc_co_u32_e32 v33, vcc, 0, v31, vcc
	s_waitcnt lgkmcnt(5)
	global_store_dwordx2 v[32:33], v[8:9], off
.LBB300_144:
	s_or_b64 exec, exec, s[0:1]
	v_or_b32_e32 v32, 0x500, v64
	v_cmp_gt_u32_e32 vcc, s33, v32
	s_and_saveexec_b64 s[0:1], vcc
	s_cbranch_execz .LBB300_146
; %bb.145:
	v_add_co_u32_e32 v32, vcc, 0x2000, v30
	s_nop 1
	v_addc_co_u32_e32 v33, vcc, 0, v31, vcc
	s_waitcnt lgkmcnt(5)
	global_store_dwordx2 v[32:33], v[10:11], off offset:2048
.LBB300_146:
	;; [unrolled: 24-line block ×6, first 2 shown]
	s_or_b64 exec, exec, s[0:1]
	v_or_b32_e32 v32, 0xe00, v64
	v_cmp_gt_u32_e32 vcc, s33, v32
	s_and_saveexec_b64 s[0:1], vcc
	s_cbranch_execz .LBB300_164
; %bb.163:
	v_add_co_u32_e32 v30, vcc, 0x7000, v30
	s_nop 1
	v_addc_co_u32_e32 v31, vcc, 0, v31, vcc
	s_waitcnt lgkmcnt(0)
	global_store_dwordx2 v[30:31], v[28:29], off
.LBB300_164:
	s_or_b64 exec, exec, s[0:1]
	v_cmp_lt_u64_e64 s[0:1], s[42:43], 2
	s_and_b64 vcc, exec, s[0:1]
	s_cbranch_vccnz .LBB300_219
; %bb.165:
	s_add_u32 s0, s33, -1
	s_addc_u32 s1, s52, -1
	s_add_u32 s2, 0, 0x11108400
	s_addc_u32 s3, 0, 49
	s_add_i32 s3, s3, 0x111110e0
	s_mul_hi_u32 s7, s2, -15
	s_sub_i32 s7, s7, s2
	s_mul_i32 s8, s3, -15
	s_mul_i32 s4, s2, -15
	s_add_i32 s7, s7, s8
	s_mul_hi_u32 s5, s3, s4
	s_mul_i32 s6, s3, s4
	s_mul_i32 s9, s2, s7
	s_mul_hi_u32 s4, s2, s4
	s_mul_hi_u32 s8, s2, s7
	s_add_u32 s4, s4, s9
	s_addc_u32 s8, 0, s8
	s_add_u32 s4, s4, s6
	s_mul_hi_u32 s9, s3, s7
	s_addc_u32 s4, s8, s5
	s_addc_u32 s5, s9, 0
	s_mul_i32 s6, s3, s7
	s_add_u32 s4, s4, s6
	v_mov_b32_e32 v30, s4
	s_addc_u32 s5, 0, s5
	v_add_co_u32_e32 v30, vcc, s2, v30
	s_cmp_lg_u64 vcc, 0
	s_addc_u32 s2, s3, s5
	v_readfirstlane_b32 s5, v30
	s_mul_i32 s4, s0, s2
	s_mul_hi_u32 s6, s0, s5
	s_mul_hi_u32 s3, s0, s2
	s_add_u32 s4, s6, s4
	s_addc_u32 s3, 0, s3
	s_mul_hi_u32 s7, s1, s5
	s_mul_i32 s5, s1, s5
	s_add_u32 s4, s4, s5
	s_mul_hi_u32 s6, s1, s2
	s_addc_u32 s3, s3, s7
	s_addc_u32 s4, s6, 0
	s_mul_i32 s2, s1, s2
	s_add_u32 s2, s3, s2
	s_addc_u32 s3, 0, s4
	s_add_u32 s4, s2, 1
	s_addc_u32 s5, s3, 0
	s_add_u32 s6, s2, 2
	s_mul_i32 s8, s3, 15
	s_mul_hi_u32 s9, s2, 15
	s_addc_u32 s7, s3, 0
	s_add_i32 s9, s9, s8
	s_mul_i32 s8, s2, 15
	v_mov_b32_e32 v30, s8
	v_sub_co_u32_e32 v30, vcc, s0, v30
	s_cmp_lg_u64 vcc, 0
	s_subb_u32 s8, s1, s9
	v_subrev_co_u32_e32 v31, vcc, 15, v30
	s_cmp_lg_u64 vcc, 0
	s_subb_u32 s9, s8, 0
	v_readfirstlane_b32 s10, v31
	s_cmp_gt_u32 s10, 14
	s_cselect_b32 s10, -1, 0
	s_cmp_eq_u32 s9, 0
	s_cselect_b32 s9, s10, -1
	s_cmp_lg_u32 s9, 0
	s_cselect_b32 s4, s6, s4
	v_readfirstlane_b32 s6, v30
	s_cselect_b32 s5, s7, s5
	s_cmp_gt_u32 s6, 14
	s_cselect_b32 s6, -1, 0
	s_cmp_eq_u32 s8, 0
	s_cselect_b32 s6, s6, -1
	s_cmp_lg_u32 s6, 0
	v_mov_b32_e32 v65, v95
	s_cselect_b32 s3, s5, s3
	s_cselect_b32 s2, s4, s2
	v_cmp_eq_u64_e32 vcc, s[2:3], v[64:65]
	s_and_saveexec_b64 s[2:3], vcc
	s_cbranch_execz .LBB300_219
; %bb.166:
	v_mul_hi_u32_u24_e32 v31, 15, v64
	v_mov_b32_e32 v32, s1
	v_sub_co_u32_e32 v30, vcc, s0, v96
	s_nop 1
	v_subb_co_u32_e32 v31, vcc, v32, v31, vcc
	v_cmp_lt_i64_e32 vcc, 7, v[30:31]
	s_and_saveexec_b64 s[0:1], vcc
	s_xor_b64 s[0:1], exec, s[0:1]
	s_cbranch_execz .LBB300_192
; %bb.167:
	v_cmp_lt_i64_e32 vcc, 10, v[30:31]
	s_and_saveexec_b64 s[2:3], vcc
	s_xor_b64 s[2:3], exec, s[2:3]
	s_cbranch_execz .LBB300_181
; %bb.168:
	;; [unrolled: 5-line block ×4, first 2 shown]
	s_waitcnt lgkmcnt(2)
	v_mov_b32_e32 v0, 0
	s_waitcnt lgkmcnt(0)
	global_store_dwordx2 v0, v[28:29], s[38:39]
                                        ; implicit-def: $vgpr20_vgpr21_vgpr22_vgpr23
.LBB300_171:
	s_andn2_saveexec_b64 s[6:7], s[6:7]
	s_cbranch_execz .LBB300_173
; %bb.172:
	s_waitcnt lgkmcnt(2)
	v_mov_b32_e32 v0, 0
	s_waitcnt lgkmcnt(1)
	global_store_dwordx2 v0, v[22:23], s[38:39]
.LBB300_173:
	s_or_b64 exec, exec, s[6:7]
                                        ; implicit-def: $vgpr0_vgpr1_vgpr2_vgpr3
                                        ; implicit-def: $vgpr30_vgpr31
                                        ; implicit-def: $vgpr20_vgpr21_vgpr22_vgpr23
.LBB300_174:
	s_andn2_saveexec_b64 s[4:5], s[4:5]
	s_cbranch_execz .LBB300_180
; %bb.175:
	v_cmp_lt_i64_e32 vcc, 11, v[30:31]
	s_and_saveexec_b64 s[6:7], vcc
	s_xor_b64 s[6:7], exec, s[6:7]
	s_cbranch_execz .LBB300_177
; %bb.176:
	s_waitcnt lgkmcnt(2)
	v_mov_b32_e32 v0, 0
	s_waitcnt lgkmcnt(1)
	global_store_dwordx2 v0, v[20:21], s[38:39]
                                        ; implicit-def: $vgpr0_vgpr1_vgpr2_vgpr3
.LBB300_177:
	s_andn2_saveexec_b64 s[6:7], s[6:7]
	s_cbranch_execz .LBB300_179
; %bb.178:
	s_waitcnt lgkmcnt(2)
	v_mov_b32_e32 v0, 0
	global_store_dwordx2 v0, v[2:3], s[38:39]
.LBB300_179:
	s_or_b64 exec, exec, s[6:7]
.LBB300_180:
	s_or_b64 exec, exec, s[4:5]
                                        ; implicit-def: $vgpr16_vgpr17_vgpr18_vgpr19
                                        ; implicit-def: $vgpr30_vgpr31
                                        ; implicit-def: $vgpr0_vgpr1_vgpr2_vgpr3
.LBB300_181:
	s_andn2_saveexec_b64 s[2:3], s[2:3]
	s_cbranch_execz .LBB300_191
; %bb.182:
	v_cmp_lt_i64_e32 vcc, 8, v[30:31]
	s_and_saveexec_b64 s[4:5], vcc
	s_xor_b64 s[4:5], exec, s[4:5]
	s_cbranch_execz .LBB300_188
; %bb.183:
	v_cmp_lt_i64_e32 vcc, 9, v[30:31]
	s_and_saveexec_b64 s[6:7], vcc
	s_xor_b64 s[6:7], exec, s[6:7]
	s_cbranch_execz .LBB300_185
; %bb.184:
	s_waitcnt lgkmcnt(2)
	v_mov_b32_e32 v2, 0
	global_store_dwordx2 v2, v[0:1], s[38:39]
                                        ; implicit-def: $vgpr16_vgpr17_vgpr18_vgpr19
.LBB300_185:
	s_andn2_saveexec_b64 s[6:7], s[6:7]
	s_cbranch_execz .LBB300_187
; %bb.186:
	s_waitcnt lgkmcnt(2)
	v_mov_b32_e32 v0, 0
	global_store_dwordx2 v0, v[18:19], s[38:39]
.LBB300_187:
	s_or_b64 exec, exec, s[6:7]
                                        ; implicit-def: $vgpr16_vgpr17_vgpr18_vgpr19
.LBB300_188:
	s_andn2_saveexec_b64 s[4:5], s[4:5]
	s_cbranch_execz .LBB300_190
; %bb.189:
	s_waitcnt lgkmcnt(2)
	v_mov_b32_e32 v0, 0
	global_store_dwordx2 v0, v[16:17], s[38:39]
.LBB300_190:
	s_or_b64 exec, exec, s[4:5]
.LBB300_191:
	s_or_b64 exec, exec, s[2:3]
                                        ; implicit-def: $vgpr30_vgpr31
                                        ; implicit-def: $vgpr4_vgpr5_vgpr6_vgpr7
                                        ; implicit-def: $vgpr8_vgpr9_vgpr10_vgpr11
                                        ; implicit-def: $vgpr12_vgpr13_vgpr14_vgpr15
                                        ; implicit-def: $vgpr24_vgpr25_vgpr26_vgpr27
.LBB300_192:
	s_andn2_saveexec_b64 s[0:1], s[0:1]
	s_cbranch_execz .LBB300_219
; %bb.193:
	v_cmp_lt_i64_e32 vcc, 3, v[30:31]
	s_and_saveexec_b64 s[0:1], vcc
	s_xor_b64 s[0:1], exec, s[0:1]
	s_cbranch_execz .LBB300_207
; %bb.194:
	v_cmp_lt_i64_e32 vcc, 5, v[30:31]
	s_and_saveexec_b64 s[2:3], vcc
	s_xor_b64 s[2:3], exec, s[2:3]
	;; [unrolled: 5-line block ×3, first 2 shown]
	s_cbranch_execz .LBB300_197
; %bb.196:
	s_waitcnt lgkmcnt(2)
	v_mov_b32_e32 v0, 0
	global_store_dwordx2 v0, v[26:27], s[38:39]
                                        ; implicit-def: $vgpr24_vgpr25_vgpr26_vgpr27
.LBB300_197:
	s_andn2_saveexec_b64 s[4:5], s[4:5]
	s_cbranch_execz .LBB300_199
; %bb.198:
	s_waitcnt lgkmcnt(2)
	v_mov_b32_e32 v0, 0
	global_store_dwordx2 v0, v[24:25], s[38:39]
.LBB300_199:
	s_or_b64 exec, exec, s[4:5]
                                        ; implicit-def: $vgpr8_vgpr9_vgpr10_vgpr11
                                        ; implicit-def: $vgpr30_vgpr31
.LBB300_200:
	s_andn2_saveexec_b64 s[2:3], s[2:3]
	s_cbranch_execz .LBB300_206
; %bb.201:
	v_cmp_lt_i64_e32 vcc, 4, v[30:31]
	s_and_saveexec_b64 s[4:5], vcc
	s_xor_b64 s[4:5], exec, s[4:5]
	s_cbranch_execz .LBB300_203
; %bb.202:
	s_waitcnt lgkmcnt(2)
	v_mov_b32_e32 v0, 0
	global_store_dwordx2 v0, v[10:11], s[38:39]
                                        ; implicit-def: $vgpr8_vgpr9_vgpr10_vgpr11
.LBB300_203:
	s_andn2_saveexec_b64 s[4:5], s[4:5]
	s_cbranch_execz .LBB300_205
; %bb.204:
	s_waitcnt lgkmcnt(2)
	v_mov_b32_e32 v0, 0
	global_store_dwordx2 v0, v[8:9], s[38:39]
.LBB300_205:
	s_or_b64 exec, exec, s[4:5]
.LBB300_206:
	s_or_b64 exec, exec, s[2:3]
                                        ; implicit-def: $vgpr30_vgpr31
                                        ; implicit-def: $vgpr4_vgpr5_vgpr6_vgpr7
                                        ; implicit-def: $vgpr12_vgpr13_vgpr14_vgpr15
.LBB300_207:
	s_andn2_saveexec_b64 s[0:1], s[0:1]
	s_cbranch_execz .LBB300_219
; %bb.208:
	v_cmp_lt_i64_e32 vcc, 1, v[30:31]
	s_and_saveexec_b64 s[0:1], vcc
	s_xor_b64 s[0:1], exec, s[0:1]
	s_cbranch_execz .LBB300_214
; %bb.209:
	v_cmp_lt_i64_e32 vcc, 2, v[30:31]
	s_and_saveexec_b64 s[2:3], vcc
	s_xor_b64 s[2:3], exec, s[2:3]
	s_cbranch_execz .LBB300_211
; %bb.210:
	s_waitcnt lgkmcnt(2)
	v_mov_b32_e32 v0, 0
	global_store_dwordx2 v0, v[14:15], s[38:39]
                                        ; implicit-def: $vgpr12_vgpr13_vgpr14_vgpr15
.LBB300_211:
	s_andn2_saveexec_b64 s[2:3], s[2:3]
	s_cbranch_execz .LBB300_213
; %bb.212:
	s_waitcnt lgkmcnt(2)
	v_mov_b32_e32 v0, 0
	global_store_dwordx2 v0, v[12:13], s[38:39]
.LBB300_213:
	s_or_b64 exec, exec, s[2:3]
                                        ; implicit-def: $vgpr4_vgpr5_vgpr6_vgpr7
                                        ; implicit-def: $vgpr30_vgpr31
.LBB300_214:
	s_andn2_saveexec_b64 s[0:1], s[0:1]
	s_cbranch_execz .LBB300_219
; %bb.215:
	v_cmp_ne_u64_e32 vcc, 1, v[30:31]
	s_and_saveexec_b64 s[0:1], vcc
	s_xor_b64 s[0:1], exec, s[0:1]
	s_cbranch_execz .LBB300_217
; %bb.216:
	s_waitcnt lgkmcnt(2)
	v_mov_b32_e32 v0, 0
	global_store_dwordx2 v0, v[4:5], s[38:39]
                                        ; implicit-def: $vgpr4_vgpr5_vgpr6_vgpr7
.LBB300_217:
	s_andn2_saveexec_b64 s[0:1], s[0:1]
	s_cbranch_execz .LBB300_219
; %bb.218:
	s_waitcnt lgkmcnt(2)
	v_mov_b32_e32 v0, 0
	global_store_dwordx2 v0, v[6:7], s[38:39]
.LBB300_219:
	s_endpgm
	.section	.rodata,"a",@progbits
	.p2align	6, 0x0
	.amdhsa_kernel _ZN7rocprim17ROCPRIM_400000_NS6detail17trampoline_kernelINS0_14default_configENS1_20scan_config_selectorIN3c107complexIfEEEEZZNS1_9scan_implILNS1_25lookback_scan_determinismE0ELb0ELb0ES3_PKS7_PS7_S7_ZZZN2at6native31launch_logcumsumexp_cuda_kernelERKNSE_10TensorBaseESI_lENKUlvE_clEvENKUlvE2_clEvEUlS7_S7_E_S7_EEDaPvRmT3_T4_T5_mT6_P12ihipStream_tbENKUlT_T0_E_clISt17integral_constantIbLb1EESZ_EEDaSU_SV_EUlSU_E_NS1_11comp_targetILNS1_3genE5ELNS1_11target_archE942ELNS1_3gpuE9ELNS1_3repE0EEENS1_30default_config_static_selectorELNS0_4arch9wavefront6targetE1EEEvT1_
		.amdhsa_group_segment_fixed_size 30720
		.amdhsa_private_segment_fixed_size 0
		.amdhsa_kernarg_size 104
		.amdhsa_user_sgpr_count 2
		.amdhsa_user_sgpr_dispatch_ptr 0
		.amdhsa_user_sgpr_queue_ptr 0
		.amdhsa_user_sgpr_kernarg_segment_ptr 1
		.amdhsa_user_sgpr_dispatch_id 0
		.amdhsa_user_sgpr_kernarg_preload_length 0
		.amdhsa_user_sgpr_kernarg_preload_offset 0
		.amdhsa_user_sgpr_private_segment_size 0
		.amdhsa_uses_dynamic_stack 0
		.amdhsa_enable_private_segment 0
		.amdhsa_system_sgpr_workgroup_id_x 1
		.amdhsa_system_sgpr_workgroup_id_y 0
		.amdhsa_system_sgpr_workgroup_id_z 0
		.amdhsa_system_sgpr_workgroup_info 0
		.amdhsa_system_vgpr_workitem_id 0
		.amdhsa_next_free_vgpr 97
		.amdhsa_next_free_sgpr 59
		.amdhsa_accum_offset 100
		.amdhsa_reserve_vcc 1
		.amdhsa_float_round_mode_32 0
		.amdhsa_float_round_mode_16_64 0
		.amdhsa_float_denorm_mode_32 3
		.amdhsa_float_denorm_mode_16_64 3
		.amdhsa_dx10_clamp 1
		.amdhsa_ieee_mode 1
		.amdhsa_fp16_overflow 0
		.amdhsa_tg_split 0
		.amdhsa_exception_fp_ieee_invalid_op 0
		.amdhsa_exception_fp_denorm_src 0
		.amdhsa_exception_fp_ieee_div_zero 0
		.amdhsa_exception_fp_ieee_overflow 0
		.amdhsa_exception_fp_ieee_underflow 0
		.amdhsa_exception_fp_ieee_inexact 0
		.amdhsa_exception_int_div_zero 0
	.end_amdhsa_kernel
	.section	.text._ZN7rocprim17ROCPRIM_400000_NS6detail17trampoline_kernelINS0_14default_configENS1_20scan_config_selectorIN3c107complexIfEEEEZZNS1_9scan_implILNS1_25lookback_scan_determinismE0ELb0ELb0ES3_PKS7_PS7_S7_ZZZN2at6native31launch_logcumsumexp_cuda_kernelERKNSE_10TensorBaseESI_lENKUlvE_clEvENKUlvE2_clEvEUlS7_S7_E_S7_EEDaPvRmT3_T4_T5_mT6_P12ihipStream_tbENKUlT_T0_E_clISt17integral_constantIbLb1EESZ_EEDaSU_SV_EUlSU_E_NS1_11comp_targetILNS1_3genE5ELNS1_11target_archE942ELNS1_3gpuE9ELNS1_3repE0EEENS1_30default_config_static_selectorELNS0_4arch9wavefront6targetE1EEEvT1_,"axG",@progbits,_ZN7rocprim17ROCPRIM_400000_NS6detail17trampoline_kernelINS0_14default_configENS1_20scan_config_selectorIN3c107complexIfEEEEZZNS1_9scan_implILNS1_25lookback_scan_determinismE0ELb0ELb0ES3_PKS7_PS7_S7_ZZZN2at6native31launch_logcumsumexp_cuda_kernelERKNSE_10TensorBaseESI_lENKUlvE_clEvENKUlvE2_clEvEUlS7_S7_E_S7_EEDaPvRmT3_T4_T5_mT6_P12ihipStream_tbENKUlT_T0_E_clISt17integral_constantIbLb1EESZ_EEDaSU_SV_EUlSU_E_NS1_11comp_targetILNS1_3genE5ELNS1_11target_archE942ELNS1_3gpuE9ELNS1_3repE0EEENS1_30default_config_static_selectorELNS0_4arch9wavefront6targetE1EEEvT1_,comdat
.Lfunc_end300:
	.size	_ZN7rocprim17ROCPRIM_400000_NS6detail17trampoline_kernelINS0_14default_configENS1_20scan_config_selectorIN3c107complexIfEEEEZZNS1_9scan_implILNS1_25lookback_scan_determinismE0ELb0ELb0ES3_PKS7_PS7_S7_ZZZN2at6native31launch_logcumsumexp_cuda_kernelERKNSE_10TensorBaseESI_lENKUlvE_clEvENKUlvE2_clEvEUlS7_S7_E_S7_EEDaPvRmT3_T4_T5_mT6_P12ihipStream_tbENKUlT_T0_E_clISt17integral_constantIbLb1EESZ_EEDaSU_SV_EUlSU_E_NS1_11comp_targetILNS1_3genE5ELNS1_11target_archE942ELNS1_3gpuE9ELNS1_3repE0EEENS1_30default_config_static_selectorELNS0_4arch9wavefront6targetE1EEEvT1_, .Lfunc_end300-_ZN7rocprim17ROCPRIM_400000_NS6detail17trampoline_kernelINS0_14default_configENS1_20scan_config_selectorIN3c107complexIfEEEEZZNS1_9scan_implILNS1_25lookback_scan_determinismE0ELb0ELb0ES3_PKS7_PS7_S7_ZZZN2at6native31launch_logcumsumexp_cuda_kernelERKNSE_10TensorBaseESI_lENKUlvE_clEvENKUlvE2_clEvEUlS7_S7_E_S7_EEDaPvRmT3_T4_T5_mT6_P12ihipStream_tbENKUlT_T0_E_clISt17integral_constantIbLb1EESZ_EEDaSU_SV_EUlSU_E_NS1_11comp_targetILNS1_3genE5ELNS1_11target_archE942ELNS1_3gpuE9ELNS1_3repE0EEENS1_30default_config_static_selectorELNS0_4arch9wavefront6targetE1EEEvT1_
                                        ; -- End function
	.section	.AMDGPU.csdata,"",@progbits
; Kernel info:
; codeLenInByte = 9040
; NumSgprs: 65
; NumVgprs: 97
; NumAgprs: 0
; TotalNumVgprs: 97
; ScratchSize: 0
; MemoryBound: 0
; FloatMode: 240
; IeeeMode: 1
; LDSByteSize: 30720 bytes/workgroup (compile time only)
; SGPRBlocks: 8
; VGPRBlocks: 12
; NumSGPRsForWavesPerEU: 65
; NumVGPRsForWavesPerEU: 97
; AccumOffset: 100
; Occupancy: 2
; WaveLimiterHint : 0
; COMPUTE_PGM_RSRC2:SCRATCH_EN: 0
; COMPUTE_PGM_RSRC2:USER_SGPR: 2
; COMPUTE_PGM_RSRC2:TRAP_HANDLER: 0
; COMPUTE_PGM_RSRC2:TGID_X_EN: 1
; COMPUTE_PGM_RSRC2:TGID_Y_EN: 0
; COMPUTE_PGM_RSRC2:TGID_Z_EN: 0
; COMPUTE_PGM_RSRC2:TIDIG_COMP_CNT: 0
; COMPUTE_PGM_RSRC3_GFX90A:ACCUM_OFFSET: 24
; COMPUTE_PGM_RSRC3_GFX90A:TG_SPLIT: 0
	.section	.text._ZN7rocprim17ROCPRIM_400000_NS6detail17trampoline_kernelINS0_14default_configENS1_20scan_config_selectorIN3c107complexIfEEEEZZNS1_9scan_implILNS1_25lookback_scan_determinismE0ELb0ELb0ES3_PKS7_PS7_S7_ZZZN2at6native31launch_logcumsumexp_cuda_kernelERKNSE_10TensorBaseESI_lENKUlvE_clEvENKUlvE2_clEvEUlS7_S7_E_S7_EEDaPvRmT3_T4_T5_mT6_P12ihipStream_tbENKUlT_T0_E_clISt17integral_constantIbLb1EESZ_EEDaSU_SV_EUlSU_E_NS1_11comp_targetILNS1_3genE4ELNS1_11target_archE910ELNS1_3gpuE8ELNS1_3repE0EEENS1_30default_config_static_selectorELNS0_4arch9wavefront6targetE1EEEvT1_,"axG",@progbits,_ZN7rocprim17ROCPRIM_400000_NS6detail17trampoline_kernelINS0_14default_configENS1_20scan_config_selectorIN3c107complexIfEEEEZZNS1_9scan_implILNS1_25lookback_scan_determinismE0ELb0ELb0ES3_PKS7_PS7_S7_ZZZN2at6native31launch_logcumsumexp_cuda_kernelERKNSE_10TensorBaseESI_lENKUlvE_clEvENKUlvE2_clEvEUlS7_S7_E_S7_EEDaPvRmT3_T4_T5_mT6_P12ihipStream_tbENKUlT_T0_E_clISt17integral_constantIbLb1EESZ_EEDaSU_SV_EUlSU_E_NS1_11comp_targetILNS1_3genE4ELNS1_11target_archE910ELNS1_3gpuE8ELNS1_3repE0EEENS1_30default_config_static_selectorELNS0_4arch9wavefront6targetE1EEEvT1_,comdat
	.globl	_ZN7rocprim17ROCPRIM_400000_NS6detail17trampoline_kernelINS0_14default_configENS1_20scan_config_selectorIN3c107complexIfEEEEZZNS1_9scan_implILNS1_25lookback_scan_determinismE0ELb0ELb0ES3_PKS7_PS7_S7_ZZZN2at6native31launch_logcumsumexp_cuda_kernelERKNSE_10TensorBaseESI_lENKUlvE_clEvENKUlvE2_clEvEUlS7_S7_E_S7_EEDaPvRmT3_T4_T5_mT6_P12ihipStream_tbENKUlT_T0_E_clISt17integral_constantIbLb1EESZ_EEDaSU_SV_EUlSU_E_NS1_11comp_targetILNS1_3genE4ELNS1_11target_archE910ELNS1_3gpuE8ELNS1_3repE0EEENS1_30default_config_static_selectorELNS0_4arch9wavefront6targetE1EEEvT1_ ; -- Begin function _ZN7rocprim17ROCPRIM_400000_NS6detail17trampoline_kernelINS0_14default_configENS1_20scan_config_selectorIN3c107complexIfEEEEZZNS1_9scan_implILNS1_25lookback_scan_determinismE0ELb0ELb0ES3_PKS7_PS7_S7_ZZZN2at6native31launch_logcumsumexp_cuda_kernelERKNSE_10TensorBaseESI_lENKUlvE_clEvENKUlvE2_clEvEUlS7_S7_E_S7_EEDaPvRmT3_T4_T5_mT6_P12ihipStream_tbENKUlT_T0_E_clISt17integral_constantIbLb1EESZ_EEDaSU_SV_EUlSU_E_NS1_11comp_targetILNS1_3genE4ELNS1_11target_archE910ELNS1_3gpuE8ELNS1_3repE0EEENS1_30default_config_static_selectorELNS0_4arch9wavefront6targetE1EEEvT1_
	.p2align	8
	.type	_ZN7rocprim17ROCPRIM_400000_NS6detail17trampoline_kernelINS0_14default_configENS1_20scan_config_selectorIN3c107complexIfEEEEZZNS1_9scan_implILNS1_25lookback_scan_determinismE0ELb0ELb0ES3_PKS7_PS7_S7_ZZZN2at6native31launch_logcumsumexp_cuda_kernelERKNSE_10TensorBaseESI_lENKUlvE_clEvENKUlvE2_clEvEUlS7_S7_E_S7_EEDaPvRmT3_T4_T5_mT6_P12ihipStream_tbENKUlT_T0_E_clISt17integral_constantIbLb1EESZ_EEDaSU_SV_EUlSU_E_NS1_11comp_targetILNS1_3genE4ELNS1_11target_archE910ELNS1_3gpuE8ELNS1_3repE0EEENS1_30default_config_static_selectorELNS0_4arch9wavefront6targetE1EEEvT1_,@function
_ZN7rocprim17ROCPRIM_400000_NS6detail17trampoline_kernelINS0_14default_configENS1_20scan_config_selectorIN3c107complexIfEEEEZZNS1_9scan_implILNS1_25lookback_scan_determinismE0ELb0ELb0ES3_PKS7_PS7_S7_ZZZN2at6native31launch_logcumsumexp_cuda_kernelERKNSE_10TensorBaseESI_lENKUlvE_clEvENKUlvE2_clEvEUlS7_S7_E_S7_EEDaPvRmT3_T4_T5_mT6_P12ihipStream_tbENKUlT_T0_E_clISt17integral_constantIbLb1EESZ_EEDaSU_SV_EUlSU_E_NS1_11comp_targetILNS1_3genE4ELNS1_11target_archE910ELNS1_3gpuE8ELNS1_3repE0EEENS1_30default_config_static_selectorELNS0_4arch9wavefront6targetE1EEEvT1_: ; @_ZN7rocprim17ROCPRIM_400000_NS6detail17trampoline_kernelINS0_14default_configENS1_20scan_config_selectorIN3c107complexIfEEEEZZNS1_9scan_implILNS1_25lookback_scan_determinismE0ELb0ELb0ES3_PKS7_PS7_S7_ZZZN2at6native31launch_logcumsumexp_cuda_kernelERKNSE_10TensorBaseESI_lENKUlvE_clEvENKUlvE2_clEvEUlS7_S7_E_S7_EEDaPvRmT3_T4_T5_mT6_P12ihipStream_tbENKUlT_T0_E_clISt17integral_constantIbLb1EESZ_EEDaSU_SV_EUlSU_E_NS1_11comp_targetILNS1_3genE4ELNS1_11target_archE910ELNS1_3gpuE8ELNS1_3repE0EEENS1_30default_config_static_selectorELNS0_4arch9wavefront6targetE1EEEvT1_
; %bb.0:
	.section	.rodata,"a",@progbits
	.p2align	6, 0x0
	.amdhsa_kernel _ZN7rocprim17ROCPRIM_400000_NS6detail17trampoline_kernelINS0_14default_configENS1_20scan_config_selectorIN3c107complexIfEEEEZZNS1_9scan_implILNS1_25lookback_scan_determinismE0ELb0ELb0ES3_PKS7_PS7_S7_ZZZN2at6native31launch_logcumsumexp_cuda_kernelERKNSE_10TensorBaseESI_lENKUlvE_clEvENKUlvE2_clEvEUlS7_S7_E_S7_EEDaPvRmT3_T4_T5_mT6_P12ihipStream_tbENKUlT_T0_E_clISt17integral_constantIbLb1EESZ_EEDaSU_SV_EUlSU_E_NS1_11comp_targetILNS1_3genE4ELNS1_11target_archE910ELNS1_3gpuE8ELNS1_3repE0EEENS1_30default_config_static_selectorELNS0_4arch9wavefront6targetE1EEEvT1_
		.amdhsa_group_segment_fixed_size 0
		.amdhsa_private_segment_fixed_size 0
		.amdhsa_kernarg_size 104
		.amdhsa_user_sgpr_count 2
		.amdhsa_user_sgpr_dispatch_ptr 0
		.amdhsa_user_sgpr_queue_ptr 0
		.amdhsa_user_sgpr_kernarg_segment_ptr 1
		.amdhsa_user_sgpr_dispatch_id 0
		.amdhsa_user_sgpr_kernarg_preload_length 0
		.amdhsa_user_sgpr_kernarg_preload_offset 0
		.amdhsa_user_sgpr_private_segment_size 0
		.amdhsa_uses_dynamic_stack 0
		.amdhsa_enable_private_segment 0
		.amdhsa_system_sgpr_workgroup_id_x 1
		.amdhsa_system_sgpr_workgroup_id_y 0
		.amdhsa_system_sgpr_workgroup_id_z 0
		.amdhsa_system_sgpr_workgroup_info 0
		.amdhsa_system_vgpr_workitem_id 0
		.amdhsa_next_free_vgpr 1
		.amdhsa_next_free_sgpr 0
		.amdhsa_accum_offset 4
		.amdhsa_reserve_vcc 0
		.amdhsa_float_round_mode_32 0
		.amdhsa_float_round_mode_16_64 0
		.amdhsa_float_denorm_mode_32 3
		.amdhsa_float_denorm_mode_16_64 3
		.amdhsa_dx10_clamp 1
		.amdhsa_ieee_mode 1
		.amdhsa_fp16_overflow 0
		.amdhsa_tg_split 0
		.amdhsa_exception_fp_ieee_invalid_op 0
		.amdhsa_exception_fp_denorm_src 0
		.amdhsa_exception_fp_ieee_div_zero 0
		.amdhsa_exception_fp_ieee_overflow 0
		.amdhsa_exception_fp_ieee_underflow 0
		.amdhsa_exception_fp_ieee_inexact 0
		.amdhsa_exception_int_div_zero 0
	.end_amdhsa_kernel
	.section	.text._ZN7rocprim17ROCPRIM_400000_NS6detail17trampoline_kernelINS0_14default_configENS1_20scan_config_selectorIN3c107complexIfEEEEZZNS1_9scan_implILNS1_25lookback_scan_determinismE0ELb0ELb0ES3_PKS7_PS7_S7_ZZZN2at6native31launch_logcumsumexp_cuda_kernelERKNSE_10TensorBaseESI_lENKUlvE_clEvENKUlvE2_clEvEUlS7_S7_E_S7_EEDaPvRmT3_T4_T5_mT6_P12ihipStream_tbENKUlT_T0_E_clISt17integral_constantIbLb1EESZ_EEDaSU_SV_EUlSU_E_NS1_11comp_targetILNS1_3genE4ELNS1_11target_archE910ELNS1_3gpuE8ELNS1_3repE0EEENS1_30default_config_static_selectorELNS0_4arch9wavefront6targetE1EEEvT1_,"axG",@progbits,_ZN7rocprim17ROCPRIM_400000_NS6detail17trampoline_kernelINS0_14default_configENS1_20scan_config_selectorIN3c107complexIfEEEEZZNS1_9scan_implILNS1_25lookback_scan_determinismE0ELb0ELb0ES3_PKS7_PS7_S7_ZZZN2at6native31launch_logcumsumexp_cuda_kernelERKNSE_10TensorBaseESI_lENKUlvE_clEvENKUlvE2_clEvEUlS7_S7_E_S7_EEDaPvRmT3_T4_T5_mT6_P12ihipStream_tbENKUlT_T0_E_clISt17integral_constantIbLb1EESZ_EEDaSU_SV_EUlSU_E_NS1_11comp_targetILNS1_3genE4ELNS1_11target_archE910ELNS1_3gpuE8ELNS1_3repE0EEENS1_30default_config_static_selectorELNS0_4arch9wavefront6targetE1EEEvT1_,comdat
.Lfunc_end301:
	.size	_ZN7rocprim17ROCPRIM_400000_NS6detail17trampoline_kernelINS0_14default_configENS1_20scan_config_selectorIN3c107complexIfEEEEZZNS1_9scan_implILNS1_25lookback_scan_determinismE0ELb0ELb0ES3_PKS7_PS7_S7_ZZZN2at6native31launch_logcumsumexp_cuda_kernelERKNSE_10TensorBaseESI_lENKUlvE_clEvENKUlvE2_clEvEUlS7_S7_E_S7_EEDaPvRmT3_T4_T5_mT6_P12ihipStream_tbENKUlT_T0_E_clISt17integral_constantIbLb1EESZ_EEDaSU_SV_EUlSU_E_NS1_11comp_targetILNS1_3genE4ELNS1_11target_archE910ELNS1_3gpuE8ELNS1_3repE0EEENS1_30default_config_static_selectorELNS0_4arch9wavefront6targetE1EEEvT1_, .Lfunc_end301-_ZN7rocprim17ROCPRIM_400000_NS6detail17trampoline_kernelINS0_14default_configENS1_20scan_config_selectorIN3c107complexIfEEEEZZNS1_9scan_implILNS1_25lookback_scan_determinismE0ELb0ELb0ES3_PKS7_PS7_S7_ZZZN2at6native31launch_logcumsumexp_cuda_kernelERKNSE_10TensorBaseESI_lENKUlvE_clEvENKUlvE2_clEvEUlS7_S7_E_S7_EEDaPvRmT3_T4_T5_mT6_P12ihipStream_tbENKUlT_T0_E_clISt17integral_constantIbLb1EESZ_EEDaSU_SV_EUlSU_E_NS1_11comp_targetILNS1_3genE4ELNS1_11target_archE910ELNS1_3gpuE8ELNS1_3repE0EEENS1_30default_config_static_selectorELNS0_4arch9wavefront6targetE1EEEvT1_
                                        ; -- End function
	.section	.AMDGPU.csdata,"",@progbits
; Kernel info:
; codeLenInByte = 0
; NumSgprs: 6
; NumVgprs: 0
; NumAgprs: 0
; TotalNumVgprs: 0
; ScratchSize: 0
; MemoryBound: 0
; FloatMode: 240
; IeeeMode: 1
; LDSByteSize: 0 bytes/workgroup (compile time only)
; SGPRBlocks: 0
; VGPRBlocks: 0
; NumSGPRsForWavesPerEU: 6
; NumVGPRsForWavesPerEU: 1
; AccumOffset: 4
; Occupancy: 8
; WaveLimiterHint : 0
; COMPUTE_PGM_RSRC2:SCRATCH_EN: 0
; COMPUTE_PGM_RSRC2:USER_SGPR: 2
; COMPUTE_PGM_RSRC2:TRAP_HANDLER: 0
; COMPUTE_PGM_RSRC2:TGID_X_EN: 1
; COMPUTE_PGM_RSRC2:TGID_Y_EN: 0
; COMPUTE_PGM_RSRC2:TGID_Z_EN: 0
; COMPUTE_PGM_RSRC2:TIDIG_COMP_CNT: 0
; COMPUTE_PGM_RSRC3_GFX90A:ACCUM_OFFSET: 0
; COMPUTE_PGM_RSRC3_GFX90A:TG_SPLIT: 0
	.section	.text._ZN7rocprim17ROCPRIM_400000_NS6detail17trampoline_kernelINS0_14default_configENS1_20scan_config_selectorIN3c107complexIfEEEEZZNS1_9scan_implILNS1_25lookback_scan_determinismE0ELb0ELb0ES3_PKS7_PS7_S7_ZZZN2at6native31launch_logcumsumexp_cuda_kernelERKNSE_10TensorBaseESI_lENKUlvE_clEvENKUlvE2_clEvEUlS7_S7_E_S7_EEDaPvRmT3_T4_T5_mT6_P12ihipStream_tbENKUlT_T0_E_clISt17integral_constantIbLb1EESZ_EEDaSU_SV_EUlSU_E_NS1_11comp_targetILNS1_3genE3ELNS1_11target_archE908ELNS1_3gpuE7ELNS1_3repE0EEENS1_30default_config_static_selectorELNS0_4arch9wavefront6targetE1EEEvT1_,"axG",@progbits,_ZN7rocprim17ROCPRIM_400000_NS6detail17trampoline_kernelINS0_14default_configENS1_20scan_config_selectorIN3c107complexIfEEEEZZNS1_9scan_implILNS1_25lookback_scan_determinismE0ELb0ELb0ES3_PKS7_PS7_S7_ZZZN2at6native31launch_logcumsumexp_cuda_kernelERKNSE_10TensorBaseESI_lENKUlvE_clEvENKUlvE2_clEvEUlS7_S7_E_S7_EEDaPvRmT3_T4_T5_mT6_P12ihipStream_tbENKUlT_T0_E_clISt17integral_constantIbLb1EESZ_EEDaSU_SV_EUlSU_E_NS1_11comp_targetILNS1_3genE3ELNS1_11target_archE908ELNS1_3gpuE7ELNS1_3repE0EEENS1_30default_config_static_selectorELNS0_4arch9wavefront6targetE1EEEvT1_,comdat
	.globl	_ZN7rocprim17ROCPRIM_400000_NS6detail17trampoline_kernelINS0_14default_configENS1_20scan_config_selectorIN3c107complexIfEEEEZZNS1_9scan_implILNS1_25lookback_scan_determinismE0ELb0ELb0ES3_PKS7_PS7_S7_ZZZN2at6native31launch_logcumsumexp_cuda_kernelERKNSE_10TensorBaseESI_lENKUlvE_clEvENKUlvE2_clEvEUlS7_S7_E_S7_EEDaPvRmT3_T4_T5_mT6_P12ihipStream_tbENKUlT_T0_E_clISt17integral_constantIbLb1EESZ_EEDaSU_SV_EUlSU_E_NS1_11comp_targetILNS1_3genE3ELNS1_11target_archE908ELNS1_3gpuE7ELNS1_3repE0EEENS1_30default_config_static_selectorELNS0_4arch9wavefront6targetE1EEEvT1_ ; -- Begin function _ZN7rocprim17ROCPRIM_400000_NS6detail17trampoline_kernelINS0_14default_configENS1_20scan_config_selectorIN3c107complexIfEEEEZZNS1_9scan_implILNS1_25lookback_scan_determinismE0ELb0ELb0ES3_PKS7_PS7_S7_ZZZN2at6native31launch_logcumsumexp_cuda_kernelERKNSE_10TensorBaseESI_lENKUlvE_clEvENKUlvE2_clEvEUlS7_S7_E_S7_EEDaPvRmT3_T4_T5_mT6_P12ihipStream_tbENKUlT_T0_E_clISt17integral_constantIbLb1EESZ_EEDaSU_SV_EUlSU_E_NS1_11comp_targetILNS1_3genE3ELNS1_11target_archE908ELNS1_3gpuE7ELNS1_3repE0EEENS1_30default_config_static_selectorELNS0_4arch9wavefront6targetE1EEEvT1_
	.p2align	8
	.type	_ZN7rocprim17ROCPRIM_400000_NS6detail17trampoline_kernelINS0_14default_configENS1_20scan_config_selectorIN3c107complexIfEEEEZZNS1_9scan_implILNS1_25lookback_scan_determinismE0ELb0ELb0ES3_PKS7_PS7_S7_ZZZN2at6native31launch_logcumsumexp_cuda_kernelERKNSE_10TensorBaseESI_lENKUlvE_clEvENKUlvE2_clEvEUlS7_S7_E_S7_EEDaPvRmT3_T4_T5_mT6_P12ihipStream_tbENKUlT_T0_E_clISt17integral_constantIbLb1EESZ_EEDaSU_SV_EUlSU_E_NS1_11comp_targetILNS1_3genE3ELNS1_11target_archE908ELNS1_3gpuE7ELNS1_3repE0EEENS1_30default_config_static_selectorELNS0_4arch9wavefront6targetE1EEEvT1_,@function
_ZN7rocprim17ROCPRIM_400000_NS6detail17trampoline_kernelINS0_14default_configENS1_20scan_config_selectorIN3c107complexIfEEEEZZNS1_9scan_implILNS1_25lookback_scan_determinismE0ELb0ELb0ES3_PKS7_PS7_S7_ZZZN2at6native31launch_logcumsumexp_cuda_kernelERKNSE_10TensorBaseESI_lENKUlvE_clEvENKUlvE2_clEvEUlS7_S7_E_S7_EEDaPvRmT3_T4_T5_mT6_P12ihipStream_tbENKUlT_T0_E_clISt17integral_constantIbLb1EESZ_EEDaSU_SV_EUlSU_E_NS1_11comp_targetILNS1_3genE3ELNS1_11target_archE908ELNS1_3gpuE7ELNS1_3repE0EEENS1_30default_config_static_selectorELNS0_4arch9wavefront6targetE1EEEvT1_: ; @_ZN7rocprim17ROCPRIM_400000_NS6detail17trampoline_kernelINS0_14default_configENS1_20scan_config_selectorIN3c107complexIfEEEEZZNS1_9scan_implILNS1_25lookback_scan_determinismE0ELb0ELb0ES3_PKS7_PS7_S7_ZZZN2at6native31launch_logcumsumexp_cuda_kernelERKNSE_10TensorBaseESI_lENKUlvE_clEvENKUlvE2_clEvEUlS7_S7_E_S7_EEDaPvRmT3_T4_T5_mT6_P12ihipStream_tbENKUlT_T0_E_clISt17integral_constantIbLb1EESZ_EEDaSU_SV_EUlSU_E_NS1_11comp_targetILNS1_3genE3ELNS1_11target_archE908ELNS1_3gpuE7ELNS1_3repE0EEENS1_30default_config_static_selectorELNS0_4arch9wavefront6targetE1EEEvT1_
; %bb.0:
	.section	.rodata,"a",@progbits
	.p2align	6, 0x0
	.amdhsa_kernel _ZN7rocprim17ROCPRIM_400000_NS6detail17trampoline_kernelINS0_14default_configENS1_20scan_config_selectorIN3c107complexIfEEEEZZNS1_9scan_implILNS1_25lookback_scan_determinismE0ELb0ELb0ES3_PKS7_PS7_S7_ZZZN2at6native31launch_logcumsumexp_cuda_kernelERKNSE_10TensorBaseESI_lENKUlvE_clEvENKUlvE2_clEvEUlS7_S7_E_S7_EEDaPvRmT3_T4_T5_mT6_P12ihipStream_tbENKUlT_T0_E_clISt17integral_constantIbLb1EESZ_EEDaSU_SV_EUlSU_E_NS1_11comp_targetILNS1_3genE3ELNS1_11target_archE908ELNS1_3gpuE7ELNS1_3repE0EEENS1_30default_config_static_selectorELNS0_4arch9wavefront6targetE1EEEvT1_
		.amdhsa_group_segment_fixed_size 0
		.amdhsa_private_segment_fixed_size 0
		.amdhsa_kernarg_size 104
		.amdhsa_user_sgpr_count 2
		.amdhsa_user_sgpr_dispatch_ptr 0
		.amdhsa_user_sgpr_queue_ptr 0
		.amdhsa_user_sgpr_kernarg_segment_ptr 1
		.amdhsa_user_sgpr_dispatch_id 0
		.amdhsa_user_sgpr_kernarg_preload_length 0
		.amdhsa_user_sgpr_kernarg_preload_offset 0
		.amdhsa_user_sgpr_private_segment_size 0
		.amdhsa_uses_dynamic_stack 0
		.amdhsa_enable_private_segment 0
		.amdhsa_system_sgpr_workgroup_id_x 1
		.amdhsa_system_sgpr_workgroup_id_y 0
		.amdhsa_system_sgpr_workgroup_id_z 0
		.amdhsa_system_sgpr_workgroup_info 0
		.amdhsa_system_vgpr_workitem_id 0
		.amdhsa_next_free_vgpr 1
		.amdhsa_next_free_sgpr 0
		.amdhsa_accum_offset 4
		.amdhsa_reserve_vcc 0
		.amdhsa_float_round_mode_32 0
		.amdhsa_float_round_mode_16_64 0
		.amdhsa_float_denorm_mode_32 3
		.amdhsa_float_denorm_mode_16_64 3
		.amdhsa_dx10_clamp 1
		.amdhsa_ieee_mode 1
		.amdhsa_fp16_overflow 0
		.amdhsa_tg_split 0
		.amdhsa_exception_fp_ieee_invalid_op 0
		.amdhsa_exception_fp_denorm_src 0
		.amdhsa_exception_fp_ieee_div_zero 0
		.amdhsa_exception_fp_ieee_overflow 0
		.amdhsa_exception_fp_ieee_underflow 0
		.amdhsa_exception_fp_ieee_inexact 0
		.amdhsa_exception_int_div_zero 0
	.end_amdhsa_kernel
	.section	.text._ZN7rocprim17ROCPRIM_400000_NS6detail17trampoline_kernelINS0_14default_configENS1_20scan_config_selectorIN3c107complexIfEEEEZZNS1_9scan_implILNS1_25lookback_scan_determinismE0ELb0ELb0ES3_PKS7_PS7_S7_ZZZN2at6native31launch_logcumsumexp_cuda_kernelERKNSE_10TensorBaseESI_lENKUlvE_clEvENKUlvE2_clEvEUlS7_S7_E_S7_EEDaPvRmT3_T4_T5_mT6_P12ihipStream_tbENKUlT_T0_E_clISt17integral_constantIbLb1EESZ_EEDaSU_SV_EUlSU_E_NS1_11comp_targetILNS1_3genE3ELNS1_11target_archE908ELNS1_3gpuE7ELNS1_3repE0EEENS1_30default_config_static_selectorELNS0_4arch9wavefront6targetE1EEEvT1_,"axG",@progbits,_ZN7rocprim17ROCPRIM_400000_NS6detail17trampoline_kernelINS0_14default_configENS1_20scan_config_selectorIN3c107complexIfEEEEZZNS1_9scan_implILNS1_25lookback_scan_determinismE0ELb0ELb0ES3_PKS7_PS7_S7_ZZZN2at6native31launch_logcumsumexp_cuda_kernelERKNSE_10TensorBaseESI_lENKUlvE_clEvENKUlvE2_clEvEUlS7_S7_E_S7_EEDaPvRmT3_T4_T5_mT6_P12ihipStream_tbENKUlT_T0_E_clISt17integral_constantIbLb1EESZ_EEDaSU_SV_EUlSU_E_NS1_11comp_targetILNS1_3genE3ELNS1_11target_archE908ELNS1_3gpuE7ELNS1_3repE0EEENS1_30default_config_static_selectorELNS0_4arch9wavefront6targetE1EEEvT1_,comdat
.Lfunc_end302:
	.size	_ZN7rocprim17ROCPRIM_400000_NS6detail17trampoline_kernelINS0_14default_configENS1_20scan_config_selectorIN3c107complexIfEEEEZZNS1_9scan_implILNS1_25lookback_scan_determinismE0ELb0ELb0ES3_PKS7_PS7_S7_ZZZN2at6native31launch_logcumsumexp_cuda_kernelERKNSE_10TensorBaseESI_lENKUlvE_clEvENKUlvE2_clEvEUlS7_S7_E_S7_EEDaPvRmT3_T4_T5_mT6_P12ihipStream_tbENKUlT_T0_E_clISt17integral_constantIbLb1EESZ_EEDaSU_SV_EUlSU_E_NS1_11comp_targetILNS1_3genE3ELNS1_11target_archE908ELNS1_3gpuE7ELNS1_3repE0EEENS1_30default_config_static_selectorELNS0_4arch9wavefront6targetE1EEEvT1_, .Lfunc_end302-_ZN7rocprim17ROCPRIM_400000_NS6detail17trampoline_kernelINS0_14default_configENS1_20scan_config_selectorIN3c107complexIfEEEEZZNS1_9scan_implILNS1_25lookback_scan_determinismE0ELb0ELb0ES3_PKS7_PS7_S7_ZZZN2at6native31launch_logcumsumexp_cuda_kernelERKNSE_10TensorBaseESI_lENKUlvE_clEvENKUlvE2_clEvEUlS7_S7_E_S7_EEDaPvRmT3_T4_T5_mT6_P12ihipStream_tbENKUlT_T0_E_clISt17integral_constantIbLb1EESZ_EEDaSU_SV_EUlSU_E_NS1_11comp_targetILNS1_3genE3ELNS1_11target_archE908ELNS1_3gpuE7ELNS1_3repE0EEENS1_30default_config_static_selectorELNS0_4arch9wavefront6targetE1EEEvT1_
                                        ; -- End function
	.section	.AMDGPU.csdata,"",@progbits
; Kernel info:
; codeLenInByte = 0
; NumSgprs: 6
; NumVgprs: 0
; NumAgprs: 0
; TotalNumVgprs: 0
; ScratchSize: 0
; MemoryBound: 0
; FloatMode: 240
; IeeeMode: 1
; LDSByteSize: 0 bytes/workgroup (compile time only)
; SGPRBlocks: 0
; VGPRBlocks: 0
; NumSGPRsForWavesPerEU: 6
; NumVGPRsForWavesPerEU: 1
; AccumOffset: 4
; Occupancy: 8
; WaveLimiterHint : 0
; COMPUTE_PGM_RSRC2:SCRATCH_EN: 0
; COMPUTE_PGM_RSRC2:USER_SGPR: 2
; COMPUTE_PGM_RSRC2:TRAP_HANDLER: 0
; COMPUTE_PGM_RSRC2:TGID_X_EN: 1
; COMPUTE_PGM_RSRC2:TGID_Y_EN: 0
; COMPUTE_PGM_RSRC2:TGID_Z_EN: 0
; COMPUTE_PGM_RSRC2:TIDIG_COMP_CNT: 0
; COMPUTE_PGM_RSRC3_GFX90A:ACCUM_OFFSET: 0
; COMPUTE_PGM_RSRC3_GFX90A:TG_SPLIT: 0
	.section	.text._ZN7rocprim17ROCPRIM_400000_NS6detail17trampoline_kernelINS0_14default_configENS1_20scan_config_selectorIN3c107complexIfEEEEZZNS1_9scan_implILNS1_25lookback_scan_determinismE0ELb0ELb0ES3_PKS7_PS7_S7_ZZZN2at6native31launch_logcumsumexp_cuda_kernelERKNSE_10TensorBaseESI_lENKUlvE_clEvENKUlvE2_clEvEUlS7_S7_E_S7_EEDaPvRmT3_T4_T5_mT6_P12ihipStream_tbENKUlT_T0_E_clISt17integral_constantIbLb1EESZ_EEDaSU_SV_EUlSU_E_NS1_11comp_targetILNS1_3genE2ELNS1_11target_archE906ELNS1_3gpuE6ELNS1_3repE0EEENS1_30default_config_static_selectorELNS0_4arch9wavefront6targetE1EEEvT1_,"axG",@progbits,_ZN7rocprim17ROCPRIM_400000_NS6detail17trampoline_kernelINS0_14default_configENS1_20scan_config_selectorIN3c107complexIfEEEEZZNS1_9scan_implILNS1_25lookback_scan_determinismE0ELb0ELb0ES3_PKS7_PS7_S7_ZZZN2at6native31launch_logcumsumexp_cuda_kernelERKNSE_10TensorBaseESI_lENKUlvE_clEvENKUlvE2_clEvEUlS7_S7_E_S7_EEDaPvRmT3_T4_T5_mT6_P12ihipStream_tbENKUlT_T0_E_clISt17integral_constantIbLb1EESZ_EEDaSU_SV_EUlSU_E_NS1_11comp_targetILNS1_3genE2ELNS1_11target_archE906ELNS1_3gpuE6ELNS1_3repE0EEENS1_30default_config_static_selectorELNS0_4arch9wavefront6targetE1EEEvT1_,comdat
	.globl	_ZN7rocprim17ROCPRIM_400000_NS6detail17trampoline_kernelINS0_14default_configENS1_20scan_config_selectorIN3c107complexIfEEEEZZNS1_9scan_implILNS1_25lookback_scan_determinismE0ELb0ELb0ES3_PKS7_PS7_S7_ZZZN2at6native31launch_logcumsumexp_cuda_kernelERKNSE_10TensorBaseESI_lENKUlvE_clEvENKUlvE2_clEvEUlS7_S7_E_S7_EEDaPvRmT3_T4_T5_mT6_P12ihipStream_tbENKUlT_T0_E_clISt17integral_constantIbLb1EESZ_EEDaSU_SV_EUlSU_E_NS1_11comp_targetILNS1_3genE2ELNS1_11target_archE906ELNS1_3gpuE6ELNS1_3repE0EEENS1_30default_config_static_selectorELNS0_4arch9wavefront6targetE1EEEvT1_ ; -- Begin function _ZN7rocprim17ROCPRIM_400000_NS6detail17trampoline_kernelINS0_14default_configENS1_20scan_config_selectorIN3c107complexIfEEEEZZNS1_9scan_implILNS1_25lookback_scan_determinismE0ELb0ELb0ES3_PKS7_PS7_S7_ZZZN2at6native31launch_logcumsumexp_cuda_kernelERKNSE_10TensorBaseESI_lENKUlvE_clEvENKUlvE2_clEvEUlS7_S7_E_S7_EEDaPvRmT3_T4_T5_mT6_P12ihipStream_tbENKUlT_T0_E_clISt17integral_constantIbLb1EESZ_EEDaSU_SV_EUlSU_E_NS1_11comp_targetILNS1_3genE2ELNS1_11target_archE906ELNS1_3gpuE6ELNS1_3repE0EEENS1_30default_config_static_selectorELNS0_4arch9wavefront6targetE1EEEvT1_
	.p2align	8
	.type	_ZN7rocprim17ROCPRIM_400000_NS6detail17trampoline_kernelINS0_14default_configENS1_20scan_config_selectorIN3c107complexIfEEEEZZNS1_9scan_implILNS1_25lookback_scan_determinismE0ELb0ELb0ES3_PKS7_PS7_S7_ZZZN2at6native31launch_logcumsumexp_cuda_kernelERKNSE_10TensorBaseESI_lENKUlvE_clEvENKUlvE2_clEvEUlS7_S7_E_S7_EEDaPvRmT3_T4_T5_mT6_P12ihipStream_tbENKUlT_T0_E_clISt17integral_constantIbLb1EESZ_EEDaSU_SV_EUlSU_E_NS1_11comp_targetILNS1_3genE2ELNS1_11target_archE906ELNS1_3gpuE6ELNS1_3repE0EEENS1_30default_config_static_selectorELNS0_4arch9wavefront6targetE1EEEvT1_,@function
_ZN7rocprim17ROCPRIM_400000_NS6detail17trampoline_kernelINS0_14default_configENS1_20scan_config_selectorIN3c107complexIfEEEEZZNS1_9scan_implILNS1_25lookback_scan_determinismE0ELb0ELb0ES3_PKS7_PS7_S7_ZZZN2at6native31launch_logcumsumexp_cuda_kernelERKNSE_10TensorBaseESI_lENKUlvE_clEvENKUlvE2_clEvEUlS7_S7_E_S7_EEDaPvRmT3_T4_T5_mT6_P12ihipStream_tbENKUlT_T0_E_clISt17integral_constantIbLb1EESZ_EEDaSU_SV_EUlSU_E_NS1_11comp_targetILNS1_3genE2ELNS1_11target_archE906ELNS1_3gpuE6ELNS1_3repE0EEENS1_30default_config_static_selectorELNS0_4arch9wavefront6targetE1EEEvT1_: ; @_ZN7rocprim17ROCPRIM_400000_NS6detail17trampoline_kernelINS0_14default_configENS1_20scan_config_selectorIN3c107complexIfEEEEZZNS1_9scan_implILNS1_25lookback_scan_determinismE0ELb0ELb0ES3_PKS7_PS7_S7_ZZZN2at6native31launch_logcumsumexp_cuda_kernelERKNSE_10TensorBaseESI_lENKUlvE_clEvENKUlvE2_clEvEUlS7_S7_E_S7_EEDaPvRmT3_T4_T5_mT6_P12ihipStream_tbENKUlT_T0_E_clISt17integral_constantIbLb1EESZ_EEDaSU_SV_EUlSU_E_NS1_11comp_targetILNS1_3genE2ELNS1_11target_archE906ELNS1_3gpuE6ELNS1_3repE0EEENS1_30default_config_static_selectorELNS0_4arch9wavefront6targetE1EEEvT1_
; %bb.0:
	.section	.rodata,"a",@progbits
	.p2align	6, 0x0
	.amdhsa_kernel _ZN7rocprim17ROCPRIM_400000_NS6detail17trampoline_kernelINS0_14default_configENS1_20scan_config_selectorIN3c107complexIfEEEEZZNS1_9scan_implILNS1_25lookback_scan_determinismE0ELb0ELb0ES3_PKS7_PS7_S7_ZZZN2at6native31launch_logcumsumexp_cuda_kernelERKNSE_10TensorBaseESI_lENKUlvE_clEvENKUlvE2_clEvEUlS7_S7_E_S7_EEDaPvRmT3_T4_T5_mT6_P12ihipStream_tbENKUlT_T0_E_clISt17integral_constantIbLb1EESZ_EEDaSU_SV_EUlSU_E_NS1_11comp_targetILNS1_3genE2ELNS1_11target_archE906ELNS1_3gpuE6ELNS1_3repE0EEENS1_30default_config_static_selectorELNS0_4arch9wavefront6targetE1EEEvT1_
		.amdhsa_group_segment_fixed_size 0
		.amdhsa_private_segment_fixed_size 0
		.amdhsa_kernarg_size 104
		.amdhsa_user_sgpr_count 2
		.amdhsa_user_sgpr_dispatch_ptr 0
		.amdhsa_user_sgpr_queue_ptr 0
		.amdhsa_user_sgpr_kernarg_segment_ptr 1
		.amdhsa_user_sgpr_dispatch_id 0
		.amdhsa_user_sgpr_kernarg_preload_length 0
		.amdhsa_user_sgpr_kernarg_preload_offset 0
		.amdhsa_user_sgpr_private_segment_size 0
		.amdhsa_uses_dynamic_stack 0
		.amdhsa_enable_private_segment 0
		.amdhsa_system_sgpr_workgroup_id_x 1
		.amdhsa_system_sgpr_workgroup_id_y 0
		.amdhsa_system_sgpr_workgroup_id_z 0
		.amdhsa_system_sgpr_workgroup_info 0
		.amdhsa_system_vgpr_workitem_id 0
		.amdhsa_next_free_vgpr 1
		.amdhsa_next_free_sgpr 0
		.amdhsa_accum_offset 4
		.amdhsa_reserve_vcc 0
		.amdhsa_float_round_mode_32 0
		.amdhsa_float_round_mode_16_64 0
		.amdhsa_float_denorm_mode_32 3
		.amdhsa_float_denorm_mode_16_64 3
		.amdhsa_dx10_clamp 1
		.amdhsa_ieee_mode 1
		.amdhsa_fp16_overflow 0
		.amdhsa_tg_split 0
		.amdhsa_exception_fp_ieee_invalid_op 0
		.amdhsa_exception_fp_denorm_src 0
		.amdhsa_exception_fp_ieee_div_zero 0
		.amdhsa_exception_fp_ieee_overflow 0
		.amdhsa_exception_fp_ieee_underflow 0
		.amdhsa_exception_fp_ieee_inexact 0
		.amdhsa_exception_int_div_zero 0
	.end_amdhsa_kernel
	.section	.text._ZN7rocprim17ROCPRIM_400000_NS6detail17trampoline_kernelINS0_14default_configENS1_20scan_config_selectorIN3c107complexIfEEEEZZNS1_9scan_implILNS1_25lookback_scan_determinismE0ELb0ELb0ES3_PKS7_PS7_S7_ZZZN2at6native31launch_logcumsumexp_cuda_kernelERKNSE_10TensorBaseESI_lENKUlvE_clEvENKUlvE2_clEvEUlS7_S7_E_S7_EEDaPvRmT3_T4_T5_mT6_P12ihipStream_tbENKUlT_T0_E_clISt17integral_constantIbLb1EESZ_EEDaSU_SV_EUlSU_E_NS1_11comp_targetILNS1_3genE2ELNS1_11target_archE906ELNS1_3gpuE6ELNS1_3repE0EEENS1_30default_config_static_selectorELNS0_4arch9wavefront6targetE1EEEvT1_,"axG",@progbits,_ZN7rocprim17ROCPRIM_400000_NS6detail17trampoline_kernelINS0_14default_configENS1_20scan_config_selectorIN3c107complexIfEEEEZZNS1_9scan_implILNS1_25lookback_scan_determinismE0ELb0ELb0ES3_PKS7_PS7_S7_ZZZN2at6native31launch_logcumsumexp_cuda_kernelERKNSE_10TensorBaseESI_lENKUlvE_clEvENKUlvE2_clEvEUlS7_S7_E_S7_EEDaPvRmT3_T4_T5_mT6_P12ihipStream_tbENKUlT_T0_E_clISt17integral_constantIbLb1EESZ_EEDaSU_SV_EUlSU_E_NS1_11comp_targetILNS1_3genE2ELNS1_11target_archE906ELNS1_3gpuE6ELNS1_3repE0EEENS1_30default_config_static_selectorELNS0_4arch9wavefront6targetE1EEEvT1_,comdat
.Lfunc_end303:
	.size	_ZN7rocprim17ROCPRIM_400000_NS6detail17trampoline_kernelINS0_14default_configENS1_20scan_config_selectorIN3c107complexIfEEEEZZNS1_9scan_implILNS1_25lookback_scan_determinismE0ELb0ELb0ES3_PKS7_PS7_S7_ZZZN2at6native31launch_logcumsumexp_cuda_kernelERKNSE_10TensorBaseESI_lENKUlvE_clEvENKUlvE2_clEvEUlS7_S7_E_S7_EEDaPvRmT3_T4_T5_mT6_P12ihipStream_tbENKUlT_T0_E_clISt17integral_constantIbLb1EESZ_EEDaSU_SV_EUlSU_E_NS1_11comp_targetILNS1_3genE2ELNS1_11target_archE906ELNS1_3gpuE6ELNS1_3repE0EEENS1_30default_config_static_selectorELNS0_4arch9wavefront6targetE1EEEvT1_, .Lfunc_end303-_ZN7rocprim17ROCPRIM_400000_NS6detail17trampoline_kernelINS0_14default_configENS1_20scan_config_selectorIN3c107complexIfEEEEZZNS1_9scan_implILNS1_25lookback_scan_determinismE0ELb0ELb0ES3_PKS7_PS7_S7_ZZZN2at6native31launch_logcumsumexp_cuda_kernelERKNSE_10TensorBaseESI_lENKUlvE_clEvENKUlvE2_clEvEUlS7_S7_E_S7_EEDaPvRmT3_T4_T5_mT6_P12ihipStream_tbENKUlT_T0_E_clISt17integral_constantIbLb1EESZ_EEDaSU_SV_EUlSU_E_NS1_11comp_targetILNS1_3genE2ELNS1_11target_archE906ELNS1_3gpuE6ELNS1_3repE0EEENS1_30default_config_static_selectorELNS0_4arch9wavefront6targetE1EEEvT1_
                                        ; -- End function
	.section	.AMDGPU.csdata,"",@progbits
; Kernel info:
; codeLenInByte = 0
; NumSgprs: 6
; NumVgprs: 0
; NumAgprs: 0
; TotalNumVgprs: 0
; ScratchSize: 0
; MemoryBound: 0
; FloatMode: 240
; IeeeMode: 1
; LDSByteSize: 0 bytes/workgroup (compile time only)
; SGPRBlocks: 0
; VGPRBlocks: 0
; NumSGPRsForWavesPerEU: 6
; NumVGPRsForWavesPerEU: 1
; AccumOffset: 4
; Occupancy: 8
; WaveLimiterHint : 0
; COMPUTE_PGM_RSRC2:SCRATCH_EN: 0
; COMPUTE_PGM_RSRC2:USER_SGPR: 2
; COMPUTE_PGM_RSRC2:TRAP_HANDLER: 0
; COMPUTE_PGM_RSRC2:TGID_X_EN: 1
; COMPUTE_PGM_RSRC2:TGID_Y_EN: 0
; COMPUTE_PGM_RSRC2:TGID_Z_EN: 0
; COMPUTE_PGM_RSRC2:TIDIG_COMP_CNT: 0
; COMPUTE_PGM_RSRC3_GFX90A:ACCUM_OFFSET: 0
; COMPUTE_PGM_RSRC3_GFX90A:TG_SPLIT: 0
	.section	.text._ZN7rocprim17ROCPRIM_400000_NS6detail17trampoline_kernelINS0_14default_configENS1_20scan_config_selectorIN3c107complexIfEEEEZZNS1_9scan_implILNS1_25lookback_scan_determinismE0ELb0ELb0ES3_PKS7_PS7_S7_ZZZN2at6native31launch_logcumsumexp_cuda_kernelERKNSE_10TensorBaseESI_lENKUlvE_clEvENKUlvE2_clEvEUlS7_S7_E_S7_EEDaPvRmT3_T4_T5_mT6_P12ihipStream_tbENKUlT_T0_E_clISt17integral_constantIbLb1EESZ_EEDaSU_SV_EUlSU_E_NS1_11comp_targetILNS1_3genE10ELNS1_11target_archE1201ELNS1_3gpuE5ELNS1_3repE0EEENS1_30default_config_static_selectorELNS0_4arch9wavefront6targetE1EEEvT1_,"axG",@progbits,_ZN7rocprim17ROCPRIM_400000_NS6detail17trampoline_kernelINS0_14default_configENS1_20scan_config_selectorIN3c107complexIfEEEEZZNS1_9scan_implILNS1_25lookback_scan_determinismE0ELb0ELb0ES3_PKS7_PS7_S7_ZZZN2at6native31launch_logcumsumexp_cuda_kernelERKNSE_10TensorBaseESI_lENKUlvE_clEvENKUlvE2_clEvEUlS7_S7_E_S7_EEDaPvRmT3_T4_T5_mT6_P12ihipStream_tbENKUlT_T0_E_clISt17integral_constantIbLb1EESZ_EEDaSU_SV_EUlSU_E_NS1_11comp_targetILNS1_3genE10ELNS1_11target_archE1201ELNS1_3gpuE5ELNS1_3repE0EEENS1_30default_config_static_selectorELNS0_4arch9wavefront6targetE1EEEvT1_,comdat
	.globl	_ZN7rocprim17ROCPRIM_400000_NS6detail17trampoline_kernelINS0_14default_configENS1_20scan_config_selectorIN3c107complexIfEEEEZZNS1_9scan_implILNS1_25lookback_scan_determinismE0ELb0ELb0ES3_PKS7_PS7_S7_ZZZN2at6native31launch_logcumsumexp_cuda_kernelERKNSE_10TensorBaseESI_lENKUlvE_clEvENKUlvE2_clEvEUlS7_S7_E_S7_EEDaPvRmT3_T4_T5_mT6_P12ihipStream_tbENKUlT_T0_E_clISt17integral_constantIbLb1EESZ_EEDaSU_SV_EUlSU_E_NS1_11comp_targetILNS1_3genE10ELNS1_11target_archE1201ELNS1_3gpuE5ELNS1_3repE0EEENS1_30default_config_static_selectorELNS0_4arch9wavefront6targetE1EEEvT1_ ; -- Begin function _ZN7rocprim17ROCPRIM_400000_NS6detail17trampoline_kernelINS0_14default_configENS1_20scan_config_selectorIN3c107complexIfEEEEZZNS1_9scan_implILNS1_25lookback_scan_determinismE0ELb0ELb0ES3_PKS7_PS7_S7_ZZZN2at6native31launch_logcumsumexp_cuda_kernelERKNSE_10TensorBaseESI_lENKUlvE_clEvENKUlvE2_clEvEUlS7_S7_E_S7_EEDaPvRmT3_T4_T5_mT6_P12ihipStream_tbENKUlT_T0_E_clISt17integral_constantIbLb1EESZ_EEDaSU_SV_EUlSU_E_NS1_11comp_targetILNS1_3genE10ELNS1_11target_archE1201ELNS1_3gpuE5ELNS1_3repE0EEENS1_30default_config_static_selectorELNS0_4arch9wavefront6targetE1EEEvT1_
	.p2align	8
	.type	_ZN7rocprim17ROCPRIM_400000_NS6detail17trampoline_kernelINS0_14default_configENS1_20scan_config_selectorIN3c107complexIfEEEEZZNS1_9scan_implILNS1_25lookback_scan_determinismE0ELb0ELb0ES3_PKS7_PS7_S7_ZZZN2at6native31launch_logcumsumexp_cuda_kernelERKNSE_10TensorBaseESI_lENKUlvE_clEvENKUlvE2_clEvEUlS7_S7_E_S7_EEDaPvRmT3_T4_T5_mT6_P12ihipStream_tbENKUlT_T0_E_clISt17integral_constantIbLb1EESZ_EEDaSU_SV_EUlSU_E_NS1_11comp_targetILNS1_3genE10ELNS1_11target_archE1201ELNS1_3gpuE5ELNS1_3repE0EEENS1_30default_config_static_selectorELNS0_4arch9wavefront6targetE1EEEvT1_,@function
_ZN7rocprim17ROCPRIM_400000_NS6detail17trampoline_kernelINS0_14default_configENS1_20scan_config_selectorIN3c107complexIfEEEEZZNS1_9scan_implILNS1_25lookback_scan_determinismE0ELb0ELb0ES3_PKS7_PS7_S7_ZZZN2at6native31launch_logcumsumexp_cuda_kernelERKNSE_10TensorBaseESI_lENKUlvE_clEvENKUlvE2_clEvEUlS7_S7_E_S7_EEDaPvRmT3_T4_T5_mT6_P12ihipStream_tbENKUlT_T0_E_clISt17integral_constantIbLb1EESZ_EEDaSU_SV_EUlSU_E_NS1_11comp_targetILNS1_3genE10ELNS1_11target_archE1201ELNS1_3gpuE5ELNS1_3repE0EEENS1_30default_config_static_selectorELNS0_4arch9wavefront6targetE1EEEvT1_: ; @_ZN7rocprim17ROCPRIM_400000_NS6detail17trampoline_kernelINS0_14default_configENS1_20scan_config_selectorIN3c107complexIfEEEEZZNS1_9scan_implILNS1_25lookback_scan_determinismE0ELb0ELb0ES3_PKS7_PS7_S7_ZZZN2at6native31launch_logcumsumexp_cuda_kernelERKNSE_10TensorBaseESI_lENKUlvE_clEvENKUlvE2_clEvEUlS7_S7_E_S7_EEDaPvRmT3_T4_T5_mT6_P12ihipStream_tbENKUlT_T0_E_clISt17integral_constantIbLb1EESZ_EEDaSU_SV_EUlSU_E_NS1_11comp_targetILNS1_3genE10ELNS1_11target_archE1201ELNS1_3gpuE5ELNS1_3repE0EEENS1_30default_config_static_selectorELNS0_4arch9wavefront6targetE1EEEvT1_
; %bb.0:
	.section	.rodata,"a",@progbits
	.p2align	6, 0x0
	.amdhsa_kernel _ZN7rocprim17ROCPRIM_400000_NS6detail17trampoline_kernelINS0_14default_configENS1_20scan_config_selectorIN3c107complexIfEEEEZZNS1_9scan_implILNS1_25lookback_scan_determinismE0ELb0ELb0ES3_PKS7_PS7_S7_ZZZN2at6native31launch_logcumsumexp_cuda_kernelERKNSE_10TensorBaseESI_lENKUlvE_clEvENKUlvE2_clEvEUlS7_S7_E_S7_EEDaPvRmT3_T4_T5_mT6_P12ihipStream_tbENKUlT_T0_E_clISt17integral_constantIbLb1EESZ_EEDaSU_SV_EUlSU_E_NS1_11comp_targetILNS1_3genE10ELNS1_11target_archE1201ELNS1_3gpuE5ELNS1_3repE0EEENS1_30default_config_static_selectorELNS0_4arch9wavefront6targetE1EEEvT1_
		.amdhsa_group_segment_fixed_size 0
		.amdhsa_private_segment_fixed_size 0
		.amdhsa_kernarg_size 104
		.amdhsa_user_sgpr_count 2
		.amdhsa_user_sgpr_dispatch_ptr 0
		.amdhsa_user_sgpr_queue_ptr 0
		.amdhsa_user_sgpr_kernarg_segment_ptr 1
		.amdhsa_user_sgpr_dispatch_id 0
		.amdhsa_user_sgpr_kernarg_preload_length 0
		.amdhsa_user_sgpr_kernarg_preload_offset 0
		.amdhsa_user_sgpr_private_segment_size 0
		.amdhsa_uses_dynamic_stack 0
		.amdhsa_enable_private_segment 0
		.amdhsa_system_sgpr_workgroup_id_x 1
		.amdhsa_system_sgpr_workgroup_id_y 0
		.amdhsa_system_sgpr_workgroup_id_z 0
		.amdhsa_system_sgpr_workgroup_info 0
		.amdhsa_system_vgpr_workitem_id 0
		.amdhsa_next_free_vgpr 1
		.amdhsa_next_free_sgpr 0
		.amdhsa_accum_offset 4
		.amdhsa_reserve_vcc 0
		.amdhsa_float_round_mode_32 0
		.amdhsa_float_round_mode_16_64 0
		.amdhsa_float_denorm_mode_32 3
		.amdhsa_float_denorm_mode_16_64 3
		.amdhsa_dx10_clamp 1
		.amdhsa_ieee_mode 1
		.amdhsa_fp16_overflow 0
		.amdhsa_tg_split 0
		.amdhsa_exception_fp_ieee_invalid_op 0
		.amdhsa_exception_fp_denorm_src 0
		.amdhsa_exception_fp_ieee_div_zero 0
		.amdhsa_exception_fp_ieee_overflow 0
		.amdhsa_exception_fp_ieee_underflow 0
		.amdhsa_exception_fp_ieee_inexact 0
		.amdhsa_exception_int_div_zero 0
	.end_amdhsa_kernel
	.section	.text._ZN7rocprim17ROCPRIM_400000_NS6detail17trampoline_kernelINS0_14default_configENS1_20scan_config_selectorIN3c107complexIfEEEEZZNS1_9scan_implILNS1_25lookback_scan_determinismE0ELb0ELb0ES3_PKS7_PS7_S7_ZZZN2at6native31launch_logcumsumexp_cuda_kernelERKNSE_10TensorBaseESI_lENKUlvE_clEvENKUlvE2_clEvEUlS7_S7_E_S7_EEDaPvRmT3_T4_T5_mT6_P12ihipStream_tbENKUlT_T0_E_clISt17integral_constantIbLb1EESZ_EEDaSU_SV_EUlSU_E_NS1_11comp_targetILNS1_3genE10ELNS1_11target_archE1201ELNS1_3gpuE5ELNS1_3repE0EEENS1_30default_config_static_selectorELNS0_4arch9wavefront6targetE1EEEvT1_,"axG",@progbits,_ZN7rocprim17ROCPRIM_400000_NS6detail17trampoline_kernelINS0_14default_configENS1_20scan_config_selectorIN3c107complexIfEEEEZZNS1_9scan_implILNS1_25lookback_scan_determinismE0ELb0ELb0ES3_PKS7_PS7_S7_ZZZN2at6native31launch_logcumsumexp_cuda_kernelERKNSE_10TensorBaseESI_lENKUlvE_clEvENKUlvE2_clEvEUlS7_S7_E_S7_EEDaPvRmT3_T4_T5_mT6_P12ihipStream_tbENKUlT_T0_E_clISt17integral_constantIbLb1EESZ_EEDaSU_SV_EUlSU_E_NS1_11comp_targetILNS1_3genE10ELNS1_11target_archE1201ELNS1_3gpuE5ELNS1_3repE0EEENS1_30default_config_static_selectorELNS0_4arch9wavefront6targetE1EEEvT1_,comdat
.Lfunc_end304:
	.size	_ZN7rocprim17ROCPRIM_400000_NS6detail17trampoline_kernelINS0_14default_configENS1_20scan_config_selectorIN3c107complexIfEEEEZZNS1_9scan_implILNS1_25lookback_scan_determinismE0ELb0ELb0ES3_PKS7_PS7_S7_ZZZN2at6native31launch_logcumsumexp_cuda_kernelERKNSE_10TensorBaseESI_lENKUlvE_clEvENKUlvE2_clEvEUlS7_S7_E_S7_EEDaPvRmT3_T4_T5_mT6_P12ihipStream_tbENKUlT_T0_E_clISt17integral_constantIbLb1EESZ_EEDaSU_SV_EUlSU_E_NS1_11comp_targetILNS1_3genE10ELNS1_11target_archE1201ELNS1_3gpuE5ELNS1_3repE0EEENS1_30default_config_static_selectorELNS0_4arch9wavefront6targetE1EEEvT1_, .Lfunc_end304-_ZN7rocprim17ROCPRIM_400000_NS6detail17trampoline_kernelINS0_14default_configENS1_20scan_config_selectorIN3c107complexIfEEEEZZNS1_9scan_implILNS1_25lookback_scan_determinismE0ELb0ELb0ES3_PKS7_PS7_S7_ZZZN2at6native31launch_logcumsumexp_cuda_kernelERKNSE_10TensorBaseESI_lENKUlvE_clEvENKUlvE2_clEvEUlS7_S7_E_S7_EEDaPvRmT3_T4_T5_mT6_P12ihipStream_tbENKUlT_T0_E_clISt17integral_constantIbLb1EESZ_EEDaSU_SV_EUlSU_E_NS1_11comp_targetILNS1_3genE10ELNS1_11target_archE1201ELNS1_3gpuE5ELNS1_3repE0EEENS1_30default_config_static_selectorELNS0_4arch9wavefront6targetE1EEEvT1_
                                        ; -- End function
	.section	.AMDGPU.csdata,"",@progbits
; Kernel info:
; codeLenInByte = 0
; NumSgprs: 6
; NumVgprs: 0
; NumAgprs: 0
; TotalNumVgprs: 0
; ScratchSize: 0
; MemoryBound: 0
; FloatMode: 240
; IeeeMode: 1
; LDSByteSize: 0 bytes/workgroup (compile time only)
; SGPRBlocks: 0
; VGPRBlocks: 0
; NumSGPRsForWavesPerEU: 6
; NumVGPRsForWavesPerEU: 1
; AccumOffset: 4
; Occupancy: 8
; WaveLimiterHint : 0
; COMPUTE_PGM_RSRC2:SCRATCH_EN: 0
; COMPUTE_PGM_RSRC2:USER_SGPR: 2
; COMPUTE_PGM_RSRC2:TRAP_HANDLER: 0
; COMPUTE_PGM_RSRC2:TGID_X_EN: 1
; COMPUTE_PGM_RSRC2:TGID_Y_EN: 0
; COMPUTE_PGM_RSRC2:TGID_Z_EN: 0
; COMPUTE_PGM_RSRC2:TIDIG_COMP_CNT: 0
; COMPUTE_PGM_RSRC3_GFX90A:ACCUM_OFFSET: 0
; COMPUTE_PGM_RSRC3_GFX90A:TG_SPLIT: 0
	.section	.text._ZN7rocprim17ROCPRIM_400000_NS6detail17trampoline_kernelINS0_14default_configENS1_20scan_config_selectorIN3c107complexIfEEEEZZNS1_9scan_implILNS1_25lookback_scan_determinismE0ELb0ELb0ES3_PKS7_PS7_S7_ZZZN2at6native31launch_logcumsumexp_cuda_kernelERKNSE_10TensorBaseESI_lENKUlvE_clEvENKUlvE2_clEvEUlS7_S7_E_S7_EEDaPvRmT3_T4_T5_mT6_P12ihipStream_tbENKUlT_T0_E_clISt17integral_constantIbLb1EESZ_EEDaSU_SV_EUlSU_E_NS1_11comp_targetILNS1_3genE10ELNS1_11target_archE1200ELNS1_3gpuE4ELNS1_3repE0EEENS1_30default_config_static_selectorELNS0_4arch9wavefront6targetE1EEEvT1_,"axG",@progbits,_ZN7rocprim17ROCPRIM_400000_NS6detail17trampoline_kernelINS0_14default_configENS1_20scan_config_selectorIN3c107complexIfEEEEZZNS1_9scan_implILNS1_25lookback_scan_determinismE0ELb0ELb0ES3_PKS7_PS7_S7_ZZZN2at6native31launch_logcumsumexp_cuda_kernelERKNSE_10TensorBaseESI_lENKUlvE_clEvENKUlvE2_clEvEUlS7_S7_E_S7_EEDaPvRmT3_T4_T5_mT6_P12ihipStream_tbENKUlT_T0_E_clISt17integral_constantIbLb1EESZ_EEDaSU_SV_EUlSU_E_NS1_11comp_targetILNS1_3genE10ELNS1_11target_archE1200ELNS1_3gpuE4ELNS1_3repE0EEENS1_30default_config_static_selectorELNS0_4arch9wavefront6targetE1EEEvT1_,comdat
	.globl	_ZN7rocprim17ROCPRIM_400000_NS6detail17trampoline_kernelINS0_14default_configENS1_20scan_config_selectorIN3c107complexIfEEEEZZNS1_9scan_implILNS1_25lookback_scan_determinismE0ELb0ELb0ES3_PKS7_PS7_S7_ZZZN2at6native31launch_logcumsumexp_cuda_kernelERKNSE_10TensorBaseESI_lENKUlvE_clEvENKUlvE2_clEvEUlS7_S7_E_S7_EEDaPvRmT3_T4_T5_mT6_P12ihipStream_tbENKUlT_T0_E_clISt17integral_constantIbLb1EESZ_EEDaSU_SV_EUlSU_E_NS1_11comp_targetILNS1_3genE10ELNS1_11target_archE1200ELNS1_3gpuE4ELNS1_3repE0EEENS1_30default_config_static_selectorELNS0_4arch9wavefront6targetE1EEEvT1_ ; -- Begin function _ZN7rocprim17ROCPRIM_400000_NS6detail17trampoline_kernelINS0_14default_configENS1_20scan_config_selectorIN3c107complexIfEEEEZZNS1_9scan_implILNS1_25lookback_scan_determinismE0ELb0ELb0ES3_PKS7_PS7_S7_ZZZN2at6native31launch_logcumsumexp_cuda_kernelERKNSE_10TensorBaseESI_lENKUlvE_clEvENKUlvE2_clEvEUlS7_S7_E_S7_EEDaPvRmT3_T4_T5_mT6_P12ihipStream_tbENKUlT_T0_E_clISt17integral_constantIbLb1EESZ_EEDaSU_SV_EUlSU_E_NS1_11comp_targetILNS1_3genE10ELNS1_11target_archE1200ELNS1_3gpuE4ELNS1_3repE0EEENS1_30default_config_static_selectorELNS0_4arch9wavefront6targetE1EEEvT1_
	.p2align	8
	.type	_ZN7rocprim17ROCPRIM_400000_NS6detail17trampoline_kernelINS0_14default_configENS1_20scan_config_selectorIN3c107complexIfEEEEZZNS1_9scan_implILNS1_25lookback_scan_determinismE0ELb0ELb0ES3_PKS7_PS7_S7_ZZZN2at6native31launch_logcumsumexp_cuda_kernelERKNSE_10TensorBaseESI_lENKUlvE_clEvENKUlvE2_clEvEUlS7_S7_E_S7_EEDaPvRmT3_T4_T5_mT6_P12ihipStream_tbENKUlT_T0_E_clISt17integral_constantIbLb1EESZ_EEDaSU_SV_EUlSU_E_NS1_11comp_targetILNS1_3genE10ELNS1_11target_archE1200ELNS1_3gpuE4ELNS1_3repE0EEENS1_30default_config_static_selectorELNS0_4arch9wavefront6targetE1EEEvT1_,@function
_ZN7rocprim17ROCPRIM_400000_NS6detail17trampoline_kernelINS0_14default_configENS1_20scan_config_selectorIN3c107complexIfEEEEZZNS1_9scan_implILNS1_25lookback_scan_determinismE0ELb0ELb0ES3_PKS7_PS7_S7_ZZZN2at6native31launch_logcumsumexp_cuda_kernelERKNSE_10TensorBaseESI_lENKUlvE_clEvENKUlvE2_clEvEUlS7_S7_E_S7_EEDaPvRmT3_T4_T5_mT6_P12ihipStream_tbENKUlT_T0_E_clISt17integral_constantIbLb1EESZ_EEDaSU_SV_EUlSU_E_NS1_11comp_targetILNS1_3genE10ELNS1_11target_archE1200ELNS1_3gpuE4ELNS1_3repE0EEENS1_30default_config_static_selectorELNS0_4arch9wavefront6targetE1EEEvT1_: ; @_ZN7rocprim17ROCPRIM_400000_NS6detail17trampoline_kernelINS0_14default_configENS1_20scan_config_selectorIN3c107complexIfEEEEZZNS1_9scan_implILNS1_25lookback_scan_determinismE0ELb0ELb0ES3_PKS7_PS7_S7_ZZZN2at6native31launch_logcumsumexp_cuda_kernelERKNSE_10TensorBaseESI_lENKUlvE_clEvENKUlvE2_clEvEUlS7_S7_E_S7_EEDaPvRmT3_T4_T5_mT6_P12ihipStream_tbENKUlT_T0_E_clISt17integral_constantIbLb1EESZ_EEDaSU_SV_EUlSU_E_NS1_11comp_targetILNS1_3genE10ELNS1_11target_archE1200ELNS1_3gpuE4ELNS1_3repE0EEENS1_30default_config_static_selectorELNS0_4arch9wavefront6targetE1EEEvT1_
; %bb.0:
	.section	.rodata,"a",@progbits
	.p2align	6, 0x0
	.amdhsa_kernel _ZN7rocprim17ROCPRIM_400000_NS6detail17trampoline_kernelINS0_14default_configENS1_20scan_config_selectorIN3c107complexIfEEEEZZNS1_9scan_implILNS1_25lookback_scan_determinismE0ELb0ELb0ES3_PKS7_PS7_S7_ZZZN2at6native31launch_logcumsumexp_cuda_kernelERKNSE_10TensorBaseESI_lENKUlvE_clEvENKUlvE2_clEvEUlS7_S7_E_S7_EEDaPvRmT3_T4_T5_mT6_P12ihipStream_tbENKUlT_T0_E_clISt17integral_constantIbLb1EESZ_EEDaSU_SV_EUlSU_E_NS1_11comp_targetILNS1_3genE10ELNS1_11target_archE1200ELNS1_3gpuE4ELNS1_3repE0EEENS1_30default_config_static_selectorELNS0_4arch9wavefront6targetE1EEEvT1_
		.amdhsa_group_segment_fixed_size 0
		.amdhsa_private_segment_fixed_size 0
		.amdhsa_kernarg_size 104
		.amdhsa_user_sgpr_count 2
		.amdhsa_user_sgpr_dispatch_ptr 0
		.amdhsa_user_sgpr_queue_ptr 0
		.amdhsa_user_sgpr_kernarg_segment_ptr 1
		.amdhsa_user_sgpr_dispatch_id 0
		.amdhsa_user_sgpr_kernarg_preload_length 0
		.amdhsa_user_sgpr_kernarg_preload_offset 0
		.amdhsa_user_sgpr_private_segment_size 0
		.amdhsa_uses_dynamic_stack 0
		.amdhsa_enable_private_segment 0
		.amdhsa_system_sgpr_workgroup_id_x 1
		.amdhsa_system_sgpr_workgroup_id_y 0
		.amdhsa_system_sgpr_workgroup_id_z 0
		.amdhsa_system_sgpr_workgroup_info 0
		.amdhsa_system_vgpr_workitem_id 0
		.amdhsa_next_free_vgpr 1
		.amdhsa_next_free_sgpr 0
		.amdhsa_accum_offset 4
		.amdhsa_reserve_vcc 0
		.amdhsa_float_round_mode_32 0
		.amdhsa_float_round_mode_16_64 0
		.amdhsa_float_denorm_mode_32 3
		.amdhsa_float_denorm_mode_16_64 3
		.amdhsa_dx10_clamp 1
		.amdhsa_ieee_mode 1
		.amdhsa_fp16_overflow 0
		.amdhsa_tg_split 0
		.amdhsa_exception_fp_ieee_invalid_op 0
		.amdhsa_exception_fp_denorm_src 0
		.amdhsa_exception_fp_ieee_div_zero 0
		.amdhsa_exception_fp_ieee_overflow 0
		.amdhsa_exception_fp_ieee_underflow 0
		.amdhsa_exception_fp_ieee_inexact 0
		.amdhsa_exception_int_div_zero 0
	.end_amdhsa_kernel
	.section	.text._ZN7rocprim17ROCPRIM_400000_NS6detail17trampoline_kernelINS0_14default_configENS1_20scan_config_selectorIN3c107complexIfEEEEZZNS1_9scan_implILNS1_25lookback_scan_determinismE0ELb0ELb0ES3_PKS7_PS7_S7_ZZZN2at6native31launch_logcumsumexp_cuda_kernelERKNSE_10TensorBaseESI_lENKUlvE_clEvENKUlvE2_clEvEUlS7_S7_E_S7_EEDaPvRmT3_T4_T5_mT6_P12ihipStream_tbENKUlT_T0_E_clISt17integral_constantIbLb1EESZ_EEDaSU_SV_EUlSU_E_NS1_11comp_targetILNS1_3genE10ELNS1_11target_archE1200ELNS1_3gpuE4ELNS1_3repE0EEENS1_30default_config_static_selectorELNS0_4arch9wavefront6targetE1EEEvT1_,"axG",@progbits,_ZN7rocprim17ROCPRIM_400000_NS6detail17trampoline_kernelINS0_14default_configENS1_20scan_config_selectorIN3c107complexIfEEEEZZNS1_9scan_implILNS1_25lookback_scan_determinismE0ELb0ELb0ES3_PKS7_PS7_S7_ZZZN2at6native31launch_logcumsumexp_cuda_kernelERKNSE_10TensorBaseESI_lENKUlvE_clEvENKUlvE2_clEvEUlS7_S7_E_S7_EEDaPvRmT3_T4_T5_mT6_P12ihipStream_tbENKUlT_T0_E_clISt17integral_constantIbLb1EESZ_EEDaSU_SV_EUlSU_E_NS1_11comp_targetILNS1_3genE10ELNS1_11target_archE1200ELNS1_3gpuE4ELNS1_3repE0EEENS1_30default_config_static_selectorELNS0_4arch9wavefront6targetE1EEEvT1_,comdat
.Lfunc_end305:
	.size	_ZN7rocprim17ROCPRIM_400000_NS6detail17trampoline_kernelINS0_14default_configENS1_20scan_config_selectorIN3c107complexIfEEEEZZNS1_9scan_implILNS1_25lookback_scan_determinismE0ELb0ELb0ES3_PKS7_PS7_S7_ZZZN2at6native31launch_logcumsumexp_cuda_kernelERKNSE_10TensorBaseESI_lENKUlvE_clEvENKUlvE2_clEvEUlS7_S7_E_S7_EEDaPvRmT3_T4_T5_mT6_P12ihipStream_tbENKUlT_T0_E_clISt17integral_constantIbLb1EESZ_EEDaSU_SV_EUlSU_E_NS1_11comp_targetILNS1_3genE10ELNS1_11target_archE1200ELNS1_3gpuE4ELNS1_3repE0EEENS1_30default_config_static_selectorELNS0_4arch9wavefront6targetE1EEEvT1_, .Lfunc_end305-_ZN7rocprim17ROCPRIM_400000_NS6detail17trampoline_kernelINS0_14default_configENS1_20scan_config_selectorIN3c107complexIfEEEEZZNS1_9scan_implILNS1_25lookback_scan_determinismE0ELb0ELb0ES3_PKS7_PS7_S7_ZZZN2at6native31launch_logcumsumexp_cuda_kernelERKNSE_10TensorBaseESI_lENKUlvE_clEvENKUlvE2_clEvEUlS7_S7_E_S7_EEDaPvRmT3_T4_T5_mT6_P12ihipStream_tbENKUlT_T0_E_clISt17integral_constantIbLb1EESZ_EEDaSU_SV_EUlSU_E_NS1_11comp_targetILNS1_3genE10ELNS1_11target_archE1200ELNS1_3gpuE4ELNS1_3repE0EEENS1_30default_config_static_selectorELNS0_4arch9wavefront6targetE1EEEvT1_
                                        ; -- End function
	.section	.AMDGPU.csdata,"",@progbits
; Kernel info:
; codeLenInByte = 0
; NumSgprs: 6
; NumVgprs: 0
; NumAgprs: 0
; TotalNumVgprs: 0
; ScratchSize: 0
; MemoryBound: 0
; FloatMode: 240
; IeeeMode: 1
; LDSByteSize: 0 bytes/workgroup (compile time only)
; SGPRBlocks: 0
; VGPRBlocks: 0
; NumSGPRsForWavesPerEU: 6
; NumVGPRsForWavesPerEU: 1
; AccumOffset: 4
; Occupancy: 8
; WaveLimiterHint : 0
; COMPUTE_PGM_RSRC2:SCRATCH_EN: 0
; COMPUTE_PGM_RSRC2:USER_SGPR: 2
; COMPUTE_PGM_RSRC2:TRAP_HANDLER: 0
; COMPUTE_PGM_RSRC2:TGID_X_EN: 1
; COMPUTE_PGM_RSRC2:TGID_Y_EN: 0
; COMPUTE_PGM_RSRC2:TGID_Z_EN: 0
; COMPUTE_PGM_RSRC2:TIDIG_COMP_CNT: 0
; COMPUTE_PGM_RSRC3_GFX90A:ACCUM_OFFSET: 0
; COMPUTE_PGM_RSRC3_GFX90A:TG_SPLIT: 0
	.section	.text._ZN7rocprim17ROCPRIM_400000_NS6detail17trampoline_kernelINS0_14default_configENS1_20scan_config_selectorIN3c107complexIfEEEEZZNS1_9scan_implILNS1_25lookback_scan_determinismE0ELb0ELb0ES3_PKS7_PS7_S7_ZZZN2at6native31launch_logcumsumexp_cuda_kernelERKNSE_10TensorBaseESI_lENKUlvE_clEvENKUlvE2_clEvEUlS7_S7_E_S7_EEDaPvRmT3_T4_T5_mT6_P12ihipStream_tbENKUlT_T0_E_clISt17integral_constantIbLb1EESZ_EEDaSU_SV_EUlSU_E_NS1_11comp_targetILNS1_3genE9ELNS1_11target_archE1100ELNS1_3gpuE3ELNS1_3repE0EEENS1_30default_config_static_selectorELNS0_4arch9wavefront6targetE1EEEvT1_,"axG",@progbits,_ZN7rocprim17ROCPRIM_400000_NS6detail17trampoline_kernelINS0_14default_configENS1_20scan_config_selectorIN3c107complexIfEEEEZZNS1_9scan_implILNS1_25lookback_scan_determinismE0ELb0ELb0ES3_PKS7_PS7_S7_ZZZN2at6native31launch_logcumsumexp_cuda_kernelERKNSE_10TensorBaseESI_lENKUlvE_clEvENKUlvE2_clEvEUlS7_S7_E_S7_EEDaPvRmT3_T4_T5_mT6_P12ihipStream_tbENKUlT_T0_E_clISt17integral_constantIbLb1EESZ_EEDaSU_SV_EUlSU_E_NS1_11comp_targetILNS1_3genE9ELNS1_11target_archE1100ELNS1_3gpuE3ELNS1_3repE0EEENS1_30default_config_static_selectorELNS0_4arch9wavefront6targetE1EEEvT1_,comdat
	.globl	_ZN7rocprim17ROCPRIM_400000_NS6detail17trampoline_kernelINS0_14default_configENS1_20scan_config_selectorIN3c107complexIfEEEEZZNS1_9scan_implILNS1_25lookback_scan_determinismE0ELb0ELb0ES3_PKS7_PS7_S7_ZZZN2at6native31launch_logcumsumexp_cuda_kernelERKNSE_10TensorBaseESI_lENKUlvE_clEvENKUlvE2_clEvEUlS7_S7_E_S7_EEDaPvRmT3_T4_T5_mT6_P12ihipStream_tbENKUlT_T0_E_clISt17integral_constantIbLb1EESZ_EEDaSU_SV_EUlSU_E_NS1_11comp_targetILNS1_3genE9ELNS1_11target_archE1100ELNS1_3gpuE3ELNS1_3repE0EEENS1_30default_config_static_selectorELNS0_4arch9wavefront6targetE1EEEvT1_ ; -- Begin function _ZN7rocprim17ROCPRIM_400000_NS6detail17trampoline_kernelINS0_14default_configENS1_20scan_config_selectorIN3c107complexIfEEEEZZNS1_9scan_implILNS1_25lookback_scan_determinismE0ELb0ELb0ES3_PKS7_PS7_S7_ZZZN2at6native31launch_logcumsumexp_cuda_kernelERKNSE_10TensorBaseESI_lENKUlvE_clEvENKUlvE2_clEvEUlS7_S7_E_S7_EEDaPvRmT3_T4_T5_mT6_P12ihipStream_tbENKUlT_T0_E_clISt17integral_constantIbLb1EESZ_EEDaSU_SV_EUlSU_E_NS1_11comp_targetILNS1_3genE9ELNS1_11target_archE1100ELNS1_3gpuE3ELNS1_3repE0EEENS1_30default_config_static_selectorELNS0_4arch9wavefront6targetE1EEEvT1_
	.p2align	8
	.type	_ZN7rocprim17ROCPRIM_400000_NS6detail17trampoline_kernelINS0_14default_configENS1_20scan_config_selectorIN3c107complexIfEEEEZZNS1_9scan_implILNS1_25lookback_scan_determinismE0ELb0ELb0ES3_PKS7_PS7_S7_ZZZN2at6native31launch_logcumsumexp_cuda_kernelERKNSE_10TensorBaseESI_lENKUlvE_clEvENKUlvE2_clEvEUlS7_S7_E_S7_EEDaPvRmT3_T4_T5_mT6_P12ihipStream_tbENKUlT_T0_E_clISt17integral_constantIbLb1EESZ_EEDaSU_SV_EUlSU_E_NS1_11comp_targetILNS1_3genE9ELNS1_11target_archE1100ELNS1_3gpuE3ELNS1_3repE0EEENS1_30default_config_static_selectorELNS0_4arch9wavefront6targetE1EEEvT1_,@function
_ZN7rocprim17ROCPRIM_400000_NS6detail17trampoline_kernelINS0_14default_configENS1_20scan_config_selectorIN3c107complexIfEEEEZZNS1_9scan_implILNS1_25lookback_scan_determinismE0ELb0ELb0ES3_PKS7_PS7_S7_ZZZN2at6native31launch_logcumsumexp_cuda_kernelERKNSE_10TensorBaseESI_lENKUlvE_clEvENKUlvE2_clEvEUlS7_S7_E_S7_EEDaPvRmT3_T4_T5_mT6_P12ihipStream_tbENKUlT_T0_E_clISt17integral_constantIbLb1EESZ_EEDaSU_SV_EUlSU_E_NS1_11comp_targetILNS1_3genE9ELNS1_11target_archE1100ELNS1_3gpuE3ELNS1_3repE0EEENS1_30default_config_static_selectorELNS0_4arch9wavefront6targetE1EEEvT1_: ; @_ZN7rocprim17ROCPRIM_400000_NS6detail17trampoline_kernelINS0_14default_configENS1_20scan_config_selectorIN3c107complexIfEEEEZZNS1_9scan_implILNS1_25lookback_scan_determinismE0ELb0ELb0ES3_PKS7_PS7_S7_ZZZN2at6native31launch_logcumsumexp_cuda_kernelERKNSE_10TensorBaseESI_lENKUlvE_clEvENKUlvE2_clEvEUlS7_S7_E_S7_EEDaPvRmT3_T4_T5_mT6_P12ihipStream_tbENKUlT_T0_E_clISt17integral_constantIbLb1EESZ_EEDaSU_SV_EUlSU_E_NS1_11comp_targetILNS1_3genE9ELNS1_11target_archE1100ELNS1_3gpuE3ELNS1_3repE0EEENS1_30default_config_static_selectorELNS0_4arch9wavefront6targetE1EEEvT1_
; %bb.0:
	.section	.rodata,"a",@progbits
	.p2align	6, 0x0
	.amdhsa_kernel _ZN7rocprim17ROCPRIM_400000_NS6detail17trampoline_kernelINS0_14default_configENS1_20scan_config_selectorIN3c107complexIfEEEEZZNS1_9scan_implILNS1_25lookback_scan_determinismE0ELb0ELb0ES3_PKS7_PS7_S7_ZZZN2at6native31launch_logcumsumexp_cuda_kernelERKNSE_10TensorBaseESI_lENKUlvE_clEvENKUlvE2_clEvEUlS7_S7_E_S7_EEDaPvRmT3_T4_T5_mT6_P12ihipStream_tbENKUlT_T0_E_clISt17integral_constantIbLb1EESZ_EEDaSU_SV_EUlSU_E_NS1_11comp_targetILNS1_3genE9ELNS1_11target_archE1100ELNS1_3gpuE3ELNS1_3repE0EEENS1_30default_config_static_selectorELNS0_4arch9wavefront6targetE1EEEvT1_
		.amdhsa_group_segment_fixed_size 0
		.amdhsa_private_segment_fixed_size 0
		.amdhsa_kernarg_size 104
		.amdhsa_user_sgpr_count 2
		.amdhsa_user_sgpr_dispatch_ptr 0
		.amdhsa_user_sgpr_queue_ptr 0
		.amdhsa_user_sgpr_kernarg_segment_ptr 1
		.amdhsa_user_sgpr_dispatch_id 0
		.amdhsa_user_sgpr_kernarg_preload_length 0
		.amdhsa_user_sgpr_kernarg_preload_offset 0
		.amdhsa_user_sgpr_private_segment_size 0
		.amdhsa_uses_dynamic_stack 0
		.amdhsa_enable_private_segment 0
		.amdhsa_system_sgpr_workgroup_id_x 1
		.amdhsa_system_sgpr_workgroup_id_y 0
		.amdhsa_system_sgpr_workgroup_id_z 0
		.amdhsa_system_sgpr_workgroup_info 0
		.amdhsa_system_vgpr_workitem_id 0
		.amdhsa_next_free_vgpr 1
		.amdhsa_next_free_sgpr 0
		.amdhsa_accum_offset 4
		.amdhsa_reserve_vcc 0
		.amdhsa_float_round_mode_32 0
		.amdhsa_float_round_mode_16_64 0
		.amdhsa_float_denorm_mode_32 3
		.amdhsa_float_denorm_mode_16_64 3
		.amdhsa_dx10_clamp 1
		.amdhsa_ieee_mode 1
		.amdhsa_fp16_overflow 0
		.amdhsa_tg_split 0
		.amdhsa_exception_fp_ieee_invalid_op 0
		.amdhsa_exception_fp_denorm_src 0
		.amdhsa_exception_fp_ieee_div_zero 0
		.amdhsa_exception_fp_ieee_overflow 0
		.amdhsa_exception_fp_ieee_underflow 0
		.amdhsa_exception_fp_ieee_inexact 0
		.amdhsa_exception_int_div_zero 0
	.end_amdhsa_kernel
	.section	.text._ZN7rocprim17ROCPRIM_400000_NS6detail17trampoline_kernelINS0_14default_configENS1_20scan_config_selectorIN3c107complexIfEEEEZZNS1_9scan_implILNS1_25lookback_scan_determinismE0ELb0ELb0ES3_PKS7_PS7_S7_ZZZN2at6native31launch_logcumsumexp_cuda_kernelERKNSE_10TensorBaseESI_lENKUlvE_clEvENKUlvE2_clEvEUlS7_S7_E_S7_EEDaPvRmT3_T4_T5_mT6_P12ihipStream_tbENKUlT_T0_E_clISt17integral_constantIbLb1EESZ_EEDaSU_SV_EUlSU_E_NS1_11comp_targetILNS1_3genE9ELNS1_11target_archE1100ELNS1_3gpuE3ELNS1_3repE0EEENS1_30default_config_static_selectorELNS0_4arch9wavefront6targetE1EEEvT1_,"axG",@progbits,_ZN7rocprim17ROCPRIM_400000_NS6detail17trampoline_kernelINS0_14default_configENS1_20scan_config_selectorIN3c107complexIfEEEEZZNS1_9scan_implILNS1_25lookback_scan_determinismE0ELb0ELb0ES3_PKS7_PS7_S7_ZZZN2at6native31launch_logcumsumexp_cuda_kernelERKNSE_10TensorBaseESI_lENKUlvE_clEvENKUlvE2_clEvEUlS7_S7_E_S7_EEDaPvRmT3_T4_T5_mT6_P12ihipStream_tbENKUlT_T0_E_clISt17integral_constantIbLb1EESZ_EEDaSU_SV_EUlSU_E_NS1_11comp_targetILNS1_3genE9ELNS1_11target_archE1100ELNS1_3gpuE3ELNS1_3repE0EEENS1_30default_config_static_selectorELNS0_4arch9wavefront6targetE1EEEvT1_,comdat
.Lfunc_end306:
	.size	_ZN7rocprim17ROCPRIM_400000_NS6detail17trampoline_kernelINS0_14default_configENS1_20scan_config_selectorIN3c107complexIfEEEEZZNS1_9scan_implILNS1_25lookback_scan_determinismE0ELb0ELb0ES3_PKS7_PS7_S7_ZZZN2at6native31launch_logcumsumexp_cuda_kernelERKNSE_10TensorBaseESI_lENKUlvE_clEvENKUlvE2_clEvEUlS7_S7_E_S7_EEDaPvRmT3_T4_T5_mT6_P12ihipStream_tbENKUlT_T0_E_clISt17integral_constantIbLb1EESZ_EEDaSU_SV_EUlSU_E_NS1_11comp_targetILNS1_3genE9ELNS1_11target_archE1100ELNS1_3gpuE3ELNS1_3repE0EEENS1_30default_config_static_selectorELNS0_4arch9wavefront6targetE1EEEvT1_, .Lfunc_end306-_ZN7rocprim17ROCPRIM_400000_NS6detail17trampoline_kernelINS0_14default_configENS1_20scan_config_selectorIN3c107complexIfEEEEZZNS1_9scan_implILNS1_25lookback_scan_determinismE0ELb0ELb0ES3_PKS7_PS7_S7_ZZZN2at6native31launch_logcumsumexp_cuda_kernelERKNSE_10TensorBaseESI_lENKUlvE_clEvENKUlvE2_clEvEUlS7_S7_E_S7_EEDaPvRmT3_T4_T5_mT6_P12ihipStream_tbENKUlT_T0_E_clISt17integral_constantIbLb1EESZ_EEDaSU_SV_EUlSU_E_NS1_11comp_targetILNS1_3genE9ELNS1_11target_archE1100ELNS1_3gpuE3ELNS1_3repE0EEENS1_30default_config_static_selectorELNS0_4arch9wavefront6targetE1EEEvT1_
                                        ; -- End function
	.section	.AMDGPU.csdata,"",@progbits
; Kernel info:
; codeLenInByte = 0
; NumSgprs: 6
; NumVgprs: 0
; NumAgprs: 0
; TotalNumVgprs: 0
; ScratchSize: 0
; MemoryBound: 0
; FloatMode: 240
; IeeeMode: 1
; LDSByteSize: 0 bytes/workgroup (compile time only)
; SGPRBlocks: 0
; VGPRBlocks: 0
; NumSGPRsForWavesPerEU: 6
; NumVGPRsForWavesPerEU: 1
; AccumOffset: 4
; Occupancy: 8
; WaveLimiterHint : 0
; COMPUTE_PGM_RSRC2:SCRATCH_EN: 0
; COMPUTE_PGM_RSRC2:USER_SGPR: 2
; COMPUTE_PGM_RSRC2:TRAP_HANDLER: 0
; COMPUTE_PGM_RSRC2:TGID_X_EN: 1
; COMPUTE_PGM_RSRC2:TGID_Y_EN: 0
; COMPUTE_PGM_RSRC2:TGID_Z_EN: 0
; COMPUTE_PGM_RSRC2:TIDIG_COMP_CNT: 0
; COMPUTE_PGM_RSRC3_GFX90A:ACCUM_OFFSET: 0
; COMPUTE_PGM_RSRC3_GFX90A:TG_SPLIT: 0
	.section	.text._ZN7rocprim17ROCPRIM_400000_NS6detail17trampoline_kernelINS0_14default_configENS1_20scan_config_selectorIN3c107complexIfEEEEZZNS1_9scan_implILNS1_25lookback_scan_determinismE0ELb0ELb0ES3_PKS7_PS7_S7_ZZZN2at6native31launch_logcumsumexp_cuda_kernelERKNSE_10TensorBaseESI_lENKUlvE_clEvENKUlvE2_clEvEUlS7_S7_E_S7_EEDaPvRmT3_T4_T5_mT6_P12ihipStream_tbENKUlT_T0_E_clISt17integral_constantIbLb1EESZ_EEDaSU_SV_EUlSU_E_NS1_11comp_targetILNS1_3genE8ELNS1_11target_archE1030ELNS1_3gpuE2ELNS1_3repE0EEENS1_30default_config_static_selectorELNS0_4arch9wavefront6targetE1EEEvT1_,"axG",@progbits,_ZN7rocprim17ROCPRIM_400000_NS6detail17trampoline_kernelINS0_14default_configENS1_20scan_config_selectorIN3c107complexIfEEEEZZNS1_9scan_implILNS1_25lookback_scan_determinismE0ELb0ELb0ES3_PKS7_PS7_S7_ZZZN2at6native31launch_logcumsumexp_cuda_kernelERKNSE_10TensorBaseESI_lENKUlvE_clEvENKUlvE2_clEvEUlS7_S7_E_S7_EEDaPvRmT3_T4_T5_mT6_P12ihipStream_tbENKUlT_T0_E_clISt17integral_constantIbLb1EESZ_EEDaSU_SV_EUlSU_E_NS1_11comp_targetILNS1_3genE8ELNS1_11target_archE1030ELNS1_3gpuE2ELNS1_3repE0EEENS1_30default_config_static_selectorELNS0_4arch9wavefront6targetE1EEEvT1_,comdat
	.globl	_ZN7rocprim17ROCPRIM_400000_NS6detail17trampoline_kernelINS0_14default_configENS1_20scan_config_selectorIN3c107complexIfEEEEZZNS1_9scan_implILNS1_25lookback_scan_determinismE0ELb0ELb0ES3_PKS7_PS7_S7_ZZZN2at6native31launch_logcumsumexp_cuda_kernelERKNSE_10TensorBaseESI_lENKUlvE_clEvENKUlvE2_clEvEUlS7_S7_E_S7_EEDaPvRmT3_T4_T5_mT6_P12ihipStream_tbENKUlT_T0_E_clISt17integral_constantIbLb1EESZ_EEDaSU_SV_EUlSU_E_NS1_11comp_targetILNS1_3genE8ELNS1_11target_archE1030ELNS1_3gpuE2ELNS1_3repE0EEENS1_30default_config_static_selectorELNS0_4arch9wavefront6targetE1EEEvT1_ ; -- Begin function _ZN7rocprim17ROCPRIM_400000_NS6detail17trampoline_kernelINS0_14default_configENS1_20scan_config_selectorIN3c107complexIfEEEEZZNS1_9scan_implILNS1_25lookback_scan_determinismE0ELb0ELb0ES3_PKS7_PS7_S7_ZZZN2at6native31launch_logcumsumexp_cuda_kernelERKNSE_10TensorBaseESI_lENKUlvE_clEvENKUlvE2_clEvEUlS7_S7_E_S7_EEDaPvRmT3_T4_T5_mT6_P12ihipStream_tbENKUlT_T0_E_clISt17integral_constantIbLb1EESZ_EEDaSU_SV_EUlSU_E_NS1_11comp_targetILNS1_3genE8ELNS1_11target_archE1030ELNS1_3gpuE2ELNS1_3repE0EEENS1_30default_config_static_selectorELNS0_4arch9wavefront6targetE1EEEvT1_
	.p2align	8
	.type	_ZN7rocprim17ROCPRIM_400000_NS6detail17trampoline_kernelINS0_14default_configENS1_20scan_config_selectorIN3c107complexIfEEEEZZNS1_9scan_implILNS1_25lookback_scan_determinismE0ELb0ELb0ES3_PKS7_PS7_S7_ZZZN2at6native31launch_logcumsumexp_cuda_kernelERKNSE_10TensorBaseESI_lENKUlvE_clEvENKUlvE2_clEvEUlS7_S7_E_S7_EEDaPvRmT3_T4_T5_mT6_P12ihipStream_tbENKUlT_T0_E_clISt17integral_constantIbLb1EESZ_EEDaSU_SV_EUlSU_E_NS1_11comp_targetILNS1_3genE8ELNS1_11target_archE1030ELNS1_3gpuE2ELNS1_3repE0EEENS1_30default_config_static_selectorELNS0_4arch9wavefront6targetE1EEEvT1_,@function
_ZN7rocprim17ROCPRIM_400000_NS6detail17trampoline_kernelINS0_14default_configENS1_20scan_config_selectorIN3c107complexIfEEEEZZNS1_9scan_implILNS1_25lookback_scan_determinismE0ELb0ELb0ES3_PKS7_PS7_S7_ZZZN2at6native31launch_logcumsumexp_cuda_kernelERKNSE_10TensorBaseESI_lENKUlvE_clEvENKUlvE2_clEvEUlS7_S7_E_S7_EEDaPvRmT3_T4_T5_mT6_P12ihipStream_tbENKUlT_T0_E_clISt17integral_constantIbLb1EESZ_EEDaSU_SV_EUlSU_E_NS1_11comp_targetILNS1_3genE8ELNS1_11target_archE1030ELNS1_3gpuE2ELNS1_3repE0EEENS1_30default_config_static_selectorELNS0_4arch9wavefront6targetE1EEEvT1_: ; @_ZN7rocprim17ROCPRIM_400000_NS6detail17trampoline_kernelINS0_14default_configENS1_20scan_config_selectorIN3c107complexIfEEEEZZNS1_9scan_implILNS1_25lookback_scan_determinismE0ELb0ELb0ES3_PKS7_PS7_S7_ZZZN2at6native31launch_logcumsumexp_cuda_kernelERKNSE_10TensorBaseESI_lENKUlvE_clEvENKUlvE2_clEvEUlS7_S7_E_S7_EEDaPvRmT3_T4_T5_mT6_P12ihipStream_tbENKUlT_T0_E_clISt17integral_constantIbLb1EESZ_EEDaSU_SV_EUlSU_E_NS1_11comp_targetILNS1_3genE8ELNS1_11target_archE1030ELNS1_3gpuE2ELNS1_3repE0EEENS1_30default_config_static_selectorELNS0_4arch9wavefront6targetE1EEEvT1_
; %bb.0:
	.section	.rodata,"a",@progbits
	.p2align	6, 0x0
	.amdhsa_kernel _ZN7rocprim17ROCPRIM_400000_NS6detail17trampoline_kernelINS0_14default_configENS1_20scan_config_selectorIN3c107complexIfEEEEZZNS1_9scan_implILNS1_25lookback_scan_determinismE0ELb0ELb0ES3_PKS7_PS7_S7_ZZZN2at6native31launch_logcumsumexp_cuda_kernelERKNSE_10TensorBaseESI_lENKUlvE_clEvENKUlvE2_clEvEUlS7_S7_E_S7_EEDaPvRmT3_T4_T5_mT6_P12ihipStream_tbENKUlT_T0_E_clISt17integral_constantIbLb1EESZ_EEDaSU_SV_EUlSU_E_NS1_11comp_targetILNS1_3genE8ELNS1_11target_archE1030ELNS1_3gpuE2ELNS1_3repE0EEENS1_30default_config_static_selectorELNS0_4arch9wavefront6targetE1EEEvT1_
		.amdhsa_group_segment_fixed_size 0
		.amdhsa_private_segment_fixed_size 0
		.amdhsa_kernarg_size 104
		.amdhsa_user_sgpr_count 2
		.amdhsa_user_sgpr_dispatch_ptr 0
		.amdhsa_user_sgpr_queue_ptr 0
		.amdhsa_user_sgpr_kernarg_segment_ptr 1
		.amdhsa_user_sgpr_dispatch_id 0
		.amdhsa_user_sgpr_kernarg_preload_length 0
		.amdhsa_user_sgpr_kernarg_preload_offset 0
		.amdhsa_user_sgpr_private_segment_size 0
		.amdhsa_uses_dynamic_stack 0
		.amdhsa_enable_private_segment 0
		.amdhsa_system_sgpr_workgroup_id_x 1
		.amdhsa_system_sgpr_workgroup_id_y 0
		.amdhsa_system_sgpr_workgroup_id_z 0
		.amdhsa_system_sgpr_workgroup_info 0
		.amdhsa_system_vgpr_workitem_id 0
		.amdhsa_next_free_vgpr 1
		.amdhsa_next_free_sgpr 0
		.amdhsa_accum_offset 4
		.amdhsa_reserve_vcc 0
		.amdhsa_float_round_mode_32 0
		.amdhsa_float_round_mode_16_64 0
		.amdhsa_float_denorm_mode_32 3
		.amdhsa_float_denorm_mode_16_64 3
		.amdhsa_dx10_clamp 1
		.amdhsa_ieee_mode 1
		.amdhsa_fp16_overflow 0
		.amdhsa_tg_split 0
		.amdhsa_exception_fp_ieee_invalid_op 0
		.amdhsa_exception_fp_denorm_src 0
		.amdhsa_exception_fp_ieee_div_zero 0
		.amdhsa_exception_fp_ieee_overflow 0
		.amdhsa_exception_fp_ieee_underflow 0
		.amdhsa_exception_fp_ieee_inexact 0
		.amdhsa_exception_int_div_zero 0
	.end_amdhsa_kernel
	.section	.text._ZN7rocprim17ROCPRIM_400000_NS6detail17trampoline_kernelINS0_14default_configENS1_20scan_config_selectorIN3c107complexIfEEEEZZNS1_9scan_implILNS1_25lookback_scan_determinismE0ELb0ELb0ES3_PKS7_PS7_S7_ZZZN2at6native31launch_logcumsumexp_cuda_kernelERKNSE_10TensorBaseESI_lENKUlvE_clEvENKUlvE2_clEvEUlS7_S7_E_S7_EEDaPvRmT3_T4_T5_mT6_P12ihipStream_tbENKUlT_T0_E_clISt17integral_constantIbLb1EESZ_EEDaSU_SV_EUlSU_E_NS1_11comp_targetILNS1_3genE8ELNS1_11target_archE1030ELNS1_3gpuE2ELNS1_3repE0EEENS1_30default_config_static_selectorELNS0_4arch9wavefront6targetE1EEEvT1_,"axG",@progbits,_ZN7rocprim17ROCPRIM_400000_NS6detail17trampoline_kernelINS0_14default_configENS1_20scan_config_selectorIN3c107complexIfEEEEZZNS1_9scan_implILNS1_25lookback_scan_determinismE0ELb0ELb0ES3_PKS7_PS7_S7_ZZZN2at6native31launch_logcumsumexp_cuda_kernelERKNSE_10TensorBaseESI_lENKUlvE_clEvENKUlvE2_clEvEUlS7_S7_E_S7_EEDaPvRmT3_T4_T5_mT6_P12ihipStream_tbENKUlT_T0_E_clISt17integral_constantIbLb1EESZ_EEDaSU_SV_EUlSU_E_NS1_11comp_targetILNS1_3genE8ELNS1_11target_archE1030ELNS1_3gpuE2ELNS1_3repE0EEENS1_30default_config_static_selectorELNS0_4arch9wavefront6targetE1EEEvT1_,comdat
.Lfunc_end307:
	.size	_ZN7rocprim17ROCPRIM_400000_NS6detail17trampoline_kernelINS0_14default_configENS1_20scan_config_selectorIN3c107complexIfEEEEZZNS1_9scan_implILNS1_25lookback_scan_determinismE0ELb0ELb0ES3_PKS7_PS7_S7_ZZZN2at6native31launch_logcumsumexp_cuda_kernelERKNSE_10TensorBaseESI_lENKUlvE_clEvENKUlvE2_clEvEUlS7_S7_E_S7_EEDaPvRmT3_T4_T5_mT6_P12ihipStream_tbENKUlT_T0_E_clISt17integral_constantIbLb1EESZ_EEDaSU_SV_EUlSU_E_NS1_11comp_targetILNS1_3genE8ELNS1_11target_archE1030ELNS1_3gpuE2ELNS1_3repE0EEENS1_30default_config_static_selectorELNS0_4arch9wavefront6targetE1EEEvT1_, .Lfunc_end307-_ZN7rocprim17ROCPRIM_400000_NS6detail17trampoline_kernelINS0_14default_configENS1_20scan_config_selectorIN3c107complexIfEEEEZZNS1_9scan_implILNS1_25lookback_scan_determinismE0ELb0ELb0ES3_PKS7_PS7_S7_ZZZN2at6native31launch_logcumsumexp_cuda_kernelERKNSE_10TensorBaseESI_lENKUlvE_clEvENKUlvE2_clEvEUlS7_S7_E_S7_EEDaPvRmT3_T4_T5_mT6_P12ihipStream_tbENKUlT_T0_E_clISt17integral_constantIbLb1EESZ_EEDaSU_SV_EUlSU_E_NS1_11comp_targetILNS1_3genE8ELNS1_11target_archE1030ELNS1_3gpuE2ELNS1_3repE0EEENS1_30default_config_static_selectorELNS0_4arch9wavefront6targetE1EEEvT1_
                                        ; -- End function
	.section	.AMDGPU.csdata,"",@progbits
; Kernel info:
; codeLenInByte = 0
; NumSgprs: 6
; NumVgprs: 0
; NumAgprs: 0
; TotalNumVgprs: 0
; ScratchSize: 0
; MemoryBound: 0
; FloatMode: 240
; IeeeMode: 1
; LDSByteSize: 0 bytes/workgroup (compile time only)
; SGPRBlocks: 0
; VGPRBlocks: 0
; NumSGPRsForWavesPerEU: 6
; NumVGPRsForWavesPerEU: 1
; AccumOffset: 4
; Occupancy: 8
; WaveLimiterHint : 0
; COMPUTE_PGM_RSRC2:SCRATCH_EN: 0
; COMPUTE_PGM_RSRC2:USER_SGPR: 2
; COMPUTE_PGM_RSRC2:TRAP_HANDLER: 0
; COMPUTE_PGM_RSRC2:TGID_X_EN: 1
; COMPUTE_PGM_RSRC2:TGID_Y_EN: 0
; COMPUTE_PGM_RSRC2:TGID_Z_EN: 0
; COMPUTE_PGM_RSRC2:TIDIG_COMP_CNT: 0
; COMPUTE_PGM_RSRC3_GFX90A:ACCUM_OFFSET: 0
; COMPUTE_PGM_RSRC3_GFX90A:TG_SPLIT: 0
	.section	.text._ZN7rocprim17ROCPRIM_400000_NS6detail17trampoline_kernelINS0_14default_configENS1_20scan_config_selectorIN3c107complexIfEEEEZZNS1_9scan_implILNS1_25lookback_scan_determinismE0ELb0ELb0ES3_PKS7_PS7_S7_ZZZN2at6native31launch_logcumsumexp_cuda_kernelERKNSE_10TensorBaseESI_lENKUlvE_clEvENKUlvE2_clEvEUlS7_S7_E_S7_EEDaPvRmT3_T4_T5_mT6_P12ihipStream_tbENKUlT_T0_E_clISt17integral_constantIbLb1EESZ_EEDaSU_SV_EUlSU_E0_NS1_11comp_targetILNS1_3genE0ELNS1_11target_archE4294967295ELNS1_3gpuE0ELNS1_3repE0EEENS1_30default_config_static_selectorELNS0_4arch9wavefront6targetE1EEEvT1_,"axG",@progbits,_ZN7rocprim17ROCPRIM_400000_NS6detail17trampoline_kernelINS0_14default_configENS1_20scan_config_selectorIN3c107complexIfEEEEZZNS1_9scan_implILNS1_25lookback_scan_determinismE0ELb0ELb0ES3_PKS7_PS7_S7_ZZZN2at6native31launch_logcumsumexp_cuda_kernelERKNSE_10TensorBaseESI_lENKUlvE_clEvENKUlvE2_clEvEUlS7_S7_E_S7_EEDaPvRmT3_T4_T5_mT6_P12ihipStream_tbENKUlT_T0_E_clISt17integral_constantIbLb1EESZ_EEDaSU_SV_EUlSU_E0_NS1_11comp_targetILNS1_3genE0ELNS1_11target_archE4294967295ELNS1_3gpuE0ELNS1_3repE0EEENS1_30default_config_static_selectorELNS0_4arch9wavefront6targetE1EEEvT1_,comdat
	.globl	_ZN7rocprim17ROCPRIM_400000_NS6detail17trampoline_kernelINS0_14default_configENS1_20scan_config_selectorIN3c107complexIfEEEEZZNS1_9scan_implILNS1_25lookback_scan_determinismE0ELb0ELb0ES3_PKS7_PS7_S7_ZZZN2at6native31launch_logcumsumexp_cuda_kernelERKNSE_10TensorBaseESI_lENKUlvE_clEvENKUlvE2_clEvEUlS7_S7_E_S7_EEDaPvRmT3_T4_T5_mT6_P12ihipStream_tbENKUlT_T0_E_clISt17integral_constantIbLb1EESZ_EEDaSU_SV_EUlSU_E0_NS1_11comp_targetILNS1_3genE0ELNS1_11target_archE4294967295ELNS1_3gpuE0ELNS1_3repE0EEENS1_30default_config_static_selectorELNS0_4arch9wavefront6targetE1EEEvT1_ ; -- Begin function _ZN7rocprim17ROCPRIM_400000_NS6detail17trampoline_kernelINS0_14default_configENS1_20scan_config_selectorIN3c107complexIfEEEEZZNS1_9scan_implILNS1_25lookback_scan_determinismE0ELb0ELb0ES3_PKS7_PS7_S7_ZZZN2at6native31launch_logcumsumexp_cuda_kernelERKNSE_10TensorBaseESI_lENKUlvE_clEvENKUlvE2_clEvEUlS7_S7_E_S7_EEDaPvRmT3_T4_T5_mT6_P12ihipStream_tbENKUlT_T0_E_clISt17integral_constantIbLb1EESZ_EEDaSU_SV_EUlSU_E0_NS1_11comp_targetILNS1_3genE0ELNS1_11target_archE4294967295ELNS1_3gpuE0ELNS1_3repE0EEENS1_30default_config_static_selectorELNS0_4arch9wavefront6targetE1EEEvT1_
	.p2align	8
	.type	_ZN7rocprim17ROCPRIM_400000_NS6detail17trampoline_kernelINS0_14default_configENS1_20scan_config_selectorIN3c107complexIfEEEEZZNS1_9scan_implILNS1_25lookback_scan_determinismE0ELb0ELb0ES3_PKS7_PS7_S7_ZZZN2at6native31launch_logcumsumexp_cuda_kernelERKNSE_10TensorBaseESI_lENKUlvE_clEvENKUlvE2_clEvEUlS7_S7_E_S7_EEDaPvRmT3_T4_T5_mT6_P12ihipStream_tbENKUlT_T0_E_clISt17integral_constantIbLb1EESZ_EEDaSU_SV_EUlSU_E0_NS1_11comp_targetILNS1_3genE0ELNS1_11target_archE4294967295ELNS1_3gpuE0ELNS1_3repE0EEENS1_30default_config_static_selectorELNS0_4arch9wavefront6targetE1EEEvT1_,@function
_ZN7rocprim17ROCPRIM_400000_NS6detail17trampoline_kernelINS0_14default_configENS1_20scan_config_selectorIN3c107complexIfEEEEZZNS1_9scan_implILNS1_25lookback_scan_determinismE0ELb0ELb0ES3_PKS7_PS7_S7_ZZZN2at6native31launch_logcumsumexp_cuda_kernelERKNSE_10TensorBaseESI_lENKUlvE_clEvENKUlvE2_clEvEUlS7_S7_E_S7_EEDaPvRmT3_T4_T5_mT6_P12ihipStream_tbENKUlT_T0_E_clISt17integral_constantIbLb1EESZ_EEDaSU_SV_EUlSU_E0_NS1_11comp_targetILNS1_3genE0ELNS1_11target_archE4294967295ELNS1_3gpuE0ELNS1_3repE0EEENS1_30default_config_static_selectorELNS0_4arch9wavefront6targetE1EEEvT1_: ; @_ZN7rocprim17ROCPRIM_400000_NS6detail17trampoline_kernelINS0_14default_configENS1_20scan_config_selectorIN3c107complexIfEEEEZZNS1_9scan_implILNS1_25lookback_scan_determinismE0ELb0ELb0ES3_PKS7_PS7_S7_ZZZN2at6native31launch_logcumsumexp_cuda_kernelERKNSE_10TensorBaseESI_lENKUlvE_clEvENKUlvE2_clEvEUlS7_S7_E_S7_EEDaPvRmT3_T4_T5_mT6_P12ihipStream_tbENKUlT_T0_E_clISt17integral_constantIbLb1EESZ_EEDaSU_SV_EUlSU_E0_NS1_11comp_targetILNS1_3genE0ELNS1_11target_archE4294967295ELNS1_3gpuE0ELNS1_3repE0EEENS1_30default_config_static_selectorELNS0_4arch9wavefront6targetE1EEEvT1_
; %bb.0:
	.section	.rodata,"a",@progbits
	.p2align	6, 0x0
	.amdhsa_kernel _ZN7rocprim17ROCPRIM_400000_NS6detail17trampoline_kernelINS0_14default_configENS1_20scan_config_selectorIN3c107complexIfEEEEZZNS1_9scan_implILNS1_25lookback_scan_determinismE0ELb0ELb0ES3_PKS7_PS7_S7_ZZZN2at6native31launch_logcumsumexp_cuda_kernelERKNSE_10TensorBaseESI_lENKUlvE_clEvENKUlvE2_clEvEUlS7_S7_E_S7_EEDaPvRmT3_T4_T5_mT6_P12ihipStream_tbENKUlT_T0_E_clISt17integral_constantIbLb1EESZ_EEDaSU_SV_EUlSU_E0_NS1_11comp_targetILNS1_3genE0ELNS1_11target_archE4294967295ELNS1_3gpuE0ELNS1_3repE0EEENS1_30default_config_static_selectorELNS0_4arch9wavefront6targetE1EEEvT1_
		.amdhsa_group_segment_fixed_size 0
		.amdhsa_private_segment_fixed_size 0
		.amdhsa_kernarg_size 40
		.amdhsa_user_sgpr_count 2
		.amdhsa_user_sgpr_dispatch_ptr 0
		.amdhsa_user_sgpr_queue_ptr 0
		.amdhsa_user_sgpr_kernarg_segment_ptr 1
		.amdhsa_user_sgpr_dispatch_id 0
		.amdhsa_user_sgpr_kernarg_preload_length 0
		.amdhsa_user_sgpr_kernarg_preload_offset 0
		.amdhsa_user_sgpr_private_segment_size 0
		.amdhsa_uses_dynamic_stack 0
		.amdhsa_enable_private_segment 0
		.amdhsa_system_sgpr_workgroup_id_x 1
		.amdhsa_system_sgpr_workgroup_id_y 0
		.amdhsa_system_sgpr_workgroup_id_z 0
		.amdhsa_system_sgpr_workgroup_info 0
		.amdhsa_system_vgpr_workitem_id 0
		.amdhsa_next_free_vgpr 1
		.amdhsa_next_free_sgpr 0
		.amdhsa_accum_offset 4
		.amdhsa_reserve_vcc 0
		.amdhsa_float_round_mode_32 0
		.amdhsa_float_round_mode_16_64 0
		.amdhsa_float_denorm_mode_32 3
		.amdhsa_float_denorm_mode_16_64 3
		.amdhsa_dx10_clamp 1
		.amdhsa_ieee_mode 1
		.amdhsa_fp16_overflow 0
		.amdhsa_tg_split 0
		.amdhsa_exception_fp_ieee_invalid_op 0
		.amdhsa_exception_fp_denorm_src 0
		.amdhsa_exception_fp_ieee_div_zero 0
		.amdhsa_exception_fp_ieee_overflow 0
		.amdhsa_exception_fp_ieee_underflow 0
		.amdhsa_exception_fp_ieee_inexact 0
		.amdhsa_exception_int_div_zero 0
	.end_amdhsa_kernel
	.section	.text._ZN7rocprim17ROCPRIM_400000_NS6detail17trampoline_kernelINS0_14default_configENS1_20scan_config_selectorIN3c107complexIfEEEEZZNS1_9scan_implILNS1_25lookback_scan_determinismE0ELb0ELb0ES3_PKS7_PS7_S7_ZZZN2at6native31launch_logcumsumexp_cuda_kernelERKNSE_10TensorBaseESI_lENKUlvE_clEvENKUlvE2_clEvEUlS7_S7_E_S7_EEDaPvRmT3_T4_T5_mT6_P12ihipStream_tbENKUlT_T0_E_clISt17integral_constantIbLb1EESZ_EEDaSU_SV_EUlSU_E0_NS1_11comp_targetILNS1_3genE0ELNS1_11target_archE4294967295ELNS1_3gpuE0ELNS1_3repE0EEENS1_30default_config_static_selectorELNS0_4arch9wavefront6targetE1EEEvT1_,"axG",@progbits,_ZN7rocprim17ROCPRIM_400000_NS6detail17trampoline_kernelINS0_14default_configENS1_20scan_config_selectorIN3c107complexIfEEEEZZNS1_9scan_implILNS1_25lookback_scan_determinismE0ELb0ELb0ES3_PKS7_PS7_S7_ZZZN2at6native31launch_logcumsumexp_cuda_kernelERKNSE_10TensorBaseESI_lENKUlvE_clEvENKUlvE2_clEvEUlS7_S7_E_S7_EEDaPvRmT3_T4_T5_mT6_P12ihipStream_tbENKUlT_T0_E_clISt17integral_constantIbLb1EESZ_EEDaSU_SV_EUlSU_E0_NS1_11comp_targetILNS1_3genE0ELNS1_11target_archE4294967295ELNS1_3gpuE0ELNS1_3repE0EEENS1_30default_config_static_selectorELNS0_4arch9wavefront6targetE1EEEvT1_,comdat
.Lfunc_end308:
	.size	_ZN7rocprim17ROCPRIM_400000_NS6detail17trampoline_kernelINS0_14default_configENS1_20scan_config_selectorIN3c107complexIfEEEEZZNS1_9scan_implILNS1_25lookback_scan_determinismE0ELb0ELb0ES3_PKS7_PS7_S7_ZZZN2at6native31launch_logcumsumexp_cuda_kernelERKNSE_10TensorBaseESI_lENKUlvE_clEvENKUlvE2_clEvEUlS7_S7_E_S7_EEDaPvRmT3_T4_T5_mT6_P12ihipStream_tbENKUlT_T0_E_clISt17integral_constantIbLb1EESZ_EEDaSU_SV_EUlSU_E0_NS1_11comp_targetILNS1_3genE0ELNS1_11target_archE4294967295ELNS1_3gpuE0ELNS1_3repE0EEENS1_30default_config_static_selectorELNS0_4arch9wavefront6targetE1EEEvT1_, .Lfunc_end308-_ZN7rocprim17ROCPRIM_400000_NS6detail17trampoline_kernelINS0_14default_configENS1_20scan_config_selectorIN3c107complexIfEEEEZZNS1_9scan_implILNS1_25lookback_scan_determinismE0ELb0ELb0ES3_PKS7_PS7_S7_ZZZN2at6native31launch_logcumsumexp_cuda_kernelERKNSE_10TensorBaseESI_lENKUlvE_clEvENKUlvE2_clEvEUlS7_S7_E_S7_EEDaPvRmT3_T4_T5_mT6_P12ihipStream_tbENKUlT_T0_E_clISt17integral_constantIbLb1EESZ_EEDaSU_SV_EUlSU_E0_NS1_11comp_targetILNS1_3genE0ELNS1_11target_archE4294967295ELNS1_3gpuE0ELNS1_3repE0EEENS1_30default_config_static_selectorELNS0_4arch9wavefront6targetE1EEEvT1_
                                        ; -- End function
	.section	.AMDGPU.csdata,"",@progbits
; Kernel info:
; codeLenInByte = 0
; NumSgprs: 6
; NumVgprs: 0
; NumAgprs: 0
; TotalNumVgprs: 0
; ScratchSize: 0
; MemoryBound: 0
; FloatMode: 240
; IeeeMode: 1
; LDSByteSize: 0 bytes/workgroup (compile time only)
; SGPRBlocks: 0
; VGPRBlocks: 0
; NumSGPRsForWavesPerEU: 6
; NumVGPRsForWavesPerEU: 1
; AccumOffset: 4
; Occupancy: 8
; WaveLimiterHint : 0
; COMPUTE_PGM_RSRC2:SCRATCH_EN: 0
; COMPUTE_PGM_RSRC2:USER_SGPR: 2
; COMPUTE_PGM_RSRC2:TRAP_HANDLER: 0
; COMPUTE_PGM_RSRC2:TGID_X_EN: 1
; COMPUTE_PGM_RSRC2:TGID_Y_EN: 0
; COMPUTE_PGM_RSRC2:TGID_Z_EN: 0
; COMPUTE_PGM_RSRC2:TIDIG_COMP_CNT: 0
; COMPUTE_PGM_RSRC3_GFX90A:ACCUM_OFFSET: 0
; COMPUTE_PGM_RSRC3_GFX90A:TG_SPLIT: 0
	.section	.text._ZN7rocprim17ROCPRIM_400000_NS6detail17trampoline_kernelINS0_14default_configENS1_20scan_config_selectorIN3c107complexIfEEEEZZNS1_9scan_implILNS1_25lookback_scan_determinismE0ELb0ELb0ES3_PKS7_PS7_S7_ZZZN2at6native31launch_logcumsumexp_cuda_kernelERKNSE_10TensorBaseESI_lENKUlvE_clEvENKUlvE2_clEvEUlS7_S7_E_S7_EEDaPvRmT3_T4_T5_mT6_P12ihipStream_tbENKUlT_T0_E_clISt17integral_constantIbLb1EESZ_EEDaSU_SV_EUlSU_E0_NS1_11comp_targetILNS1_3genE5ELNS1_11target_archE942ELNS1_3gpuE9ELNS1_3repE0EEENS1_30default_config_static_selectorELNS0_4arch9wavefront6targetE1EEEvT1_,"axG",@progbits,_ZN7rocprim17ROCPRIM_400000_NS6detail17trampoline_kernelINS0_14default_configENS1_20scan_config_selectorIN3c107complexIfEEEEZZNS1_9scan_implILNS1_25lookback_scan_determinismE0ELb0ELb0ES3_PKS7_PS7_S7_ZZZN2at6native31launch_logcumsumexp_cuda_kernelERKNSE_10TensorBaseESI_lENKUlvE_clEvENKUlvE2_clEvEUlS7_S7_E_S7_EEDaPvRmT3_T4_T5_mT6_P12ihipStream_tbENKUlT_T0_E_clISt17integral_constantIbLb1EESZ_EEDaSU_SV_EUlSU_E0_NS1_11comp_targetILNS1_3genE5ELNS1_11target_archE942ELNS1_3gpuE9ELNS1_3repE0EEENS1_30default_config_static_selectorELNS0_4arch9wavefront6targetE1EEEvT1_,comdat
	.globl	_ZN7rocprim17ROCPRIM_400000_NS6detail17trampoline_kernelINS0_14default_configENS1_20scan_config_selectorIN3c107complexIfEEEEZZNS1_9scan_implILNS1_25lookback_scan_determinismE0ELb0ELb0ES3_PKS7_PS7_S7_ZZZN2at6native31launch_logcumsumexp_cuda_kernelERKNSE_10TensorBaseESI_lENKUlvE_clEvENKUlvE2_clEvEUlS7_S7_E_S7_EEDaPvRmT3_T4_T5_mT6_P12ihipStream_tbENKUlT_T0_E_clISt17integral_constantIbLb1EESZ_EEDaSU_SV_EUlSU_E0_NS1_11comp_targetILNS1_3genE5ELNS1_11target_archE942ELNS1_3gpuE9ELNS1_3repE0EEENS1_30default_config_static_selectorELNS0_4arch9wavefront6targetE1EEEvT1_ ; -- Begin function _ZN7rocprim17ROCPRIM_400000_NS6detail17trampoline_kernelINS0_14default_configENS1_20scan_config_selectorIN3c107complexIfEEEEZZNS1_9scan_implILNS1_25lookback_scan_determinismE0ELb0ELb0ES3_PKS7_PS7_S7_ZZZN2at6native31launch_logcumsumexp_cuda_kernelERKNSE_10TensorBaseESI_lENKUlvE_clEvENKUlvE2_clEvEUlS7_S7_E_S7_EEDaPvRmT3_T4_T5_mT6_P12ihipStream_tbENKUlT_T0_E_clISt17integral_constantIbLb1EESZ_EEDaSU_SV_EUlSU_E0_NS1_11comp_targetILNS1_3genE5ELNS1_11target_archE942ELNS1_3gpuE9ELNS1_3repE0EEENS1_30default_config_static_selectorELNS0_4arch9wavefront6targetE1EEEvT1_
	.p2align	8
	.type	_ZN7rocprim17ROCPRIM_400000_NS6detail17trampoline_kernelINS0_14default_configENS1_20scan_config_selectorIN3c107complexIfEEEEZZNS1_9scan_implILNS1_25lookback_scan_determinismE0ELb0ELb0ES3_PKS7_PS7_S7_ZZZN2at6native31launch_logcumsumexp_cuda_kernelERKNSE_10TensorBaseESI_lENKUlvE_clEvENKUlvE2_clEvEUlS7_S7_E_S7_EEDaPvRmT3_T4_T5_mT6_P12ihipStream_tbENKUlT_T0_E_clISt17integral_constantIbLb1EESZ_EEDaSU_SV_EUlSU_E0_NS1_11comp_targetILNS1_3genE5ELNS1_11target_archE942ELNS1_3gpuE9ELNS1_3repE0EEENS1_30default_config_static_selectorELNS0_4arch9wavefront6targetE1EEEvT1_,@function
_ZN7rocprim17ROCPRIM_400000_NS6detail17trampoline_kernelINS0_14default_configENS1_20scan_config_selectorIN3c107complexIfEEEEZZNS1_9scan_implILNS1_25lookback_scan_determinismE0ELb0ELb0ES3_PKS7_PS7_S7_ZZZN2at6native31launch_logcumsumexp_cuda_kernelERKNSE_10TensorBaseESI_lENKUlvE_clEvENKUlvE2_clEvEUlS7_S7_E_S7_EEDaPvRmT3_T4_T5_mT6_P12ihipStream_tbENKUlT_T0_E_clISt17integral_constantIbLb1EESZ_EEDaSU_SV_EUlSU_E0_NS1_11comp_targetILNS1_3genE5ELNS1_11target_archE942ELNS1_3gpuE9ELNS1_3repE0EEENS1_30default_config_static_selectorELNS0_4arch9wavefront6targetE1EEEvT1_: ; @_ZN7rocprim17ROCPRIM_400000_NS6detail17trampoline_kernelINS0_14default_configENS1_20scan_config_selectorIN3c107complexIfEEEEZZNS1_9scan_implILNS1_25lookback_scan_determinismE0ELb0ELb0ES3_PKS7_PS7_S7_ZZZN2at6native31launch_logcumsumexp_cuda_kernelERKNSE_10TensorBaseESI_lENKUlvE_clEvENKUlvE2_clEvEUlS7_S7_E_S7_EEDaPvRmT3_T4_T5_mT6_P12ihipStream_tbENKUlT_T0_E_clISt17integral_constantIbLb1EESZ_EEDaSU_SV_EUlSU_E0_NS1_11comp_targetILNS1_3genE5ELNS1_11target_archE942ELNS1_3gpuE9ELNS1_3repE0EEENS1_30default_config_static_selectorELNS0_4arch9wavefront6targetE1EEEvT1_
; %bb.0:
	s_mov_b64 s[50:51], s[0:1]
	s_load_dwordx4 s[0:3], s[0:1], 0x0
	v_mov_b32_e32 v27, v0
	v_lshlrev_b32_e32 v92, 3, v27
	s_mov_b32 s32, 0
	s_waitcnt lgkmcnt(0)
	s_load_dwordx2 s[4:5], s[0:1], 0x0
	v_cmp_gt_u32_e64 s[16:17], s2, v27
	s_waitcnt lgkmcnt(0)
	v_mov_b64_e32 v[0:1], s[4:5]
	s_and_saveexec_b64 s[6:7], s[16:17]
	s_cbranch_execz .LBB309_2
; %bb.1:
	global_load_dwordx2 v[0:1], v92, s[0:1]
.LBB309_2:
	s_or_b64 exec, exec, s[6:7]
	v_or_b32_e32 v2, 0x100, v27
	v_cmp_gt_u32_e64 s[18:19], s2, v2
	v_mov_b64_e32 v[2:3], s[4:5]
	s_and_saveexec_b64 s[6:7], s[18:19]
	s_cbranch_execz .LBB309_4
; %bb.3:
	global_load_dwordx2 v[2:3], v92, s[0:1] offset:2048
.LBB309_4:
	s_or_b64 exec, exec, s[6:7]
	v_or_b32_e32 v6, 0x200, v27
	v_cmp_gt_u32_e64 s[20:21], s2, v6
	v_mov_b64_e32 v[4:5], s[4:5]
	s_and_saveexec_b64 s[6:7], s[20:21]
	s_cbranch_execz .LBB309_6
; %bb.5:
	v_lshlrev_b32_e32 v4, 3, v6
	global_load_dwordx2 v[4:5], v4, s[0:1]
.LBB309_6:
	s_or_b64 exec, exec, s[6:7]
	v_or_b32_e32 v8, 0x300, v27
	v_cmp_gt_u32_e64 s[22:23], s2, v8
	v_mov_b64_e32 v[6:7], s[4:5]
	s_and_saveexec_b64 s[6:7], s[22:23]
	s_cbranch_execz .LBB309_8
; %bb.7:
	v_lshlrev_b32_e32 v6, 3, v8
	global_load_dwordx2 v[6:7], v6, s[0:1]
.LBB309_8:
	;; [unrolled: 10-line block ×13, first 2 shown]
	s_or_b64 exec, exec, s[2:3]
	s_movk_i32 s0, 0x70
	v_mad_u32_u24 v93, v27, s0, v92
	s_waitcnt vmcnt(0)
	ds_write2st64_b64 v92, v[0:1], v[2:3] offset1:4
	ds_write2st64_b64 v92, v[4:5], v[6:7] offset0:8 offset1:12
	ds_write2st64_b64 v92, v[8:9], v[10:11] offset0:16 offset1:20
	;; [unrolled: 1-line block ×6, first 2 shown]
	ds_write_b64 v92, v[30:31] offset:28672
	s_waitcnt lgkmcnt(0)
	s_barrier
	ds_read2_b64 v[28:31], v93 offset1:1
	ds_read2_b64 v[52:55], v93 offset0:2 offset1:3
	ds_read2_b64 v[48:51], v93 offset0:4 offset1:5
	ds_read2_b64 v[44:47], v93 offset0:6 offset1:7
	ds_read2_b64 v[40:43], v93 offset0:8 offset1:9
	ds_read2_b64 v[36:39], v93 offset0:10 offset1:11
	ds_read2_b64 v[32:35], v93 offset0:12 offset1:13
	ds_read_b64 v[74:75], v93 offset:112
	s_waitcnt lgkmcnt(7)
	v_mov_b32_e32 v0, v28
	v_mov_b32_e32 v1, v29
	;; [unrolled: 1-line block ×4, first 2 shown]
	s_waitcnt lgkmcnt(0)
	s_barrier
	s_getpc_b64 s[54:55]
	s_add_u32 s54, s54, _ZZZZN2at6native31launch_logcumsumexp_cuda_kernelERKNS_10TensorBaseES3_lENKUlvE_clEvENKUlvE2_clEvENKUlN3c107complexIfEES8_E_clES8_S8_@rel32@lo+4
	s_addc_u32 s55, s55, _ZZZZN2at6native31launch_logcumsumexp_cuda_kernelERKNS_10TensorBaseES3_lENKUlvE_clEvENKUlvE2_clEvENKUlN3c107complexIfEES8_E_clES8_S8_@rel32@hi+12
	s_swappc_b64 s[30:31], s[54:55]
	v_mov_b32_e32 v2, v52
	v_mov_b32_e32 v3, v53
	v_mov_b32_e32 v86, v0
	v_mov_b32_e32 v87, v1
	s_swappc_b64 s[30:31], s[54:55]
	v_mov_b32_e32 v2, v54
	v_mov_b32_e32 v3, v55
	v_mov_b32_e32 v56, v0
	v_mov_b32_e32 v57, v1
	s_swappc_b64 s[30:31], s[54:55]
	v_mov_b32_e32 v2, v48
	v_mov_b32_e32 v3, v49
	v_mov_b32_e32 v58, v0
	v_mov_b32_e32 v59, v1
	s_swappc_b64 s[30:31], s[54:55]
	v_mov_b32_e32 v2, v50
	v_mov_b32_e32 v3, v51
	v_mov_b32_e32 v60, v0
	v_mov_b32_e32 v61, v1
	s_swappc_b64 s[30:31], s[54:55]
	v_mov_b32_e32 v2, v44
	v_mov_b32_e32 v3, v45
	v_mov_b32_e32 v62, v0
	v_mov_b32_e32 v63, v1
	s_swappc_b64 s[30:31], s[54:55]
	v_mov_b32_e32 v2, v46
	v_mov_b32_e32 v3, v47
	v_mov_b32_e32 v64, v0
	v_mov_b32_e32 v65, v1
	s_swappc_b64 s[30:31], s[54:55]
	v_mov_b32_e32 v2, v40
	v_mov_b32_e32 v3, v41
	v_mov_b32_e32 v66, v0
	v_mov_b32_e32 v67, v1
	s_swappc_b64 s[30:31], s[54:55]
	v_mov_b32_e32 v2, v42
	v_mov_b32_e32 v3, v43
	v_mov_b32_e32 v68, v0
	v_mov_b32_e32 v69, v1
	s_swappc_b64 s[30:31], s[54:55]
	v_mov_b32_e32 v2, v36
	v_mov_b32_e32 v3, v37
	v_mov_b32_e32 v70, v0
	v_mov_b32_e32 v71, v1
	s_swappc_b64 s[30:31], s[54:55]
	v_mov_b32_e32 v2, v38
	v_mov_b32_e32 v3, v39
	v_mov_b32_e32 v72, v0
	v_mov_b32_e32 v73, v1
	s_swappc_b64 s[30:31], s[54:55]
	v_mov_b32_e32 v2, v32
	v_mov_b32_e32 v3, v33
	v_mov_b32_e32 v76, v0
	v_mov_b32_e32 v77, v1
	s_swappc_b64 s[30:31], s[54:55]
	v_mov_b32_e32 v2, v34
	v_mov_b32_e32 v3, v35
	v_mov_b32_e32 v78, v0
	v_mov_b32_e32 v79, v1
	s_swappc_b64 s[30:31], s[54:55]
	v_mov_b32_e32 v2, v74
	v_mov_b32_e32 v3, v75
	v_mov_b32_e32 v80, v0
	v_mov_b32_e32 v81, v1
	s_swappc_b64 s[30:31], s[54:55]
	v_mov_b32_e32 v82, v0
	v_lshrrev_b32_e32 v0, 2, v27
	v_and_b32_e32 v0, 56, v0
	v_mov_b32_e32 v83, v1
	v_add_u32_e32 v0, v92, v0
	v_cmp_gt_u32_e32 vcc, 64, v27
	ds_write_b64 v0, v[82:83]
	s_waitcnt lgkmcnt(0)
	s_barrier
	s_and_saveexec_b64 s[52:53], vcc
	s_cbranch_execz .LBB309_44
; %bb.31:
	v_lshlrev_b32_e32 v0, 2, v27
	v_lshrrev_b32_e32 v1, 3, v27
	v_add_lshl_u32 v94, v1, v0, 3
	ds_read_b64 v[84:85], v94
	ds_read2_b64 v[88:91], v94 offset0:1 offset1:2
	s_waitcnt lgkmcnt(1)
	v_mov_b32_e32 v0, v84
	v_mov_b32_e32 v1, v85
	s_waitcnt lgkmcnt(0)
	v_mov_b32_e32 v2, v88
	v_mov_b32_e32 v3, v89
	s_swappc_b64 s[30:31], s[54:55]
	v_mov_b32_e32 v2, v90
	v_mov_b32_e32 v3, v91
	s_swappc_b64 s[30:31], s[54:55]
	ds_read_b64 v[2:3], v94 offset:24
	s_swappc_b64 s[30:31], s[54:55]
	v_mov_b32_e32 v2, v0
	v_mbcnt_lo_u32_b32 v0, -1, 0
	v_mbcnt_hi_u32_b32 v88, -1, v0
	v_mov_b32_e32 v3, v1
	v_and_b32_e32 v89, 15, v88
	v_mov_b32_dpp v0, v2 row_shr:1 row_mask:0xf bank_mask:0xf
	v_mov_b32_dpp v1, v3 row_shr:1 row_mask:0xf bank_mask:0xf
	v_cmp_ne_u32_e32 vcc, 0, v89
	s_and_saveexec_b64 s[54:55], vcc
	s_cbranch_execz .LBB309_33
; %bb.32:
	s_getpc_b64 s[0:1]
	s_add_u32 s0, s0, _ZZZZN2at6native31launch_logcumsumexp_cuda_kernelERKNS_10TensorBaseES3_lENKUlvE_clEvENKUlvE2_clEvENKUlN3c107complexIfEES8_E_clES8_S8_@rel32@lo+4
	s_addc_u32 s1, s1, _ZZZZN2at6native31launch_logcumsumexp_cuda_kernelERKNS_10TensorBaseES3_lENKUlvE_clEvENKUlvE2_clEvENKUlN3c107complexIfEES8_E_clES8_S8_@rel32@hi+12
	s_swappc_b64 s[30:31], s[0:1]
	v_mov_b32_e32 v2, v0
	v_mov_b32_e32 v3, v1
.LBB309_33:
	s_or_b64 exec, exec, s[54:55]
	v_mov_b32_dpp v0, v2 row_shr:2 row_mask:0xf bank_mask:0xf
	v_mov_b32_dpp v1, v3 row_shr:2 row_mask:0xf bank_mask:0xf
	v_cmp_lt_u32_e32 vcc, 1, v89
	s_and_saveexec_b64 s[54:55], vcc
	s_cbranch_execz .LBB309_35
; %bb.34:
	s_getpc_b64 s[0:1]
	s_add_u32 s0, s0, _ZZZZN2at6native31launch_logcumsumexp_cuda_kernelERKNS_10TensorBaseES3_lENKUlvE_clEvENKUlvE2_clEvENKUlN3c107complexIfEES8_E_clES8_S8_@rel32@lo+4
	s_addc_u32 s1, s1, _ZZZZN2at6native31launch_logcumsumexp_cuda_kernelERKNS_10TensorBaseES3_lENKUlvE_clEvENKUlvE2_clEvENKUlN3c107complexIfEES8_E_clES8_S8_@rel32@hi+12
	s_swappc_b64 s[30:31], s[0:1]
	v_mov_b32_e32 v2, v0
	v_mov_b32_e32 v3, v1
.LBB309_35:
	s_or_b64 exec, exec, s[54:55]
	v_mov_b32_dpp v0, v2 row_shr:4 row_mask:0xf bank_mask:0xf
	v_mov_b32_dpp v1, v3 row_shr:4 row_mask:0xf bank_mask:0xf
	v_cmp_lt_u32_e32 vcc, 3, v89
	;; [unrolled: 14-line block ×3, first 2 shown]
	s_and_saveexec_b64 s[54:55], vcc
	s_cbranch_execz .LBB309_39
; %bb.38:
	s_getpc_b64 s[0:1]
	s_add_u32 s0, s0, _ZZZZN2at6native31launch_logcumsumexp_cuda_kernelERKNS_10TensorBaseES3_lENKUlvE_clEvENKUlvE2_clEvENKUlN3c107complexIfEES8_E_clES8_S8_@rel32@lo+4
	s_addc_u32 s1, s1, _ZZZZN2at6native31launch_logcumsumexp_cuda_kernelERKNS_10TensorBaseES3_lENKUlvE_clEvENKUlvE2_clEvENKUlN3c107complexIfEES8_E_clES8_S8_@rel32@hi+12
	s_swappc_b64 s[30:31], s[0:1]
	v_mov_b32_e32 v2, v0
	v_mov_b32_e32 v3, v1
.LBB309_39:
	s_or_b64 exec, exec, s[54:55]
	v_and_b32_e32 v4, 16, v88
	v_mov_b32_dpp v0, v2 row_bcast:15 row_mask:0xf bank_mask:0xf
	v_mov_b32_dpp v1, v3 row_bcast:15 row_mask:0xf bank_mask:0xf
	v_cmp_ne_u32_e32 vcc, 0, v4
	s_and_saveexec_b64 s[54:55], vcc
	s_cbranch_execz .LBB309_41
; %bb.40:
	s_getpc_b64 s[0:1]
	s_add_u32 s0, s0, _ZZZZN2at6native31launch_logcumsumexp_cuda_kernelERKNS_10TensorBaseES3_lENKUlvE_clEvENKUlvE2_clEvENKUlN3c107complexIfEES8_E_clES8_S8_@rel32@lo+4
	s_addc_u32 s1, s1, _ZZZZN2at6native31launch_logcumsumexp_cuda_kernelERKNS_10TensorBaseES3_lENKUlvE_clEvENKUlvE2_clEvENKUlN3c107complexIfEES8_E_clES8_S8_@rel32@hi+12
	s_swappc_b64 s[30:31], s[0:1]
	v_mov_b32_e32 v2, v0
	v_mov_b32_e32 v3, v1
.LBB309_41:
	s_or_b64 exec, exec, s[54:55]
	v_mov_b32_dpp v0, v2 row_bcast:31 row_mask:0xf bank_mask:0xf
	v_mov_b32_dpp v1, v3 row_bcast:31 row_mask:0xf bank_mask:0xf
	v_cmp_lt_u32_e32 vcc, 31, v88
	s_and_saveexec_b64 s[54:55], vcc
	s_cbranch_execz .LBB309_43
; %bb.42:
	s_getpc_b64 s[0:1]
	s_add_u32 s0, s0, _ZZZZN2at6native31launch_logcumsumexp_cuda_kernelERKNS_10TensorBaseES3_lENKUlvE_clEvENKUlvE2_clEvENKUlN3c107complexIfEES8_E_clES8_S8_@rel32@lo+4
	s_addc_u32 s1, s1, _ZZZZN2at6native31launch_logcumsumexp_cuda_kernelERKNS_10TensorBaseES3_lENKUlvE_clEvENKUlvE2_clEvENKUlN3c107complexIfEES8_E_clES8_S8_@rel32@hi+12
	s_swappc_b64 s[30:31], s[0:1]
	v_mov_b32_e32 v2, v0
	v_mov_b32_e32 v3, v1
.LBB309_43:
	s_or_b64 exec, exec, s[54:55]
	v_add_u32_e32 v0, -1, v88
	v_and_b32_e32 v1, 64, v88
	v_cmp_lt_i32_e32 vcc, v0, v1
	s_getpc_b64 s[54:55]
	s_add_u32 s54, s54, _ZZZZN2at6native31launch_logcumsumexp_cuda_kernelERKNS_10TensorBaseES3_lENKUlvE_clEvENKUlvE2_clEvENKUlN3c107complexIfEES8_E_clES8_S8_@rel32@lo+4
	s_addc_u32 s55, s55, _ZZZZN2at6native31launch_logcumsumexp_cuda_kernelERKNS_10TensorBaseES3_lENKUlvE_clEvENKUlvE2_clEvENKUlN3c107complexIfEES8_E_clES8_S8_@rel32@hi+12
	v_cndmask_b32_e32 v0, v0, v88, vcc
	v_lshlrev_b32_e32 v1, 2, v0
	ds_bpermute_b32 v0, v1, v2
	ds_bpermute_b32 v1, v1, v3
	v_mov_b32_e32 v2, v84
	v_mov_b32_e32 v3, v85
	s_swappc_b64 s[30:31], s[54:55]
	v_cmp_eq_u32_e32 vcc, 0, v27
	; wave barrier
	s_nop 1
	v_cndmask_b32_e32 v0, v0, v82, vcc
	v_cndmask_b32_e32 v1, v1, v83, vcc
	ds_write_b64 v94, v[0:1]
	; wave barrier
	ds_read2_b64 v[88:91], v94 offset0:1 offset1:2
	s_waitcnt lgkmcnt(0)
	v_mov_b32_e32 v2, v88
	v_mov_b32_e32 v3, v89
	s_swappc_b64 s[30:31], s[54:55]
	v_mov_b32_e32 v2, v90
	v_mov_b32_e32 v3, v91
	;; [unrolled: 1-line block ×4, first 2 shown]
	s_swappc_b64 s[30:31], s[54:55]
	ds_read_b64 v[2:3], v94 offset:24
	ds_write2_b64 v94, v[84:85], v[0:1] offset0:1 offset1:2
	s_swappc_b64 s[30:31], s[54:55]
	ds_write_b64 v94, v[0:1] offset:24
.LBB309_44:
	s_or_b64 exec, exec, s[52:53]
	s_load_dwordx2 s[50:51], s[50:51], 0x20
	v_cmp_ne_u32_e32 vcc, 0, v27
	v_mov_b32_e32 v1, v83
	v_mov_b32_e32 v0, v82
	s_waitcnt lgkmcnt(0)
	s_barrier
	s_and_saveexec_b64 s[0:1], vcc
	s_cbranch_execnz .LBB309_64
; %bb.45:
	s_or_b64 exec, exec, s[0:1]
	s_and_saveexec_b64 s[0:1], vcc
	s_xor_b64 s[52:53], exec, s[0:1]
	s_cbranch_execnz .LBB309_65
.LBB309_46:
	s_andn2_saveexec_b64 s[0:1], s[52:53]
.LBB309_47:
	v_mov_b32_e32 v30, v86
	v_mov_b32_e32 v31, v87
.LBB309_48:
	s_or_b64 exec, exec, s[0:1]
	s_movk_i32 s0, 0xff90
	v_mad_i32_i24 v24, v27, s0, v93
	s_waitcnt lgkmcnt(0)
	s_barrier
	ds_write2_b64 v93, v[28:29], v[30:31] offset1:1
	ds_write2_b64 v93, v[56:57], v[58:59] offset0:2 offset1:3
	ds_write2_b64 v93, v[60:61], v[62:63] offset0:4 offset1:5
	;; [unrolled: 1-line block ×6, first 2 shown]
	ds_write_b64 v93, v[82:83] offset:112
	s_waitcnt lgkmcnt(0)
	s_barrier
	ds_read2st64_b64 v[20:23], v24 offset0:4 offset1:8
	ds_read2st64_b64 v[16:19], v24 offset0:12 offset1:20
	ds_read2st64_b64 v[8:11], v92 offset0:16 offset1:32
	ds_read2st64_b64 v[12:15], v24 offset0:24 offset1:28
	ds_read2st64_b64 v[4:7], v24 offset0:36 offset1:40
	ds_read2st64_b64 v[0:3], v24 offset0:44 offset1:52
	ds_read_b64 v[28:29], v92 offset:24576
	ds_read_b64 v[24:25], v24 offset:28672
	v_mov_b32_e32 v93, 0
	v_lshl_add_u64 v[26:27], s[50:51], 0, v[92:93]
	s_and_saveexec_b64 s[0:1], s[16:17]
	s_cbranch_execnz .LBB309_66
; %bb.49:
	s_or_b64 exec, exec, s[0:1]
	s_and_saveexec_b64 s[0:1], s[18:19]
	s_cbranch_execnz .LBB309_67
.LBB309_50:
	s_or_b64 exec, exec, s[0:1]
	s_and_saveexec_b64 s[0:1], s[20:21]
	s_cbranch_execnz .LBB309_68
.LBB309_51:
	s_or_b64 exec, exec, s[0:1]
	s_and_saveexec_b64 s[0:1], s[22:23]
	s_cbranch_execnz .LBB309_69
.LBB309_52:
	s_or_b64 exec, exec, s[0:1]
	s_and_saveexec_b64 s[0:1], s[24:25]
	s_cbranch_execnz .LBB309_70
.LBB309_53:
	s_or_b64 exec, exec, s[0:1]
	s_and_saveexec_b64 s[0:1], s[26:27]
	s_cbranch_execnz .LBB309_71
.LBB309_54:
	s_or_b64 exec, exec, s[0:1]
	s_and_saveexec_b64 s[0:1], s[28:29]
	s_cbranch_execnz .LBB309_72
.LBB309_55:
	s_or_b64 exec, exec, s[0:1]
	s_and_saveexec_b64 s[0:1], s[34:35]
	s_cbranch_execnz .LBB309_73
.LBB309_56:
	s_or_b64 exec, exec, s[0:1]
	s_and_saveexec_b64 s[0:1], s[36:37]
	s_cbranch_execnz .LBB309_74
.LBB309_57:
	s_or_b64 exec, exec, s[0:1]
	s_and_saveexec_b64 s[0:1], s[38:39]
	s_cbranch_execnz .LBB309_75
.LBB309_58:
	s_or_b64 exec, exec, s[0:1]
	s_and_saveexec_b64 s[0:1], s[40:41]
	s_cbranch_execnz .LBB309_76
.LBB309_59:
	s_or_b64 exec, exec, s[0:1]
	s_and_saveexec_b64 s[0:1], s[42:43]
	s_cbranch_execnz .LBB309_77
.LBB309_60:
	s_or_b64 exec, exec, s[0:1]
	s_and_saveexec_b64 s[0:1], s[44:45]
	s_cbranch_execnz .LBB309_78
.LBB309_61:
	s_or_b64 exec, exec, s[0:1]
	s_and_saveexec_b64 s[0:1], s[46:47]
	s_cbranch_execnz .LBB309_79
.LBB309_62:
	s_or_b64 exec, exec, s[0:1]
	s_and_saveexec_b64 s[0:1], s[48:49]
	s_cbranch_execnz .LBB309_80
.LBB309_63:
	s_endpgm
.LBB309_64:
	v_add_u32_e32 v0, -1, v27
	v_lshrrev_b32_e32 v1, 5, v0
	v_add_lshl_u32 v0, v1, v0, 3
	ds_read_b64 v[0:1], v0
	s_or_b64 exec, exec, s[0:1]
	s_and_saveexec_b64 s[0:1], vcc
	s_xor_b64 s[52:53], exec, s[0:1]
	s_cbranch_execz .LBB309_46
.LBB309_65:
	v_mov_b32_e32 v2, v28
	v_mov_b32_e32 v3, v29
	s_getpc_b64 s[54:55]
	s_add_u32 s54, s54, _ZZZZN2at6native31launch_logcumsumexp_cuda_kernelERKNS_10TensorBaseES3_lENKUlvE_clEvENKUlvE2_clEvENKUlN3c107complexIfEES8_E_clES8_S8_@rel32@lo+4
	s_addc_u32 s55, s55, _ZZZZN2at6native31launch_logcumsumexp_cuda_kernelERKNS_10TensorBaseES3_lENKUlvE_clEvENKUlvE2_clEvENKUlN3c107complexIfEES8_E_clES8_S8_@rel32@hi+12
	s_swappc_b64 s[30:31], s[54:55]
	v_mov_b32_e32 v2, v30
	v_mov_b32_e32 v3, v31
	;; [unrolled: 1-line block ×4, first 2 shown]
	;;#ASMSTART
	;;#ASMEND
	s_swappc_b64 s[30:31], s[54:55]
	v_mov_b32_e32 v2, v52
	v_mov_b32_e32 v3, v53
	v_mov_b32_e32 v30, v0
	v_mov_b32_e32 v31, v1
	s_swappc_b64 s[30:31], s[54:55]
	v_mov_b32_e32 v2, v54
	v_mov_b32_e32 v3, v55
	v_mov_b32_e32 v56, v0
	v_mov_b32_e32 v57, v1
	;; [unrolled: 5-line block ×13, first 2 shown]
	s_swappc_b64 s[30:31], s[54:55]
	v_mov_b32_e32 v82, v0
	v_mov_b32_e32 v83, v1
                                        ; implicit-def: $vgpr86
                                        ; implicit-def: $vgpr87
	s_andn2_saveexec_b64 s[0:1], s[52:53]
	s_cbranch_execnz .LBB309_47
	s_branch .LBB309_48
.LBB309_66:
	ds_read_b64 v[30:31], v92
	s_waitcnt lgkmcnt(0)
	global_store_dwordx2 v[26:27], v[30:31], off
	s_or_b64 exec, exec, s[0:1]
	s_and_saveexec_b64 s[0:1], s[18:19]
	s_cbranch_execz .LBB309_50
.LBB309_67:
	s_waitcnt lgkmcnt(7)
	global_store_dwordx2 v[26:27], v[20:21], off offset:2048
	s_or_b64 exec, exec, s[0:1]
	s_and_saveexec_b64 s[0:1], s[20:21]
	s_cbranch_execz .LBB309_51
.LBB309_68:
	s_waitcnt lgkmcnt(7)
	v_add_co_u32_e32 v20, vcc, 0x1000, v26
	s_nop 1
	v_addc_co_u32_e32 v21, vcc, 0, v27, vcc
	global_store_dwordx2 v[20:21], v[22:23], off
	s_or_b64 exec, exec, s[0:1]
	s_and_saveexec_b64 s[0:1], s[22:23]
	s_cbranch_execz .LBB309_52
.LBB309_69:
	s_waitcnt lgkmcnt(7)
	v_add_co_u32_e32 v20, vcc, 0x1000, v26
	s_nop 1
	v_addc_co_u32_e32 v21, vcc, 0, v27, vcc
	s_waitcnt lgkmcnt(6)
	global_store_dwordx2 v[20:21], v[16:17], off offset:2048
	s_or_b64 exec, exec, s[0:1]
	s_and_saveexec_b64 s[0:1], s[24:25]
	s_cbranch_execz .LBB309_53
.LBB309_70:
	s_waitcnt lgkmcnt(6)
	v_add_co_u32_e32 v16, vcc, 0x2000, v26
	s_nop 1
	v_addc_co_u32_e32 v17, vcc, 0, v27, vcc
	s_waitcnt lgkmcnt(5)
	global_store_dwordx2 v[16:17], v[8:9], off
	s_or_b64 exec, exec, s[0:1]
	s_and_saveexec_b64 s[0:1], s[26:27]
	s_cbranch_execz .LBB309_54
.LBB309_71:
	s_waitcnt lgkmcnt(5)
	v_add_co_u32_e32 v8, vcc, 0x2000, v26
	s_nop 1
	v_addc_co_u32_e32 v9, vcc, 0, v27, vcc
	global_store_dwordx2 v[8:9], v[18:19], off offset:2048
	s_or_b64 exec, exec, s[0:1]
	s_and_saveexec_b64 s[0:1], s[28:29]
	s_cbranch_execz .LBB309_55
.LBB309_72:
	s_waitcnt lgkmcnt(5)
	v_add_co_u32_e32 v8, vcc, 0x3000, v26
	s_nop 1
	v_addc_co_u32_e32 v9, vcc, 0, v27, vcc
	s_waitcnt lgkmcnt(4)
	global_store_dwordx2 v[8:9], v[12:13], off
	s_or_b64 exec, exec, s[0:1]
	s_and_saveexec_b64 s[0:1], s[34:35]
	s_cbranch_execz .LBB309_56
.LBB309_73:
	s_waitcnt lgkmcnt(5)
	v_add_co_u32_e32 v8, vcc, 0x3000, v26
	s_nop 1
	v_addc_co_u32_e32 v9, vcc, 0, v27, vcc
	s_waitcnt lgkmcnt(4)
	global_store_dwordx2 v[8:9], v[14:15], off offset:2048
	s_or_b64 exec, exec, s[0:1]
	s_and_saveexec_b64 s[0:1], s[36:37]
	s_cbranch_execz .LBB309_57
.LBB309_74:
	s_waitcnt lgkmcnt(5)
	v_add_co_u32_e32 v8, vcc, 0x4000, v26
	s_nop 1
	v_addc_co_u32_e32 v9, vcc, 0, v27, vcc
	global_store_dwordx2 v[8:9], v[10:11], off
	s_or_b64 exec, exec, s[0:1]
	s_and_saveexec_b64 s[0:1], s[38:39]
	s_cbranch_execz .LBB309_58
.LBB309_75:
	s_waitcnt lgkmcnt(5)
	v_add_co_u32_e32 v8, vcc, 0x4000, v26
	s_nop 1
	v_addc_co_u32_e32 v9, vcc, 0, v27, vcc
	s_waitcnt lgkmcnt(3)
	global_store_dwordx2 v[8:9], v[4:5], off offset:2048
	s_or_b64 exec, exec, s[0:1]
	s_and_saveexec_b64 s[0:1], s[40:41]
	s_cbranch_execz .LBB309_59
.LBB309_76:
	s_waitcnt lgkmcnt(3)
	v_add_co_u32_e32 v4, vcc, 0x5000, v26
	s_nop 1
	v_addc_co_u32_e32 v5, vcc, 0, v27, vcc
	global_store_dwordx2 v[4:5], v[6:7], off
	s_or_b64 exec, exec, s[0:1]
	s_and_saveexec_b64 s[0:1], s[42:43]
	s_cbranch_execz .LBB309_60
.LBB309_77:
	s_waitcnt lgkmcnt(3)
	v_add_co_u32_e32 v4, vcc, 0x5000, v26
	s_nop 1
	v_addc_co_u32_e32 v5, vcc, 0, v27, vcc
	s_waitcnt lgkmcnt(2)
	global_store_dwordx2 v[4:5], v[0:1], off offset:2048
	s_or_b64 exec, exec, s[0:1]
	s_and_saveexec_b64 s[0:1], s[44:45]
	s_cbranch_execz .LBB309_61
.LBB309_78:
	s_waitcnt lgkmcnt(2)
	v_add_co_u32_e32 v0, vcc, 0x6000, v26
	s_nop 1
	v_addc_co_u32_e32 v1, vcc, 0, v27, vcc
	s_waitcnt lgkmcnt(1)
	global_store_dwordx2 v[0:1], v[28:29], off
	s_or_b64 exec, exec, s[0:1]
	s_and_saveexec_b64 s[0:1], s[46:47]
	s_cbranch_execz .LBB309_62
.LBB309_79:
	s_waitcnt lgkmcnt(2)
	v_add_co_u32_e32 v0, vcc, 0x6000, v26
	s_nop 1
	v_addc_co_u32_e32 v1, vcc, 0, v27, vcc
	global_store_dwordx2 v[0:1], v[2:3], off offset:2048
	s_or_b64 exec, exec, s[0:1]
	s_and_saveexec_b64 s[0:1], s[48:49]
	s_cbranch_execz .LBB309_63
.LBB309_80:
	s_waitcnt lgkmcnt(2)
	v_add_co_u32_e32 v0, vcc, 0x7000, v26
	s_nop 1
	v_addc_co_u32_e32 v1, vcc, 0, v27, vcc
	s_waitcnt lgkmcnt(0)
	global_store_dwordx2 v[0:1], v[24:25], off
	s_endpgm
	.section	.rodata,"a",@progbits
	.p2align	6, 0x0
	.amdhsa_kernel _ZN7rocprim17ROCPRIM_400000_NS6detail17trampoline_kernelINS0_14default_configENS1_20scan_config_selectorIN3c107complexIfEEEEZZNS1_9scan_implILNS1_25lookback_scan_determinismE0ELb0ELb0ES3_PKS7_PS7_S7_ZZZN2at6native31launch_logcumsumexp_cuda_kernelERKNSE_10TensorBaseESI_lENKUlvE_clEvENKUlvE2_clEvEUlS7_S7_E_S7_EEDaPvRmT3_T4_T5_mT6_P12ihipStream_tbENKUlT_T0_E_clISt17integral_constantIbLb1EESZ_EEDaSU_SV_EUlSU_E0_NS1_11comp_targetILNS1_3genE5ELNS1_11target_archE942ELNS1_3gpuE9ELNS1_3repE0EEENS1_30default_config_static_selectorELNS0_4arch9wavefront6targetE1EEEvT1_
		.amdhsa_group_segment_fixed_size 30720
		.amdhsa_private_segment_fixed_size 0
		.amdhsa_kernarg_size 40
		.amdhsa_user_sgpr_count 2
		.amdhsa_user_sgpr_dispatch_ptr 0
		.amdhsa_user_sgpr_queue_ptr 0
		.amdhsa_user_sgpr_kernarg_segment_ptr 1
		.amdhsa_user_sgpr_dispatch_id 0
		.amdhsa_user_sgpr_kernarg_preload_length 0
		.amdhsa_user_sgpr_kernarg_preload_offset 0
		.amdhsa_user_sgpr_private_segment_size 0
		.amdhsa_uses_dynamic_stack 0
		.amdhsa_enable_private_segment 0
		.amdhsa_system_sgpr_workgroup_id_x 1
		.amdhsa_system_sgpr_workgroup_id_y 0
		.amdhsa_system_sgpr_workgroup_id_z 0
		.amdhsa_system_sgpr_workgroup_info 0
		.amdhsa_system_vgpr_workitem_id 0
		.amdhsa_next_free_vgpr 95
		.amdhsa_next_free_sgpr 56
		.amdhsa_accum_offset 96
		.amdhsa_reserve_vcc 1
		.amdhsa_float_round_mode_32 0
		.amdhsa_float_round_mode_16_64 0
		.amdhsa_float_denorm_mode_32 3
		.amdhsa_float_denorm_mode_16_64 3
		.amdhsa_dx10_clamp 1
		.amdhsa_ieee_mode 1
		.amdhsa_fp16_overflow 0
		.amdhsa_tg_split 0
		.amdhsa_exception_fp_ieee_invalid_op 0
		.amdhsa_exception_fp_denorm_src 0
		.amdhsa_exception_fp_ieee_div_zero 0
		.amdhsa_exception_fp_ieee_overflow 0
		.amdhsa_exception_fp_ieee_underflow 0
		.amdhsa_exception_fp_ieee_inexact 0
		.amdhsa_exception_int_div_zero 0
	.end_amdhsa_kernel
	.section	.text._ZN7rocprim17ROCPRIM_400000_NS6detail17trampoline_kernelINS0_14default_configENS1_20scan_config_selectorIN3c107complexIfEEEEZZNS1_9scan_implILNS1_25lookback_scan_determinismE0ELb0ELb0ES3_PKS7_PS7_S7_ZZZN2at6native31launch_logcumsumexp_cuda_kernelERKNSE_10TensorBaseESI_lENKUlvE_clEvENKUlvE2_clEvEUlS7_S7_E_S7_EEDaPvRmT3_T4_T5_mT6_P12ihipStream_tbENKUlT_T0_E_clISt17integral_constantIbLb1EESZ_EEDaSU_SV_EUlSU_E0_NS1_11comp_targetILNS1_3genE5ELNS1_11target_archE942ELNS1_3gpuE9ELNS1_3repE0EEENS1_30default_config_static_selectorELNS0_4arch9wavefront6targetE1EEEvT1_,"axG",@progbits,_ZN7rocprim17ROCPRIM_400000_NS6detail17trampoline_kernelINS0_14default_configENS1_20scan_config_selectorIN3c107complexIfEEEEZZNS1_9scan_implILNS1_25lookback_scan_determinismE0ELb0ELb0ES3_PKS7_PS7_S7_ZZZN2at6native31launch_logcumsumexp_cuda_kernelERKNSE_10TensorBaseESI_lENKUlvE_clEvENKUlvE2_clEvEUlS7_S7_E_S7_EEDaPvRmT3_T4_T5_mT6_P12ihipStream_tbENKUlT_T0_E_clISt17integral_constantIbLb1EESZ_EEDaSU_SV_EUlSU_E0_NS1_11comp_targetILNS1_3genE5ELNS1_11target_archE942ELNS1_3gpuE9ELNS1_3repE0EEENS1_30default_config_static_selectorELNS0_4arch9wavefront6targetE1EEEvT1_,comdat
.Lfunc_end309:
	.size	_ZN7rocprim17ROCPRIM_400000_NS6detail17trampoline_kernelINS0_14default_configENS1_20scan_config_selectorIN3c107complexIfEEEEZZNS1_9scan_implILNS1_25lookback_scan_determinismE0ELb0ELb0ES3_PKS7_PS7_S7_ZZZN2at6native31launch_logcumsumexp_cuda_kernelERKNSE_10TensorBaseESI_lENKUlvE_clEvENKUlvE2_clEvEUlS7_S7_E_S7_EEDaPvRmT3_T4_T5_mT6_P12ihipStream_tbENKUlT_T0_E_clISt17integral_constantIbLb1EESZ_EEDaSU_SV_EUlSU_E0_NS1_11comp_targetILNS1_3genE5ELNS1_11target_archE942ELNS1_3gpuE9ELNS1_3repE0EEENS1_30default_config_static_selectorELNS0_4arch9wavefront6targetE1EEEvT1_, .Lfunc_end309-_ZN7rocprim17ROCPRIM_400000_NS6detail17trampoline_kernelINS0_14default_configENS1_20scan_config_selectorIN3c107complexIfEEEEZZNS1_9scan_implILNS1_25lookback_scan_determinismE0ELb0ELb0ES3_PKS7_PS7_S7_ZZZN2at6native31launch_logcumsumexp_cuda_kernelERKNSE_10TensorBaseESI_lENKUlvE_clEvENKUlvE2_clEvEUlS7_S7_E_S7_EEDaPvRmT3_T4_T5_mT6_P12ihipStream_tbENKUlT_T0_E_clISt17integral_constantIbLb1EESZ_EEDaSU_SV_EUlSU_E0_NS1_11comp_targetILNS1_3genE5ELNS1_11target_archE942ELNS1_3gpuE9ELNS1_3repE0EEENS1_30default_config_static_selectorELNS0_4arch9wavefront6targetE1EEEvT1_
                                        ; -- End function
	.section	.AMDGPU.csdata,"",@progbits
; Kernel info:
; codeLenInByte = 3252
; NumSgprs: 62
; NumVgprs: 95
; NumAgprs: 0
; TotalNumVgprs: 95
; ScratchSize: 0
; MemoryBound: 0
; FloatMode: 240
; IeeeMode: 1
; LDSByteSize: 30720 bytes/workgroup (compile time only)
; SGPRBlocks: 7
; VGPRBlocks: 11
; NumSGPRsForWavesPerEU: 62
; NumVGPRsForWavesPerEU: 95
; AccumOffset: 96
; Occupancy: 2
; WaveLimiterHint : 0
; COMPUTE_PGM_RSRC2:SCRATCH_EN: 0
; COMPUTE_PGM_RSRC2:USER_SGPR: 2
; COMPUTE_PGM_RSRC2:TRAP_HANDLER: 0
; COMPUTE_PGM_RSRC2:TGID_X_EN: 1
; COMPUTE_PGM_RSRC2:TGID_Y_EN: 0
; COMPUTE_PGM_RSRC2:TGID_Z_EN: 0
; COMPUTE_PGM_RSRC2:TIDIG_COMP_CNT: 0
; COMPUTE_PGM_RSRC3_GFX90A:ACCUM_OFFSET: 23
; COMPUTE_PGM_RSRC3_GFX90A:TG_SPLIT: 0
	.section	.text._ZN7rocprim17ROCPRIM_400000_NS6detail17trampoline_kernelINS0_14default_configENS1_20scan_config_selectorIN3c107complexIfEEEEZZNS1_9scan_implILNS1_25lookback_scan_determinismE0ELb0ELb0ES3_PKS7_PS7_S7_ZZZN2at6native31launch_logcumsumexp_cuda_kernelERKNSE_10TensorBaseESI_lENKUlvE_clEvENKUlvE2_clEvEUlS7_S7_E_S7_EEDaPvRmT3_T4_T5_mT6_P12ihipStream_tbENKUlT_T0_E_clISt17integral_constantIbLb1EESZ_EEDaSU_SV_EUlSU_E0_NS1_11comp_targetILNS1_3genE4ELNS1_11target_archE910ELNS1_3gpuE8ELNS1_3repE0EEENS1_30default_config_static_selectorELNS0_4arch9wavefront6targetE1EEEvT1_,"axG",@progbits,_ZN7rocprim17ROCPRIM_400000_NS6detail17trampoline_kernelINS0_14default_configENS1_20scan_config_selectorIN3c107complexIfEEEEZZNS1_9scan_implILNS1_25lookback_scan_determinismE0ELb0ELb0ES3_PKS7_PS7_S7_ZZZN2at6native31launch_logcumsumexp_cuda_kernelERKNSE_10TensorBaseESI_lENKUlvE_clEvENKUlvE2_clEvEUlS7_S7_E_S7_EEDaPvRmT3_T4_T5_mT6_P12ihipStream_tbENKUlT_T0_E_clISt17integral_constantIbLb1EESZ_EEDaSU_SV_EUlSU_E0_NS1_11comp_targetILNS1_3genE4ELNS1_11target_archE910ELNS1_3gpuE8ELNS1_3repE0EEENS1_30default_config_static_selectorELNS0_4arch9wavefront6targetE1EEEvT1_,comdat
	.globl	_ZN7rocprim17ROCPRIM_400000_NS6detail17trampoline_kernelINS0_14default_configENS1_20scan_config_selectorIN3c107complexIfEEEEZZNS1_9scan_implILNS1_25lookback_scan_determinismE0ELb0ELb0ES3_PKS7_PS7_S7_ZZZN2at6native31launch_logcumsumexp_cuda_kernelERKNSE_10TensorBaseESI_lENKUlvE_clEvENKUlvE2_clEvEUlS7_S7_E_S7_EEDaPvRmT3_T4_T5_mT6_P12ihipStream_tbENKUlT_T0_E_clISt17integral_constantIbLb1EESZ_EEDaSU_SV_EUlSU_E0_NS1_11comp_targetILNS1_3genE4ELNS1_11target_archE910ELNS1_3gpuE8ELNS1_3repE0EEENS1_30default_config_static_selectorELNS0_4arch9wavefront6targetE1EEEvT1_ ; -- Begin function _ZN7rocprim17ROCPRIM_400000_NS6detail17trampoline_kernelINS0_14default_configENS1_20scan_config_selectorIN3c107complexIfEEEEZZNS1_9scan_implILNS1_25lookback_scan_determinismE0ELb0ELb0ES3_PKS7_PS7_S7_ZZZN2at6native31launch_logcumsumexp_cuda_kernelERKNSE_10TensorBaseESI_lENKUlvE_clEvENKUlvE2_clEvEUlS7_S7_E_S7_EEDaPvRmT3_T4_T5_mT6_P12ihipStream_tbENKUlT_T0_E_clISt17integral_constantIbLb1EESZ_EEDaSU_SV_EUlSU_E0_NS1_11comp_targetILNS1_3genE4ELNS1_11target_archE910ELNS1_3gpuE8ELNS1_3repE0EEENS1_30default_config_static_selectorELNS0_4arch9wavefront6targetE1EEEvT1_
	.p2align	8
	.type	_ZN7rocprim17ROCPRIM_400000_NS6detail17trampoline_kernelINS0_14default_configENS1_20scan_config_selectorIN3c107complexIfEEEEZZNS1_9scan_implILNS1_25lookback_scan_determinismE0ELb0ELb0ES3_PKS7_PS7_S7_ZZZN2at6native31launch_logcumsumexp_cuda_kernelERKNSE_10TensorBaseESI_lENKUlvE_clEvENKUlvE2_clEvEUlS7_S7_E_S7_EEDaPvRmT3_T4_T5_mT6_P12ihipStream_tbENKUlT_T0_E_clISt17integral_constantIbLb1EESZ_EEDaSU_SV_EUlSU_E0_NS1_11comp_targetILNS1_3genE4ELNS1_11target_archE910ELNS1_3gpuE8ELNS1_3repE0EEENS1_30default_config_static_selectorELNS0_4arch9wavefront6targetE1EEEvT1_,@function
_ZN7rocprim17ROCPRIM_400000_NS6detail17trampoline_kernelINS0_14default_configENS1_20scan_config_selectorIN3c107complexIfEEEEZZNS1_9scan_implILNS1_25lookback_scan_determinismE0ELb0ELb0ES3_PKS7_PS7_S7_ZZZN2at6native31launch_logcumsumexp_cuda_kernelERKNSE_10TensorBaseESI_lENKUlvE_clEvENKUlvE2_clEvEUlS7_S7_E_S7_EEDaPvRmT3_T4_T5_mT6_P12ihipStream_tbENKUlT_T0_E_clISt17integral_constantIbLb1EESZ_EEDaSU_SV_EUlSU_E0_NS1_11comp_targetILNS1_3genE4ELNS1_11target_archE910ELNS1_3gpuE8ELNS1_3repE0EEENS1_30default_config_static_selectorELNS0_4arch9wavefront6targetE1EEEvT1_: ; @_ZN7rocprim17ROCPRIM_400000_NS6detail17trampoline_kernelINS0_14default_configENS1_20scan_config_selectorIN3c107complexIfEEEEZZNS1_9scan_implILNS1_25lookback_scan_determinismE0ELb0ELb0ES3_PKS7_PS7_S7_ZZZN2at6native31launch_logcumsumexp_cuda_kernelERKNSE_10TensorBaseESI_lENKUlvE_clEvENKUlvE2_clEvEUlS7_S7_E_S7_EEDaPvRmT3_T4_T5_mT6_P12ihipStream_tbENKUlT_T0_E_clISt17integral_constantIbLb1EESZ_EEDaSU_SV_EUlSU_E0_NS1_11comp_targetILNS1_3genE4ELNS1_11target_archE910ELNS1_3gpuE8ELNS1_3repE0EEENS1_30default_config_static_selectorELNS0_4arch9wavefront6targetE1EEEvT1_
; %bb.0:
	.section	.rodata,"a",@progbits
	.p2align	6, 0x0
	.amdhsa_kernel _ZN7rocprim17ROCPRIM_400000_NS6detail17trampoline_kernelINS0_14default_configENS1_20scan_config_selectorIN3c107complexIfEEEEZZNS1_9scan_implILNS1_25lookback_scan_determinismE0ELb0ELb0ES3_PKS7_PS7_S7_ZZZN2at6native31launch_logcumsumexp_cuda_kernelERKNSE_10TensorBaseESI_lENKUlvE_clEvENKUlvE2_clEvEUlS7_S7_E_S7_EEDaPvRmT3_T4_T5_mT6_P12ihipStream_tbENKUlT_T0_E_clISt17integral_constantIbLb1EESZ_EEDaSU_SV_EUlSU_E0_NS1_11comp_targetILNS1_3genE4ELNS1_11target_archE910ELNS1_3gpuE8ELNS1_3repE0EEENS1_30default_config_static_selectorELNS0_4arch9wavefront6targetE1EEEvT1_
		.amdhsa_group_segment_fixed_size 0
		.amdhsa_private_segment_fixed_size 0
		.amdhsa_kernarg_size 40
		.amdhsa_user_sgpr_count 2
		.amdhsa_user_sgpr_dispatch_ptr 0
		.amdhsa_user_sgpr_queue_ptr 0
		.amdhsa_user_sgpr_kernarg_segment_ptr 1
		.amdhsa_user_sgpr_dispatch_id 0
		.amdhsa_user_sgpr_kernarg_preload_length 0
		.amdhsa_user_sgpr_kernarg_preload_offset 0
		.amdhsa_user_sgpr_private_segment_size 0
		.amdhsa_uses_dynamic_stack 0
		.amdhsa_enable_private_segment 0
		.amdhsa_system_sgpr_workgroup_id_x 1
		.amdhsa_system_sgpr_workgroup_id_y 0
		.amdhsa_system_sgpr_workgroup_id_z 0
		.amdhsa_system_sgpr_workgroup_info 0
		.amdhsa_system_vgpr_workitem_id 0
		.amdhsa_next_free_vgpr 1
		.amdhsa_next_free_sgpr 0
		.amdhsa_accum_offset 4
		.amdhsa_reserve_vcc 0
		.amdhsa_float_round_mode_32 0
		.amdhsa_float_round_mode_16_64 0
		.amdhsa_float_denorm_mode_32 3
		.amdhsa_float_denorm_mode_16_64 3
		.amdhsa_dx10_clamp 1
		.amdhsa_ieee_mode 1
		.amdhsa_fp16_overflow 0
		.amdhsa_tg_split 0
		.amdhsa_exception_fp_ieee_invalid_op 0
		.amdhsa_exception_fp_denorm_src 0
		.amdhsa_exception_fp_ieee_div_zero 0
		.amdhsa_exception_fp_ieee_overflow 0
		.amdhsa_exception_fp_ieee_underflow 0
		.amdhsa_exception_fp_ieee_inexact 0
		.amdhsa_exception_int_div_zero 0
	.end_amdhsa_kernel
	.section	.text._ZN7rocprim17ROCPRIM_400000_NS6detail17trampoline_kernelINS0_14default_configENS1_20scan_config_selectorIN3c107complexIfEEEEZZNS1_9scan_implILNS1_25lookback_scan_determinismE0ELb0ELb0ES3_PKS7_PS7_S7_ZZZN2at6native31launch_logcumsumexp_cuda_kernelERKNSE_10TensorBaseESI_lENKUlvE_clEvENKUlvE2_clEvEUlS7_S7_E_S7_EEDaPvRmT3_T4_T5_mT6_P12ihipStream_tbENKUlT_T0_E_clISt17integral_constantIbLb1EESZ_EEDaSU_SV_EUlSU_E0_NS1_11comp_targetILNS1_3genE4ELNS1_11target_archE910ELNS1_3gpuE8ELNS1_3repE0EEENS1_30default_config_static_selectorELNS0_4arch9wavefront6targetE1EEEvT1_,"axG",@progbits,_ZN7rocprim17ROCPRIM_400000_NS6detail17trampoline_kernelINS0_14default_configENS1_20scan_config_selectorIN3c107complexIfEEEEZZNS1_9scan_implILNS1_25lookback_scan_determinismE0ELb0ELb0ES3_PKS7_PS7_S7_ZZZN2at6native31launch_logcumsumexp_cuda_kernelERKNSE_10TensorBaseESI_lENKUlvE_clEvENKUlvE2_clEvEUlS7_S7_E_S7_EEDaPvRmT3_T4_T5_mT6_P12ihipStream_tbENKUlT_T0_E_clISt17integral_constantIbLb1EESZ_EEDaSU_SV_EUlSU_E0_NS1_11comp_targetILNS1_3genE4ELNS1_11target_archE910ELNS1_3gpuE8ELNS1_3repE0EEENS1_30default_config_static_selectorELNS0_4arch9wavefront6targetE1EEEvT1_,comdat
.Lfunc_end310:
	.size	_ZN7rocprim17ROCPRIM_400000_NS6detail17trampoline_kernelINS0_14default_configENS1_20scan_config_selectorIN3c107complexIfEEEEZZNS1_9scan_implILNS1_25lookback_scan_determinismE0ELb0ELb0ES3_PKS7_PS7_S7_ZZZN2at6native31launch_logcumsumexp_cuda_kernelERKNSE_10TensorBaseESI_lENKUlvE_clEvENKUlvE2_clEvEUlS7_S7_E_S7_EEDaPvRmT3_T4_T5_mT6_P12ihipStream_tbENKUlT_T0_E_clISt17integral_constantIbLb1EESZ_EEDaSU_SV_EUlSU_E0_NS1_11comp_targetILNS1_3genE4ELNS1_11target_archE910ELNS1_3gpuE8ELNS1_3repE0EEENS1_30default_config_static_selectorELNS0_4arch9wavefront6targetE1EEEvT1_, .Lfunc_end310-_ZN7rocprim17ROCPRIM_400000_NS6detail17trampoline_kernelINS0_14default_configENS1_20scan_config_selectorIN3c107complexIfEEEEZZNS1_9scan_implILNS1_25lookback_scan_determinismE0ELb0ELb0ES3_PKS7_PS7_S7_ZZZN2at6native31launch_logcumsumexp_cuda_kernelERKNSE_10TensorBaseESI_lENKUlvE_clEvENKUlvE2_clEvEUlS7_S7_E_S7_EEDaPvRmT3_T4_T5_mT6_P12ihipStream_tbENKUlT_T0_E_clISt17integral_constantIbLb1EESZ_EEDaSU_SV_EUlSU_E0_NS1_11comp_targetILNS1_3genE4ELNS1_11target_archE910ELNS1_3gpuE8ELNS1_3repE0EEENS1_30default_config_static_selectorELNS0_4arch9wavefront6targetE1EEEvT1_
                                        ; -- End function
	.section	.AMDGPU.csdata,"",@progbits
; Kernel info:
; codeLenInByte = 0
; NumSgprs: 6
; NumVgprs: 0
; NumAgprs: 0
; TotalNumVgprs: 0
; ScratchSize: 0
; MemoryBound: 0
; FloatMode: 240
; IeeeMode: 1
; LDSByteSize: 0 bytes/workgroup (compile time only)
; SGPRBlocks: 0
; VGPRBlocks: 0
; NumSGPRsForWavesPerEU: 6
; NumVGPRsForWavesPerEU: 1
; AccumOffset: 4
; Occupancy: 8
; WaveLimiterHint : 0
; COMPUTE_PGM_RSRC2:SCRATCH_EN: 0
; COMPUTE_PGM_RSRC2:USER_SGPR: 2
; COMPUTE_PGM_RSRC2:TRAP_HANDLER: 0
; COMPUTE_PGM_RSRC2:TGID_X_EN: 1
; COMPUTE_PGM_RSRC2:TGID_Y_EN: 0
; COMPUTE_PGM_RSRC2:TGID_Z_EN: 0
; COMPUTE_PGM_RSRC2:TIDIG_COMP_CNT: 0
; COMPUTE_PGM_RSRC3_GFX90A:ACCUM_OFFSET: 0
; COMPUTE_PGM_RSRC3_GFX90A:TG_SPLIT: 0
	.section	.text._ZN7rocprim17ROCPRIM_400000_NS6detail17trampoline_kernelINS0_14default_configENS1_20scan_config_selectorIN3c107complexIfEEEEZZNS1_9scan_implILNS1_25lookback_scan_determinismE0ELb0ELb0ES3_PKS7_PS7_S7_ZZZN2at6native31launch_logcumsumexp_cuda_kernelERKNSE_10TensorBaseESI_lENKUlvE_clEvENKUlvE2_clEvEUlS7_S7_E_S7_EEDaPvRmT3_T4_T5_mT6_P12ihipStream_tbENKUlT_T0_E_clISt17integral_constantIbLb1EESZ_EEDaSU_SV_EUlSU_E0_NS1_11comp_targetILNS1_3genE3ELNS1_11target_archE908ELNS1_3gpuE7ELNS1_3repE0EEENS1_30default_config_static_selectorELNS0_4arch9wavefront6targetE1EEEvT1_,"axG",@progbits,_ZN7rocprim17ROCPRIM_400000_NS6detail17trampoline_kernelINS0_14default_configENS1_20scan_config_selectorIN3c107complexIfEEEEZZNS1_9scan_implILNS1_25lookback_scan_determinismE0ELb0ELb0ES3_PKS7_PS7_S7_ZZZN2at6native31launch_logcumsumexp_cuda_kernelERKNSE_10TensorBaseESI_lENKUlvE_clEvENKUlvE2_clEvEUlS7_S7_E_S7_EEDaPvRmT3_T4_T5_mT6_P12ihipStream_tbENKUlT_T0_E_clISt17integral_constantIbLb1EESZ_EEDaSU_SV_EUlSU_E0_NS1_11comp_targetILNS1_3genE3ELNS1_11target_archE908ELNS1_3gpuE7ELNS1_3repE0EEENS1_30default_config_static_selectorELNS0_4arch9wavefront6targetE1EEEvT1_,comdat
	.globl	_ZN7rocprim17ROCPRIM_400000_NS6detail17trampoline_kernelINS0_14default_configENS1_20scan_config_selectorIN3c107complexIfEEEEZZNS1_9scan_implILNS1_25lookback_scan_determinismE0ELb0ELb0ES3_PKS7_PS7_S7_ZZZN2at6native31launch_logcumsumexp_cuda_kernelERKNSE_10TensorBaseESI_lENKUlvE_clEvENKUlvE2_clEvEUlS7_S7_E_S7_EEDaPvRmT3_T4_T5_mT6_P12ihipStream_tbENKUlT_T0_E_clISt17integral_constantIbLb1EESZ_EEDaSU_SV_EUlSU_E0_NS1_11comp_targetILNS1_3genE3ELNS1_11target_archE908ELNS1_3gpuE7ELNS1_3repE0EEENS1_30default_config_static_selectorELNS0_4arch9wavefront6targetE1EEEvT1_ ; -- Begin function _ZN7rocprim17ROCPRIM_400000_NS6detail17trampoline_kernelINS0_14default_configENS1_20scan_config_selectorIN3c107complexIfEEEEZZNS1_9scan_implILNS1_25lookback_scan_determinismE0ELb0ELb0ES3_PKS7_PS7_S7_ZZZN2at6native31launch_logcumsumexp_cuda_kernelERKNSE_10TensorBaseESI_lENKUlvE_clEvENKUlvE2_clEvEUlS7_S7_E_S7_EEDaPvRmT3_T4_T5_mT6_P12ihipStream_tbENKUlT_T0_E_clISt17integral_constantIbLb1EESZ_EEDaSU_SV_EUlSU_E0_NS1_11comp_targetILNS1_3genE3ELNS1_11target_archE908ELNS1_3gpuE7ELNS1_3repE0EEENS1_30default_config_static_selectorELNS0_4arch9wavefront6targetE1EEEvT1_
	.p2align	8
	.type	_ZN7rocprim17ROCPRIM_400000_NS6detail17trampoline_kernelINS0_14default_configENS1_20scan_config_selectorIN3c107complexIfEEEEZZNS1_9scan_implILNS1_25lookback_scan_determinismE0ELb0ELb0ES3_PKS7_PS7_S7_ZZZN2at6native31launch_logcumsumexp_cuda_kernelERKNSE_10TensorBaseESI_lENKUlvE_clEvENKUlvE2_clEvEUlS7_S7_E_S7_EEDaPvRmT3_T4_T5_mT6_P12ihipStream_tbENKUlT_T0_E_clISt17integral_constantIbLb1EESZ_EEDaSU_SV_EUlSU_E0_NS1_11comp_targetILNS1_3genE3ELNS1_11target_archE908ELNS1_3gpuE7ELNS1_3repE0EEENS1_30default_config_static_selectorELNS0_4arch9wavefront6targetE1EEEvT1_,@function
_ZN7rocprim17ROCPRIM_400000_NS6detail17trampoline_kernelINS0_14default_configENS1_20scan_config_selectorIN3c107complexIfEEEEZZNS1_9scan_implILNS1_25lookback_scan_determinismE0ELb0ELb0ES3_PKS7_PS7_S7_ZZZN2at6native31launch_logcumsumexp_cuda_kernelERKNSE_10TensorBaseESI_lENKUlvE_clEvENKUlvE2_clEvEUlS7_S7_E_S7_EEDaPvRmT3_T4_T5_mT6_P12ihipStream_tbENKUlT_T0_E_clISt17integral_constantIbLb1EESZ_EEDaSU_SV_EUlSU_E0_NS1_11comp_targetILNS1_3genE3ELNS1_11target_archE908ELNS1_3gpuE7ELNS1_3repE0EEENS1_30default_config_static_selectorELNS0_4arch9wavefront6targetE1EEEvT1_: ; @_ZN7rocprim17ROCPRIM_400000_NS6detail17trampoline_kernelINS0_14default_configENS1_20scan_config_selectorIN3c107complexIfEEEEZZNS1_9scan_implILNS1_25lookback_scan_determinismE0ELb0ELb0ES3_PKS7_PS7_S7_ZZZN2at6native31launch_logcumsumexp_cuda_kernelERKNSE_10TensorBaseESI_lENKUlvE_clEvENKUlvE2_clEvEUlS7_S7_E_S7_EEDaPvRmT3_T4_T5_mT6_P12ihipStream_tbENKUlT_T0_E_clISt17integral_constantIbLb1EESZ_EEDaSU_SV_EUlSU_E0_NS1_11comp_targetILNS1_3genE3ELNS1_11target_archE908ELNS1_3gpuE7ELNS1_3repE0EEENS1_30default_config_static_selectorELNS0_4arch9wavefront6targetE1EEEvT1_
; %bb.0:
	.section	.rodata,"a",@progbits
	.p2align	6, 0x0
	.amdhsa_kernel _ZN7rocprim17ROCPRIM_400000_NS6detail17trampoline_kernelINS0_14default_configENS1_20scan_config_selectorIN3c107complexIfEEEEZZNS1_9scan_implILNS1_25lookback_scan_determinismE0ELb0ELb0ES3_PKS7_PS7_S7_ZZZN2at6native31launch_logcumsumexp_cuda_kernelERKNSE_10TensorBaseESI_lENKUlvE_clEvENKUlvE2_clEvEUlS7_S7_E_S7_EEDaPvRmT3_T4_T5_mT6_P12ihipStream_tbENKUlT_T0_E_clISt17integral_constantIbLb1EESZ_EEDaSU_SV_EUlSU_E0_NS1_11comp_targetILNS1_3genE3ELNS1_11target_archE908ELNS1_3gpuE7ELNS1_3repE0EEENS1_30default_config_static_selectorELNS0_4arch9wavefront6targetE1EEEvT1_
		.amdhsa_group_segment_fixed_size 0
		.amdhsa_private_segment_fixed_size 0
		.amdhsa_kernarg_size 40
		.amdhsa_user_sgpr_count 2
		.amdhsa_user_sgpr_dispatch_ptr 0
		.amdhsa_user_sgpr_queue_ptr 0
		.amdhsa_user_sgpr_kernarg_segment_ptr 1
		.amdhsa_user_sgpr_dispatch_id 0
		.amdhsa_user_sgpr_kernarg_preload_length 0
		.amdhsa_user_sgpr_kernarg_preload_offset 0
		.amdhsa_user_sgpr_private_segment_size 0
		.amdhsa_uses_dynamic_stack 0
		.amdhsa_enable_private_segment 0
		.amdhsa_system_sgpr_workgroup_id_x 1
		.amdhsa_system_sgpr_workgroup_id_y 0
		.amdhsa_system_sgpr_workgroup_id_z 0
		.amdhsa_system_sgpr_workgroup_info 0
		.amdhsa_system_vgpr_workitem_id 0
		.amdhsa_next_free_vgpr 1
		.amdhsa_next_free_sgpr 0
		.amdhsa_accum_offset 4
		.amdhsa_reserve_vcc 0
		.amdhsa_float_round_mode_32 0
		.amdhsa_float_round_mode_16_64 0
		.amdhsa_float_denorm_mode_32 3
		.amdhsa_float_denorm_mode_16_64 3
		.amdhsa_dx10_clamp 1
		.amdhsa_ieee_mode 1
		.amdhsa_fp16_overflow 0
		.amdhsa_tg_split 0
		.amdhsa_exception_fp_ieee_invalid_op 0
		.amdhsa_exception_fp_denorm_src 0
		.amdhsa_exception_fp_ieee_div_zero 0
		.amdhsa_exception_fp_ieee_overflow 0
		.amdhsa_exception_fp_ieee_underflow 0
		.amdhsa_exception_fp_ieee_inexact 0
		.amdhsa_exception_int_div_zero 0
	.end_amdhsa_kernel
	.section	.text._ZN7rocprim17ROCPRIM_400000_NS6detail17trampoline_kernelINS0_14default_configENS1_20scan_config_selectorIN3c107complexIfEEEEZZNS1_9scan_implILNS1_25lookback_scan_determinismE0ELb0ELb0ES3_PKS7_PS7_S7_ZZZN2at6native31launch_logcumsumexp_cuda_kernelERKNSE_10TensorBaseESI_lENKUlvE_clEvENKUlvE2_clEvEUlS7_S7_E_S7_EEDaPvRmT3_T4_T5_mT6_P12ihipStream_tbENKUlT_T0_E_clISt17integral_constantIbLb1EESZ_EEDaSU_SV_EUlSU_E0_NS1_11comp_targetILNS1_3genE3ELNS1_11target_archE908ELNS1_3gpuE7ELNS1_3repE0EEENS1_30default_config_static_selectorELNS0_4arch9wavefront6targetE1EEEvT1_,"axG",@progbits,_ZN7rocprim17ROCPRIM_400000_NS6detail17trampoline_kernelINS0_14default_configENS1_20scan_config_selectorIN3c107complexIfEEEEZZNS1_9scan_implILNS1_25lookback_scan_determinismE0ELb0ELb0ES3_PKS7_PS7_S7_ZZZN2at6native31launch_logcumsumexp_cuda_kernelERKNSE_10TensorBaseESI_lENKUlvE_clEvENKUlvE2_clEvEUlS7_S7_E_S7_EEDaPvRmT3_T4_T5_mT6_P12ihipStream_tbENKUlT_T0_E_clISt17integral_constantIbLb1EESZ_EEDaSU_SV_EUlSU_E0_NS1_11comp_targetILNS1_3genE3ELNS1_11target_archE908ELNS1_3gpuE7ELNS1_3repE0EEENS1_30default_config_static_selectorELNS0_4arch9wavefront6targetE1EEEvT1_,comdat
.Lfunc_end311:
	.size	_ZN7rocprim17ROCPRIM_400000_NS6detail17trampoline_kernelINS0_14default_configENS1_20scan_config_selectorIN3c107complexIfEEEEZZNS1_9scan_implILNS1_25lookback_scan_determinismE0ELb0ELb0ES3_PKS7_PS7_S7_ZZZN2at6native31launch_logcumsumexp_cuda_kernelERKNSE_10TensorBaseESI_lENKUlvE_clEvENKUlvE2_clEvEUlS7_S7_E_S7_EEDaPvRmT3_T4_T5_mT6_P12ihipStream_tbENKUlT_T0_E_clISt17integral_constantIbLb1EESZ_EEDaSU_SV_EUlSU_E0_NS1_11comp_targetILNS1_3genE3ELNS1_11target_archE908ELNS1_3gpuE7ELNS1_3repE0EEENS1_30default_config_static_selectorELNS0_4arch9wavefront6targetE1EEEvT1_, .Lfunc_end311-_ZN7rocprim17ROCPRIM_400000_NS6detail17trampoline_kernelINS0_14default_configENS1_20scan_config_selectorIN3c107complexIfEEEEZZNS1_9scan_implILNS1_25lookback_scan_determinismE0ELb0ELb0ES3_PKS7_PS7_S7_ZZZN2at6native31launch_logcumsumexp_cuda_kernelERKNSE_10TensorBaseESI_lENKUlvE_clEvENKUlvE2_clEvEUlS7_S7_E_S7_EEDaPvRmT3_T4_T5_mT6_P12ihipStream_tbENKUlT_T0_E_clISt17integral_constantIbLb1EESZ_EEDaSU_SV_EUlSU_E0_NS1_11comp_targetILNS1_3genE3ELNS1_11target_archE908ELNS1_3gpuE7ELNS1_3repE0EEENS1_30default_config_static_selectorELNS0_4arch9wavefront6targetE1EEEvT1_
                                        ; -- End function
	.section	.AMDGPU.csdata,"",@progbits
; Kernel info:
; codeLenInByte = 0
; NumSgprs: 6
; NumVgprs: 0
; NumAgprs: 0
; TotalNumVgprs: 0
; ScratchSize: 0
; MemoryBound: 0
; FloatMode: 240
; IeeeMode: 1
; LDSByteSize: 0 bytes/workgroup (compile time only)
; SGPRBlocks: 0
; VGPRBlocks: 0
; NumSGPRsForWavesPerEU: 6
; NumVGPRsForWavesPerEU: 1
; AccumOffset: 4
; Occupancy: 8
; WaveLimiterHint : 0
; COMPUTE_PGM_RSRC2:SCRATCH_EN: 0
; COMPUTE_PGM_RSRC2:USER_SGPR: 2
; COMPUTE_PGM_RSRC2:TRAP_HANDLER: 0
; COMPUTE_PGM_RSRC2:TGID_X_EN: 1
; COMPUTE_PGM_RSRC2:TGID_Y_EN: 0
; COMPUTE_PGM_RSRC2:TGID_Z_EN: 0
; COMPUTE_PGM_RSRC2:TIDIG_COMP_CNT: 0
; COMPUTE_PGM_RSRC3_GFX90A:ACCUM_OFFSET: 0
; COMPUTE_PGM_RSRC3_GFX90A:TG_SPLIT: 0
	.section	.text._ZN7rocprim17ROCPRIM_400000_NS6detail17trampoline_kernelINS0_14default_configENS1_20scan_config_selectorIN3c107complexIfEEEEZZNS1_9scan_implILNS1_25lookback_scan_determinismE0ELb0ELb0ES3_PKS7_PS7_S7_ZZZN2at6native31launch_logcumsumexp_cuda_kernelERKNSE_10TensorBaseESI_lENKUlvE_clEvENKUlvE2_clEvEUlS7_S7_E_S7_EEDaPvRmT3_T4_T5_mT6_P12ihipStream_tbENKUlT_T0_E_clISt17integral_constantIbLb1EESZ_EEDaSU_SV_EUlSU_E0_NS1_11comp_targetILNS1_3genE2ELNS1_11target_archE906ELNS1_3gpuE6ELNS1_3repE0EEENS1_30default_config_static_selectorELNS0_4arch9wavefront6targetE1EEEvT1_,"axG",@progbits,_ZN7rocprim17ROCPRIM_400000_NS6detail17trampoline_kernelINS0_14default_configENS1_20scan_config_selectorIN3c107complexIfEEEEZZNS1_9scan_implILNS1_25lookback_scan_determinismE0ELb0ELb0ES3_PKS7_PS7_S7_ZZZN2at6native31launch_logcumsumexp_cuda_kernelERKNSE_10TensorBaseESI_lENKUlvE_clEvENKUlvE2_clEvEUlS7_S7_E_S7_EEDaPvRmT3_T4_T5_mT6_P12ihipStream_tbENKUlT_T0_E_clISt17integral_constantIbLb1EESZ_EEDaSU_SV_EUlSU_E0_NS1_11comp_targetILNS1_3genE2ELNS1_11target_archE906ELNS1_3gpuE6ELNS1_3repE0EEENS1_30default_config_static_selectorELNS0_4arch9wavefront6targetE1EEEvT1_,comdat
	.globl	_ZN7rocprim17ROCPRIM_400000_NS6detail17trampoline_kernelINS0_14default_configENS1_20scan_config_selectorIN3c107complexIfEEEEZZNS1_9scan_implILNS1_25lookback_scan_determinismE0ELb0ELb0ES3_PKS7_PS7_S7_ZZZN2at6native31launch_logcumsumexp_cuda_kernelERKNSE_10TensorBaseESI_lENKUlvE_clEvENKUlvE2_clEvEUlS7_S7_E_S7_EEDaPvRmT3_T4_T5_mT6_P12ihipStream_tbENKUlT_T0_E_clISt17integral_constantIbLb1EESZ_EEDaSU_SV_EUlSU_E0_NS1_11comp_targetILNS1_3genE2ELNS1_11target_archE906ELNS1_3gpuE6ELNS1_3repE0EEENS1_30default_config_static_selectorELNS0_4arch9wavefront6targetE1EEEvT1_ ; -- Begin function _ZN7rocprim17ROCPRIM_400000_NS6detail17trampoline_kernelINS0_14default_configENS1_20scan_config_selectorIN3c107complexIfEEEEZZNS1_9scan_implILNS1_25lookback_scan_determinismE0ELb0ELb0ES3_PKS7_PS7_S7_ZZZN2at6native31launch_logcumsumexp_cuda_kernelERKNSE_10TensorBaseESI_lENKUlvE_clEvENKUlvE2_clEvEUlS7_S7_E_S7_EEDaPvRmT3_T4_T5_mT6_P12ihipStream_tbENKUlT_T0_E_clISt17integral_constantIbLb1EESZ_EEDaSU_SV_EUlSU_E0_NS1_11comp_targetILNS1_3genE2ELNS1_11target_archE906ELNS1_3gpuE6ELNS1_3repE0EEENS1_30default_config_static_selectorELNS0_4arch9wavefront6targetE1EEEvT1_
	.p2align	8
	.type	_ZN7rocprim17ROCPRIM_400000_NS6detail17trampoline_kernelINS0_14default_configENS1_20scan_config_selectorIN3c107complexIfEEEEZZNS1_9scan_implILNS1_25lookback_scan_determinismE0ELb0ELb0ES3_PKS7_PS7_S7_ZZZN2at6native31launch_logcumsumexp_cuda_kernelERKNSE_10TensorBaseESI_lENKUlvE_clEvENKUlvE2_clEvEUlS7_S7_E_S7_EEDaPvRmT3_T4_T5_mT6_P12ihipStream_tbENKUlT_T0_E_clISt17integral_constantIbLb1EESZ_EEDaSU_SV_EUlSU_E0_NS1_11comp_targetILNS1_3genE2ELNS1_11target_archE906ELNS1_3gpuE6ELNS1_3repE0EEENS1_30default_config_static_selectorELNS0_4arch9wavefront6targetE1EEEvT1_,@function
_ZN7rocprim17ROCPRIM_400000_NS6detail17trampoline_kernelINS0_14default_configENS1_20scan_config_selectorIN3c107complexIfEEEEZZNS1_9scan_implILNS1_25lookback_scan_determinismE0ELb0ELb0ES3_PKS7_PS7_S7_ZZZN2at6native31launch_logcumsumexp_cuda_kernelERKNSE_10TensorBaseESI_lENKUlvE_clEvENKUlvE2_clEvEUlS7_S7_E_S7_EEDaPvRmT3_T4_T5_mT6_P12ihipStream_tbENKUlT_T0_E_clISt17integral_constantIbLb1EESZ_EEDaSU_SV_EUlSU_E0_NS1_11comp_targetILNS1_3genE2ELNS1_11target_archE906ELNS1_3gpuE6ELNS1_3repE0EEENS1_30default_config_static_selectorELNS0_4arch9wavefront6targetE1EEEvT1_: ; @_ZN7rocprim17ROCPRIM_400000_NS6detail17trampoline_kernelINS0_14default_configENS1_20scan_config_selectorIN3c107complexIfEEEEZZNS1_9scan_implILNS1_25lookback_scan_determinismE0ELb0ELb0ES3_PKS7_PS7_S7_ZZZN2at6native31launch_logcumsumexp_cuda_kernelERKNSE_10TensorBaseESI_lENKUlvE_clEvENKUlvE2_clEvEUlS7_S7_E_S7_EEDaPvRmT3_T4_T5_mT6_P12ihipStream_tbENKUlT_T0_E_clISt17integral_constantIbLb1EESZ_EEDaSU_SV_EUlSU_E0_NS1_11comp_targetILNS1_3genE2ELNS1_11target_archE906ELNS1_3gpuE6ELNS1_3repE0EEENS1_30default_config_static_selectorELNS0_4arch9wavefront6targetE1EEEvT1_
; %bb.0:
	.section	.rodata,"a",@progbits
	.p2align	6, 0x0
	.amdhsa_kernel _ZN7rocprim17ROCPRIM_400000_NS6detail17trampoline_kernelINS0_14default_configENS1_20scan_config_selectorIN3c107complexIfEEEEZZNS1_9scan_implILNS1_25lookback_scan_determinismE0ELb0ELb0ES3_PKS7_PS7_S7_ZZZN2at6native31launch_logcumsumexp_cuda_kernelERKNSE_10TensorBaseESI_lENKUlvE_clEvENKUlvE2_clEvEUlS7_S7_E_S7_EEDaPvRmT3_T4_T5_mT6_P12ihipStream_tbENKUlT_T0_E_clISt17integral_constantIbLb1EESZ_EEDaSU_SV_EUlSU_E0_NS1_11comp_targetILNS1_3genE2ELNS1_11target_archE906ELNS1_3gpuE6ELNS1_3repE0EEENS1_30default_config_static_selectorELNS0_4arch9wavefront6targetE1EEEvT1_
		.amdhsa_group_segment_fixed_size 0
		.amdhsa_private_segment_fixed_size 0
		.amdhsa_kernarg_size 40
		.amdhsa_user_sgpr_count 2
		.amdhsa_user_sgpr_dispatch_ptr 0
		.amdhsa_user_sgpr_queue_ptr 0
		.amdhsa_user_sgpr_kernarg_segment_ptr 1
		.amdhsa_user_sgpr_dispatch_id 0
		.amdhsa_user_sgpr_kernarg_preload_length 0
		.amdhsa_user_sgpr_kernarg_preload_offset 0
		.amdhsa_user_sgpr_private_segment_size 0
		.amdhsa_uses_dynamic_stack 0
		.amdhsa_enable_private_segment 0
		.amdhsa_system_sgpr_workgroup_id_x 1
		.amdhsa_system_sgpr_workgroup_id_y 0
		.amdhsa_system_sgpr_workgroup_id_z 0
		.amdhsa_system_sgpr_workgroup_info 0
		.amdhsa_system_vgpr_workitem_id 0
		.amdhsa_next_free_vgpr 1
		.amdhsa_next_free_sgpr 0
		.amdhsa_accum_offset 4
		.amdhsa_reserve_vcc 0
		.amdhsa_float_round_mode_32 0
		.amdhsa_float_round_mode_16_64 0
		.amdhsa_float_denorm_mode_32 3
		.amdhsa_float_denorm_mode_16_64 3
		.amdhsa_dx10_clamp 1
		.amdhsa_ieee_mode 1
		.amdhsa_fp16_overflow 0
		.amdhsa_tg_split 0
		.amdhsa_exception_fp_ieee_invalid_op 0
		.amdhsa_exception_fp_denorm_src 0
		.amdhsa_exception_fp_ieee_div_zero 0
		.amdhsa_exception_fp_ieee_overflow 0
		.amdhsa_exception_fp_ieee_underflow 0
		.amdhsa_exception_fp_ieee_inexact 0
		.amdhsa_exception_int_div_zero 0
	.end_amdhsa_kernel
	.section	.text._ZN7rocprim17ROCPRIM_400000_NS6detail17trampoline_kernelINS0_14default_configENS1_20scan_config_selectorIN3c107complexIfEEEEZZNS1_9scan_implILNS1_25lookback_scan_determinismE0ELb0ELb0ES3_PKS7_PS7_S7_ZZZN2at6native31launch_logcumsumexp_cuda_kernelERKNSE_10TensorBaseESI_lENKUlvE_clEvENKUlvE2_clEvEUlS7_S7_E_S7_EEDaPvRmT3_T4_T5_mT6_P12ihipStream_tbENKUlT_T0_E_clISt17integral_constantIbLb1EESZ_EEDaSU_SV_EUlSU_E0_NS1_11comp_targetILNS1_3genE2ELNS1_11target_archE906ELNS1_3gpuE6ELNS1_3repE0EEENS1_30default_config_static_selectorELNS0_4arch9wavefront6targetE1EEEvT1_,"axG",@progbits,_ZN7rocprim17ROCPRIM_400000_NS6detail17trampoline_kernelINS0_14default_configENS1_20scan_config_selectorIN3c107complexIfEEEEZZNS1_9scan_implILNS1_25lookback_scan_determinismE0ELb0ELb0ES3_PKS7_PS7_S7_ZZZN2at6native31launch_logcumsumexp_cuda_kernelERKNSE_10TensorBaseESI_lENKUlvE_clEvENKUlvE2_clEvEUlS7_S7_E_S7_EEDaPvRmT3_T4_T5_mT6_P12ihipStream_tbENKUlT_T0_E_clISt17integral_constantIbLb1EESZ_EEDaSU_SV_EUlSU_E0_NS1_11comp_targetILNS1_3genE2ELNS1_11target_archE906ELNS1_3gpuE6ELNS1_3repE0EEENS1_30default_config_static_selectorELNS0_4arch9wavefront6targetE1EEEvT1_,comdat
.Lfunc_end312:
	.size	_ZN7rocprim17ROCPRIM_400000_NS6detail17trampoline_kernelINS0_14default_configENS1_20scan_config_selectorIN3c107complexIfEEEEZZNS1_9scan_implILNS1_25lookback_scan_determinismE0ELb0ELb0ES3_PKS7_PS7_S7_ZZZN2at6native31launch_logcumsumexp_cuda_kernelERKNSE_10TensorBaseESI_lENKUlvE_clEvENKUlvE2_clEvEUlS7_S7_E_S7_EEDaPvRmT3_T4_T5_mT6_P12ihipStream_tbENKUlT_T0_E_clISt17integral_constantIbLb1EESZ_EEDaSU_SV_EUlSU_E0_NS1_11comp_targetILNS1_3genE2ELNS1_11target_archE906ELNS1_3gpuE6ELNS1_3repE0EEENS1_30default_config_static_selectorELNS0_4arch9wavefront6targetE1EEEvT1_, .Lfunc_end312-_ZN7rocprim17ROCPRIM_400000_NS6detail17trampoline_kernelINS0_14default_configENS1_20scan_config_selectorIN3c107complexIfEEEEZZNS1_9scan_implILNS1_25lookback_scan_determinismE0ELb0ELb0ES3_PKS7_PS7_S7_ZZZN2at6native31launch_logcumsumexp_cuda_kernelERKNSE_10TensorBaseESI_lENKUlvE_clEvENKUlvE2_clEvEUlS7_S7_E_S7_EEDaPvRmT3_T4_T5_mT6_P12ihipStream_tbENKUlT_T0_E_clISt17integral_constantIbLb1EESZ_EEDaSU_SV_EUlSU_E0_NS1_11comp_targetILNS1_3genE2ELNS1_11target_archE906ELNS1_3gpuE6ELNS1_3repE0EEENS1_30default_config_static_selectorELNS0_4arch9wavefront6targetE1EEEvT1_
                                        ; -- End function
	.section	.AMDGPU.csdata,"",@progbits
; Kernel info:
; codeLenInByte = 0
; NumSgprs: 6
; NumVgprs: 0
; NumAgprs: 0
; TotalNumVgprs: 0
; ScratchSize: 0
; MemoryBound: 0
; FloatMode: 240
; IeeeMode: 1
; LDSByteSize: 0 bytes/workgroup (compile time only)
; SGPRBlocks: 0
; VGPRBlocks: 0
; NumSGPRsForWavesPerEU: 6
; NumVGPRsForWavesPerEU: 1
; AccumOffset: 4
; Occupancy: 8
; WaveLimiterHint : 0
; COMPUTE_PGM_RSRC2:SCRATCH_EN: 0
; COMPUTE_PGM_RSRC2:USER_SGPR: 2
; COMPUTE_PGM_RSRC2:TRAP_HANDLER: 0
; COMPUTE_PGM_RSRC2:TGID_X_EN: 1
; COMPUTE_PGM_RSRC2:TGID_Y_EN: 0
; COMPUTE_PGM_RSRC2:TGID_Z_EN: 0
; COMPUTE_PGM_RSRC2:TIDIG_COMP_CNT: 0
; COMPUTE_PGM_RSRC3_GFX90A:ACCUM_OFFSET: 0
; COMPUTE_PGM_RSRC3_GFX90A:TG_SPLIT: 0
	.section	.text._ZN7rocprim17ROCPRIM_400000_NS6detail17trampoline_kernelINS0_14default_configENS1_20scan_config_selectorIN3c107complexIfEEEEZZNS1_9scan_implILNS1_25lookback_scan_determinismE0ELb0ELb0ES3_PKS7_PS7_S7_ZZZN2at6native31launch_logcumsumexp_cuda_kernelERKNSE_10TensorBaseESI_lENKUlvE_clEvENKUlvE2_clEvEUlS7_S7_E_S7_EEDaPvRmT3_T4_T5_mT6_P12ihipStream_tbENKUlT_T0_E_clISt17integral_constantIbLb1EESZ_EEDaSU_SV_EUlSU_E0_NS1_11comp_targetILNS1_3genE10ELNS1_11target_archE1201ELNS1_3gpuE5ELNS1_3repE0EEENS1_30default_config_static_selectorELNS0_4arch9wavefront6targetE1EEEvT1_,"axG",@progbits,_ZN7rocprim17ROCPRIM_400000_NS6detail17trampoline_kernelINS0_14default_configENS1_20scan_config_selectorIN3c107complexIfEEEEZZNS1_9scan_implILNS1_25lookback_scan_determinismE0ELb0ELb0ES3_PKS7_PS7_S7_ZZZN2at6native31launch_logcumsumexp_cuda_kernelERKNSE_10TensorBaseESI_lENKUlvE_clEvENKUlvE2_clEvEUlS7_S7_E_S7_EEDaPvRmT3_T4_T5_mT6_P12ihipStream_tbENKUlT_T0_E_clISt17integral_constantIbLb1EESZ_EEDaSU_SV_EUlSU_E0_NS1_11comp_targetILNS1_3genE10ELNS1_11target_archE1201ELNS1_3gpuE5ELNS1_3repE0EEENS1_30default_config_static_selectorELNS0_4arch9wavefront6targetE1EEEvT1_,comdat
	.globl	_ZN7rocprim17ROCPRIM_400000_NS6detail17trampoline_kernelINS0_14default_configENS1_20scan_config_selectorIN3c107complexIfEEEEZZNS1_9scan_implILNS1_25lookback_scan_determinismE0ELb0ELb0ES3_PKS7_PS7_S7_ZZZN2at6native31launch_logcumsumexp_cuda_kernelERKNSE_10TensorBaseESI_lENKUlvE_clEvENKUlvE2_clEvEUlS7_S7_E_S7_EEDaPvRmT3_T4_T5_mT6_P12ihipStream_tbENKUlT_T0_E_clISt17integral_constantIbLb1EESZ_EEDaSU_SV_EUlSU_E0_NS1_11comp_targetILNS1_3genE10ELNS1_11target_archE1201ELNS1_3gpuE5ELNS1_3repE0EEENS1_30default_config_static_selectorELNS0_4arch9wavefront6targetE1EEEvT1_ ; -- Begin function _ZN7rocprim17ROCPRIM_400000_NS6detail17trampoline_kernelINS0_14default_configENS1_20scan_config_selectorIN3c107complexIfEEEEZZNS1_9scan_implILNS1_25lookback_scan_determinismE0ELb0ELb0ES3_PKS7_PS7_S7_ZZZN2at6native31launch_logcumsumexp_cuda_kernelERKNSE_10TensorBaseESI_lENKUlvE_clEvENKUlvE2_clEvEUlS7_S7_E_S7_EEDaPvRmT3_T4_T5_mT6_P12ihipStream_tbENKUlT_T0_E_clISt17integral_constantIbLb1EESZ_EEDaSU_SV_EUlSU_E0_NS1_11comp_targetILNS1_3genE10ELNS1_11target_archE1201ELNS1_3gpuE5ELNS1_3repE0EEENS1_30default_config_static_selectorELNS0_4arch9wavefront6targetE1EEEvT1_
	.p2align	8
	.type	_ZN7rocprim17ROCPRIM_400000_NS6detail17trampoline_kernelINS0_14default_configENS1_20scan_config_selectorIN3c107complexIfEEEEZZNS1_9scan_implILNS1_25lookback_scan_determinismE0ELb0ELb0ES3_PKS7_PS7_S7_ZZZN2at6native31launch_logcumsumexp_cuda_kernelERKNSE_10TensorBaseESI_lENKUlvE_clEvENKUlvE2_clEvEUlS7_S7_E_S7_EEDaPvRmT3_T4_T5_mT6_P12ihipStream_tbENKUlT_T0_E_clISt17integral_constantIbLb1EESZ_EEDaSU_SV_EUlSU_E0_NS1_11comp_targetILNS1_3genE10ELNS1_11target_archE1201ELNS1_3gpuE5ELNS1_3repE0EEENS1_30default_config_static_selectorELNS0_4arch9wavefront6targetE1EEEvT1_,@function
_ZN7rocprim17ROCPRIM_400000_NS6detail17trampoline_kernelINS0_14default_configENS1_20scan_config_selectorIN3c107complexIfEEEEZZNS1_9scan_implILNS1_25lookback_scan_determinismE0ELb0ELb0ES3_PKS7_PS7_S7_ZZZN2at6native31launch_logcumsumexp_cuda_kernelERKNSE_10TensorBaseESI_lENKUlvE_clEvENKUlvE2_clEvEUlS7_S7_E_S7_EEDaPvRmT3_T4_T5_mT6_P12ihipStream_tbENKUlT_T0_E_clISt17integral_constantIbLb1EESZ_EEDaSU_SV_EUlSU_E0_NS1_11comp_targetILNS1_3genE10ELNS1_11target_archE1201ELNS1_3gpuE5ELNS1_3repE0EEENS1_30default_config_static_selectorELNS0_4arch9wavefront6targetE1EEEvT1_: ; @_ZN7rocprim17ROCPRIM_400000_NS6detail17trampoline_kernelINS0_14default_configENS1_20scan_config_selectorIN3c107complexIfEEEEZZNS1_9scan_implILNS1_25lookback_scan_determinismE0ELb0ELb0ES3_PKS7_PS7_S7_ZZZN2at6native31launch_logcumsumexp_cuda_kernelERKNSE_10TensorBaseESI_lENKUlvE_clEvENKUlvE2_clEvEUlS7_S7_E_S7_EEDaPvRmT3_T4_T5_mT6_P12ihipStream_tbENKUlT_T0_E_clISt17integral_constantIbLb1EESZ_EEDaSU_SV_EUlSU_E0_NS1_11comp_targetILNS1_3genE10ELNS1_11target_archE1201ELNS1_3gpuE5ELNS1_3repE0EEENS1_30default_config_static_selectorELNS0_4arch9wavefront6targetE1EEEvT1_
; %bb.0:
	.section	.rodata,"a",@progbits
	.p2align	6, 0x0
	.amdhsa_kernel _ZN7rocprim17ROCPRIM_400000_NS6detail17trampoline_kernelINS0_14default_configENS1_20scan_config_selectorIN3c107complexIfEEEEZZNS1_9scan_implILNS1_25lookback_scan_determinismE0ELb0ELb0ES3_PKS7_PS7_S7_ZZZN2at6native31launch_logcumsumexp_cuda_kernelERKNSE_10TensorBaseESI_lENKUlvE_clEvENKUlvE2_clEvEUlS7_S7_E_S7_EEDaPvRmT3_T4_T5_mT6_P12ihipStream_tbENKUlT_T0_E_clISt17integral_constantIbLb1EESZ_EEDaSU_SV_EUlSU_E0_NS1_11comp_targetILNS1_3genE10ELNS1_11target_archE1201ELNS1_3gpuE5ELNS1_3repE0EEENS1_30default_config_static_selectorELNS0_4arch9wavefront6targetE1EEEvT1_
		.amdhsa_group_segment_fixed_size 0
		.amdhsa_private_segment_fixed_size 0
		.amdhsa_kernarg_size 40
		.amdhsa_user_sgpr_count 2
		.amdhsa_user_sgpr_dispatch_ptr 0
		.amdhsa_user_sgpr_queue_ptr 0
		.amdhsa_user_sgpr_kernarg_segment_ptr 1
		.amdhsa_user_sgpr_dispatch_id 0
		.amdhsa_user_sgpr_kernarg_preload_length 0
		.amdhsa_user_sgpr_kernarg_preload_offset 0
		.amdhsa_user_sgpr_private_segment_size 0
		.amdhsa_uses_dynamic_stack 0
		.amdhsa_enable_private_segment 0
		.amdhsa_system_sgpr_workgroup_id_x 1
		.amdhsa_system_sgpr_workgroup_id_y 0
		.amdhsa_system_sgpr_workgroup_id_z 0
		.amdhsa_system_sgpr_workgroup_info 0
		.amdhsa_system_vgpr_workitem_id 0
		.amdhsa_next_free_vgpr 1
		.amdhsa_next_free_sgpr 0
		.amdhsa_accum_offset 4
		.amdhsa_reserve_vcc 0
		.amdhsa_float_round_mode_32 0
		.amdhsa_float_round_mode_16_64 0
		.amdhsa_float_denorm_mode_32 3
		.amdhsa_float_denorm_mode_16_64 3
		.amdhsa_dx10_clamp 1
		.amdhsa_ieee_mode 1
		.amdhsa_fp16_overflow 0
		.amdhsa_tg_split 0
		.amdhsa_exception_fp_ieee_invalid_op 0
		.amdhsa_exception_fp_denorm_src 0
		.amdhsa_exception_fp_ieee_div_zero 0
		.amdhsa_exception_fp_ieee_overflow 0
		.amdhsa_exception_fp_ieee_underflow 0
		.amdhsa_exception_fp_ieee_inexact 0
		.amdhsa_exception_int_div_zero 0
	.end_amdhsa_kernel
	.section	.text._ZN7rocprim17ROCPRIM_400000_NS6detail17trampoline_kernelINS0_14default_configENS1_20scan_config_selectorIN3c107complexIfEEEEZZNS1_9scan_implILNS1_25lookback_scan_determinismE0ELb0ELb0ES3_PKS7_PS7_S7_ZZZN2at6native31launch_logcumsumexp_cuda_kernelERKNSE_10TensorBaseESI_lENKUlvE_clEvENKUlvE2_clEvEUlS7_S7_E_S7_EEDaPvRmT3_T4_T5_mT6_P12ihipStream_tbENKUlT_T0_E_clISt17integral_constantIbLb1EESZ_EEDaSU_SV_EUlSU_E0_NS1_11comp_targetILNS1_3genE10ELNS1_11target_archE1201ELNS1_3gpuE5ELNS1_3repE0EEENS1_30default_config_static_selectorELNS0_4arch9wavefront6targetE1EEEvT1_,"axG",@progbits,_ZN7rocprim17ROCPRIM_400000_NS6detail17trampoline_kernelINS0_14default_configENS1_20scan_config_selectorIN3c107complexIfEEEEZZNS1_9scan_implILNS1_25lookback_scan_determinismE0ELb0ELb0ES3_PKS7_PS7_S7_ZZZN2at6native31launch_logcumsumexp_cuda_kernelERKNSE_10TensorBaseESI_lENKUlvE_clEvENKUlvE2_clEvEUlS7_S7_E_S7_EEDaPvRmT3_T4_T5_mT6_P12ihipStream_tbENKUlT_T0_E_clISt17integral_constantIbLb1EESZ_EEDaSU_SV_EUlSU_E0_NS1_11comp_targetILNS1_3genE10ELNS1_11target_archE1201ELNS1_3gpuE5ELNS1_3repE0EEENS1_30default_config_static_selectorELNS0_4arch9wavefront6targetE1EEEvT1_,comdat
.Lfunc_end313:
	.size	_ZN7rocprim17ROCPRIM_400000_NS6detail17trampoline_kernelINS0_14default_configENS1_20scan_config_selectorIN3c107complexIfEEEEZZNS1_9scan_implILNS1_25lookback_scan_determinismE0ELb0ELb0ES3_PKS7_PS7_S7_ZZZN2at6native31launch_logcumsumexp_cuda_kernelERKNSE_10TensorBaseESI_lENKUlvE_clEvENKUlvE2_clEvEUlS7_S7_E_S7_EEDaPvRmT3_T4_T5_mT6_P12ihipStream_tbENKUlT_T0_E_clISt17integral_constantIbLb1EESZ_EEDaSU_SV_EUlSU_E0_NS1_11comp_targetILNS1_3genE10ELNS1_11target_archE1201ELNS1_3gpuE5ELNS1_3repE0EEENS1_30default_config_static_selectorELNS0_4arch9wavefront6targetE1EEEvT1_, .Lfunc_end313-_ZN7rocprim17ROCPRIM_400000_NS6detail17trampoline_kernelINS0_14default_configENS1_20scan_config_selectorIN3c107complexIfEEEEZZNS1_9scan_implILNS1_25lookback_scan_determinismE0ELb0ELb0ES3_PKS7_PS7_S7_ZZZN2at6native31launch_logcumsumexp_cuda_kernelERKNSE_10TensorBaseESI_lENKUlvE_clEvENKUlvE2_clEvEUlS7_S7_E_S7_EEDaPvRmT3_T4_T5_mT6_P12ihipStream_tbENKUlT_T0_E_clISt17integral_constantIbLb1EESZ_EEDaSU_SV_EUlSU_E0_NS1_11comp_targetILNS1_3genE10ELNS1_11target_archE1201ELNS1_3gpuE5ELNS1_3repE0EEENS1_30default_config_static_selectorELNS0_4arch9wavefront6targetE1EEEvT1_
                                        ; -- End function
	.section	.AMDGPU.csdata,"",@progbits
; Kernel info:
; codeLenInByte = 0
; NumSgprs: 6
; NumVgprs: 0
; NumAgprs: 0
; TotalNumVgprs: 0
; ScratchSize: 0
; MemoryBound: 0
; FloatMode: 240
; IeeeMode: 1
; LDSByteSize: 0 bytes/workgroup (compile time only)
; SGPRBlocks: 0
; VGPRBlocks: 0
; NumSGPRsForWavesPerEU: 6
; NumVGPRsForWavesPerEU: 1
; AccumOffset: 4
; Occupancy: 8
; WaveLimiterHint : 0
; COMPUTE_PGM_RSRC2:SCRATCH_EN: 0
; COMPUTE_PGM_RSRC2:USER_SGPR: 2
; COMPUTE_PGM_RSRC2:TRAP_HANDLER: 0
; COMPUTE_PGM_RSRC2:TGID_X_EN: 1
; COMPUTE_PGM_RSRC2:TGID_Y_EN: 0
; COMPUTE_PGM_RSRC2:TGID_Z_EN: 0
; COMPUTE_PGM_RSRC2:TIDIG_COMP_CNT: 0
; COMPUTE_PGM_RSRC3_GFX90A:ACCUM_OFFSET: 0
; COMPUTE_PGM_RSRC3_GFX90A:TG_SPLIT: 0
	.section	.text._ZN7rocprim17ROCPRIM_400000_NS6detail17trampoline_kernelINS0_14default_configENS1_20scan_config_selectorIN3c107complexIfEEEEZZNS1_9scan_implILNS1_25lookback_scan_determinismE0ELb0ELb0ES3_PKS7_PS7_S7_ZZZN2at6native31launch_logcumsumexp_cuda_kernelERKNSE_10TensorBaseESI_lENKUlvE_clEvENKUlvE2_clEvEUlS7_S7_E_S7_EEDaPvRmT3_T4_T5_mT6_P12ihipStream_tbENKUlT_T0_E_clISt17integral_constantIbLb1EESZ_EEDaSU_SV_EUlSU_E0_NS1_11comp_targetILNS1_3genE10ELNS1_11target_archE1200ELNS1_3gpuE4ELNS1_3repE0EEENS1_30default_config_static_selectorELNS0_4arch9wavefront6targetE1EEEvT1_,"axG",@progbits,_ZN7rocprim17ROCPRIM_400000_NS6detail17trampoline_kernelINS0_14default_configENS1_20scan_config_selectorIN3c107complexIfEEEEZZNS1_9scan_implILNS1_25lookback_scan_determinismE0ELb0ELb0ES3_PKS7_PS7_S7_ZZZN2at6native31launch_logcumsumexp_cuda_kernelERKNSE_10TensorBaseESI_lENKUlvE_clEvENKUlvE2_clEvEUlS7_S7_E_S7_EEDaPvRmT3_T4_T5_mT6_P12ihipStream_tbENKUlT_T0_E_clISt17integral_constantIbLb1EESZ_EEDaSU_SV_EUlSU_E0_NS1_11comp_targetILNS1_3genE10ELNS1_11target_archE1200ELNS1_3gpuE4ELNS1_3repE0EEENS1_30default_config_static_selectorELNS0_4arch9wavefront6targetE1EEEvT1_,comdat
	.globl	_ZN7rocprim17ROCPRIM_400000_NS6detail17trampoline_kernelINS0_14default_configENS1_20scan_config_selectorIN3c107complexIfEEEEZZNS1_9scan_implILNS1_25lookback_scan_determinismE0ELb0ELb0ES3_PKS7_PS7_S7_ZZZN2at6native31launch_logcumsumexp_cuda_kernelERKNSE_10TensorBaseESI_lENKUlvE_clEvENKUlvE2_clEvEUlS7_S7_E_S7_EEDaPvRmT3_T4_T5_mT6_P12ihipStream_tbENKUlT_T0_E_clISt17integral_constantIbLb1EESZ_EEDaSU_SV_EUlSU_E0_NS1_11comp_targetILNS1_3genE10ELNS1_11target_archE1200ELNS1_3gpuE4ELNS1_3repE0EEENS1_30default_config_static_selectorELNS0_4arch9wavefront6targetE1EEEvT1_ ; -- Begin function _ZN7rocprim17ROCPRIM_400000_NS6detail17trampoline_kernelINS0_14default_configENS1_20scan_config_selectorIN3c107complexIfEEEEZZNS1_9scan_implILNS1_25lookback_scan_determinismE0ELb0ELb0ES3_PKS7_PS7_S7_ZZZN2at6native31launch_logcumsumexp_cuda_kernelERKNSE_10TensorBaseESI_lENKUlvE_clEvENKUlvE2_clEvEUlS7_S7_E_S7_EEDaPvRmT3_T4_T5_mT6_P12ihipStream_tbENKUlT_T0_E_clISt17integral_constantIbLb1EESZ_EEDaSU_SV_EUlSU_E0_NS1_11comp_targetILNS1_3genE10ELNS1_11target_archE1200ELNS1_3gpuE4ELNS1_3repE0EEENS1_30default_config_static_selectorELNS0_4arch9wavefront6targetE1EEEvT1_
	.p2align	8
	.type	_ZN7rocprim17ROCPRIM_400000_NS6detail17trampoline_kernelINS0_14default_configENS1_20scan_config_selectorIN3c107complexIfEEEEZZNS1_9scan_implILNS1_25lookback_scan_determinismE0ELb0ELb0ES3_PKS7_PS7_S7_ZZZN2at6native31launch_logcumsumexp_cuda_kernelERKNSE_10TensorBaseESI_lENKUlvE_clEvENKUlvE2_clEvEUlS7_S7_E_S7_EEDaPvRmT3_T4_T5_mT6_P12ihipStream_tbENKUlT_T0_E_clISt17integral_constantIbLb1EESZ_EEDaSU_SV_EUlSU_E0_NS1_11comp_targetILNS1_3genE10ELNS1_11target_archE1200ELNS1_3gpuE4ELNS1_3repE0EEENS1_30default_config_static_selectorELNS0_4arch9wavefront6targetE1EEEvT1_,@function
_ZN7rocprim17ROCPRIM_400000_NS6detail17trampoline_kernelINS0_14default_configENS1_20scan_config_selectorIN3c107complexIfEEEEZZNS1_9scan_implILNS1_25lookback_scan_determinismE0ELb0ELb0ES3_PKS7_PS7_S7_ZZZN2at6native31launch_logcumsumexp_cuda_kernelERKNSE_10TensorBaseESI_lENKUlvE_clEvENKUlvE2_clEvEUlS7_S7_E_S7_EEDaPvRmT3_T4_T5_mT6_P12ihipStream_tbENKUlT_T0_E_clISt17integral_constantIbLb1EESZ_EEDaSU_SV_EUlSU_E0_NS1_11comp_targetILNS1_3genE10ELNS1_11target_archE1200ELNS1_3gpuE4ELNS1_3repE0EEENS1_30default_config_static_selectorELNS0_4arch9wavefront6targetE1EEEvT1_: ; @_ZN7rocprim17ROCPRIM_400000_NS6detail17trampoline_kernelINS0_14default_configENS1_20scan_config_selectorIN3c107complexIfEEEEZZNS1_9scan_implILNS1_25lookback_scan_determinismE0ELb0ELb0ES3_PKS7_PS7_S7_ZZZN2at6native31launch_logcumsumexp_cuda_kernelERKNSE_10TensorBaseESI_lENKUlvE_clEvENKUlvE2_clEvEUlS7_S7_E_S7_EEDaPvRmT3_T4_T5_mT6_P12ihipStream_tbENKUlT_T0_E_clISt17integral_constantIbLb1EESZ_EEDaSU_SV_EUlSU_E0_NS1_11comp_targetILNS1_3genE10ELNS1_11target_archE1200ELNS1_3gpuE4ELNS1_3repE0EEENS1_30default_config_static_selectorELNS0_4arch9wavefront6targetE1EEEvT1_
; %bb.0:
	.section	.rodata,"a",@progbits
	.p2align	6, 0x0
	.amdhsa_kernel _ZN7rocprim17ROCPRIM_400000_NS6detail17trampoline_kernelINS0_14default_configENS1_20scan_config_selectorIN3c107complexIfEEEEZZNS1_9scan_implILNS1_25lookback_scan_determinismE0ELb0ELb0ES3_PKS7_PS7_S7_ZZZN2at6native31launch_logcumsumexp_cuda_kernelERKNSE_10TensorBaseESI_lENKUlvE_clEvENKUlvE2_clEvEUlS7_S7_E_S7_EEDaPvRmT3_T4_T5_mT6_P12ihipStream_tbENKUlT_T0_E_clISt17integral_constantIbLb1EESZ_EEDaSU_SV_EUlSU_E0_NS1_11comp_targetILNS1_3genE10ELNS1_11target_archE1200ELNS1_3gpuE4ELNS1_3repE0EEENS1_30default_config_static_selectorELNS0_4arch9wavefront6targetE1EEEvT1_
		.amdhsa_group_segment_fixed_size 0
		.amdhsa_private_segment_fixed_size 0
		.amdhsa_kernarg_size 40
		.amdhsa_user_sgpr_count 2
		.amdhsa_user_sgpr_dispatch_ptr 0
		.amdhsa_user_sgpr_queue_ptr 0
		.amdhsa_user_sgpr_kernarg_segment_ptr 1
		.amdhsa_user_sgpr_dispatch_id 0
		.amdhsa_user_sgpr_kernarg_preload_length 0
		.amdhsa_user_sgpr_kernarg_preload_offset 0
		.amdhsa_user_sgpr_private_segment_size 0
		.amdhsa_uses_dynamic_stack 0
		.amdhsa_enable_private_segment 0
		.amdhsa_system_sgpr_workgroup_id_x 1
		.amdhsa_system_sgpr_workgroup_id_y 0
		.amdhsa_system_sgpr_workgroup_id_z 0
		.amdhsa_system_sgpr_workgroup_info 0
		.amdhsa_system_vgpr_workitem_id 0
		.amdhsa_next_free_vgpr 1
		.amdhsa_next_free_sgpr 0
		.amdhsa_accum_offset 4
		.amdhsa_reserve_vcc 0
		.amdhsa_float_round_mode_32 0
		.amdhsa_float_round_mode_16_64 0
		.amdhsa_float_denorm_mode_32 3
		.amdhsa_float_denorm_mode_16_64 3
		.amdhsa_dx10_clamp 1
		.amdhsa_ieee_mode 1
		.amdhsa_fp16_overflow 0
		.amdhsa_tg_split 0
		.amdhsa_exception_fp_ieee_invalid_op 0
		.amdhsa_exception_fp_denorm_src 0
		.amdhsa_exception_fp_ieee_div_zero 0
		.amdhsa_exception_fp_ieee_overflow 0
		.amdhsa_exception_fp_ieee_underflow 0
		.amdhsa_exception_fp_ieee_inexact 0
		.amdhsa_exception_int_div_zero 0
	.end_amdhsa_kernel
	.section	.text._ZN7rocprim17ROCPRIM_400000_NS6detail17trampoline_kernelINS0_14default_configENS1_20scan_config_selectorIN3c107complexIfEEEEZZNS1_9scan_implILNS1_25lookback_scan_determinismE0ELb0ELb0ES3_PKS7_PS7_S7_ZZZN2at6native31launch_logcumsumexp_cuda_kernelERKNSE_10TensorBaseESI_lENKUlvE_clEvENKUlvE2_clEvEUlS7_S7_E_S7_EEDaPvRmT3_T4_T5_mT6_P12ihipStream_tbENKUlT_T0_E_clISt17integral_constantIbLb1EESZ_EEDaSU_SV_EUlSU_E0_NS1_11comp_targetILNS1_3genE10ELNS1_11target_archE1200ELNS1_3gpuE4ELNS1_3repE0EEENS1_30default_config_static_selectorELNS0_4arch9wavefront6targetE1EEEvT1_,"axG",@progbits,_ZN7rocprim17ROCPRIM_400000_NS6detail17trampoline_kernelINS0_14default_configENS1_20scan_config_selectorIN3c107complexIfEEEEZZNS1_9scan_implILNS1_25lookback_scan_determinismE0ELb0ELb0ES3_PKS7_PS7_S7_ZZZN2at6native31launch_logcumsumexp_cuda_kernelERKNSE_10TensorBaseESI_lENKUlvE_clEvENKUlvE2_clEvEUlS7_S7_E_S7_EEDaPvRmT3_T4_T5_mT6_P12ihipStream_tbENKUlT_T0_E_clISt17integral_constantIbLb1EESZ_EEDaSU_SV_EUlSU_E0_NS1_11comp_targetILNS1_3genE10ELNS1_11target_archE1200ELNS1_3gpuE4ELNS1_3repE0EEENS1_30default_config_static_selectorELNS0_4arch9wavefront6targetE1EEEvT1_,comdat
.Lfunc_end314:
	.size	_ZN7rocprim17ROCPRIM_400000_NS6detail17trampoline_kernelINS0_14default_configENS1_20scan_config_selectorIN3c107complexIfEEEEZZNS1_9scan_implILNS1_25lookback_scan_determinismE0ELb0ELb0ES3_PKS7_PS7_S7_ZZZN2at6native31launch_logcumsumexp_cuda_kernelERKNSE_10TensorBaseESI_lENKUlvE_clEvENKUlvE2_clEvEUlS7_S7_E_S7_EEDaPvRmT3_T4_T5_mT6_P12ihipStream_tbENKUlT_T0_E_clISt17integral_constantIbLb1EESZ_EEDaSU_SV_EUlSU_E0_NS1_11comp_targetILNS1_3genE10ELNS1_11target_archE1200ELNS1_3gpuE4ELNS1_3repE0EEENS1_30default_config_static_selectorELNS0_4arch9wavefront6targetE1EEEvT1_, .Lfunc_end314-_ZN7rocprim17ROCPRIM_400000_NS6detail17trampoline_kernelINS0_14default_configENS1_20scan_config_selectorIN3c107complexIfEEEEZZNS1_9scan_implILNS1_25lookback_scan_determinismE0ELb0ELb0ES3_PKS7_PS7_S7_ZZZN2at6native31launch_logcumsumexp_cuda_kernelERKNSE_10TensorBaseESI_lENKUlvE_clEvENKUlvE2_clEvEUlS7_S7_E_S7_EEDaPvRmT3_T4_T5_mT6_P12ihipStream_tbENKUlT_T0_E_clISt17integral_constantIbLb1EESZ_EEDaSU_SV_EUlSU_E0_NS1_11comp_targetILNS1_3genE10ELNS1_11target_archE1200ELNS1_3gpuE4ELNS1_3repE0EEENS1_30default_config_static_selectorELNS0_4arch9wavefront6targetE1EEEvT1_
                                        ; -- End function
	.section	.AMDGPU.csdata,"",@progbits
; Kernel info:
; codeLenInByte = 0
; NumSgprs: 6
; NumVgprs: 0
; NumAgprs: 0
; TotalNumVgprs: 0
; ScratchSize: 0
; MemoryBound: 0
; FloatMode: 240
; IeeeMode: 1
; LDSByteSize: 0 bytes/workgroup (compile time only)
; SGPRBlocks: 0
; VGPRBlocks: 0
; NumSGPRsForWavesPerEU: 6
; NumVGPRsForWavesPerEU: 1
; AccumOffset: 4
; Occupancy: 8
; WaveLimiterHint : 0
; COMPUTE_PGM_RSRC2:SCRATCH_EN: 0
; COMPUTE_PGM_RSRC2:USER_SGPR: 2
; COMPUTE_PGM_RSRC2:TRAP_HANDLER: 0
; COMPUTE_PGM_RSRC2:TGID_X_EN: 1
; COMPUTE_PGM_RSRC2:TGID_Y_EN: 0
; COMPUTE_PGM_RSRC2:TGID_Z_EN: 0
; COMPUTE_PGM_RSRC2:TIDIG_COMP_CNT: 0
; COMPUTE_PGM_RSRC3_GFX90A:ACCUM_OFFSET: 0
; COMPUTE_PGM_RSRC3_GFX90A:TG_SPLIT: 0
	.section	.text._ZN7rocprim17ROCPRIM_400000_NS6detail17trampoline_kernelINS0_14default_configENS1_20scan_config_selectorIN3c107complexIfEEEEZZNS1_9scan_implILNS1_25lookback_scan_determinismE0ELb0ELb0ES3_PKS7_PS7_S7_ZZZN2at6native31launch_logcumsumexp_cuda_kernelERKNSE_10TensorBaseESI_lENKUlvE_clEvENKUlvE2_clEvEUlS7_S7_E_S7_EEDaPvRmT3_T4_T5_mT6_P12ihipStream_tbENKUlT_T0_E_clISt17integral_constantIbLb1EESZ_EEDaSU_SV_EUlSU_E0_NS1_11comp_targetILNS1_3genE9ELNS1_11target_archE1100ELNS1_3gpuE3ELNS1_3repE0EEENS1_30default_config_static_selectorELNS0_4arch9wavefront6targetE1EEEvT1_,"axG",@progbits,_ZN7rocprim17ROCPRIM_400000_NS6detail17trampoline_kernelINS0_14default_configENS1_20scan_config_selectorIN3c107complexIfEEEEZZNS1_9scan_implILNS1_25lookback_scan_determinismE0ELb0ELb0ES3_PKS7_PS7_S7_ZZZN2at6native31launch_logcumsumexp_cuda_kernelERKNSE_10TensorBaseESI_lENKUlvE_clEvENKUlvE2_clEvEUlS7_S7_E_S7_EEDaPvRmT3_T4_T5_mT6_P12ihipStream_tbENKUlT_T0_E_clISt17integral_constantIbLb1EESZ_EEDaSU_SV_EUlSU_E0_NS1_11comp_targetILNS1_3genE9ELNS1_11target_archE1100ELNS1_3gpuE3ELNS1_3repE0EEENS1_30default_config_static_selectorELNS0_4arch9wavefront6targetE1EEEvT1_,comdat
	.globl	_ZN7rocprim17ROCPRIM_400000_NS6detail17trampoline_kernelINS0_14default_configENS1_20scan_config_selectorIN3c107complexIfEEEEZZNS1_9scan_implILNS1_25lookback_scan_determinismE0ELb0ELb0ES3_PKS7_PS7_S7_ZZZN2at6native31launch_logcumsumexp_cuda_kernelERKNSE_10TensorBaseESI_lENKUlvE_clEvENKUlvE2_clEvEUlS7_S7_E_S7_EEDaPvRmT3_T4_T5_mT6_P12ihipStream_tbENKUlT_T0_E_clISt17integral_constantIbLb1EESZ_EEDaSU_SV_EUlSU_E0_NS1_11comp_targetILNS1_3genE9ELNS1_11target_archE1100ELNS1_3gpuE3ELNS1_3repE0EEENS1_30default_config_static_selectorELNS0_4arch9wavefront6targetE1EEEvT1_ ; -- Begin function _ZN7rocprim17ROCPRIM_400000_NS6detail17trampoline_kernelINS0_14default_configENS1_20scan_config_selectorIN3c107complexIfEEEEZZNS1_9scan_implILNS1_25lookback_scan_determinismE0ELb0ELb0ES3_PKS7_PS7_S7_ZZZN2at6native31launch_logcumsumexp_cuda_kernelERKNSE_10TensorBaseESI_lENKUlvE_clEvENKUlvE2_clEvEUlS7_S7_E_S7_EEDaPvRmT3_T4_T5_mT6_P12ihipStream_tbENKUlT_T0_E_clISt17integral_constantIbLb1EESZ_EEDaSU_SV_EUlSU_E0_NS1_11comp_targetILNS1_3genE9ELNS1_11target_archE1100ELNS1_3gpuE3ELNS1_3repE0EEENS1_30default_config_static_selectorELNS0_4arch9wavefront6targetE1EEEvT1_
	.p2align	8
	.type	_ZN7rocprim17ROCPRIM_400000_NS6detail17trampoline_kernelINS0_14default_configENS1_20scan_config_selectorIN3c107complexIfEEEEZZNS1_9scan_implILNS1_25lookback_scan_determinismE0ELb0ELb0ES3_PKS7_PS7_S7_ZZZN2at6native31launch_logcumsumexp_cuda_kernelERKNSE_10TensorBaseESI_lENKUlvE_clEvENKUlvE2_clEvEUlS7_S7_E_S7_EEDaPvRmT3_T4_T5_mT6_P12ihipStream_tbENKUlT_T0_E_clISt17integral_constantIbLb1EESZ_EEDaSU_SV_EUlSU_E0_NS1_11comp_targetILNS1_3genE9ELNS1_11target_archE1100ELNS1_3gpuE3ELNS1_3repE0EEENS1_30default_config_static_selectorELNS0_4arch9wavefront6targetE1EEEvT1_,@function
_ZN7rocprim17ROCPRIM_400000_NS6detail17trampoline_kernelINS0_14default_configENS1_20scan_config_selectorIN3c107complexIfEEEEZZNS1_9scan_implILNS1_25lookback_scan_determinismE0ELb0ELb0ES3_PKS7_PS7_S7_ZZZN2at6native31launch_logcumsumexp_cuda_kernelERKNSE_10TensorBaseESI_lENKUlvE_clEvENKUlvE2_clEvEUlS7_S7_E_S7_EEDaPvRmT3_T4_T5_mT6_P12ihipStream_tbENKUlT_T0_E_clISt17integral_constantIbLb1EESZ_EEDaSU_SV_EUlSU_E0_NS1_11comp_targetILNS1_3genE9ELNS1_11target_archE1100ELNS1_3gpuE3ELNS1_3repE0EEENS1_30default_config_static_selectorELNS0_4arch9wavefront6targetE1EEEvT1_: ; @_ZN7rocprim17ROCPRIM_400000_NS6detail17trampoline_kernelINS0_14default_configENS1_20scan_config_selectorIN3c107complexIfEEEEZZNS1_9scan_implILNS1_25lookback_scan_determinismE0ELb0ELb0ES3_PKS7_PS7_S7_ZZZN2at6native31launch_logcumsumexp_cuda_kernelERKNSE_10TensorBaseESI_lENKUlvE_clEvENKUlvE2_clEvEUlS7_S7_E_S7_EEDaPvRmT3_T4_T5_mT6_P12ihipStream_tbENKUlT_T0_E_clISt17integral_constantIbLb1EESZ_EEDaSU_SV_EUlSU_E0_NS1_11comp_targetILNS1_3genE9ELNS1_11target_archE1100ELNS1_3gpuE3ELNS1_3repE0EEENS1_30default_config_static_selectorELNS0_4arch9wavefront6targetE1EEEvT1_
; %bb.0:
	.section	.rodata,"a",@progbits
	.p2align	6, 0x0
	.amdhsa_kernel _ZN7rocprim17ROCPRIM_400000_NS6detail17trampoline_kernelINS0_14default_configENS1_20scan_config_selectorIN3c107complexIfEEEEZZNS1_9scan_implILNS1_25lookback_scan_determinismE0ELb0ELb0ES3_PKS7_PS7_S7_ZZZN2at6native31launch_logcumsumexp_cuda_kernelERKNSE_10TensorBaseESI_lENKUlvE_clEvENKUlvE2_clEvEUlS7_S7_E_S7_EEDaPvRmT3_T4_T5_mT6_P12ihipStream_tbENKUlT_T0_E_clISt17integral_constantIbLb1EESZ_EEDaSU_SV_EUlSU_E0_NS1_11comp_targetILNS1_3genE9ELNS1_11target_archE1100ELNS1_3gpuE3ELNS1_3repE0EEENS1_30default_config_static_selectorELNS0_4arch9wavefront6targetE1EEEvT1_
		.amdhsa_group_segment_fixed_size 0
		.amdhsa_private_segment_fixed_size 0
		.amdhsa_kernarg_size 40
		.amdhsa_user_sgpr_count 2
		.amdhsa_user_sgpr_dispatch_ptr 0
		.amdhsa_user_sgpr_queue_ptr 0
		.amdhsa_user_sgpr_kernarg_segment_ptr 1
		.amdhsa_user_sgpr_dispatch_id 0
		.amdhsa_user_sgpr_kernarg_preload_length 0
		.amdhsa_user_sgpr_kernarg_preload_offset 0
		.amdhsa_user_sgpr_private_segment_size 0
		.amdhsa_uses_dynamic_stack 0
		.amdhsa_enable_private_segment 0
		.amdhsa_system_sgpr_workgroup_id_x 1
		.amdhsa_system_sgpr_workgroup_id_y 0
		.amdhsa_system_sgpr_workgroup_id_z 0
		.amdhsa_system_sgpr_workgroup_info 0
		.amdhsa_system_vgpr_workitem_id 0
		.amdhsa_next_free_vgpr 1
		.amdhsa_next_free_sgpr 0
		.amdhsa_accum_offset 4
		.amdhsa_reserve_vcc 0
		.amdhsa_float_round_mode_32 0
		.amdhsa_float_round_mode_16_64 0
		.amdhsa_float_denorm_mode_32 3
		.amdhsa_float_denorm_mode_16_64 3
		.amdhsa_dx10_clamp 1
		.amdhsa_ieee_mode 1
		.amdhsa_fp16_overflow 0
		.amdhsa_tg_split 0
		.amdhsa_exception_fp_ieee_invalid_op 0
		.amdhsa_exception_fp_denorm_src 0
		.amdhsa_exception_fp_ieee_div_zero 0
		.amdhsa_exception_fp_ieee_overflow 0
		.amdhsa_exception_fp_ieee_underflow 0
		.amdhsa_exception_fp_ieee_inexact 0
		.amdhsa_exception_int_div_zero 0
	.end_amdhsa_kernel
	.section	.text._ZN7rocprim17ROCPRIM_400000_NS6detail17trampoline_kernelINS0_14default_configENS1_20scan_config_selectorIN3c107complexIfEEEEZZNS1_9scan_implILNS1_25lookback_scan_determinismE0ELb0ELb0ES3_PKS7_PS7_S7_ZZZN2at6native31launch_logcumsumexp_cuda_kernelERKNSE_10TensorBaseESI_lENKUlvE_clEvENKUlvE2_clEvEUlS7_S7_E_S7_EEDaPvRmT3_T4_T5_mT6_P12ihipStream_tbENKUlT_T0_E_clISt17integral_constantIbLb1EESZ_EEDaSU_SV_EUlSU_E0_NS1_11comp_targetILNS1_3genE9ELNS1_11target_archE1100ELNS1_3gpuE3ELNS1_3repE0EEENS1_30default_config_static_selectorELNS0_4arch9wavefront6targetE1EEEvT1_,"axG",@progbits,_ZN7rocprim17ROCPRIM_400000_NS6detail17trampoline_kernelINS0_14default_configENS1_20scan_config_selectorIN3c107complexIfEEEEZZNS1_9scan_implILNS1_25lookback_scan_determinismE0ELb0ELb0ES3_PKS7_PS7_S7_ZZZN2at6native31launch_logcumsumexp_cuda_kernelERKNSE_10TensorBaseESI_lENKUlvE_clEvENKUlvE2_clEvEUlS7_S7_E_S7_EEDaPvRmT3_T4_T5_mT6_P12ihipStream_tbENKUlT_T0_E_clISt17integral_constantIbLb1EESZ_EEDaSU_SV_EUlSU_E0_NS1_11comp_targetILNS1_3genE9ELNS1_11target_archE1100ELNS1_3gpuE3ELNS1_3repE0EEENS1_30default_config_static_selectorELNS0_4arch9wavefront6targetE1EEEvT1_,comdat
.Lfunc_end315:
	.size	_ZN7rocprim17ROCPRIM_400000_NS6detail17trampoline_kernelINS0_14default_configENS1_20scan_config_selectorIN3c107complexIfEEEEZZNS1_9scan_implILNS1_25lookback_scan_determinismE0ELb0ELb0ES3_PKS7_PS7_S7_ZZZN2at6native31launch_logcumsumexp_cuda_kernelERKNSE_10TensorBaseESI_lENKUlvE_clEvENKUlvE2_clEvEUlS7_S7_E_S7_EEDaPvRmT3_T4_T5_mT6_P12ihipStream_tbENKUlT_T0_E_clISt17integral_constantIbLb1EESZ_EEDaSU_SV_EUlSU_E0_NS1_11comp_targetILNS1_3genE9ELNS1_11target_archE1100ELNS1_3gpuE3ELNS1_3repE0EEENS1_30default_config_static_selectorELNS0_4arch9wavefront6targetE1EEEvT1_, .Lfunc_end315-_ZN7rocprim17ROCPRIM_400000_NS6detail17trampoline_kernelINS0_14default_configENS1_20scan_config_selectorIN3c107complexIfEEEEZZNS1_9scan_implILNS1_25lookback_scan_determinismE0ELb0ELb0ES3_PKS7_PS7_S7_ZZZN2at6native31launch_logcumsumexp_cuda_kernelERKNSE_10TensorBaseESI_lENKUlvE_clEvENKUlvE2_clEvEUlS7_S7_E_S7_EEDaPvRmT3_T4_T5_mT6_P12ihipStream_tbENKUlT_T0_E_clISt17integral_constantIbLb1EESZ_EEDaSU_SV_EUlSU_E0_NS1_11comp_targetILNS1_3genE9ELNS1_11target_archE1100ELNS1_3gpuE3ELNS1_3repE0EEENS1_30default_config_static_selectorELNS0_4arch9wavefront6targetE1EEEvT1_
                                        ; -- End function
	.section	.AMDGPU.csdata,"",@progbits
; Kernel info:
; codeLenInByte = 0
; NumSgprs: 6
; NumVgprs: 0
; NumAgprs: 0
; TotalNumVgprs: 0
; ScratchSize: 0
; MemoryBound: 0
; FloatMode: 240
; IeeeMode: 1
; LDSByteSize: 0 bytes/workgroup (compile time only)
; SGPRBlocks: 0
; VGPRBlocks: 0
; NumSGPRsForWavesPerEU: 6
; NumVGPRsForWavesPerEU: 1
; AccumOffset: 4
; Occupancy: 8
; WaveLimiterHint : 0
; COMPUTE_PGM_RSRC2:SCRATCH_EN: 0
; COMPUTE_PGM_RSRC2:USER_SGPR: 2
; COMPUTE_PGM_RSRC2:TRAP_HANDLER: 0
; COMPUTE_PGM_RSRC2:TGID_X_EN: 1
; COMPUTE_PGM_RSRC2:TGID_Y_EN: 0
; COMPUTE_PGM_RSRC2:TGID_Z_EN: 0
; COMPUTE_PGM_RSRC2:TIDIG_COMP_CNT: 0
; COMPUTE_PGM_RSRC3_GFX90A:ACCUM_OFFSET: 0
; COMPUTE_PGM_RSRC3_GFX90A:TG_SPLIT: 0
	.section	.text._ZN7rocprim17ROCPRIM_400000_NS6detail17trampoline_kernelINS0_14default_configENS1_20scan_config_selectorIN3c107complexIfEEEEZZNS1_9scan_implILNS1_25lookback_scan_determinismE0ELb0ELb0ES3_PKS7_PS7_S7_ZZZN2at6native31launch_logcumsumexp_cuda_kernelERKNSE_10TensorBaseESI_lENKUlvE_clEvENKUlvE2_clEvEUlS7_S7_E_S7_EEDaPvRmT3_T4_T5_mT6_P12ihipStream_tbENKUlT_T0_E_clISt17integral_constantIbLb1EESZ_EEDaSU_SV_EUlSU_E0_NS1_11comp_targetILNS1_3genE8ELNS1_11target_archE1030ELNS1_3gpuE2ELNS1_3repE0EEENS1_30default_config_static_selectorELNS0_4arch9wavefront6targetE1EEEvT1_,"axG",@progbits,_ZN7rocprim17ROCPRIM_400000_NS6detail17trampoline_kernelINS0_14default_configENS1_20scan_config_selectorIN3c107complexIfEEEEZZNS1_9scan_implILNS1_25lookback_scan_determinismE0ELb0ELb0ES3_PKS7_PS7_S7_ZZZN2at6native31launch_logcumsumexp_cuda_kernelERKNSE_10TensorBaseESI_lENKUlvE_clEvENKUlvE2_clEvEUlS7_S7_E_S7_EEDaPvRmT3_T4_T5_mT6_P12ihipStream_tbENKUlT_T0_E_clISt17integral_constantIbLb1EESZ_EEDaSU_SV_EUlSU_E0_NS1_11comp_targetILNS1_3genE8ELNS1_11target_archE1030ELNS1_3gpuE2ELNS1_3repE0EEENS1_30default_config_static_selectorELNS0_4arch9wavefront6targetE1EEEvT1_,comdat
	.globl	_ZN7rocprim17ROCPRIM_400000_NS6detail17trampoline_kernelINS0_14default_configENS1_20scan_config_selectorIN3c107complexIfEEEEZZNS1_9scan_implILNS1_25lookback_scan_determinismE0ELb0ELb0ES3_PKS7_PS7_S7_ZZZN2at6native31launch_logcumsumexp_cuda_kernelERKNSE_10TensorBaseESI_lENKUlvE_clEvENKUlvE2_clEvEUlS7_S7_E_S7_EEDaPvRmT3_T4_T5_mT6_P12ihipStream_tbENKUlT_T0_E_clISt17integral_constantIbLb1EESZ_EEDaSU_SV_EUlSU_E0_NS1_11comp_targetILNS1_3genE8ELNS1_11target_archE1030ELNS1_3gpuE2ELNS1_3repE0EEENS1_30default_config_static_selectorELNS0_4arch9wavefront6targetE1EEEvT1_ ; -- Begin function _ZN7rocprim17ROCPRIM_400000_NS6detail17trampoline_kernelINS0_14default_configENS1_20scan_config_selectorIN3c107complexIfEEEEZZNS1_9scan_implILNS1_25lookback_scan_determinismE0ELb0ELb0ES3_PKS7_PS7_S7_ZZZN2at6native31launch_logcumsumexp_cuda_kernelERKNSE_10TensorBaseESI_lENKUlvE_clEvENKUlvE2_clEvEUlS7_S7_E_S7_EEDaPvRmT3_T4_T5_mT6_P12ihipStream_tbENKUlT_T0_E_clISt17integral_constantIbLb1EESZ_EEDaSU_SV_EUlSU_E0_NS1_11comp_targetILNS1_3genE8ELNS1_11target_archE1030ELNS1_3gpuE2ELNS1_3repE0EEENS1_30default_config_static_selectorELNS0_4arch9wavefront6targetE1EEEvT1_
	.p2align	8
	.type	_ZN7rocprim17ROCPRIM_400000_NS6detail17trampoline_kernelINS0_14default_configENS1_20scan_config_selectorIN3c107complexIfEEEEZZNS1_9scan_implILNS1_25lookback_scan_determinismE0ELb0ELb0ES3_PKS7_PS7_S7_ZZZN2at6native31launch_logcumsumexp_cuda_kernelERKNSE_10TensorBaseESI_lENKUlvE_clEvENKUlvE2_clEvEUlS7_S7_E_S7_EEDaPvRmT3_T4_T5_mT6_P12ihipStream_tbENKUlT_T0_E_clISt17integral_constantIbLb1EESZ_EEDaSU_SV_EUlSU_E0_NS1_11comp_targetILNS1_3genE8ELNS1_11target_archE1030ELNS1_3gpuE2ELNS1_3repE0EEENS1_30default_config_static_selectorELNS0_4arch9wavefront6targetE1EEEvT1_,@function
_ZN7rocprim17ROCPRIM_400000_NS6detail17trampoline_kernelINS0_14default_configENS1_20scan_config_selectorIN3c107complexIfEEEEZZNS1_9scan_implILNS1_25lookback_scan_determinismE0ELb0ELb0ES3_PKS7_PS7_S7_ZZZN2at6native31launch_logcumsumexp_cuda_kernelERKNSE_10TensorBaseESI_lENKUlvE_clEvENKUlvE2_clEvEUlS7_S7_E_S7_EEDaPvRmT3_T4_T5_mT6_P12ihipStream_tbENKUlT_T0_E_clISt17integral_constantIbLb1EESZ_EEDaSU_SV_EUlSU_E0_NS1_11comp_targetILNS1_3genE8ELNS1_11target_archE1030ELNS1_3gpuE2ELNS1_3repE0EEENS1_30default_config_static_selectorELNS0_4arch9wavefront6targetE1EEEvT1_: ; @_ZN7rocprim17ROCPRIM_400000_NS6detail17trampoline_kernelINS0_14default_configENS1_20scan_config_selectorIN3c107complexIfEEEEZZNS1_9scan_implILNS1_25lookback_scan_determinismE0ELb0ELb0ES3_PKS7_PS7_S7_ZZZN2at6native31launch_logcumsumexp_cuda_kernelERKNSE_10TensorBaseESI_lENKUlvE_clEvENKUlvE2_clEvEUlS7_S7_E_S7_EEDaPvRmT3_T4_T5_mT6_P12ihipStream_tbENKUlT_T0_E_clISt17integral_constantIbLb1EESZ_EEDaSU_SV_EUlSU_E0_NS1_11comp_targetILNS1_3genE8ELNS1_11target_archE1030ELNS1_3gpuE2ELNS1_3repE0EEENS1_30default_config_static_selectorELNS0_4arch9wavefront6targetE1EEEvT1_
; %bb.0:
	.section	.rodata,"a",@progbits
	.p2align	6, 0x0
	.amdhsa_kernel _ZN7rocprim17ROCPRIM_400000_NS6detail17trampoline_kernelINS0_14default_configENS1_20scan_config_selectorIN3c107complexIfEEEEZZNS1_9scan_implILNS1_25lookback_scan_determinismE0ELb0ELb0ES3_PKS7_PS7_S7_ZZZN2at6native31launch_logcumsumexp_cuda_kernelERKNSE_10TensorBaseESI_lENKUlvE_clEvENKUlvE2_clEvEUlS7_S7_E_S7_EEDaPvRmT3_T4_T5_mT6_P12ihipStream_tbENKUlT_T0_E_clISt17integral_constantIbLb1EESZ_EEDaSU_SV_EUlSU_E0_NS1_11comp_targetILNS1_3genE8ELNS1_11target_archE1030ELNS1_3gpuE2ELNS1_3repE0EEENS1_30default_config_static_selectorELNS0_4arch9wavefront6targetE1EEEvT1_
		.amdhsa_group_segment_fixed_size 0
		.amdhsa_private_segment_fixed_size 0
		.amdhsa_kernarg_size 40
		.amdhsa_user_sgpr_count 2
		.amdhsa_user_sgpr_dispatch_ptr 0
		.amdhsa_user_sgpr_queue_ptr 0
		.amdhsa_user_sgpr_kernarg_segment_ptr 1
		.amdhsa_user_sgpr_dispatch_id 0
		.amdhsa_user_sgpr_kernarg_preload_length 0
		.amdhsa_user_sgpr_kernarg_preload_offset 0
		.amdhsa_user_sgpr_private_segment_size 0
		.amdhsa_uses_dynamic_stack 0
		.amdhsa_enable_private_segment 0
		.amdhsa_system_sgpr_workgroup_id_x 1
		.amdhsa_system_sgpr_workgroup_id_y 0
		.amdhsa_system_sgpr_workgroup_id_z 0
		.amdhsa_system_sgpr_workgroup_info 0
		.amdhsa_system_vgpr_workitem_id 0
		.amdhsa_next_free_vgpr 1
		.amdhsa_next_free_sgpr 0
		.amdhsa_accum_offset 4
		.amdhsa_reserve_vcc 0
		.amdhsa_float_round_mode_32 0
		.amdhsa_float_round_mode_16_64 0
		.amdhsa_float_denorm_mode_32 3
		.amdhsa_float_denorm_mode_16_64 3
		.amdhsa_dx10_clamp 1
		.amdhsa_ieee_mode 1
		.amdhsa_fp16_overflow 0
		.amdhsa_tg_split 0
		.amdhsa_exception_fp_ieee_invalid_op 0
		.amdhsa_exception_fp_denorm_src 0
		.amdhsa_exception_fp_ieee_div_zero 0
		.amdhsa_exception_fp_ieee_overflow 0
		.amdhsa_exception_fp_ieee_underflow 0
		.amdhsa_exception_fp_ieee_inexact 0
		.amdhsa_exception_int_div_zero 0
	.end_amdhsa_kernel
	.section	.text._ZN7rocprim17ROCPRIM_400000_NS6detail17trampoline_kernelINS0_14default_configENS1_20scan_config_selectorIN3c107complexIfEEEEZZNS1_9scan_implILNS1_25lookback_scan_determinismE0ELb0ELb0ES3_PKS7_PS7_S7_ZZZN2at6native31launch_logcumsumexp_cuda_kernelERKNSE_10TensorBaseESI_lENKUlvE_clEvENKUlvE2_clEvEUlS7_S7_E_S7_EEDaPvRmT3_T4_T5_mT6_P12ihipStream_tbENKUlT_T0_E_clISt17integral_constantIbLb1EESZ_EEDaSU_SV_EUlSU_E0_NS1_11comp_targetILNS1_3genE8ELNS1_11target_archE1030ELNS1_3gpuE2ELNS1_3repE0EEENS1_30default_config_static_selectorELNS0_4arch9wavefront6targetE1EEEvT1_,"axG",@progbits,_ZN7rocprim17ROCPRIM_400000_NS6detail17trampoline_kernelINS0_14default_configENS1_20scan_config_selectorIN3c107complexIfEEEEZZNS1_9scan_implILNS1_25lookback_scan_determinismE0ELb0ELb0ES3_PKS7_PS7_S7_ZZZN2at6native31launch_logcumsumexp_cuda_kernelERKNSE_10TensorBaseESI_lENKUlvE_clEvENKUlvE2_clEvEUlS7_S7_E_S7_EEDaPvRmT3_T4_T5_mT6_P12ihipStream_tbENKUlT_T0_E_clISt17integral_constantIbLb1EESZ_EEDaSU_SV_EUlSU_E0_NS1_11comp_targetILNS1_3genE8ELNS1_11target_archE1030ELNS1_3gpuE2ELNS1_3repE0EEENS1_30default_config_static_selectorELNS0_4arch9wavefront6targetE1EEEvT1_,comdat
.Lfunc_end316:
	.size	_ZN7rocprim17ROCPRIM_400000_NS6detail17trampoline_kernelINS0_14default_configENS1_20scan_config_selectorIN3c107complexIfEEEEZZNS1_9scan_implILNS1_25lookback_scan_determinismE0ELb0ELb0ES3_PKS7_PS7_S7_ZZZN2at6native31launch_logcumsumexp_cuda_kernelERKNSE_10TensorBaseESI_lENKUlvE_clEvENKUlvE2_clEvEUlS7_S7_E_S7_EEDaPvRmT3_T4_T5_mT6_P12ihipStream_tbENKUlT_T0_E_clISt17integral_constantIbLb1EESZ_EEDaSU_SV_EUlSU_E0_NS1_11comp_targetILNS1_3genE8ELNS1_11target_archE1030ELNS1_3gpuE2ELNS1_3repE0EEENS1_30default_config_static_selectorELNS0_4arch9wavefront6targetE1EEEvT1_, .Lfunc_end316-_ZN7rocprim17ROCPRIM_400000_NS6detail17trampoline_kernelINS0_14default_configENS1_20scan_config_selectorIN3c107complexIfEEEEZZNS1_9scan_implILNS1_25lookback_scan_determinismE0ELb0ELb0ES3_PKS7_PS7_S7_ZZZN2at6native31launch_logcumsumexp_cuda_kernelERKNSE_10TensorBaseESI_lENKUlvE_clEvENKUlvE2_clEvEUlS7_S7_E_S7_EEDaPvRmT3_T4_T5_mT6_P12ihipStream_tbENKUlT_T0_E_clISt17integral_constantIbLb1EESZ_EEDaSU_SV_EUlSU_E0_NS1_11comp_targetILNS1_3genE8ELNS1_11target_archE1030ELNS1_3gpuE2ELNS1_3repE0EEENS1_30default_config_static_selectorELNS0_4arch9wavefront6targetE1EEEvT1_
                                        ; -- End function
	.section	.AMDGPU.csdata,"",@progbits
; Kernel info:
; codeLenInByte = 0
; NumSgprs: 6
; NumVgprs: 0
; NumAgprs: 0
; TotalNumVgprs: 0
; ScratchSize: 0
; MemoryBound: 0
; FloatMode: 240
; IeeeMode: 1
; LDSByteSize: 0 bytes/workgroup (compile time only)
; SGPRBlocks: 0
; VGPRBlocks: 0
; NumSGPRsForWavesPerEU: 6
; NumVGPRsForWavesPerEU: 1
; AccumOffset: 4
; Occupancy: 8
; WaveLimiterHint : 0
; COMPUTE_PGM_RSRC2:SCRATCH_EN: 0
; COMPUTE_PGM_RSRC2:USER_SGPR: 2
; COMPUTE_PGM_RSRC2:TRAP_HANDLER: 0
; COMPUTE_PGM_RSRC2:TGID_X_EN: 1
; COMPUTE_PGM_RSRC2:TGID_Y_EN: 0
; COMPUTE_PGM_RSRC2:TGID_Z_EN: 0
; COMPUTE_PGM_RSRC2:TIDIG_COMP_CNT: 0
; COMPUTE_PGM_RSRC3_GFX90A:ACCUM_OFFSET: 0
; COMPUTE_PGM_RSRC3_GFX90A:TG_SPLIT: 0
	.section	.text._ZN7rocprim17ROCPRIM_400000_NS6detail31init_lookback_scan_state_kernelINS1_19lookback_scan_stateIN3c107complexIfEELb1ELb1EEENS1_16block_id_wrapperIjLb0EEEEEvT_jT0_jPNSA_10value_typeE,"axG",@progbits,_ZN7rocprim17ROCPRIM_400000_NS6detail31init_lookback_scan_state_kernelINS1_19lookback_scan_stateIN3c107complexIfEELb1ELb1EEENS1_16block_id_wrapperIjLb0EEEEEvT_jT0_jPNSA_10value_typeE,comdat
	.protected	_ZN7rocprim17ROCPRIM_400000_NS6detail31init_lookback_scan_state_kernelINS1_19lookback_scan_stateIN3c107complexIfEELb1ELb1EEENS1_16block_id_wrapperIjLb0EEEEEvT_jT0_jPNSA_10value_typeE ; -- Begin function _ZN7rocprim17ROCPRIM_400000_NS6detail31init_lookback_scan_state_kernelINS1_19lookback_scan_stateIN3c107complexIfEELb1ELb1EEENS1_16block_id_wrapperIjLb0EEEEEvT_jT0_jPNSA_10value_typeE
	.globl	_ZN7rocprim17ROCPRIM_400000_NS6detail31init_lookback_scan_state_kernelINS1_19lookback_scan_stateIN3c107complexIfEELb1ELb1EEENS1_16block_id_wrapperIjLb0EEEEEvT_jT0_jPNSA_10value_typeE
	.p2align	8
	.type	_ZN7rocprim17ROCPRIM_400000_NS6detail31init_lookback_scan_state_kernelINS1_19lookback_scan_stateIN3c107complexIfEELb1ELb1EEENS1_16block_id_wrapperIjLb0EEEEEvT_jT0_jPNSA_10value_typeE,@function
_ZN7rocprim17ROCPRIM_400000_NS6detail31init_lookback_scan_state_kernelINS1_19lookback_scan_stateIN3c107complexIfEELb1ELb1EEENS1_16block_id_wrapperIjLb0EEEEEvT_jT0_jPNSA_10value_typeE: ; @_ZN7rocprim17ROCPRIM_400000_NS6detail31init_lookback_scan_state_kernelINS1_19lookback_scan_stateIN3c107complexIfEELb1ELb1EEENS1_16block_id_wrapperIjLb0EEEEEvT_jT0_jPNSA_10value_typeE
; %bb.0:
	s_load_dword s3, s[0:1], 0x2c
	s_load_dwordx2 s[6:7], s[0:1], 0x18
	s_load_dwordx2 s[4:5], s[0:1], 0x0
	s_load_dword s12, s[0:1], 0x8
	s_waitcnt lgkmcnt(0)
	s_and_b32 s3, s3, 0xffff
	s_mul_i32 s2, s2, s3
	s_cmp_eq_u64 s[6:7], 0
	v_add_u32_e32 v0, s2, v0
	s_cbranch_scc1 .LBB317_10
; %bb.1:
	s_load_dword s2, s[0:1], 0x10
	s_mov_b32 s3, 0
	s_waitcnt lgkmcnt(0)
	s_cmp_lt_u32 s2, s12
	s_cselect_b32 s0, s2, 0
	v_cmp_eq_u32_e32 vcc, s0, v0
	s_and_saveexec_b64 s[0:1], vcc
	s_cbranch_execz .LBB317_9
; %bb.2:
	s_add_i32 s2, s2, 64
	s_lshl_b64 s[2:3], s[2:3], 4
	s_add_u32 s10, s4, s2
	s_addc_u32 s11, s5, s3
	v_mov_b64_e32 v[2:3], s[10:11]
	;;#ASMSTART
	global_load_dwordx4 v[2:5], v[2:3] off sc1	
s_waitcnt vmcnt(0)
	;;#ASMEND
	v_mov_b32_e32 v7, 0
	v_and_b32_e32 v6, 0xff, v4
	v_mov_b32_e32 v8, v3
	s_mov_b64 s[8:9], 0
	v_cmp_eq_u64_e32 vcc, 0, v[6:7]
	s_and_saveexec_b64 s[2:3], vcc
	s_cbranch_execz .LBB317_8
; %bb.3:
	s_mov_b32 s13, 1
	v_mov_b64_e32 v[8:9], s[10:11]
.LBB317_4:                              ; =>This Loop Header: Depth=1
                                        ;     Child Loop BB317_5 Depth 2
	s_max_u32 s10, s13, 1
.LBB317_5:                              ;   Parent Loop BB317_4 Depth=1
                                        ; =>  This Inner Loop Header: Depth=2
	s_add_i32 s10, s10, -1
	s_cmp_eq_u32 s10, 0
	s_sleep 1
	s_cbranch_scc0 .LBB317_5
; %bb.6:                                ;   in Loop: Header=BB317_4 Depth=1
	s_cmp_lt_u32 s13, 32
	s_cselect_b64 s[10:11], -1, 0
	s_cmp_lg_u64 s[10:11], 0
	;;#ASMSTART
	global_load_dwordx4 v[2:5], v[8:9] off sc1	
s_waitcnt vmcnt(0)
	;;#ASMEND
	s_addc_u32 s13, s13, 0
	v_and_b32_e32 v6, 0xff, v4
	v_cmp_ne_u64_e32 vcc, 0, v[6:7]
	s_or_b64 s[8:9], vcc, s[8:9]
	s_andn2_b64 exec, exec, s[8:9]
	s_cbranch_execnz .LBB317_4
; %bb.7:
	s_or_b64 exec, exec, s[8:9]
	v_mov_b32_e32 v8, v3
.LBB317_8:
	s_or_b64 exec, exec, s[2:3]
	v_mov_b32_e32 v3, v8
	v_mov_b32_e32 v1, 0
	global_store_dwordx2 v1, v[2:3], s[6:7]
.LBB317_9:
	s_or_b64 exec, exec, s[0:1]
.LBB317_10:
	v_cmp_gt_u32_e32 vcc, s12, v0
	s_and_saveexec_b64 s[0:1], vcc
	s_cbranch_execnz .LBB317_13
; %bb.11:
	s_or_b64 exec, exec, s[0:1]
	v_cmp_gt_u32_e32 vcc, 64, v0
	s_and_saveexec_b64 s[0:1], vcc
	s_cbranch_execnz .LBB317_14
.LBB317_12:
	s_endpgm
.LBB317_13:
	v_add_u32_e32 v2, 64, v0
	v_mov_b32_e32 v3, 0
	v_lshl_add_u64 v[6:7], v[2:3], 4, s[4:5]
	v_mov_b32_e32 v2, v3
	v_mov_b32_e32 v4, v3
	;; [unrolled: 1-line block ×3, first 2 shown]
	global_store_dwordx4 v[6:7], v[2:5], off
	s_or_b64 exec, exec, s[0:1]
	v_cmp_gt_u32_e32 vcc, 64, v0
	s_and_saveexec_b64 s[0:1], vcc
	s_cbranch_execz .LBB317_12
.LBB317_14:
	v_mov_b32_e32 v1, 0
	v_lshl_add_u64 v[4:5], v[0:1], 4, s[4:5]
	v_mov_b32_e32 v2, 0xff
	v_mov_b32_e32 v0, v1
	;; [unrolled: 1-line block ×3, first 2 shown]
	global_store_dwordx4 v[4:5], v[0:3], off
	s_endpgm
	.section	.rodata,"a",@progbits
	.p2align	6, 0x0
	.amdhsa_kernel _ZN7rocprim17ROCPRIM_400000_NS6detail31init_lookback_scan_state_kernelINS1_19lookback_scan_stateIN3c107complexIfEELb1ELb1EEENS1_16block_id_wrapperIjLb0EEEEEvT_jT0_jPNSA_10value_typeE
		.amdhsa_group_segment_fixed_size 0
		.amdhsa_private_segment_fixed_size 0
		.amdhsa_kernarg_size 288
		.amdhsa_user_sgpr_count 2
		.amdhsa_user_sgpr_dispatch_ptr 0
		.amdhsa_user_sgpr_queue_ptr 0
		.amdhsa_user_sgpr_kernarg_segment_ptr 1
		.amdhsa_user_sgpr_dispatch_id 0
		.amdhsa_user_sgpr_kernarg_preload_length 0
		.amdhsa_user_sgpr_kernarg_preload_offset 0
		.amdhsa_user_sgpr_private_segment_size 0
		.amdhsa_uses_dynamic_stack 0
		.amdhsa_enable_private_segment 0
		.amdhsa_system_sgpr_workgroup_id_x 1
		.amdhsa_system_sgpr_workgroup_id_y 0
		.amdhsa_system_sgpr_workgroup_id_z 0
		.amdhsa_system_sgpr_workgroup_info 0
		.amdhsa_system_vgpr_workitem_id 0
		.amdhsa_next_free_vgpr 10
		.amdhsa_next_free_sgpr 14
		.amdhsa_accum_offset 12
		.amdhsa_reserve_vcc 1
		.amdhsa_float_round_mode_32 0
		.amdhsa_float_round_mode_16_64 0
		.amdhsa_float_denorm_mode_32 3
		.amdhsa_float_denorm_mode_16_64 3
		.amdhsa_dx10_clamp 1
		.amdhsa_ieee_mode 1
		.amdhsa_fp16_overflow 0
		.amdhsa_tg_split 0
		.amdhsa_exception_fp_ieee_invalid_op 0
		.amdhsa_exception_fp_denorm_src 0
		.amdhsa_exception_fp_ieee_div_zero 0
		.amdhsa_exception_fp_ieee_overflow 0
		.amdhsa_exception_fp_ieee_underflow 0
		.amdhsa_exception_fp_ieee_inexact 0
		.amdhsa_exception_int_div_zero 0
	.end_amdhsa_kernel
	.section	.text._ZN7rocprim17ROCPRIM_400000_NS6detail31init_lookback_scan_state_kernelINS1_19lookback_scan_stateIN3c107complexIfEELb1ELb1EEENS1_16block_id_wrapperIjLb0EEEEEvT_jT0_jPNSA_10value_typeE,"axG",@progbits,_ZN7rocprim17ROCPRIM_400000_NS6detail31init_lookback_scan_state_kernelINS1_19lookback_scan_stateIN3c107complexIfEELb1ELb1EEENS1_16block_id_wrapperIjLb0EEEEEvT_jT0_jPNSA_10value_typeE,comdat
.Lfunc_end317:
	.size	_ZN7rocprim17ROCPRIM_400000_NS6detail31init_lookback_scan_state_kernelINS1_19lookback_scan_stateIN3c107complexIfEELb1ELb1EEENS1_16block_id_wrapperIjLb0EEEEEvT_jT0_jPNSA_10value_typeE, .Lfunc_end317-_ZN7rocprim17ROCPRIM_400000_NS6detail31init_lookback_scan_state_kernelINS1_19lookback_scan_stateIN3c107complexIfEELb1ELb1EEENS1_16block_id_wrapperIjLb0EEEEEvT_jT0_jPNSA_10value_typeE
                                        ; -- End function
	.section	.AMDGPU.csdata,"",@progbits
; Kernel info:
; codeLenInByte = 404
; NumSgprs: 20
; NumVgprs: 10
; NumAgprs: 0
; TotalNumVgprs: 10
; ScratchSize: 0
; MemoryBound: 0
; FloatMode: 240
; IeeeMode: 1
; LDSByteSize: 0 bytes/workgroup (compile time only)
; SGPRBlocks: 2
; VGPRBlocks: 1
; NumSGPRsForWavesPerEU: 20
; NumVGPRsForWavesPerEU: 10
; AccumOffset: 12
; Occupancy: 8
; WaveLimiterHint : 0
; COMPUTE_PGM_RSRC2:SCRATCH_EN: 0
; COMPUTE_PGM_RSRC2:USER_SGPR: 2
; COMPUTE_PGM_RSRC2:TRAP_HANDLER: 0
; COMPUTE_PGM_RSRC2:TGID_X_EN: 1
; COMPUTE_PGM_RSRC2:TGID_Y_EN: 0
; COMPUTE_PGM_RSRC2:TGID_Z_EN: 0
; COMPUTE_PGM_RSRC2:TIDIG_COMP_CNT: 0
; COMPUTE_PGM_RSRC3_GFX90A:ACCUM_OFFSET: 2
; COMPUTE_PGM_RSRC3_GFX90A:TG_SPLIT: 0
	.section	.text._ZN7rocprim17ROCPRIM_400000_NS6detail17trampoline_kernelINS0_14default_configENS1_20scan_config_selectorIN3c107complexIfEEEEZZNS1_9scan_implILNS1_25lookback_scan_determinismE0ELb0ELb0ES3_PKS7_PS7_S7_ZZZN2at6native31launch_logcumsumexp_cuda_kernelERKNSE_10TensorBaseESI_lENKUlvE_clEvENKUlvE2_clEvEUlS7_S7_E_S7_EEDaPvRmT3_T4_T5_mT6_P12ihipStream_tbENKUlT_T0_E_clISt17integral_constantIbLb1EESY_IbLb0EEEEDaSU_SV_EUlSU_E_NS1_11comp_targetILNS1_3genE0ELNS1_11target_archE4294967295ELNS1_3gpuE0ELNS1_3repE0EEENS1_30default_config_static_selectorELNS0_4arch9wavefront6targetE1EEEvT1_,"axG",@progbits,_ZN7rocprim17ROCPRIM_400000_NS6detail17trampoline_kernelINS0_14default_configENS1_20scan_config_selectorIN3c107complexIfEEEEZZNS1_9scan_implILNS1_25lookback_scan_determinismE0ELb0ELb0ES3_PKS7_PS7_S7_ZZZN2at6native31launch_logcumsumexp_cuda_kernelERKNSE_10TensorBaseESI_lENKUlvE_clEvENKUlvE2_clEvEUlS7_S7_E_S7_EEDaPvRmT3_T4_T5_mT6_P12ihipStream_tbENKUlT_T0_E_clISt17integral_constantIbLb1EESY_IbLb0EEEEDaSU_SV_EUlSU_E_NS1_11comp_targetILNS1_3genE0ELNS1_11target_archE4294967295ELNS1_3gpuE0ELNS1_3repE0EEENS1_30default_config_static_selectorELNS0_4arch9wavefront6targetE1EEEvT1_,comdat
	.globl	_ZN7rocprim17ROCPRIM_400000_NS6detail17trampoline_kernelINS0_14default_configENS1_20scan_config_selectorIN3c107complexIfEEEEZZNS1_9scan_implILNS1_25lookback_scan_determinismE0ELb0ELb0ES3_PKS7_PS7_S7_ZZZN2at6native31launch_logcumsumexp_cuda_kernelERKNSE_10TensorBaseESI_lENKUlvE_clEvENKUlvE2_clEvEUlS7_S7_E_S7_EEDaPvRmT3_T4_T5_mT6_P12ihipStream_tbENKUlT_T0_E_clISt17integral_constantIbLb1EESY_IbLb0EEEEDaSU_SV_EUlSU_E_NS1_11comp_targetILNS1_3genE0ELNS1_11target_archE4294967295ELNS1_3gpuE0ELNS1_3repE0EEENS1_30default_config_static_selectorELNS0_4arch9wavefront6targetE1EEEvT1_ ; -- Begin function _ZN7rocprim17ROCPRIM_400000_NS6detail17trampoline_kernelINS0_14default_configENS1_20scan_config_selectorIN3c107complexIfEEEEZZNS1_9scan_implILNS1_25lookback_scan_determinismE0ELb0ELb0ES3_PKS7_PS7_S7_ZZZN2at6native31launch_logcumsumexp_cuda_kernelERKNSE_10TensorBaseESI_lENKUlvE_clEvENKUlvE2_clEvEUlS7_S7_E_S7_EEDaPvRmT3_T4_T5_mT6_P12ihipStream_tbENKUlT_T0_E_clISt17integral_constantIbLb1EESY_IbLb0EEEEDaSU_SV_EUlSU_E_NS1_11comp_targetILNS1_3genE0ELNS1_11target_archE4294967295ELNS1_3gpuE0ELNS1_3repE0EEENS1_30default_config_static_selectorELNS0_4arch9wavefront6targetE1EEEvT1_
	.p2align	8
	.type	_ZN7rocprim17ROCPRIM_400000_NS6detail17trampoline_kernelINS0_14default_configENS1_20scan_config_selectorIN3c107complexIfEEEEZZNS1_9scan_implILNS1_25lookback_scan_determinismE0ELb0ELb0ES3_PKS7_PS7_S7_ZZZN2at6native31launch_logcumsumexp_cuda_kernelERKNSE_10TensorBaseESI_lENKUlvE_clEvENKUlvE2_clEvEUlS7_S7_E_S7_EEDaPvRmT3_T4_T5_mT6_P12ihipStream_tbENKUlT_T0_E_clISt17integral_constantIbLb1EESY_IbLb0EEEEDaSU_SV_EUlSU_E_NS1_11comp_targetILNS1_3genE0ELNS1_11target_archE4294967295ELNS1_3gpuE0ELNS1_3repE0EEENS1_30default_config_static_selectorELNS0_4arch9wavefront6targetE1EEEvT1_,@function
_ZN7rocprim17ROCPRIM_400000_NS6detail17trampoline_kernelINS0_14default_configENS1_20scan_config_selectorIN3c107complexIfEEEEZZNS1_9scan_implILNS1_25lookback_scan_determinismE0ELb0ELb0ES3_PKS7_PS7_S7_ZZZN2at6native31launch_logcumsumexp_cuda_kernelERKNSE_10TensorBaseESI_lENKUlvE_clEvENKUlvE2_clEvEUlS7_S7_E_S7_EEDaPvRmT3_T4_T5_mT6_P12ihipStream_tbENKUlT_T0_E_clISt17integral_constantIbLb1EESY_IbLb0EEEEDaSU_SV_EUlSU_E_NS1_11comp_targetILNS1_3genE0ELNS1_11target_archE4294967295ELNS1_3gpuE0ELNS1_3repE0EEENS1_30default_config_static_selectorELNS0_4arch9wavefront6targetE1EEEvT1_: ; @_ZN7rocprim17ROCPRIM_400000_NS6detail17trampoline_kernelINS0_14default_configENS1_20scan_config_selectorIN3c107complexIfEEEEZZNS1_9scan_implILNS1_25lookback_scan_determinismE0ELb0ELb0ES3_PKS7_PS7_S7_ZZZN2at6native31launch_logcumsumexp_cuda_kernelERKNSE_10TensorBaseESI_lENKUlvE_clEvENKUlvE2_clEvEUlS7_S7_E_S7_EEDaPvRmT3_T4_T5_mT6_P12ihipStream_tbENKUlT_T0_E_clISt17integral_constantIbLb1EESY_IbLb0EEEEDaSU_SV_EUlSU_E_NS1_11comp_targetILNS1_3genE0ELNS1_11target_archE4294967295ELNS1_3gpuE0ELNS1_3repE0EEENS1_30default_config_static_selectorELNS0_4arch9wavefront6targetE1EEEvT1_
; %bb.0:
	.section	.rodata,"a",@progbits
	.p2align	6, 0x0
	.amdhsa_kernel _ZN7rocprim17ROCPRIM_400000_NS6detail17trampoline_kernelINS0_14default_configENS1_20scan_config_selectorIN3c107complexIfEEEEZZNS1_9scan_implILNS1_25lookback_scan_determinismE0ELb0ELb0ES3_PKS7_PS7_S7_ZZZN2at6native31launch_logcumsumexp_cuda_kernelERKNSE_10TensorBaseESI_lENKUlvE_clEvENKUlvE2_clEvEUlS7_S7_E_S7_EEDaPvRmT3_T4_T5_mT6_P12ihipStream_tbENKUlT_T0_E_clISt17integral_constantIbLb1EESY_IbLb0EEEEDaSU_SV_EUlSU_E_NS1_11comp_targetILNS1_3genE0ELNS1_11target_archE4294967295ELNS1_3gpuE0ELNS1_3repE0EEENS1_30default_config_static_selectorELNS0_4arch9wavefront6targetE1EEEvT1_
		.amdhsa_group_segment_fixed_size 0
		.amdhsa_private_segment_fixed_size 0
		.amdhsa_kernarg_size 104
		.amdhsa_user_sgpr_count 2
		.amdhsa_user_sgpr_dispatch_ptr 0
		.amdhsa_user_sgpr_queue_ptr 0
		.amdhsa_user_sgpr_kernarg_segment_ptr 1
		.amdhsa_user_sgpr_dispatch_id 0
		.amdhsa_user_sgpr_kernarg_preload_length 0
		.amdhsa_user_sgpr_kernarg_preload_offset 0
		.amdhsa_user_sgpr_private_segment_size 0
		.amdhsa_uses_dynamic_stack 0
		.amdhsa_enable_private_segment 0
		.amdhsa_system_sgpr_workgroup_id_x 1
		.amdhsa_system_sgpr_workgroup_id_y 0
		.amdhsa_system_sgpr_workgroup_id_z 0
		.amdhsa_system_sgpr_workgroup_info 0
		.amdhsa_system_vgpr_workitem_id 0
		.amdhsa_next_free_vgpr 1
		.amdhsa_next_free_sgpr 0
		.amdhsa_accum_offset 4
		.amdhsa_reserve_vcc 0
		.amdhsa_float_round_mode_32 0
		.amdhsa_float_round_mode_16_64 0
		.amdhsa_float_denorm_mode_32 3
		.amdhsa_float_denorm_mode_16_64 3
		.amdhsa_dx10_clamp 1
		.amdhsa_ieee_mode 1
		.amdhsa_fp16_overflow 0
		.amdhsa_tg_split 0
		.amdhsa_exception_fp_ieee_invalid_op 0
		.amdhsa_exception_fp_denorm_src 0
		.amdhsa_exception_fp_ieee_div_zero 0
		.amdhsa_exception_fp_ieee_overflow 0
		.amdhsa_exception_fp_ieee_underflow 0
		.amdhsa_exception_fp_ieee_inexact 0
		.amdhsa_exception_int_div_zero 0
	.end_amdhsa_kernel
	.section	.text._ZN7rocprim17ROCPRIM_400000_NS6detail17trampoline_kernelINS0_14default_configENS1_20scan_config_selectorIN3c107complexIfEEEEZZNS1_9scan_implILNS1_25lookback_scan_determinismE0ELb0ELb0ES3_PKS7_PS7_S7_ZZZN2at6native31launch_logcumsumexp_cuda_kernelERKNSE_10TensorBaseESI_lENKUlvE_clEvENKUlvE2_clEvEUlS7_S7_E_S7_EEDaPvRmT3_T4_T5_mT6_P12ihipStream_tbENKUlT_T0_E_clISt17integral_constantIbLb1EESY_IbLb0EEEEDaSU_SV_EUlSU_E_NS1_11comp_targetILNS1_3genE0ELNS1_11target_archE4294967295ELNS1_3gpuE0ELNS1_3repE0EEENS1_30default_config_static_selectorELNS0_4arch9wavefront6targetE1EEEvT1_,"axG",@progbits,_ZN7rocprim17ROCPRIM_400000_NS6detail17trampoline_kernelINS0_14default_configENS1_20scan_config_selectorIN3c107complexIfEEEEZZNS1_9scan_implILNS1_25lookback_scan_determinismE0ELb0ELb0ES3_PKS7_PS7_S7_ZZZN2at6native31launch_logcumsumexp_cuda_kernelERKNSE_10TensorBaseESI_lENKUlvE_clEvENKUlvE2_clEvEUlS7_S7_E_S7_EEDaPvRmT3_T4_T5_mT6_P12ihipStream_tbENKUlT_T0_E_clISt17integral_constantIbLb1EESY_IbLb0EEEEDaSU_SV_EUlSU_E_NS1_11comp_targetILNS1_3genE0ELNS1_11target_archE4294967295ELNS1_3gpuE0ELNS1_3repE0EEENS1_30default_config_static_selectorELNS0_4arch9wavefront6targetE1EEEvT1_,comdat
.Lfunc_end318:
	.size	_ZN7rocprim17ROCPRIM_400000_NS6detail17trampoline_kernelINS0_14default_configENS1_20scan_config_selectorIN3c107complexIfEEEEZZNS1_9scan_implILNS1_25lookback_scan_determinismE0ELb0ELb0ES3_PKS7_PS7_S7_ZZZN2at6native31launch_logcumsumexp_cuda_kernelERKNSE_10TensorBaseESI_lENKUlvE_clEvENKUlvE2_clEvEUlS7_S7_E_S7_EEDaPvRmT3_T4_T5_mT6_P12ihipStream_tbENKUlT_T0_E_clISt17integral_constantIbLb1EESY_IbLb0EEEEDaSU_SV_EUlSU_E_NS1_11comp_targetILNS1_3genE0ELNS1_11target_archE4294967295ELNS1_3gpuE0ELNS1_3repE0EEENS1_30default_config_static_selectorELNS0_4arch9wavefront6targetE1EEEvT1_, .Lfunc_end318-_ZN7rocprim17ROCPRIM_400000_NS6detail17trampoline_kernelINS0_14default_configENS1_20scan_config_selectorIN3c107complexIfEEEEZZNS1_9scan_implILNS1_25lookback_scan_determinismE0ELb0ELb0ES3_PKS7_PS7_S7_ZZZN2at6native31launch_logcumsumexp_cuda_kernelERKNSE_10TensorBaseESI_lENKUlvE_clEvENKUlvE2_clEvEUlS7_S7_E_S7_EEDaPvRmT3_T4_T5_mT6_P12ihipStream_tbENKUlT_T0_E_clISt17integral_constantIbLb1EESY_IbLb0EEEEDaSU_SV_EUlSU_E_NS1_11comp_targetILNS1_3genE0ELNS1_11target_archE4294967295ELNS1_3gpuE0ELNS1_3repE0EEENS1_30default_config_static_selectorELNS0_4arch9wavefront6targetE1EEEvT1_
                                        ; -- End function
	.section	.AMDGPU.csdata,"",@progbits
; Kernel info:
; codeLenInByte = 0
; NumSgprs: 6
; NumVgprs: 0
; NumAgprs: 0
; TotalNumVgprs: 0
; ScratchSize: 0
; MemoryBound: 0
; FloatMode: 240
; IeeeMode: 1
; LDSByteSize: 0 bytes/workgroup (compile time only)
; SGPRBlocks: 0
; VGPRBlocks: 0
; NumSGPRsForWavesPerEU: 6
; NumVGPRsForWavesPerEU: 1
; AccumOffset: 4
; Occupancy: 8
; WaveLimiterHint : 0
; COMPUTE_PGM_RSRC2:SCRATCH_EN: 0
; COMPUTE_PGM_RSRC2:USER_SGPR: 2
; COMPUTE_PGM_RSRC2:TRAP_HANDLER: 0
; COMPUTE_PGM_RSRC2:TGID_X_EN: 1
; COMPUTE_PGM_RSRC2:TGID_Y_EN: 0
; COMPUTE_PGM_RSRC2:TGID_Z_EN: 0
; COMPUTE_PGM_RSRC2:TIDIG_COMP_CNT: 0
; COMPUTE_PGM_RSRC3_GFX90A:ACCUM_OFFSET: 0
; COMPUTE_PGM_RSRC3_GFX90A:TG_SPLIT: 0
	.section	.text._ZN7rocprim17ROCPRIM_400000_NS6detail17trampoline_kernelINS0_14default_configENS1_20scan_config_selectorIN3c107complexIfEEEEZZNS1_9scan_implILNS1_25lookback_scan_determinismE0ELb0ELb0ES3_PKS7_PS7_S7_ZZZN2at6native31launch_logcumsumexp_cuda_kernelERKNSE_10TensorBaseESI_lENKUlvE_clEvENKUlvE2_clEvEUlS7_S7_E_S7_EEDaPvRmT3_T4_T5_mT6_P12ihipStream_tbENKUlT_T0_E_clISt17integral_constantIbLb1EESY_IbLb0EEEEDaSU_SV_EUlSU_E_NS1_11comp_targetILNS1_3genE5ELNS1_11target_archE942ELNS1_3gpuE9ELNS1_3repE0EEENS1_30default_config_static_selectorELNS0_4arch9wavefront6targetE1EEEvT1_,"axG",@progbits,_ZN7rocprim17ROCPRIM_400000_NS6detail17trampoline_kernelINS0_14default_configENS1_20scan_config_selectorIN3c107complexIfEEEEZZNS1_9scan_implILNS1_25lookback_scan_determinismE0ELb0ELb0ES3_PKS7_PS7_S7_ZZZN2at6native31launch_logcumsumexp_cuda_kernelERKNSE_10TensorBaseESI_lENKUlvE_clEvENKUlvE2_clEvEUlS7_S7_E_S7_EEDaPvRmT3_T4_T5_mT6_P12ihipStream_tbENKUlT_T0_E_clISt17integral_constantIbLb1EESY_IbLb0EEEEDaSU_SV_EUlSU_E_NS1_11comp_targetILNS1_3genE5ELNS1_11target_archE942ELNS1_3gpuE9ELNS1_3repE0EEENS1_30default_config_static_selectorELNS0_4arch9wavefront6targetE1EEEvT1_,comdat
	.globl	_ZN7rocprim17ROCPRIM_400000_NS6detail17trampoline_kernelINS0_14default_configENS1_20scan_config_selectorIN3c107complexIfEEEEZZNS1_9scan_implILNS1_25lookback_scan_determinismE0ELb0ELb0ES3_PKS7_PS7_S7_ZZZN2at6native31launch_logcumsumexp_cuda_kernelERKNSE_10TensorBaseESI_lENKUlvE_clEvENKUlvE2_clEvEUlS7_S7_E_S7_EEDaPvRmT3_T4_T5_mT6_P12ihipStream_tbENKUlT_T0_E_clISt17integral_constantIbLb1EESY_IbLb0EEEEDaSU_SV_EUlSU_E_NS1_11comp_targetILNS1_3genE5ELNS1_11target_archE942ELNS1_3gpuE9ELNS1_3repE0EEENS1_30default_config_static_selectorELNS0_4arch9wavefront6targetE1EEEvT1_ ; -- Begin function _ZN7rocprim17ROCPRIM_400000_NS6detail17trampoline_kernelINS0_14default_configENS1_20scan_config_selectorIN3c107complexIfEEEEZZNS1_9scan_implILNS1_25lookback_scan_determinismE0ELb0ELb0ES3_PKS7_PS7_S7_ZZZN2at6native31launch_logcumsumexp_cuda_kernelERKNSE_10TensorBaseESI_lENKUlvE_clEvENKUlvE2_clEvEUlS7_S7_E_S7_EEDaPvRmT3_T4_T5_mT6_P12ihipStream_tbENKUlT_T0_E_clISt17integral_constantIbLb1EESY_IbLb0EEEEDaSU_SV_EUlSU_E_NS1_11comp_targetILNS1_3genE5ELNS1_11target_archE942ELNS1_3gpuE9ELNS1_3repE0EEENS1_30default_config_static_selectorELNS0_4arch9wavefront6targetE1EEEvT1_
	.p2align	8
	.type	_ZN7rocprim17ROCPRIM_400000_NS6detail17trampoline_kernelINS0_14default_configENS1_20scan_config_selectorIN3c107complexIfEEEEZZNS1_9scan_implILNS1_25lookback_scan_determinismE0ELb0ELb0ES3_PKS7_PS7_S7_ZZZN2at6native31launch_logcumsumexp_cuda_kernelERKNSE_10TensorBaseESI_lENKUlvE_clEvENKUlvE2_clEvEUlS7_S7_E_S7_EEDaPvRmT3_T4_T5_mT6_P12ihipStream_tbENKUlT_T0_E_clISt17integral_constantIbLb1EESY_IbLb0EEEEDaSU_SV_EUlSU_E_NS1_11comp_targetILNS1_3genE5ELNS1_11target_archE942ELNS1_3gpuE9ELNS1_3repE0EEENS1_30default_config_static_selectorELNS0_4arch9wavefront6targetE1EEEvT1_,@function
_ZN7rocprim17ROCPRIM_400000_NS6detail17trampoline_kernelINS0_14default_configENS1_20scan_config_selectorIN3c107complexIfEEEEZZNS1_9scan_implILNS1_25lookback_scan_determinismE0ELb0ELb0ES3_PKS7_PS7_S7_ZZZN2at6native31launch_logcumsumexp_cuda_kernelERKNSE_10TensorBaseESI_lENKUlvE_clEvENKUlvE2_clEvEUlS7_S7_E_S7_EEDaPvRmT3_T4_T5_mT6_P12ihipStream_tbENKUlT_T0_E_clISt17integral_constantIbLb1EESY_IbLb0EEEEDaSU_SV_EUlSU_E_NS1_11comp_targetILNS1_3genE5ELNS1_11target_archE942ELNS1_3gpuE9ELNS1_3repE0EEENS1_30default_config_static_selectorELNS0_4arch9wavefront6targetE1EEEvT1_: ; @_ZN7rocprim17ROCPRIM_400000_NS6detail17trampoline_kernelINS0_14default_configENS1_20scan_config_selectorIN3c107complexIfEEEEZZNS1_9scan_implILNS1_25lookback_scan_determinismE0ELb0ELb0ES3_PKS7_PS7_S7_ZZZN2at6native31launch_logcumsumexp_cuda_kernelERKNSE_10TensorBaseESI_lENKUlvE_clEvENKUlvE2_clEvEUlS7_S7_E_S7_EEDaPvRmT3_T4_T5_mT6_P12ihipStream_tbENKUlT_T0_E_clISt17integral_constantIbLb1EESY_IbLb0EEEEDaSU_SV_EUlSU_E_NS1_11comp_targetILNS1_3genE5ELNS1_11target_archE942ELNS1_3gpuE9ELNS1_3repE0EEENS1_30default_config_static_selectorELNS0_4arch9wavefront6targetE1EEEvT1_
; %bb.0:
	s_mov_b64 s[16:17], s[0:1]
	s_load_dwordx8 s[36:43], s[0:1], 0x0
	s_nop 0
	s_load_dword s0, s[0:1], 0x38
	s_mov_b32 s24, s2
	s_mov_b32 s1, 0
	v_mov_b32_e32 v64, v0
	s_waitcnt lgkmcnt(0)
	s_lshl_b64 s[34:35], s[38:39], 3
	s_add_u32 s2, s36, s34
	s_addc_u32 s3, s37, s35
	s_add_i32 s4, s0, -1
	s_mul_i32 s5, s4, 0xf00
	s_sub_u32 s33, s42, s5
	s_subb_u32 s48, s43, 0
	s_mul_i32 s0, s24, 0xf00
	s_cmp_lg_u32 s24, s4
	s_cselect_b64 s[28:29], -1, 0
	s_lshl_b64 s[36:37], s[0:1], 3
	s_add_u32 s2, s2, s36
	s_addc_u32 s3, s3, s37
	s_mov_b64 s[0:1], -1
	s_and_b64 vcc, exec, s[28:29]
	v_lshlrev_b32_e32 v94, 3, v64
	s_mov_b32 s32, 0
	s_cbranch_vccz .LBB319_2
; %bb.1:
	v_mov_b32_e32 v95, 0
	v_lshl_add_u64 v[0:1], s[2:3], 0, v[94:95]
	v_add_co_u32_e32 v6, vcc, 0x1000, v0
	global_load_dwordx2 v[2:3], v94, s[2:3]
	global_load_dwordx2 v[4:5], v94, s[2:3] offset:2048
	v_addc_co_u32_e32 v7, vcc, 0, v1, vcc
	v_add_co_u32_e32 v8, vcc, 0x2000, v0
	s_mov_b64 s[0:1], 0
	s_nop 0
	v_addc_co_u32_e32 v9, vcc, 0, v1, vcc
	global_load_dwordx2 v[10:11], v[6:7], off
	global_load_dwordx2 v[12:13], v[6:7], off offset:2048
	global_load_dwordx2 v[14:15], v[8:9], off
	global_load_dwordx2 v[16:17], v[8:9], off offset:2048
	v_add_co_u32_e32 v6, vcc, 0x3000, v0
	s_nop 1
	v_addc_co_u32_e32 v7, vcc, 0, v1, vcc
	v_add_co_u32_e32 v8, vcc, 0x4000, v0
	s_nop 1
	v_addc_co_u32_e32 v9, vcc, 0, v1, vcc
	global_load_dwordx2 v[18:19], v[6:7], off
	global_load_dwordx2 v[20:21], v[6:7], off offset:2048
	global_load_dwordx2 v[22:23], v[8:9], off
	global_load_dwordx2 v[24:25], v[8:9], off offset:2048
	v_add_co_u32_e32 v6, vcc, 0x5000, v0
	s_nop 1
	v_addc_co_u32_e32 v7, vcc, 0, v1, vcc
	v_add_co_u32_e32 v8, vcc, 0x6000, v0
	s_nop 1
	v_addc_co_u32_e32 v9, vcc, 0, v1, vcc
	global_load_dwordx2 v[26:27], v[6:7], off
	global_load_dwordx2 v[28:29], v[6:7], off offset:2048
	global_load_dwordx2 v[30:31], v[8:9], off
	global_load_dwordx2 v[32:33], v[8:9], off offset:2048
	v_add_co_u32_e32 v0, vcc, 0x7000, v0
	s_nop 1
	v_addc_co_u32_e32 v1, vcc, 0, v1, vcc
	global_load_dwordx2 v[0:1], v[0:1], off
	s_waitcnt vmcnt(13)
	ds_write2st64_b64 v94, v[2:3], v[4:5] offset1:4
	s_waitcnt vmcnt(11)
	ds_write2st64_b64 v94, v[10:11], v[12:13] offset0:8 offset1:12
	s_waitcnt vmcnt(9)
	ds_write2st64_b64 v94, v[14:15], v[16:17] offset0:16 offset1:20
	;; [unrolled: 2-line block ×6, first 2 shown]
	s_waitcnt vmcnt(0)
	ds_write_b64 v94, v[0:1] offset:28672
	s_waitcnt lgkmcnt(0)
	s_barrier
.LBB319_2:
	s_load_dwordx2 s[38:39], s[16:17], 0x30
	s_andn2_b64 vcc, exec, s[0:1]
	v_cmp_gt_u32_e64 s[0:1], s33, v64
	s_cbranch_vccnz .LBB319_34
; %bb.3:
	s_load_dwordx2 s[4:5], s[2:3], 0x0
	s_waitcnt lgkmcnt(0)
	v_mov_b64_e32 v[0:1], s[4:5]
	s_and_saveexec_b64 s[6:7], s[0:1]
	s_cbranch_execz .LBB319_5
; %bb.4:
	global_load_dwordx2 v[0:1], v94, s[2:3]
.LBB319_5:
	s_or_b64 exec, exec, s[6:7]
	v_or_b32_e32 v2, 0x100, v64
	v_cmp_gt_u32_e32 vcc, s33, v2
	v_mov_b64_e32 v[2:3], s[4:5]
	s_and_saveexec_b64 s[0:1], vcc
	s_cbranch_execz .LBB319_7
; %bb.6:
	global_load_dwordx2 v[2:3], v94, s[2:3] offset:2048
.LBB319_7:
	s_or_b64 exec, exec, s[0:1]
	v_or_b32_e32 v6, 0x200, v64
	v_cmp_gt_u32_e32 vcc, s33, v6
	v_mov_b64_e32 v[4:5], s[4:5]
	s_and_saveexec_b64 s[0:1], vcc
	s_cbranch_execz .LBB319_9
; %bb.8:
	v_lshlrev_b32_e32 v4, 3, v6
	global_load_dwordx2 v[4:5], v4, s[2:3]
.LBB319_9:
	s_or_b64 exec, exec, s[0:1]
	v_or_b32_e32 v8, 0x300, v64
	v_cmp_gt_u32_e32 vcc, s33, v8
	v_mov_b64_e32 v[6:7], s[4:5]
	s_and_saveexec_b64 s[0:1], vcc
	s_cbranch_execz .LBB319_11
; %bb.10:
	v_lshlrev_b32_e32 v6, 3, v8
	global_load_dwordx2 v[6:7], v6, s[2:3]
.LBB319_11:
	;; [unrolled: 10-line block ×13, first 2 shown]
	s_or_b64 exec, exec, s[0:1]
	s_waitcnt vmcnt(0)
	ds_write2st64_b64 v94, v[0:1], v[2:3] offset1:4
	ds_write2st64_b64 v94, v[4:5], v[6:7] offset0:8 offset1:12
	ds_write2st64_b64 v94, v[8:9], v[10:11] offset0:16 offset1:20
	;; [unrolled: 1-line block ×6, first 2 shown]
	ds_write_b64 v94, v[28:29] offset:28672
	s_waitcnt lgkmcnt(0)
	s_barrier
.LBB319_34:
	v_mul_u32_u24_e32 v96, 15, v64
	v_lshlrev_b32_e32 v65, 3, v96
	s_waitcnt lgkmcnt(0)
	ds_read2_b64 v[28:31], v65 offset1:1
	ds_read2_b64 v[52:55], v65 offset0:2 offset1:3
	ds_read2_b64 v[48:51], v65 offset0:4 offset1:5
	;; [unrolled: 1-line block ×6, first 2 shown]
	ds_read_b64 v[66:67], v65 offset:112
	s_cmp_lg_u32 s24, 0
	s_waitcnt lgkmcnt(0)
	s_barrier
	s_cbranch_scc0 .LBB319_96
; %bb.35:
	v_mov_b32_e32 v0, v28
	v_mov_b32_e32 v1, v29
	;; [unrolled: 1-line block ×4, first 2 shown]
	s_getpc_b64 s[20:21]
	s_add_u32 s20, s20, _ZZZZN2at6native31launch_logcumsumexp_cuda_kernelERKNS_10TensorBaseES3_lENKUlvE_clEvENKUlvE2_clEvENKUlN3c107complexIfEES8_E_clES8_S8_@rel32@lo+4
	s_addc_u32 s21, s21, _ZZZZN2at6native31launch_logcumsumexp_cuda_kernelERKNS_10TensorBaseES3_lENKUlvE_clEvENKUlvE2_clEvENKUlN3c107complexIfEES8_E_clES8_S8_@rel32@hi+12
	s_swappc_b64 s[30:31], s[20:21]
	v_mov_b32_e32 v2, v52
	v_mov_b32_e32 v3, v53
	s_swappc_b64 s[30:31], s[20:21]
	v_mov_b32_e32 v2, v54
	v_mov_b32_e32 v3, v55
	;; [unrolled: 3-line block ×13, first 2 shown]
	s_swappc_b64 s[30:31], s[20:21]
	v_mov_b32_e32 v68, v0
	v_lshrrev_b32_e32 v0, 5, v64
	v_mov_b32_e32 v69, v1
	v_add_lshl_u32 v0, v0, v64, 3
	v_cmp_gt_u32_e64 s[22:23], 64, v64
	ds_write_b64 v0, v[68:69]
	s_waitcnt lgkmcnt(0)
	s_barrier
	s_and_saveexec_b64 s[18:19], s[22:23]
	s_cbranch_execz .LBB319_49
; %bb.36:
	v_lshlrev_b32_e32 v0, 2, v64
	v_lshrrev_b32_e32 v1, 3, v64
	v_add_lshl_u32 v27, v1, v0, 3
	ds_read_b64 v[56:57], v27
	ds_read2_b64 v[58:61], v27 offset0:1 offset1:2
	s_waitcnt lgkmcnt(1)
	v_mov_b32_e32 v0, v56
	v_mov_b32_e32 v1, v57
	s_waitcnt lgkmcnt(0)
	v_mov_b32_e32 v2, v58
	v_mov_b32_e32 v3, v59
	s_swappc_b64 s[30:31], s[20:21]
	v_mov_b32_e32 v2, v60
	v_mov_b32_e32 v3, v61
	s_swappc_b64 s[30:31], s[20:21]
	ds_read_b64 v[2:3], v27 offset:24
	s_swappc_b64 s[30:31], s[20:21]
	v_mov_b32_e32 v2, v0
	v_mbcnt_lo_u32_b32 v0, -1, 0
	v_mbcnt_hi_u32_b32 v58, -1, v0
	v_mov_b32_e32 v3, v1
	v_and_b32_e32 v59, 15, v58
	v_mov_b32_dpp v0, v2 row_shr:1 row_mask:0xf bank_mask:0xf
	v_mov_b32_dpp v1, v3 row_shr:1 row_mask:0xf bank_mask:0xf
	v_cmp_ne_u32_e32 vcc, 0, v59
	s_and_saveexec_b64 s[20:21], vcc
	s_cbranch_execz .LBB319_38
; %bb.37:
	s_getpc_b64 s[0:1]
	s_add_u32 s0, s0, _ZZZZN2at6native31launch_logcumsumexp_cuda_kernelERKNS_10TensorBaseES3_lENKUlvE_clEvENKUlvE2_clEvENKUlN3c107complexIfEES8_E_clES8_S8_@rel32@lo+4
	s_addc_u32 s1, s1, _ZZZZN2at6native31launch_logcumsumexp_cuda_kernelERKNS_10TensorBaseES3_lENKUlvE_clEvENKUlvE2_clEvENKUlN3c107complexIfEES8_E_clES8_S8_@rel32@hi+12
	s_swappc_b64 s[30:31], s[0:1]
	v_mov_b32_e32 v2, v0
	v_mov_b32_e32 v3, v1
.LBB319_38:
	s_or_b64 exec, exec, s[20:21]
	v_mov_b32_dpp v0, v2 row_shr:2 row_mask:0xf bank_mask:0xf
	v_mov_b32_dpp v1, v3 row_shr:2 row_mask:0xf bank_mask:0xf
	v_cmp_lt_u32_e32 vcc, 1, v59
	s_and_saveexec_b64 s[20:21], vcc
	s_cbranch_execz .LBB319_40
; %bb.39:
	s_getpc_b64 s[0:1]
	s_add_u32 s0, s0, _ZZZZN2at6native31launch_logcumsumexp_cuda_kernelERKNS_10TensorBaseES3_lENKUlvE_clEvENKUlvE2_clEvENKUlN3c107complexIfEES8_E_clES8_S8_@rel32@lo+4
	s_addc_u32 s1, s1, _ZZZZN2at6native31launch_logcumsumexp_cuda_kernelERKNS_10TensorBaseES3_lENKUlvE_clEvENKUlvE2_clEvENKUlN3c107complexIfEES8_E_clES8_S8_@rel32@hi+12
	s_swappc_b64 s[30:31], s[0:1]
	v_mov_b32_e32 v2, v0
	v_mov_b32_e32 v3, v1
.LBB319_40:
	s_or_b64 exec, exec, s[20:21]
	v_mov_b32_dpp v0, v2 row_shr:4 row_mask:0xf bank_mask:0xf
	v_mov_b32_dpp v1, v3 row_shr:4 row_mask:0xf bank_mask:0xf
	v_cmp_lt_u32_e32 vcc, 3, v59
	;; [unrolled: 14-line block ×3, first 2 shown]
	s_and_saveexec_b64 s[20:21], vcc
	s_cbranch_execz .LBB319_44
; %bb.43:
	s_getpc_b64 s[0:1]
	s_add_u32 s0, s0, _ZZZZN2at6native31launch_logcumsumexp_cuda_kernelERKNS_10TensorBaseES3_lENKUlvE_clEvENKUlvE2_clEvENKUlN3c107complexIfEES8_E_clES8_S8_@rel32@lo+4
	s_addc_u32 s1, s1, _ZZZZN2at6native31launch_logcumsumexp_cuda_kernelERKNS_10TensorBaseES3_lENKUlvE_clEvENKUlvE2_clEvENKUlN3c107complexIfEES8_E_clES8_S8_@rel32@hi+12
	s_swappc_b64 s[30:31], s[0:1]
	v_mov_b32_e32 v2, v0
	v_mov_b32_e32 v3, v1
.LBB319_44:
	s_or_b64 exec, exec, s[20:21]
	v_and_b32_e32 v4, 16, v58
	v_mov_b32_dpp v0, v2 row_bcast:15 row_mask:0xf bank_mask:0xf
	v_mov_b32_dpp v1, v3 row_bcast:15 row_mask:0xf bank_mask:0xf
	v_cmp_ne_u32_e32 vcc, 0, v4
	s_and_saveexec_b64 s[20:21], vcc
	s_cbranch_execz .LBB319_46
; %bb.45:
	s_getpc_b64 s[0:1]
	s_add_u32 s0, s0, _ZZZZN2at6native31launch_logcumsumexp_cuda_kernelERKNS_10TensorBaseES3_lENKUlvE_clEvENKUlvE2_clEvENKUlN3c107complexIfEES8_E_clES8_S8_@rel32@lo+4
	s_addc_u32 s1, s1, _ZZZZN2at6native31launch_logcumsumexp_cuda_kernelERKNS_10TensorBaseES3_lENKUlvE_clEvENKUlvE2_clEvENKUlN3c107complexIfEES8_E_clES8_S8_@rel32@hi+12
	s_swappc_b64 s[30:31], s[0:1]
	v_mov_b32_e32 v2, v0
	v_mov_b32_e32 v3, v1
.LBB319_46:
	s_or_b64 exec, exec, s[20:21]
	v_mov_b32_dpp v0, v2 row_bcast:31 row_mask:0xf bank_mask:0xf
	v_mov_b32_dpp v1, v3 row_bcast:31 row_mask:0xf bank_mask:0xf
	v_cmp_lt_u32_e32 vcc, 31, v58
	s_and_saveexec_b64 s[20:21], vcc
	s_cbranch_execz .LBB319_48
; %bb.47:
	s_getpc_b64 s[0:1]
	s_add_u32 s0, s0, _ZZZZN2at6native31launch_logcumsumexp_cuda_kernelERKNS_10TensorBaseES3_lENKUlvE_clEvENKUlvE2_clEvENKUlN3c107complexIfEES8_E_clES8_S8_@rel32@lo+4
	s_addc_u32 s1, s1, _ZZZZN2at6native31launch_logcumsumexp_cuda_kernelERKNS_10TensorBaseES3_lENKUlvE_clEvENKUlvE2_clEvENKUlN3c107complexIfEES8_E_clES8_S8_@rel32@hi+12
	s_swappc_b64 s[30:31], s[0:1]
	v_mov_b32_e32 v2, v0
	v_mov_b32_e32 v3, v1
.LBB319_48:
	s_or_b64 exec, exec, s[20:21]
	v_add_u32_e32 v0, -1, v58
	v_and_b32_e32 v1, 64, v58
	v_cmp_lt_i32_e32 vcc, v0, v1
	s_getpc_b64 s[20:21]
	s_add_u32 s20, s20, _ZZZZN2at6native31launch_logcumsumexp_cuda_kernelERKNS_10TensorBaseES3_lENKUlvE_clEvENKUlvE2_clEvENKUlN3c107complexIfEES8_E_clES8_S8_@rel32@lo+4
	s_addc_u32 s21, s21, _ZZZZN2at6native31launch_logcumsumexp_cuda_kernelERKNS_10TensorBaseES3_lENKUlvE_clEvENKUlvE2_clEvENKUlN3c107complexIfEES8_E_clES8_S8_@rel32@hi+12
	v_cndmask_b32_e32 v0, v0, v58, vcc
	v_lshlrev_b32_e32 v1, 2, v0
	ds_bpermute_b32 v0, v1, v2
	ds_bpermute_b32 v1, v1, v3
	v_mov_b32_e32 v2, v56
	v_mov_b32_e32 v3, v57
	s_swappc_b64 s[30:31], s[20:21]
	v_cmp_eq_u32_e32 vcc, 0, v64
	; wave barrier
	s_nop 1
	v_cndmask_b32_e32 v0, v0, v68, vcc
	v_cndmask_b32_e32 v1, v1, v69, vcc
	ds_write_b64 v27, v[0:1]
	; wave barrier
	ds_read2_b64 v[56:59], v27 offset0:1 offset1:2
	s_waitcnt lgkmcnt(0)
	v_mov_b32_e32 v2, v56
	v_mov_b32_e32 v3, v57
	s_swappc_b64 s[30:31], s[20:21]
	v_mov_b32_e32 v2, v58
	v_mov_b32_e32 v3, v59
	;; [unrolled: 1-line block ×4, first 2 shown]
	s_swappc_b64 s[30:31], s[20:21]
	ds_read_b64 v[2:3], v27 offset:24
	ds_write2_b64 v27, v[56:57], v[0:1] offset0:1 offset1:2
	s_swappc_b64 s[30:31], s[20:21]
	ds_write_b64 v27, v[0:1] offset:24
.LBB319_49:
	s_or_b64 exec, exec, s[18:19]
	v_cmp_eq_u32_e64 s[20:21], 0, v64
	v_cmp_ne_u32_e64 s[18:19], 0, v64
	s_waitcnt lgkmcnt(0)
	s_barrier
	s_and_saveexec_b64 s[0:1], s[18:19]
	s_cbranch_execz .LBB319_51
; %bb.50:
	v_add_u32_e32 v0, -1, v64
	v_lshrrev_b32_e32 v1, 5, v0
	v_add_lshl_u32 v0, v1, v0, 3
	ds_read_b64 v[68:69], v0
.LBB319_51:
	s_or_b64 exec, exec, s[0:1]
	s_and_saveexec_b64 s[26:27], s[22:23]
	s_cbranch_execz .LBB319_101
; %bb.52:
	v_mov_b32_e32 v59, 0
	ds_read_b64 v[56:57], v59 offset:2096
	v_mbcnt_lo_u32_b32 v0, -1, 0
	v_mbcnt_hi_u32_b32 v71, -1, v0
	s_mov_b32 s3, 0
	v_cmp_eq_u32_e64 s[22:23], 0, v71
	s_waitcnt lgkmcnt(0)
	v_readfirstlane_b32 s25, v57
	s_and_saveexec_b64 s[0:1], s[22:23]
	s_cbranch_execz .LBB319_54
; %bb.53:
	s_add_i32 s2, s24, 64
	s_lshl_b64 s[4:5], s[2:3], 4
	s_add_u32 s4, s38, s4
	s_addc_u32 s5, s39, s5
	s_and_b32 s7, s25, 0xff000000
	s_mov_b32 s6, s3
	s_and_b32 s9, s25, 0xff0000
	s_mov_b32 s8, s3
	s_or_b64 s[6:7], s[8:9], s[6:7]
	s_and_b32 s9, s25, 0xff00
	s_or_b64 s[6:7], s[6:7], s[8:9]
	s_and_b32 s9, s25, 0xff
	s_or_b64 s[2:3], s[6:7], s[8:9]
	v_mov_b32_e32 v57, s3
	v_mov_b32_e32 v58, 1
	v_mov_b64_e32 v[0:1], s[4:5]
	;;#ASMSTART
	global_store_dwordx4 v[0:1], v[56:59] off sc1	
s_waitcnt vmcnt(0)
	;;#ASMEND
.LBB319_54:
	s_or_b64 exec, exec, s[0:1]
	v_xad_u32 v70, v71, -1, s24
	v_add_u32_e32 v58, 64, v70
	s_mov_b32 s0, 0x1000706
	v_lshl_add_u64 v[0:1], v[58:59], 4, s[38:39]
	;;#ASMSTART
	global_load_dwordx4 v[60:63], v[0:1] off sc1	
s_waitcnt vmcnt(0)
	;;#ASMEND
	s_mov_b32 s1, 0x7020504
	v_perm_b32 v2, v61, v62, s0
	s_mov_b32 s2, 0x3060504
	v_lshlrev_b32_e32 v2, 16, v2
	v_perm_b32 v27, v61, v2, s1
	v_perm_b32 v61, v60, v60, s2
	v_cmp_eq_u16_sdwa s[2:3], v62, v59 src0_sel:BYTE_0 src1_sel:DWORD
	s_and_saveexec_b64 s[0:1], s[2:3]
	s_cbranch_execz .LBB319_60
; %bb.55:
	s_mov_b32 s4, 1
	s_mov_b64 s[2:3], 0
	v_mov_b32_e32 v2, 0
.LBB319_56:                             ; =>This Loop Header: Depth=1
                                        ;     Child Loop BB319_57 Depth 2
	s_max_u32 s5, s4, 1
.LBB319_57:                             ;   Parent Loop BB319_56 Depth=1
                                        ; =>  This Inner Loop Header: Depth=2
	s_add_i32 s5, s5, -1
	s_cmp_eq_u32 s5, 0
	s_sleep 1
	s_cbranch_scc0 .LBB319_57
; %bb.58:                               ;   in Loop: Header=BB319_56 Depth=1
	s_cmp_lt_u32 s4, 32
	s_cselect_b64 s[6:7], -1, 0
	s_cmp_lg_u64 s[6:7], 0
	s_addc_u32 s4, s4, 0
	;;#ASMSTART
	global_load_dwordx4 v[60:63], v[0:1] off sc1	
s_waitcnt vmcnt(0)
	;;#ASMEND
	s_nop 0
	v_cmp_ne_u16_sdwa s[6:7], v62, v2 src0_sel:BYTE_0 src1_sel:DWORD
	s_or_b64 s[2:3], s[6:7], s[2:3]
	s_andn2_b64 exec, exec, s[2:3]
	s_cbranch_execnz .LBB319_56
; %bb.59:
	s_or_b64 exec, exec, s[2:3]
	s_mov_b32 s2, 0x2010007
	v_perm_b32 v0, v61, v62, s2
	s_mov_b32 s2, 0x1000706
	v_perm_b32 v1, v61, v62, s2
	v_lshlrev_b32_e32 v1, 16, v1
	s_mov_b32 s2, 0xc060100
	v_perm_b32 v1, v1, v61, s2
	s_mov_b32 s2, 0x3020504
	v_lshl_or_b32 v27, v0, 24, v1
	v_perm_b32 v61, v60, v60, s2
.LBB319_60:
	s_or_b64 exec, exec, s[0:1]
	v_mov_b32_e32 v0, 2
	v_cmp_eq_u16_sdwa s[0:1], v62, v0 src0_sel:BYTE_0 src1_sel:DWORD
	v_lshlrev_b64 v[72:73], v71, -1
	v_and_b32_e32 v74, 63, v71
	v_and_b32_e32 v0, s1, v73
	v_or_b32_e32 v0, 0x80000000, v0
	v_cmp_ne_u32_e32 vcc, 63, v74
	v_ffbl_b32_e32 v3, v0
	v_and_b32_e32 v2, s0, v72
	v_addc_co_u32_e32 v0, vcc, 0, v71, vcc
	v_lshlrev_b32_e32 v75, 2, v0
	ds_bpermute_b32 v0, v75, v61
	ds_bpermute_b32 v1, v75, v27
	v_add_u32_e32 v3, 32, v3
	v_ffbl_b32_e32 v2, v2
	v_min_u32_e32 v58, v2, v3
	v_cmp_lt_u32_e32 vcc, v74, v58
	s_and_saveexec_b64 s[42:43], vcc
	s_cbranch_execz .LBB319_62
; %bb.61:
	v_mov_b32_e32 v2, v61
	v_mov_b32_e32 v3, v27
	s_getpc_b64 s[0:1]
	s_add_u32 s0, s0, _ZZZZN2at6native31launch_logcumsumexp_cuda_kernelERKNS_10TensorBaseES3_lENKUlvE_clEvENKUlvE2_clEvENKUlN3c107complexIfEES8_E_clES8_S8_@rel32@lo+4
	s_addc_u32 s1, s1, _ZZZZN2at6native31launch_logcumsumexp_cuda_kernelERKNS_10TensorBaseES3_lENKUlvE_clEvENKUlvE2_clEvENKUlN3c107complexIfEES8_E_clES8_S8_@rel32@hi+12
	s_swappc_b64 s[30:31], s[0:1]
	v_mov_b32_e32 v61, v0
	v_mov_b32_e32 v27, v1
.LBB319_62:
	s_or_b64 exec, exec, s[42:43]
	v_cmp_gt_u32_e32 vcc, 62, v74
	v_add_u32_e32 v77, 2, v74
	s_waitcnt lgkmcnt(1)
	v_cndmask_b32_e64 v0, 0, 1, vcc
	v_lshlrev_b32_e32 v0, 1, v0
	v_add_lshl_u32 v76, v0, v71, 2
	ds_bpermute_b32 v0, v76, v61
	s_waitcnt lgkmcnt(1)
	ds_bpermute_b32 v1, v76, v27
	v_cmp_le_u32_e32 vcc, v77, v58
	s_and_saveexec_b64 s[42:43], vcc
	s_cbranch_execz .LBB319_64
; %bb.63:
	v_mov_b32_e32 v2, v61
	v_mov_b32_e32 v3, v27
	s_getpc_b64 s[0:1]
	s_add_u32 s0, s0, _ZZZZN2at6native31launch_logcumsumexp_cuda_kernelERKNS_10TensorBaseES3_lENKUlvE_clEvENKUlvE2_clEvENKUlN3c107complexIfEES8_E_clES8_S8_@rel32@lo+4
	s_addc_u32 s1, s1, _ZZZZN2at6native31launch_logcumsumexp_cuda_kernelERKNS_10TensorBaseES3_lENKUlvE_clEvENKUlvE2_clEvENKUlN3c107complexIfEES8_E_clES8_S8_@rel32@hi+12
	s_swappc_b64 s[30:31], s[0:1]
	v_mov_b32_e32 v61, v0
	v_mov_b32_e32 v27, v1
.LBB319_64:
	s_or_b64 exec, exec, s[42:43]
	v_cmp_gt_u32_e32 vcc, 60, v74
	v_add_u32_e32 v79, 4, v74
	s_waitcnt lgkmcnt(1)
	v_cndmask_b32_e64 v0, 0, 1, vcc
	v_lshlrev_b32_e32 v0, 2, v0
	v_add_lshl_u32 v78, v0, v71, 2
	ds_bpermute_b32 v0, v78, v61
	s_waitcnt lgkmcnt(1)
	ds_bpermute_b32 v1, v78, v27
	v_cmp_le_u32_e32 vcc, v79, v58
	;; [unrolled: 23-line block ×4, first 2 shown]
	s_and_saveexec_b64 s[42:43], vcc
	s_cbranch_execz .LBB319_70
; %bb.69:
	v_mov_b32_e32 v2, v61
	v_mov_b32_e32 v3, v27
	s_getpc_b64 s[0:1]
	s_add_u32 s0, s0, _ZZZZN2at6native31launch_logcumsumexp_cuda_kernelERKNS_10TensorBaseES3_lENKUlvE_clEvENKUlvE2_clEvENKUlN3c107complexIfEES8_E_clES8_S8_@rel32@lo+4
	s_addc_u32 s1, s1, _ZZZZN2at6native31launch_logcumsumexp_cuda_kernelERKNS_10TensorBaseES3_lENKUlvE_clEvENKUlvE2_clEvENKUlN3c107complexIfEES8_E_clES8_S8_@rel32@hi+12
	s_swappc_b64 s[30:31], s[0:1]
	v_mov_b32_e32 v61, v0
	v_mov_b32_e32 v27, v1
.LBB319_70:
	s_or_b64 exec, exec, s[42:43]
	v_cmp_gt_u32_e32 vcc, 32, v74
	v_add_u32_e32 v84, 32, v74
	v_cmp_gt_u32_e64 s[0:1], v84, v58
	s_waitcnt lgkmcnt(1)
	v_cndmask_b32_e64 v0, 0, 1, vcc
	v_lshlrev_b32_e32 v0, 5, v0
	v_add_lshl_u32 v85, v0, v71, 2
	ds_bpermute_b32 v60, v85, v61
	ds_bpermute_b32 v57, v85, v27
	s_mov_b64 s[42:43], 0
	v_mov_b32_e32 v71, 0
	s_mov_b32 s49, 0x70605
	s_mov_b32 s50, 0x1000706
	;; [unrolled: 1-line block ×4, first 2 shown]
	v_mov_b32_e32 v86, 2
	s_waitcnt lgkmcnt(2)
	v_mov_b32_e32 v1, v27
	v_mov_b32_e32 v0, v61
                                        ; implicit-def: $sgpr44_sgpr45
	s_branch .LBB319_73
.LBB319_71:                             ;   in Loop: Header=BB319_73 Depth=1
	s_or_b64 exec, exec, s[42:43]
	v_subrev_u32_e32 v70, 64, v70
	s_mov_b64 s[0:1], 0
.LBB319_72:                             ;   in Loop: Header=BB319_73 Depth=1
	s_and_b64 vcc, exec, s[0:1]
	s_mov_b64 s[42:43], 0
	v_mov_b32_e32 v27, v59
	v_mov_b32_e32 v61, v58
                                        ; implicit-def: $sgpr44_sgpr45
                                        ; implicit-def: $vgpr1
                                        ; implicit-def: $vgpr0
	s_cbranch_vccnz .LBB319_97
.LBB319_73:                             ; =>This Loop Header: Depth=1
                                        ;     Child Loop BB319_79 Depth 2
                                        ;       Child Loop BB319_80 Depth 3
	s_waitcnt lgkmcnt(1)
	v_mov_b32_e32 v58, v0
	s_waitcnt lgkmcnt(0)
	v_mov_b32_e32 v59, v1
	s_xor_b64 s[4:5], s[0:1], -1
	s_or_b64 s[44:45], s[44:45], exec
                                        ; implicit-def: $sgpr2_sgpr3
                                        ; implicit-def: $vgpr0
                                        ; implicit-def: $vgpr1
	s_and_saveexec_b64 s[6:7], s[4:5]
	s_xor_b64 s[46:47], exec, s[6:7]
	s_cbranch_execz .LBB319_75
; %bb.74:                               ;   in Loop: Header=BB319_73 Depth=1
	s_waitcnt lgkmcnt(1)
	v_mov_b32_e32 v0, v60
	s_waitcnt lgkmcnt(0)
	v_mov_b32_e32 v1, v57
	v_mov_b32_e32 v2, v61
	;; [unrolled: 1-line block ×3, first 2 shown]
	s_getpc_b64 s[0:1]
	s_add_u32 s0, s0, _ZZZZN2at6native31launch_logcumsumexp_cuda_kernelERKNS_10TensorBaseES3_lENKUlvE_clEvENKUlvE2_clEvENKUlN3c107complexIfEES8_E_clES8_S8_@rel32@lo+4
	s_addc_u32 s1, s1, _ZZZZN2at6native31launch_logcumsumexp_cuda_kernelERKNS_10TensorBaseES3_lENKUlvE_clEvENKUlvE2_clEvENKUlN3c107complexIfEES8_E_clES8_S8_@rel32@hi+12
	s_swappc_b64 s[30:31], s[0:1]
	s_mov_b64 s[2:3], -1
	s_andn2_b64 s[44:45], s[44:45], exec
                                        ; implicit-def: $sgpr0_sgpr1
.LBB319_75:                             ;   in Loop: Header=BB319_73 Depth=1
	s_or_b64 exec, exec, s[46:47]
	s_and_b64 s[4:5], exec, s[44:45]
	s_or_b64 s[42:43], s[4:5], s[42:43]
	s_andn2_b64 s[0:1], s[0:1], exec
	s_and_b64 s[2:3], s[2:3], exec
	s_or_b64 s[0:1], s[0:1], s[2:3]
	s_andn2_b64 exec, exec, s[42:43]
	s_cbranch_execnz .LBB319_73
; %bb.76:                               ;   in Loop: Header=BB319_73 Depth=1
	s_or_b64 exec, exec, s[42:43]
	v_cmp_ne_u16_sdwa s[0:1], v62, v86 src0_sel:BYTE_0 src1_sel:DWORD
	s_nop 1
	v_cndmask_b32_e64 v0, 0, 1, s[0:1]
	;;#ASMSTART
	;;#ASMEND
	s_nop 0
	v_cmp_ne_u32_e32 vcc, 0, v0
	s_cmp_lg_u64 vcc, exec
	s_cbranch_scc1 .LBB319_95
; %bb.77:                               ;   in Loop: Header=BB319_73 Depth=1
	v_lshl_add_u64 v[0:1], v[70:71], 4, s[38:39]
	s_waitcnt lgkmcnt(1)
	;;#ASMSTART
	global_load_dwordx4 v[60:63], v[0:1] off sc1	
s_waitcnt vmcnt(0)
	;;#ASMEND
	s_nop 0
	v_perm_b32 v2, v61, v62, s49
	v_perm_b32 v3, v61, v62, s50
	;; [unrolled: 1-line block ×3, first 2 shown]
	v_lshlrev_b32_e32 v2, 8, v2
	v_lshlrev_b32_e32 v3, 16, v3
	v_perm_b32 v2, v2, v61, s52
	v_and_b32_e32 v3, 0xff0000, v3
	v_lshlrev_b32_e32 v4, 24, v4
	s_waitcnt lgkmcnt(0)
	v_or3_b32 v57, v2, v3, v4
	v_cmp_eq_u16_sdwa s[2:3], v62, v71 src0_sel:BYTE_0 src1_sel:DWORD
	s_and_saveexec_b64 s[0:1], s[2:3]
	s_cbranch_execz .LBB319_83
; %bb.78:                               ;   in Loop: Header=BB319_73 Depth=1
	s_mov_b32 s4, 1
	s_mov_b64 s[2:3], 0
.LBB319_79:                             ;   Parent Loop BB319_73 Depth=1
                                        ; =>  This Loop Header: Depth=2
                                        ;       Child Loop BB319_80 Depth 3
	s_max_u32 s5, s4, 1
.LBB319_80:                             ;   Parent Loop BB319_73 Depth=1
                                        ;     Parent Loop BB319_79 Depth=2
                                        ; =>    This Inner Loop Header: Depth=3
	s_add_i32 s5, s5, -1
	s_cmp_eq_u32 s5, 0
	s_sleep 1
	s_cbranch_scc0 .LBB319_80
; %bb.81:                               ;   in Loop: Header=BB319_79 Depth=2
	s_cmp_lt_u32 s4, 32
	s_cselect_b64 s[6:7], -1, 0
	s_cmp_lg_u64 s[6:7], 0
	s_addc_u32 s4, s4, 0
	;;#ASMSTART
	global_load_dwordx4 v[60:63], v[0:1] off sc1	
s_waitcnt vmcnt(0)
	;;#ASMEND
	s_nop 0
	v_cmp_ne_u16_sdwa s[6:7], v62, v71 src0_sel:BYTE_0 src1_sel:DWORD
	s_or_b64 s[2:3], s[6:7], s[2:3]
	s_andn2_b64 exec, exec, s[2:3]
	s_cbranch_execnz .LBB319_79
; %bb.82:                               ;   in Loop: Header=BB319_73 Depth=1
	s_or_b64 exec, exec, s[2:3]
	v_perm_b32 v0, v61, v62, s49
	v_perm_b32 v1, v61, v62, s50
	;; [unrolled: 1-line block ×3, first 2 shown]
	v_lshlrev_b32_e32 v0, 8, v0
	v_lshlrev_b32_e32 v1, 16, v1
	v_perm_b32 v0, v0, v61, s52
	v_and_b32_e32 v1, 0xff0000, v1
	v_lshlrev_b32_e32 v2, 24, v2
	v_or3_b32 v57, v0, v1, v2
.LBB319_83:                             ;   in Loop: Header=BB319_73 Depth=1
	s_or_b64 exec, exec, s[0:1]
	v_cmp_eq_u16_sdwa s[0:1], v62, v86 src0_sel:BYTE_0 src1_sel:DWORD
	ds_bpermute_b32 v1, v75, v57
	s_nop 0
	v_and_b32_e32 v0, s1, v73
	v_or_b32_e32 v0, 0x80000000, v0
	v_ffbl_b32_e32 v3, v0
	ds_bpermute_b32 v0, v75, v60
	v_and_b32_e32 v2, s0, v72
	v_add_u32_e32 v3, 32, v3
	v_ffbl_b32_e32 v2, v2
	v_min_u32_e32 v27, v2, v3
	v_cmp_lt_u32_e32 vcc, v74, v27
	s_and_saveexec_b64 s[42:43], vcc
	s_cbranch_execz .LBB319_85
; %bb.84:                               ;   in Loop: Header=BB319_73 Depth=1
	v_mov_b32_e32 v2, v60
	v_mov_b32_e32 v3, v57
	s_getpc_b64 s[0:1]
	s_add_u32 s0, s0, _ZZZZN2at6native31launch_logcumsumexp_cuda_kernelERKNS_10TensorBaseES3_lENKUlvE_clEvENKUlvE2_clEvENKUlN3c107complexIfEES8_E_clES8_S8_@rel32@lo+4
	s_addc_u32 s1, s1, _ZZZZN2at6native31launch_logcumsumexp_cuda_kernelERKNS_10TensorBaseES3_lENKUlvE_clEvENKUlvE2_clEvENKUlN3c107complexIfEES8_E_clES8_S8_@rel32@hi+12
	s_swappc_b64 s[30:31], s[0:1]
	v_mov_b32_e32 v60, v0
	v_mov_b32_e32 v57, v1
.LBB319_85:                             ;   in Loop: Header=BB319_73 Depth=1
	s_or_b64 exec, exec, s[42:43]
	s_waitcnt lgkmcnt(0)
	ds_bpermute_b32 v0, v76, v60
	ds_bpermute_b32 v1, v76, v57
	v_cmp_le_u32_e32 vcc, v77, v27
	s_and_saveexec_b64 s[42:43], vcc
	s_cbranch_execz .LBB319_87
; %bb.86:                               ;   in Loop: Header=BB319_73 Depth=1
	v_mov_b32_e32 v2, v60
	v_mov_b32_e32 v3, v57
	s_getpc_b64 s[0:1]
	s_add_u32 s0, s0, _ZZZZN2at6native31launch_logcumsumexp_cuda_kernelERKNS_10TensorBaseES3_lENKUlvE_clEvENKUlvE2_clEvENKUlN3c107complexIfEES8_E_clES8_S8_@rel32@lo+4
	s_addc_u32 s1, s1, _ZZZZN2at6native31launch_logcumsumexp_cuda_kernelERKNS_10TensorBaseES3_lENKUlvE_clEvENKUlvE2_clEvENKUlN3c107complexIfEES8_E_clES8_S8_@rel32@hi+12
	s_swappc_b64 s[30:31], s[0:1]
	v_mov_b32_e32 v60, v0
	v_mov_b32_e32 v57, v1
.LBB319_87:                             ;   in Loop: Header=BB319_73 Depth=1
	s_or_b64 exec, exec, s[42:43]
	s_waitcnt lgkmcnt(1)
	ds_bpermute_b32 v0, v78, v60
	s_waitcnt lgkmcnt(1)
	ds_bpermute_b32 v1, v78, v57
	v_cmp_le_u32_e32 vcc, v79, v27
	s_and_saveexec_b64 s[42:43], vcc
	s_cbranch_execz .LBB319_89
; %bb.88:                               ;   in Loop: Header=BB319_73 Depth=1
	v_mov_b32_e32 v2, v60
	v_mov_b32_e32 v3, v57
	s_getpc_b64 s[0:1]
	s_add_u32 s0, s0, _ZZZZN2at6native31launch_logcumsumexp_cuda_kernelERKNS_10TensorBaseES3_lENKUlvE_clEvENKUlvE2_clEvENKUlN3c107complexIfEES8_E_clES8_S8_@rel32@lo+4
	s_addc_u32 s1, s1, _ZZZZN2at6native31launch_logcumsumexp_cuda_kernelERKNS_10TensorBaseES3_lENKUlvE_clEvENKUlvE2_clEvENKUlN3c107complexIfEES8_E_clES8_S8_@rel32@hi+12
	s_swappc_b64 s[30:31], s[0:1]
	v_mov_b32_e32 v60, v0
	v_mov_b32_e32 v57, v1
.LBB319_89:                             ;   in Loop: Header=BB319_73 Depth=1
	s_or_b64 exec, exec, s[42:43]
	s_waitcnt lgkmcnt(1)
	ds_bpermute_b32 v0, v80, v60
	s_waitcnt lgkmcnt(1)
	;; [unrolled: 18-line block ×4, first 2 shown]
	ds_bpermute_b32 v1, v85, v57
	v_cmp_le_u32_e32 vcc, v84, v27
	s_and_saveexec_b64 s[42:43], vcc
	s_cbranch_execz .LBB319_71
; %bb.94:                               ;   in Loop: Header=BB319_73 Depth=1
	v_mov_b32_e32 v2, v60
	v_mov_b32_e32 v3, v57
	s_getpc_b64 s[0:1]
	s_add_u32 s0, s0, _ZZZZN2at6native31launch_logcumsumexp_cuda_kernelERKNS_10TensorBaseES3_lENKUlvE_clEvENKUlvE2_clEvENKUlN3c107complexIfEES8_E_clES8_S8_@rel32@lo+4
	s_addc_u32 s1, s1, _ZZZZN2at6native31launch_logcumsumexp_cuda_kernelERKNS_10TensorBaseES3_lENKUlvE_clEvENKUlvE2_clEvENKUlN3c107complexIfEES8_E_clES8_S8_@rel32@hi+12
	s_swappc_b64 s[30:31], s[0:1]
	v_mov_b32_e32 v60, v0
	v_mov_b32_e32 v57, v1
	s_branch .LBB319_71
.LBB319_95:                             ;   in Loop: Header=BB319_73 Depth=1
	s_mov_b64 s[0:1], -1
                                        ; implicit-def: $vgpr60
                                        ; implicit-def: $vgpr57
	s_branch .LBB319_72
.LBB319_96:
                                        ; implicit-def: $vgpr90_vgpr91_vgpr92_vgpr93
                                        ; implicit-def: $vgpr88_vgpr89_vgpr90_vgpr91
                                        ; implicit-def: $vgpr73
                                        ; implicit-def: $vgpr75
                                        ; implicit-def: $vgpr56
                                        ; implicit-def: $vgpr58
                                        ; implicit-def: $vgpr60
                                        ; implicit-def: $vgpr62
                                        ; implicit-def: $vgpr68
                                        ; implicit-def: $vgpr70
                                        ; implicit-def: $vgpr86_vgpr87_vgpr88_vgpr89
                                        ; implicit-def: $vgpr84_vgpr85_vgpr86_vgpr87
                                        ; implicit-def: $vgpr82_vgpr83_vgpr84_vgpr85
                                        ; implicit-def: $vgpr80_vgpr81_vgpr82_vgpr83
                                        ; implicit-def: $vgpr78_vgpr79_vgpr80_vgpr81
	s_load_dwordx8 s[20:27], s[16:17], 0x40
	s_cbranch_execnz .LBB319_104
	s_branch .LBB319_127
.LBB319_97:
	s_and_saveexec_b64 s[42:43], s[22:23]
	s_cbranch_execz .LBB319_99
; %bb.98:
	s_waitcnt lgkmcnt(1)
	v_mov_b32_e32 v0, v58
	s_waitcnt lgkmcnt(0)
	v_mov_b32_e32 v1, v59
	v_mov_b32_e32 v2, v56
	;; [unrolled: 1-line block ×3, first 2 shown]
	s_getpc_b64 s[0:1]
	s_add_u32 s0, s0, _ZZZZN2at6native31launch_logcumsumexp_cuda_kernelERKNS_10TensorBaseES3_lENKUlvE_clEvENKUlvE2_clEvENKUlN3c107complexIfEES8_E_clES8_S8_@rel32@lo+4
	s_addc_u32 s1, s1, _ZZZZN2at6native31launch_logcumsumexp_cuda_kernelERKNS_10TensorBaseES3_lENKUlvE_clEvENKUlvE2_clEvENKUlN3c107complexIfEES8_E_clES8_S8_@rel32@hi+12
	s_swappc_b64 s[30:31], s[0:1]
	s_add_i32 s0, s24, 64
	s_mov_b32 s1, 0
	s_lshl_b64 s[0:1], s[0:1], 4
	s_add_u32 s0, s38, s0
	v_and_b32_e32 v2, 0xff000000, v1
	v_and_b32_e32 v4, 0xff0000, v1
	s_addc_u32 s1, s39, s1
	v_or_b32_e32 v2, v4, v2
	v_and_b32_e32 v4, 0xff00, v1
	v_and_b32_e32 v1, 0xff, v1
	v_mov_b32_e32 v3, 0
	v_or3_b32 v1, v2, v4, v1
	v_mov_b32_e32 v2, 2
	v_mov_b64_e32 v[4:5], s[0:1]
	;;#ASMSTART
	global_store_dwordx4 v[4:5], v[0:3] off sc1	
s_waitcnt vmcnt(0)
	;;#ASMEND
.LBB319_99:
	s_or_b64 exec, exec, s[42:43]
	s_and_b64 exec, exec, s[20:21]
	s_cbranch_execz .LBB319_101
; %bb.100:
	s_waitcnt lgkmcnt(1)
	v_mov_b32_e32 v0, 0
	ds_write_b64 v0, v[58:59]
.LBB319_101:
	s_or_b64 exec, exec, s[26:27]
	s_waitcnt lgkmcnt(1)
	v_mov_b32_e32 v0, 0
	s_waitcnt lgkmcnt(0)
	s_barrier
	ds_read_b64 v[56:57], v0
	v_mov_b32_e32 v2, v28
	v_mov_b32_e32 v3, v29
	s_and_saveexec_b64 s[20:21], s[18:19]
	s_cbranch_execz .LBB319_103
; %bb.102:
	v_mov_b32_e32 v0, v68
	v_mov_b32_e32 v1, v69
	;; [unrolled: 1-line block ×4, first 2 shown]
	s_getpc_b64 s[0:1]
	s_add_u32 s0, s0, _ZZZZN2at6native31launch_logcumsumexp_cuda_kernelERKNS_10TensorBaseES3_lENKUlvE_clEvENKUlvE2_clEvENKUlN3c107complexIfEES8_E_clES8_S8_@rel32@lo+4
	s_addc_u32 s1, s1, _ZZZZN2at6native31launch_logcumsumexp_cuda_kernelERKNS_10TensorBaseES3_lENKUlvE_clEvENKUlvE2_clEvENKUlN3c107complexIfEES8_E_clES8_S8_@rel32@hi+12
	s_swappc_b64 s[30:31], s[0:1]
	v_mov_b32_e32 v2, v0
	v_mov_b32_e32 v3, v1
.LBB319_103:
	s_or_b64 exec, exec, s[20:21]
	s_waitcnt lgkmcnt(0)
	v_mov_b32_e32 v0, v56
	v_mov_b32_e32 v1, v57
	s_getpc_b64 s[18:19]
	s_add_u32 s18, s18, _ZZZZN2at6native31launch_logcumsumexp_cuda_kernelERKNS_10TensorBaseES3_lENKUlvE_clEvENKUlvE2_clEvENKUlN3c107complexIfEES8_E_clES8_S8_@rel32@lo+4
	s_addc_u32 s19, s19, _ZZZZN2at6native31launch_logcumsumexp_cuda_kernelERKNS_10TensorBaseES3_lENKUlvE_clEvENKUlvE2_clEvENKUlN3c107complexIfEES8_E_clES8_S8_@rel32@hi+12
	s_swappc_b64 s[30:31], s[18:19]
	v_mov_b32_e32 v2, v30
	v_mov_b32_e32 v3, v31
	v_mov_b32_e32 v74, v0
	v_mov_b32_e32 v75, v1
	s_swappc_b64 s[30:31], s[18:19]
	v_mov_b32_e32 v2, v52
	v_mov_b32_e32 v3, v53
	v_mov_b32_e32 v80, v0
	v_mov_b32_e32 v81, v1
	;; [unrolled: 5-line block ×14, first 2 shown]
	s_swappc_b64 s[30:31], s[18:19]
	v_mov_b32_e32 v72, v0
	v_mov_b32_e32 v73, v1
	s_load_dwordx8 s[20:27], s[16:17], 0x40
	s_branch .LBB319_127
.LBB319_104:
	s_waitcnt lgkmcnt(0)
	s_cmp_lg_u64 s[24:25], 0
	s_cselect_b64 s[0:1], -1, 0
	v_cmp_eq_u32_e64 s[18:19], 0, v64
	v_cmp_ne_u32_e64 s[16:17], 0, v64
	s_and_b64 s[0:1], s[18:19], s[0:1]
	s_and_saveexec_b64 s[24:25], s[0:1]
	s_cbranch_execz .LBB319_106
; %bb.105:
	v_mov_b32_e32 v0, 0
	global_load_dwordx2 v[0:1], v0, s[20:21]
	v_mov_b32_e32 v2, v28
	v_mov_b32_e32 v3, v29
	s_getpc_b64 s[0:1]
	s_add_u32 s0, s0, _ZZZZN2at6native31launch_logcumsumexp_cuda_kernelERKNS_10TensorBaseES3_lENKUlvE_clEvENKUlvE2_clEvENKUlN3c107complexIfEES8_E_clES8_S8_@rel32@lo+4
	s_addc_u32 s1, s1, _ZZZZN2at6native31launch_logcumsumexp_cuda_kernelERKNS_10TensorBaseES3_lENKUlvE_clEvENKUlvE2_clEvENKUlN3c107complexIfEES8_E_clES8_S8_@rel32@hi+12
	s_swappc_b64 s[30:31], s[0:1]
	v_mov_b32_e32 v28, v0
	v_mov_b32_e32 v29, v1
.LBB319_106:
	s_or_b64 exec, exec, s[24:25]
	v_mov_b32_e32 v0, v28
	v_mov_b32_e32 v1, v29
	;; [unrolled: 1-line block ×4, first 2 shown]
	s_getpc_b64 s[24:25]
	s_add_u32 s24, s24, _ZZZZN2at6native31launch_logcumsumexp_cuda_kernelERKNS_10TensorBaseES3_lENKUlvE_clEvENKUlvE2_clEvENKUlN3c107complexIfEES8_E_clES8_S8_@rel32@lo+4
	s_addc_u32 s25, s25, _ZZZZN2at6native31launch_logcumsumexp_cuda_kernelERKNS_10TensorBaseES3_lENKUlvE_clEvENKUlvE2_clEvENKUlN3c107complexIfEES8_E_clES8_S8_@rel32@hi+12
	s_swappc_b64 s[30:31], s[24:25]
	v_mov_b32_e32 v2, v52
	v_mov_b32_e32 v3, v53
	v_mov_b32_e32 v80, v0
	v_mov_b32_e32 v81, v1
	s_swappc_b64 s[30:31], s[24:25]
	v_mov_b32_e32 v2, v54
	v_mov_b32_e32 v3, v55
	v_mov_b32_e32 v56, v0
	v_mov_b32_e32 v57, v1
	;; [unrolled: 5-line block ×13, first 2 shown]
	s_swappc_b64 s[30:31], s[24:25]
	v_mov_b32_e32 v72, v0
	v_lshrrev_b32_e32 v0, 5, v64
	v_mov_b32_e32 v73, v1
	v_add_lshl_u32 v0, v0, v64, 3
	v_cmp_gt_u32_e32 vcc, 64, v64
	ds_write_b64 v0, v[72:73]
	s_waitcnt lgkmcnt(0)
	s_barrier
	s_and_saveexec_b64 s[20:21], vcc
	s_cbranch_execz .LBB319_120
; %bb.107:
	v_lshlrev_b32_e32 v0, 2, v64
	v_lshrrev_b32_e32 v1, 3, v64
	v_add_lshl_u32 v27, v1, v0, 3
	ds_read_b64 v[74:75], v27
	ds_read2_b64 v[76:79], v27 offset0:1 offset1:2
	s_waitcnt lgkmcnt(1)
	v_mov_b32_e32 v0, v74
	v_mov_b32_e32 v1, v75
	s_waitcnt lgkmcnt(0)
	v_mov_b32_e32 v2, v76
	v_mov_b32_e32 v3, v77
	s_swappc_b64 s[30:31], s[24:25]
	v_mov_b32_e32 v2, v78
	v_mov_b32_e32 v3, v79
	s_swappc_b64 s[30:31], s[24:25]
	ds_read_b64 v[2:3], v27 offset:24
	s_swappc_b64 s[30:31], s[24:25]
	v_mov_b32_e32 v2, v0
	v_mbcnt_lo_u32_b32 v0, -1, 0
	v_mbcnt_hi_u32_b32 v76, -1, v0
	v_mov_b32_e32 v3, v1
	v_and_b32_e32 v77, 15, v76
	v_mov_b32_dpp v0, v2 row_shr:1 row_mask:0xf bank_mask:0xf
	v_mov_b32_dpp v1, v3 row_shr:1 row_mask:0xf bank_mask:0xf
	v_cmp_ne_u32_e32 vcc, 0, v77
	s_and_saveexec_b64 s[24:25], vcc
	s_cbranch_execz .LBB319_109
; %bb.108:
	s_getpc_b64 s[0:1]
	s_add_u32 s0, s0, _ZZZZN2at6native31launch_logcumsumexp_cuda_kernelERKNS_10TensorBaseES3_lENKUlvE_clEvENKUlvE2_clEvENKUlN3c107complexIfEES8_E_clES8_S8_@rel32@lo+4
	s_addc_u32 s1, s1, _ZZZZN2at6native31launch_logcumsumexp_cuda_kernelERKNS_10TensorBaseES3_lENKUlvE_clEvENKUlvE2_clEvENKUlN3c107complexIfEES8_E_clES8_S8_@rel32@hi+12
	s_swappc_b64 s[30:31], s[0:1]
	v_mov_b32_e32 v2, v0
	v_mov_b32_e32 v3, v1
.LBB319_109:
	s_or_b64 exec, exec, s[24:25]
	v_mov_b32_dpp v0, v2 row_shr:2 row_mask:0xf bank_mask:0xf
	v_mov_b32_dpp v1, v3 row_shr:2 row_mask:0xf bank_mask:0xf
	v_cmp_lt_u32_e32 vcc, 1, v77
	s_and_saveexec_b64 s[24:25], vcc
	s_cbranch_execz .LBB319_111
; %bb.110:
	s_getpc_b64 s[0:1]
	s_add_u32 s0, s0, _ZZZZN2at6native31launch_logcumsumexp_cuda_kernelERKNS_10TensorBaseES3_lENKUlvE_clEvENKUlvE2_clEvENKUlN3c107complexIfEES8_E_clES8_S8_@rel32@lo+4
	s_addc_u32 s1, s1, _ZZZZN2at6native31launch_logcumsumexp_cuda_kernelERKNS_10TensorBaseES3_lENKUlvE_clEvENKUlvE2_clEvENKUlN3c107complexIfEES8_E_clES8_S8_@rel32@hi+12
	s_swappc_b64 s[30:31], s[0:1]
	v_mov_b32_e32 v2, v0
	v_mov_b32_e32 v3, v1
.LBB319_111:
	s_or_b64 exec, exec, s[24:25]
	v_mov_b32_dpp v0, v2 row_shr:4 row_mask:0xf bank_mask:0xf
	v_mov_b32_dpp v1, v3 row_shr:4 row_mask:0xf bank_mask:0xf
	v_cmp_lt_u32_e32 vcc, 3, v77
	;; [unrolled: 14-line block ×3, first 2 shown]
	s_and_saveexec_b64 s[24:25], vcc
	s_cbranch_execz .LBB319_115
; %bb.114:
	s_getpc_b64 s[0:1]
	s_add_u32 s0, s0, _ZZZZN2at6native31launch_logcumsumexp_cuda_kernelERKNS_10TensorBaseES3_lENKUlvE_clEvENKUlvE2_clEvENKUlN3c107complexIfEES8_E_clES8_S8_@rel32@lo+4
	s_addc_u32 s1, s1, _ZZZZN2at6native31launch_logcumsumexp_cuda_kernelERKNS_10TensorBaseES3_lENKUlvE_clEvENKUlvE2_clEvENKUlN3c107complexIfEES8_E_clES8_S8_@rel32@hi+12
	s_swappc_b64 s[30:31], s[0:1]
	v_mov_b32_e32 v2, v0
	v_mov_b32_e32 v3, v1
.LBB319_115:
	s_or_b64 exec, exec, s[24:25]
	v_and_b32_e32 v4, 16, v76
	v_mov_b32_dpp v0, v2 row_bcast:15 row_mask:0xf bank_mask:0xf
	v_mov_b32_dpp v1, v3 row_bcast:15 row_mask:0xf bank_mask:0xf
	v_cmp_ne_u32_e32 vcc, 0, v4
	s_and_saveexec_b64 s[24:25], vcc
	s_cbranch_execz .LBB319_117
; %bb.116:
	s_getpc_b64 s[0:1]
	s_add_u32 s0, s0, _ZZZZN2at6native31launch_logcumsumexp_cuda_kernelERKNS_10TensorBaseES3_lENKUlvE_clEvENKUlvE2_clEvENKUlN3c107complexIfEES8_E_clES8_S8_@rel32@lo+4
	s_addc_u32 s1, s1, _ZZZZN2at6native31launch_logcumsumexp_cuda_kernelERKNS_10TensorBaseES3_lENKUlvE_clEvENKUlvE2_clEvENKUlN3c107complexIfEES8_E_clES8_S8_@rel32@hi+12
	s_swappc_b64 s[30:31], s[0:1]
	v_mov_b32_e32 v2, v0
	v_mov_b32_e32 v3, v1
.LBB319_117:
	s_or_b64 exec, exec, s[24:25]
	v_mov_b32_dpp v0, v2 row_bcast:31 row_mask:0xf bank_mask:0xf
	v_mov_b32_dpp v1, v3 row_bcast:31 row_mask:0xf bank_mask:0xf
	v_cmp_lt_u32_e32 vcc, 31, v76
	s_and_saveexec_b64 s[24:25], vcc
	s_cbranch_execz .LBB319_119
; %bb.118:
	s_getpc_b64 s[0:1]
	s_add_u32 s0, s0, _ZZZZN2at6native31launch_logcumsumexp_cuda_kernelERKNS_10TensorBaseES3_lENKUlvE_clEvENKUlvE2_clEvENKUlN3c107complexIfEES8_E_clES8_S8_@rel32@lo+4
	s_addc_u32 s1, s1, _ZZZZN2at6native31launch_logcumsumexp_cuda_kernelERKNS_10TensorBaseES3_lENKUlvE_clEvENKUlvE2_clEvENKUlN3c107complexIfEES8_E_clES8_S8_@rel32@hi+12
	s_swappc_b64 s[30:31], s[0:1]
	v_mov_b32_e32 v2, v0
	v_mov_b32_e32 v3, v1
.LBB319_119:
	s_or_b64 exec, exec, s[24:25]
	v_add_u32_e32 v0, -1, v76
	v_and_b32_e32 v1, 64, v76
	v_cmp_lt_i32_e32 vcc, v0, v1
	s_getpc_b64 s[24:25]
	s_add_u32 s24, s24, _ZZZZN2at6native31launch_logcumsumexp_cuda_kernelERKNS_10TensorBaseES3_lENKUlvE_clEvENKUlvE2_clEvENKUlN3c107complexIfEES8_E_clES8_S8_@rel32@lo+4
	s_addc_u32 s25, s25, _ZZZZN2at6native31launch_logcumsumexp_cuda_kernelERKNS_10TensorBaseES3_lENKUlvE_clEvENKUlvE2_clEvENKUlN3c107complexIfEES8_E_clES8_S8_@rel32@hi+12
	v_cndmask_b32_e32 v0, v0, v76, vcc
	v_lshlrev_b32_e32 v1, 2, v0
	ds_bpermute_b32 v0, v1, v2
	ds_bpermute_b32 v1, v1, v3
	v_mov_b32_e32 v2, v74
	v_mov_b32_e32 v3, v75
	s_swappc_b64 s[30:31], s[24:25]
	v_cndmask_b32_e64 v0, v0, v72, s[18:19]
	v_cndmask_b32_e64 v1, v1, v73, s[18:19]
	; wave barrier
	ds_write_b64 v27, v[0:1]
	; wave barrier
	ds_read2_b64 v[74:77], v27 offset0:1 offset1:2
	s_waitcnt lgkmcnt(0)
	v_mov_b32_e32 v2, v74
	v_mov_b32_e32 v3, v75
	s_swappc_b64 s[30:31], s[24:25]
	v_mov_b32_e32 v2, v76
	v_mov_b32_e32 v3, v77
	;; [unrolled: 1-line block ×4, first 2 shown]
	s_swappc_b64 s[30:31], s[24:25]
	ds_read_b64 v[2:3], v27 offset:24
	ds_write2_b64 v27, v[74:75], v[0:1] offset0:1 offset1:2
	s_swappc_b64 s[30:31], s[24:25]
	ds_write_b64 v27, v[0:1] offset:24
.LBB319_120:
	s_or_b64 exec, exec, s[20:21]
	v_mov_b32_e32 v1, v73
	v_mov_b32_e32 v0, v72
	s_waitcnt lgkmcnt(0)
	s_barrier
	s_and_saveexec_b64 s[0:1], s[16:17]
	s_cbranch_execz .LBB319_122
; %bb.121:
	v_add_u32_e32 v0, -1, v64
	v_lshrrev_b32_e32 v1, 5, v0
	v_add_lshl_u32 v0, v1, v0, 3
	ds_read_b64 v[0:1], v0
.LBB319_122:
	s_or_b64 exec, exec, s[0:1]
	s_and_saveexec_b64 s[18:19], s[16:17]
	s_cbranch_execz .LBB319_124
; %bb.123:
	v_mov_b32_e32 v2, v28
	v_mov_b32_e32 v3, v29
	s_getpc_b64 s[16:17]
	s_add_u32 s16, s16, _ZZZZN2at6native31launch_logcumsumexp_cuda_kernelERKNS_10TensorBaseES3_lENKUlvE_clEvENKUlvE2_clEvENKUlN3c107complexIfEES8_E_clES8_S8_@rel32@lo+4
	s_addc_u32 s17, s17, _ZZZZN2at6native31launch_logcumsumexp_cuda_kernelERKNS_10TensorBaseES3_lENKUlvE_clEvENKUlvE2_clEvENKUlN3c107complexIfEES8_E_clES8_S8_@rel32@hi+12
	s_swappc_b64 s[30:31], s[16:17]
	v_mov_b32_e32 v2, v30
	v_mov_b32_e32 v3, v31
	;; [unrolled: 1-line block ×4, first 2 shown]
	;;#ASMSTART
	;;#ASMEND
	s_swappc_b64 s[30:31], s[16:17]
	v_mov_b32_e32 v2, v52
	v_mov_b32_e32 v3, v53
	v_mov_b32_e32 v80, v0
	v_mov_b32_e32 v81, v1
	s_swappc_b64 s[30:31], s[16:17]
	v_mov_b32_e32 v2, v54
	v_mov_b32_e32 v3, v55
	v_mov_b32_e32 v56, v0
	v_mov_b32_e32 v57, v1
	;; [unrolled: 5-line block ×13, first 2 shown]
	s_swappc_b64 s[30:31], s[16:17]
	v_mov_b32_e32 v72, v0
	v_mov_b32_e32 v73, v1
.LBB319_124:
	s_or_b64 exec, exec, s[18:19]
	s_movk_i32 s0, 0xff
	v_cmp_eq_u32_e32 vcc, s0, v64
	s_and_saveexec_b64 s[0:1], vcc
	s_cbranch_execz .LBB319_126
; %bb.125:
	s_add_u32 s2, s38, 0x400
	s_waitcnt lgkmcnt(0)
	v_and_b32_e32 v0, 0xff000000, v73
	v_and_b32_e32 v1, 0xff0000, v73
	s_addc_u32 s3, s39, 0
	v_or_b32_e32 v0, v1, v0
	v_and_b32_e32 v1, 0xff00, v73
	v_and_b32_e32 v2, 0xff, v73
	v_mov_b32_e32 v3, 0
	v_or3_b32 v1, v0, v1, v2
	v_mov_b32_e32 v2, 2
	v_mov_b32_e32 v0, v72
	v_mov_b64_e32 v[4:5], s[2:3]
	;;#ASMSTART
	global_store_dwordx4 v[4:5], v[0:3] off sc1	
s_waitcnt vmcnt(0)
	;;#ASMEND
.LBB319_126:
	s_or_b64 exec, exec, s[0:1]
	v_mov_b32_e32 v75, v29
	v_mov_b32_e32 v74, v28
.LBB319_127:
	s_add_u32 s0, s40, s34
	s_addc_u32 s1, s41, s35
	s_add_u32 s0, s0, s36
	s_addc_u32 s1, s1, s37
	s_mov_b64 s[2:3], -1
	s_and_b64 vcc, exec, s[28:29]
	s_waitcnt lgkmcnt(0)
	s_barrier
	s_cbranch_vccz .LBB319_129
; %bb.128:
	v_mul_u32_u24_e32 v0, 0x78, v64
	s_movk_i32 s2, 0x78
	ds_write2_b64 v0, v[74:75], v[80:81] offset1:1
	ds_write2_b64 v0, v[56:57], v[82:83] offset0:2 offset1:3
	ds_write2_b64 v0, v[58:59], v[84:85] offset0:4 offset1:5
	;; [unrolled: 1-line block ×6, first 2 shown]
	ds_write_b64 v0, v[72:73] offset:112
	v_mul_i32_i24_e32 v0, 0xffffff90, v64
	v_mad_u32_u24 v28, v64, s2, v0
	v_mov_b32_e32 v95, 0
	s_waitcnt lgkmcnt(0)
	s_barrier
	ds_read2st64_b64 v[0:3], v28 offset1:4
	ds_read2st64_b64 v[4:7], v28 offset0:8 offset1:12
	ds_read2st64_b64 v[8:11], v28 offset0:16 offset1:20
	;; [unrolled: 1-line block ×6, first 2 shown]
	ds_read_b64 v[28:29], v28 offset:28672
	v_lshl_add_u64 v[30:31], s[0:1], 0, v[94:95]
	s_movk_i32 s2, 0x1000
	s_waitcnt lgkmcnt(7)
	global_store_dwordx2 v94, v[0:1], s[0:1]
	global_store_dwordx2 v94, v[2:3], s[0:1] offset:2048
	v_add_co_u32_e32 v0, vcc, s2, v30
	s_movk_i32 s2, 0x2000
	s_nop 0
	v_addc_co_u32_e32 v1, vcc, 0, v31, vcc
	v_add_co_u32_e32 v2, vcc, s2, v30
	s_movk_i32 s2, 0x3000
	s_nop 0
	v_addc_co_u32_e32 v3, vcc, 0, v31, vcc
	s_waitcnt lgkmcnt(6)
	global_store_dwordx2 v[2:3], v[4:5], off offset:-4096
	global_store_dwordx2 v[0:1], v[6:7], off offset:2048
	s_waitcnt lgkmcnt(5)
	global_store_dwordx2 v[2:3], v[8:9], off
	global_store_dwordx2 v[2:3], v[10:11], off offset:2048
	v_add_co_u32_e32 v0, vcc, s2, v30
	s_movk_i32 s2, 0x4000
	s_nop 0
	v_addc_co_u32_e32 v1, vcc, 0, v31, vcc
	v_add_co_u32_e32 v2, vcc, s2, v30
	s_movk_i32 s2, 0x5000
	s_nop 0
	v_addc_co_u32_e32 v3, vcc, 0, v31, vcc
	s_waitcnt lgkmcnt(4)
	global_store_dwordx2 v[2:3], v[12:13], off offset:-4096
	global_store_dwordx2 v[0:1], v[14:15], off offset:2048
	s_waitcnt lgkmcnt(3)
	global_store_dwordx2 v[2:3], v[16:17], off
	global_store_dwordx2 v[2:3], v[18:19], off offset:2048
	v_add_co_u32_e32 v0, vcc, s2, v30
	s_mov_b64 s[2:3], 0
	s_nop 0
	v_addc_co_u32_e32 v1, vcc, 0, v31, vcc
	s_waitcnt lgkmcnt(2)
	global_store_dwordx2 v[0:1], v[20:21], off
	global_store_dwordx2 v[0:1], v[22:23], off offset:2048
	v_add_co_u32_e32 v0, vcc, 0x6000, v30
	s_nop 1
	v_addc_co_u32_e32 v1, vcc, 0, v31, vcc
	s_waitcnt lgkmcnt(1)
	global_store_dwordx2 v[0:1], v[24:25], off
	global_store_dwordx2 v[0:1], v[26:27], off offset:2048
	v_add_co_u32_e32 v0, vcc, 0x7000, v30
	s_nop 1
	v_addc_co_u32_e32 v1, vcc, 0, v31, vcc
	s_waitcnt lgkmcnt(0)
	global_store_dwordx2 v[0:1], v[28:29], off
.LBB319_129:
	s_andn2_b64 vcc, exec, s[2:3]
	s_cbranch_vccnz .LBB319_215
; %bb.130:
	s_movk_i32 s2, 0xff90
	v_mad_i32_i24 v28, v64, s2, v65
	ds_write2_b64 v65, v[74:75], v[80:81] offset1:1
	ds_write2_b64 v65, v[56:57], v[82:83] offset0:2 offset1:3
	ds_write2_b64 v65, v[58:59], v[84:85] offset0:4 offset1:5
	;; [unrolled: 1-line block ×6, first 2 shown]
	ds_write_b64 v65, v[72:73] offset:112
	s_waitcnt lgkmcnt(0)
	s_barrier
	ds_read2st64_b64 v[4:7], v28 offset1:4
	ds_read2st64_b64 v[12:15], v28 offset0:8 offset1:12
	ds_read2st64_b64 v[8:11], v28 offset0:16 offset1:20
	;; [unrolled: 1-line block ×6, first 2 shown]
	ds_read_b64 v[28:29], v28 offset:28672
	v_mov_b32_e32 v95, 0
	v_lshl_add_u64 v[30:31], s[0:1], 0, v[94:95]
	v_cmp_gt_u32_e32 vcc, s33, v64
	s_and_saveexec_b64 s[0:1], vcc
	s_cbranch_execz .LBB319_132
; %bb.131:
	s_waitcnt lgkmcnt(7)
	global_store_dwordx2 v[30:31], v[4:5], off
.LBB319_132:
	s_or_b64 exec, exec, s[0:1]
	v_or_b32_e32 v32, 0x100, v64
	v_cmp_gt_u32_e32 vcc, s33, v32
	s_and_saveexec_b64 s[0:1], vcc
	s_cbranch_execz .LBB319_134
; %bb.133:
	s_waitcnt lgkmcnt(7)
	global_store_dwordx2 v[30:31], v[6:7], off offset:2048
.LBB319_134:
	s_or_b64 exec, exec, s[0:1]
	v_or_b32_e32 v32, 0x200, v64
	v_cmp_gt_u32_e32 vcc, s33, v32
	s_and_saveexec_b64 s[0:1], vcc
	s_cbranch_execz .LBB319_136
; %bb.135:
	v_add_co_u32_e32 v32, vcc, 0x1000, v30
	s_nop 1
	v_addc_co_u32_e32 v33, vcc, 0, v31, vcc
	s_waitcnt lgkmcnt(6)
	global_store_dwordx2 v[32:33], v[12:13], off
.LBB319_136:
	s_or_b64 exec, exec, s[0:1]
	v_or_b32_e32 v32, 0x300, v64
	v_cmp_gt_u32_e32 vcc, s33, v32
	s_and_saveexec_b64 s[0:1], vcc
	s_cbranch_execz .LBB319_138
; %bb.137:
	v_add_co_u32_e32 v32, vcc, 0x1000, v30
	s_nop 1
	v_addc_co_u32_e32 v33, vcc, 0, v31, vcc
	s_waitcnt lgkmcnt(6)
	global_store_dwordx2 v[32:33], v[14:15], off offset:2048
.LBB319_138:
	s_or_b64 exec, exec, s[0:1]
	v_or_b32_e32 v32, 0x400, v64
	v_cmp_gt_u32_e32 vcc, s33, v32
	s_and_saveexec_b64 s[0:1], vcc
	s_cbranch_execz .LBB319_140
; %bb.139:
	v_add_co_u32_e32 v32, vcc, 0x2000, v30
	s_nop 1
	v_addc_co_u32_e32 v33, vcc, 0, v31, vcc
	s_waitcnt lgkmcnt(5)
	global_store_dwordx2 v[32:33], v[8:9], off
.LBB319_140:
	s_or_b64 exec, exec, s[0:1]
	v_or_b32_e32 v32, 0x500, v64
	v_cmp_gt_u32_e32 vcc, s33, v32
	s_and_saveexec_b64 s[0:1], vcc
	s_cbranch_execz .LBB319_142
; %bb.141:
	v_add_co_u32_e32 v32, vcc, 0x2000, v30
	s_nop 1
	v_addc_co_u32_e32 v33, vcc, 0, v31, vcc
	s_waitcnt lgkmcnt(5)
	global_store_dwordx2 v[32:33], v[10:11], off offset:2048
.LBB319_142:
	;; [unrolled: 24-line block ×6, first 2 shown]
	s_or_b64 exec, exec, s[0:1]
	v_or_b32_e32 v32, 0xe00, v64
	v_cmp_gt_u32_e32 vcc, s33, v32
	s_and_saveexec_b64 s[0:1], vcc
	s_cbranch_execz .LBB319_160
; %bb.159:
	v_add_co_u32_e32 v30, vcc, 0x7000, v30
	s_nop 1
	v_addc_co_u32_e32 v31, vcc, 0, v31, vcc
	s_waitcnt lgkmcnt(0)
	global_store_dwordx2 v[30:31], v[28:29], off
.LBB319_160:
	s_or_b64 exec, exec, s[0:1]
	v_cmp_lt_u64_e64 s[0:1], s[26:27], 2
	s_and_b64 vcc, exec, s[0:1]
	s_cbranch_vccnz .LBB319_215
; %bb.161:
	s_add_u32 s0, s33, -1
	s_addc_u32 s1, s48, -1
	s_add_u32 s2, 0, 0x11108400
	s_addc_u32 s3, 0, 49
	s_add_i32 s3, s3, 0x111110e0
	s_mul_hi_u32 s7, s2, -15
	s_sub_i32 s7, s7, s2
	s_mul_i32 s8, s3, -15
	s_mul_i32 s4, s2, -15
	s_add_i32 s7, s7, s8
	s_mul_hi_u32 s5, s3, s4
	s_mul_i32 s6, s3, s4
	s_mul_i32 s9, s2, s7
	s_mul_hi_u32 s4, s2, s4
	s_mul_hi_u32 s8, s2, s7
	s_add_u32 s4, s4, s9
	s_addc_u32 s8, 0, s8
	s_add_u32 s4, s4, s6
	s_mul_hi_u32 s9, s3, s7
	s_addc_u32 s4, s8, s5
	s_addc_u32 s5, s9, 0
	s_mul_i32 s6, s3, s7
	s_add_u32 s4, s4, s6
	v_mov_b32_e32 v30, s4
	s_addc_u32 s5, 0, s5
	v_add_co_u32_e32 v30, vcc, s2, v30
	s_cmp_lg_u64 vcc, 0
	s_addc_u32 s2, s3, s5
	v_readfirstlane_b32 s5, v30
	s_mul_i32 s4, s0, s2
	s_mul_hi_u32 s6, s0, s5
	s_mul_hi_u32 s3, s0, s2
	s_add_u32 s4, s6, s4
	s_addc_u32 s3, 0, s3
	s_mul_hi_u32 s7, s1, s5
	s_mul_i32 s5, s1, s5
	s_add_u32 s4, s4, s5
	s_mul_hi_u32 s6, s1, s2
	s_addc_u32 s3, s3, s7
	s_addc_u32 s4, s6, 0
	s_mul_i32 s2, s1, s2
	s_add_u32 s2, s3, s2
	s_addc_u32 s3, 0, s4
	s_add_u32 s4, s2, 1
	s_addc_u32 s5, s3, 0
	s_add_u32 s6, s2, 2
	s_mul_i32 s8, s3, 15
	s_mul_hi_u32 s9, s2, 15
	s_addc_u32 s7, s3, 0
	s_add_i32 s9, s9, s8
	s_mul_i32 s8, s2, 15
	v_mov_b32_e32 v30, s8
	v_sub_co_u32_e32 v30, vcc, s0, v30
	s_cmp_lg_u64 vcc, 0
	s_subb_u32 s8, s1, s9
	v_subrev_co_u32_e32 v31, vcc, 15, v30
	s_cmp_lg_u64 vcc, 0
	s_subb_u32 s9, s8, 0
	v_readfirstlane_b32 s10, v31
	s_cmp_gt_u32 s10, 14
	s_cselect_b32 s10, -1, 0
	s_cmp_eq_u32 s9, 0
	s_cselect_b32 s9, s10, -1
	s_cmp_lg_u32 s9, 0
	s_cselect_b32 s4, s6, s4
	v_readfirstlane_b32 s6, v30
	s_cselect_b32 s5, s7, s5
	s_cmp_gt_u32 s6, 14
	s_cselect_b32 s6, -1, 0
	s_cmp_eq_u32 s8, 0
	s_cselect_b32 s6, s6, -1
	s_cmp_lg_u32 s6, 0
	v_mov_b32_e32 v65, v95
	s_cselect_b32 s3, s5, s3
	s_cselect_b32 s2, s4, s2
	v_cmp_eq_u64_e32 vcc, s[2:3], v[64:65]
	s_and_saveexec_b64 s[2:3], vcc
	s_cbranch_execz .LBB319_215
; %bb.162:
	v_mul_hi_u32_u24_e32 v31, 15, v64
	v_mov_b32_e32 v32, s1
	v_sub_co_u32_e32 v30, vcc, s0, v96
	s_nop 1
	v_subb_co_u32_e32 v31, vcc, v32, v31, vcc
	v_cmp_lt_i64_e32 vcc, 7, v[30:31]
	s_and_saveexec_b64 s[0:1], vcc
	s_xor_b64 s[0:1], exec, s[0:1]
	s_cbranch_execz .LBB319_188
; %bb.163:
	v_cmp_lt_i64_e32 vcc, 10, v[30:31]
	s_and_saveexec_b64 s[2:3], vcc
	s_xor_b64 s[2:3], exec, s[2:3]
	s_cbranch_execz .LBB319_177
; %bb.164:
	;; [unrolled: 5-line block ×4, first 2 shown]
	s_waitcnt lgkmcnt(2)
	v_mov_b32_e32 v0, 0
	s_waitcnt lgkmcnt(0)
	global_store_dwordx2 v0, v[28:29], s[22:23]
                                        ; implicit-def: $vgpr20_vgpr21_vgpr22_vgpr23
.LBB319_167:
	s_andn2_saveexec_b64 s[6:7], s[6:7]
	s_cbranch_execz .LBB319_169
; %bb.168:
	s_waitcnt lgkmcnt(2)
	v_mov_b32_e32 v0, 0
	s_waitcnt lgkmcnt(1)
	global_store_dwordx2 v0, v[22:23], s[22:23]
.LBB319_169:
	s_or_b64 exec, exec, s[6:7]
                                        ; implicit-def: $vgpr0_vgpr1_vgpr2_vgpr3
                                        ; implicit-def: $vgpr30_vgpr31
                                        ; implicit-def: $vgpr20_vgpr21_vgpr22_vgpr23
.LBB319_170:
	s_andn2_saveexec_b64 s[4:5], s[4:5]
	s_cbranch_execz .LBB319_176
; %bb.171:
	v_cmp_lt_i64_e32 vcc, 11, v[30:31]
	s_and_saveexec_b64 s[6:7], vcc
	s_xor_b64 s[6:7], exec, s[6:7]
	s_cbranch_execz .LBB319_173
; %bb.172:
	s_waitcnt lgkmcnt(2)
	v_mov_b32_e32 v0, 0
	s_waitcnt lgkmcnt(1)
	global_store_dwordx2 v0, v[20:21], s[22:23]
                                        ; implicit-def: $vgpr0_vgpr1_vgpr2_vgpr3
.LBB319_173:
	s_andn2_saveexec_b64 s[6:7], s[6:7]
	s_cbranch_execz .LBB319_175
; %bb.174:
	s_waitcnt lgkmcnt(2)
	v_mov_b32_e32 v0, 0
	global_store_dwordx2 v0, v[2:3], s[22:23]
.LBB319_175:
	s_or_b64 exec, exec, s[6:7]
.LBB319_176:
	s_or_b64 exec, exec, s[4:5]
                                        ; implicit-def: $vgpr16_vgpr17_vgpr18_vgpr19
                                        ; implicit-def: $vgpr30_vgpr31
                                        ; implicit-def: $vgpr0_vgpr1_vgpr2_vgpr3
.LBB319_177:
	s_andn2_saveexec_b64 s[2:3], s[2:3]
	s_cbranch_execz .LBB319_187
; %bb.178:
	v_cmp_lt_i64_e32 vcc, 8, v[30:31]
	s_and_saveexec_b64 s[4:5], vcc
	s_xor_b64 s[4:5], exec, s[4:5]
	s_cbranch_execz .LBB319_184
; %bb.179:
	v_cmp_lt_i64_e32 vcc, 9, v[30:31]
	s_and_saveexec_b64 s[6:7], vcc
	s_xor_b64 s[6:7], exec, s[6:7]
	s_cbranch_execz .LBB319_181
; %bb.180:
	s_waitcnt lgkmcnt(2)
	v_mov_b32_e32 v2, 0
	global_store_dwordx2 v2, v[0:1], s[22:23]
                                        ; implicit-def: $vgpr16_vgpr17_vgpr18_vgpr19
.LBB319_181:
	s_andn2_saveexec_b64 s[6:7], s[6:7]
	s_cbranch_execz .LBB319_183
; %bb.182:
	s_waitcnt lgkmcnt(2)
	v_mov_b32_e32 v0, 0
	global_store_dwordx2 v0, v[18:19], s[22:23]
.LBB319_183:
	s_or_b64 exec, exec, s[6:7]
                                        ; implicit-def: $vgpr16_vgpr17_vgpr18_vgpr19
.LBB319_184:
	s_andn2_saveexec_b64 s[4:5], s[4:5]
	s_cbranch_execz .LBB319_186
; %bb.185:
	s_waitcnt lgkmcnt(2)
	v_mov_b32_e32 v0, 0
	global_store_dwordx2 v0, v[16:17], s[22:23]
.LBB319_186:
	s_or_b64 exec, exec, s[4:5]
.LBB319_187:
	s_or_b64 exec, exec, s[2:3]
                                        ; implicit-def: $vgpr30_vgpr31
                                        ; implicit-def: $vgpr4_vgpr5_vgpr6_vgpr7
                                        ; implicit-def: $vgpr8_vgpr9_vgpr10_vgpr11
                                        ; implicit-def: $vgpr12_vgpr13_vgpr14_vgpr15
                                        ; implicit-def: $vgpr24_vgpr25_vgpr26_vgpr27
.LBB319_188:
	s_andn2_saveexec_b64 s[0:1], s[0:1]
	s_cbranch_execz .LBB319_215
; %bb.189:
	v_cmp_lt_i64_e32 vcc, 3, v[30:31]
	s_and_saveexec_b64 s[0:1], vcc
	s_xor_b64 s[0:1], exec, s[0:1]
	s_cbranch_execz .LBB319_203
; %bb.190:
	v_cmp_lt_i64_e32 vcc, 5, v[30:31]
	s_and_saveexec_b64 s[2:3], vcc
	s_xor_b64 s[2:3], exec, s[2:3]
	;; [unrolled: 5-line block ×3, first 2 shown]
	s_cbranch_execz .LBB319_193
; %bb.192:
	s_waitcnt lgkmcnt(2)
	v_mov_b32_e32 v0, 0
	global_store_dwordx2 v0, v[26:27], s[22:23]
                                        ; implicit-def: $vgpr24_vgpr25_vgpr26_vgpr27
.LBB319_193:
	s_andn2_saveexec_b64 s[4:5], s[4:5]
	s_cbranch_execz .LBB319_195
; %bb.194:
	s_waitcnt lgkmcnt(2)
	v_mov_b32_e32 v0, 0
	global_store_dwordx2 v0, v[24:25], s[22:23]
.LBB319_195:
	s_or_b64 exec, exec, s[4:5]
                                        ; implicit-def: $vgpr8_vgpr9_vgpr10_vgpr11
                                        ; implicit-def: $vgpr30_vgpr31
.LBB319_196:
	s_andn2_saveexec_b64 s[2:3], s[2:3]
	s_cbranch_execz .LBB319_202
; %bb.197:
	v_cmp_lt_i64_e32 vcc, 4, v[30:31]
	s_and_saveexec_b64 s[4:5], vcc
	s_xor_b64 s[4:5], exec, s[4:5]
	s_cbranch_execz .LBB319_199
; %bb.198:
	s_waitcnt lgkmcnt(2)
	v_mov_b32_e32 v0, 0
	global_store_dwordx2 v0, v[10:11], s[22:23]
                                        ; implicit-def: $vgpr8_vgpr9_vgpr10_vgpr11
.LBB319_199:
	s_andn2_saveexec_b64 s[4:5], s[4:5]
	s_cbranch_execz .LBB319_201
; %bb.200:
	s_waitcnt lgkmcnt(2)
	v_mov_b32_e32 v0, 0
	global_store_dwordx2 v0, v[8:9], s[22:23]
.LBB319_201:
	s_or_b64 exec, exec, s[4:5]
.LBB319_202:
	s_or_b64 exec, exec, s[2:3]
                                        ; implicit-def: $vgpr30_vgpr31
                                        ; implicit-def: $vgpr4_vgpr5_vgpr6_vgpr7
                                        ; implicit-def: $vgpr12_vgpr13_vgpr14_vgpr15
.LBB319_203:
	s_andn2_saveexec_b64 s[0:1], s[0:1]
	s_cbranch_execz .LBB319_215
; %bb.204:
	v_cmp_lt_i64_e32 vcc, 1, v[30:31]
	s_and_saveexec_b64 s[0:1], vcc
	s_xor_b64 s[0:1], exec, s[0:1]
	s_cbranch_execz .LBB319_210
; %bb.205:
	v_cmp_lt_i64_e32 vcc, 2, v[30:31]
	s_and_saveexec_b64 s[2:3], vcc
	s_xor_b64 s[2:3], exec, s[2:3]
	s_cbranch_execz .LBB319_207
; %bb.206:
	s_waitcnt lgkmcnt(2)
	v_mov_b32_e32 v0, 0
	global_store_dwordx2 v0, v[14:15], s[22:23]
                                        ; implicit-def: $vgpr12_vgpr13_vgpr14_vgpr15
.LBB319_207:
	s_andn2_saveexec_b64 s[2:3], s[2:3]
	s_cbranch_execz .LBB319_209
; %bb.208:
	s_waitcnt lgkmcnt(2)
	v_mov_b32_e32 v0, 0
	global_store_dwordx2 v0, v[12:13], s[22:23]
.LBB319_209:
	s_or_b64 exec, exec, s[2:3]
                                        ; implicit-def: $vgpr4_vgpr5_vgpr6_vgpr7
                                        ; implicit-def: $vgpr30_vgpr31
.LBB319_210:
	s_andn2_saveexec_b64 s[0:1], s[0:1]
	s_cbranch_execz .LBB319_215
; %bb.211:
	v_cmp_ne_u64_e32 vcc, 1, v[30:31]
	s_and_saveexec_b64 s[0:1], vcc
	s_xor_b64 s[0:1], exec, s[0:1]
	s_cbranch_execz .LBB319_213
; %bb.212:
	s_waitcnt lgkmcnt(2)
	v_mov_b32_e32 v0, 0
	global_store_dwordx2 v0, v[4:5], s[22:23]
                                        ; implicit-def: $vgpr4_vgpr5_vgpr6_vgpr7
.LBB319_213:
	s_andn2_saveexec_b64 s[0:1], s[0:1]
	s_cbranch_execz .LBB319_215
; %bb.214:
	s_waitcnt lgkmcnt(2)
	v_mov_b32_e32 v0, 0
	global_store_dwordx2 v0, v[6:7], s[22:23]
.LBB319_215:
	s_endpgm
	.section	.rodata,"a",@progbits
	.p2align	6, 0x0
	.amdhsa_kernel _ZN7rocprim17ROCPRIM_400000_NS6detail17trampoline_kernelINS0_14default_configENS1_20scan_config_selectorIN3c107complexIfEEEEZZNS1_9scan_implILNS1_25lookback_scan_determinismE0ELb0ELb0ES3_PKS7_PS7_S7_ZZZN2at6native31launch_logcumsumexp_cuda_kernelERKNSE_10TensorBaseESI_lENKUlvE_clEvENKUlvE2_clEvEUlS7_S7_E_S7_EEDaPvRmT3_T4_T5_mT6_P12ihipStream_tbENKUlT_T0_E_clISt17integral_constantIbLb1EESY_IbLb0EEEEDaSU_SV_EUlSU_E_NS1_11comp_targetILNS1_3genE5ELNS1_11target_archE942ELNS1_3gpuE9ELNS1_3repE0EEENS1_30default_config_static_selectorELNS0_4arch9wavefront6targetE1EEEvT1_
		.amdhsa_group_segment_fixed_size 30720
		.amdhsa_private_segment_fixed_size 0
		.amdhsa_kernarg_size 104
		.amdhsa_user_sgpr_count 2
		.amdhsa_user_sgpr_dispatch_ptr 0
		.amdhsa_user_sgpr_queue_ptr 0
		.amdhsa_user_sgpr_kernarg_segment_ptr 1
		.amdhsa_user_sgpr_dispatch_id 0
		.amdhsa_user_sgpr_kernarg_preload_length 0
		.amdhsa_user_sgpr_kernarg_preload_offset 0
		.amdhsa_user_sgpr_private_segment_size 0
		.amdhsa_uses_dynamic_stack 0
		.amdhsa_enable_private_segment 0
		.amdhsa_system_sgpr_workgroup_id_x 1
		.amdhsa_system_sgpr_workgroup_id_y 0
		.amdhsa_system_sgpr_workgroup_id_z 0
		.amdhsa_system_sgpr_workgroup_info 0
		.amdhsa_system_vgpr_workitem_id 0
		.amdhsa_next_free_vgpr 97
		.amdhsa_next_free_sgpr 53
		.amdhsa_accum_offset 100
		.amdhsa_reserve_vcc 1
		.amdhsa_float_round_mode_32 0
		.amdhsa_float_round_mode_16_64 0
		.amdhsa_float_denorm_mode_32 3
		.amdhsa_float_denorm_mode_16_64 3
		.amdhsa_dx10_clamp 1
		.amdhsa_ieee_mode 1
		.amdhsa_fp16_overflow 0
		.amdhsa_tg_split 0
		.amdhsa_exception_fp_ieee_invalid_op 0
		.amdhsa_exception_fp_denorm_src 0
		.amdhsa_exception_fp_ieee_div_zero 0
		.amdhsa_exception_fp_ieee_overflow 0
		.amdhsa_exception_fp_ieee_underflow 0
		.amdhsa_exception_fp_ieee_inexact 0
		.amdhsa_exception_int_div_zero 0
	.end_amdhsa_kernel
	.section	.text._ZN7rocprim17ROCPRIM_400000_NS6detail17trampoline_kernelINS0_14default_configENS1_20scan_config_selectorIN3c107complexIfEEEEZZNS1_9scan_implILNS1_25lookback_scan_determinismE0ELb0ELb0ES3_PKS7_PS7_S7_ZZZN2at6native31launch_logcumsumexp_cuda_kernelERKNSE_10TensorBaseESI_lENKUlvE_clEvENKUlvE2_clEvEUlS7_S7_E_S7_EEDaPvRmT3_T4_T5_mT6_P12ihipStream_tbENKUlT_T0_E_clISt17integral_constantIbLb1EESY_IbLb0EEEEDaSU_SV_EUlSU_E_NS1_11comp_targetILNS1_3genE5ELNS1_11target_archE942ELNS1_3gpuE9ELNS1_3repE0EEENS1_30default_config_static_selectorELNS0_4arch9wavefront6targetE1EEEvT1_,"axG",@progbits,_ZN7rocprim17ROCPRIM_400000_NS6detail17trampoline_kernelINS0_14default_configENS1_20scan_config_selectorIN3c107complexIfEEEEZZNS1_9scan_implILNS1_25lookback_scan_determinismE0ELb0ELb0ES3_PKS7_PS7_S7_ZZZN2at6native31launch_logcumsumexp_cuda_kernelERKNSE_10TensorBaseESI_lENKUlvE_clEvENKUlvE2_clEvEUlS7_S7_E_S7_EEDaPvRmT3_T4_T5_mT6_P12ihipStream_tbENKUlT_T0_E_clISt17integral_constantIbLb1EESY_IbLb0EEEEDaSU_SV_EUlSU_E_NS1_11comp_targetILNS1_3genE5ELNS1_11target_archE942ELNS1_3gpuE9ELNS1_3repE0EEENS1_30default_config_static_selectorELNS0_4arch9wavefront6targetE1EEEvT1_,comdat
.Lfunc_end319:
	.size	_ZN7rocprim17ROCPRIM_400000_NS6detail17trampoline_kernelINS0_14default_configENS1_20scan_config_selectorIN3c107complexIfEEEEZZNS1_9scan_implILNS1_25lookback_scan_determinismE0ELb0ELb0ES3_PKS7_PS7_S7_ZZZN2at6native31launch_logcumsumexp_cuda_kernelERKNSE_10TensorBaseESI_lENKUlvE_clEvENKUlvE2_clEvEUlS7_S7_E_S7_EEDaPvRmT3_T4_T5_mT6_P12ihipStream_tbENKUlT_T0_E_clISt17integral_constantIbLb1EESY_IbLb0EEEEDaSU_SV_EUlSU_E_NS1_11comp_targetILNS1_3genE5ELNS1_11target_archE942ELNS1_3gpuE9ELNS1_3repE0EEENS1_30default_config_static_selectorELNS0_4arch9wavefront6targetE1EEEvT1_, .Lfunc_end319-_ZN7rocprim17ROCPRIM_400000_NS6detail17trampoline_kernelINS0_14default_configENS1_20scan_config_selectorIN3c107complexIfEEEEZZNS1_9scan_implILNS1_25lookback_scan_determinismE0ELb0ELb0ES3_PKS7_PS7_S7_ZZZN2at6native31launch_logcumsumexp_cuda_kernelERKNSE_10TensorBaseESI_lENKUlvE_clEvENKUlvE2_clEvEUlS7_S7_E_S7_EEDaPvRmT3_T4_T5_mT6_P12ihipStream_tbENKUlT_T0_E_clISt17integral_constantIbLb1EESY_IbLb0EEEEDaSU_SV_EUlSU_E_NS1_11comp_targetILNS1_3genE5ELNS1_11target_archE942ELNS1_3gpuE9ELNS1_3repE0EEENS1_30default_config_static_selectorELNS0_4arch9wavefront6targetE1EEEvT1_
                                        ; -- End function
	.section	.AMDGPU.csdata,"",@progbits
; Kernel info:
; codeLenInByte = 8952
; NumSgprs: 59
; NumVgprs: 97
; NumAgprs: 0
; TotalNumVgprs: 97
; ScratchSize: 0
; MemoryBound: 0
; FloatMode: 240
; IeeeMode: 1
; LDSByteSize: 30720 bytes/workgroup (compile time only)
; SGPRBlocks: 7
; VGPRBlocks: 12
; NumSGPRsForWavesPerEU: 59
; NumVGPRsForWavesPerEU: 97
; AccumOffset: 100
; Occupancy: 2
; WaveLimiterHint : 0
; COMPUTE_PGM_RSRC2:SCRATCH_EN: 0
; COMPUTE_PGM_RSRC2:USER_SGPR: 2
; COMPUTE_PGM_RSRC2:TRAP_HANDLER: 0
; COMPUTE_PGM_RSRC2:TGID_X_EN: 1
; COMPUTE_PGM_RSRC2:TGID_Y_EN: 0
; COMPUTE_PGM_RSRC2:TGID_Z_EN: 0
; COMPUTE_PGM_RSRC2:TIDIG_COMP_CNT: 0
; COMPUTE_PGM_RSRC3_GFX90A:ACCUM_OFFSET: 24
; COMPUTE_PGM_RSRC3_GFX90A:TG_SPLIT: 0
	.section	.text._ZN7rocprim17ROCPRIM_400000_NS6detail17trampoline_kernelINS0_14default_configENS1_20scan_config_selectorIN3c107complexIfEEEEZZNS1_9scan_implILNS1_25lookback_scan_determinismE0ELb0ELb0ES3_PKS7_PS7_S7_ZZZN2at6native31launch_logcumsumexp_cuda_kernelERKNSE_10TensorBaseESI_lENKUlvE_clEvENKUlvE2_clEvEUlS7_S7_E_S7_EEDaPvRmT3_T4_T5_mT6_P12ihipStream_tbENKUlT_T0_E_clISt17integral_constantIbLb1EESY_IbLb0EEEEDaSU_SV_EUlSU_E_NS1_11comp_targetILNS1_3genE4ELNS1_11target_archE910ELNS1_3gpuE8ELNS1_3repE0EEENS1_30default_config_static_selectorELNS0_4arch9wavefront6targetE1EEEvT1_,"axG",@progbits,_ZN7rocprim17ROCPRIM_400000_NS6detail17trampoline_kernelINS0_14default_configENS1_20scan_config_selectorIN3c107complexIfEEEEZZNS1_9scan_implILNS1_25lookback_scan_determinismE0ELb0ELb0ES3_PKS7_PS7_S7_ZZZN2at6native31launch_logcumsumexp_cuda_kernelERKNSE_10TensorBaseESI_lENKUlvE_clEvENKUlvE2_clEvEUlS7_S7_E_S7_EEDaPvRmT3_T4_T5_mT6_P12ihipStream_tbENKUlT_T0_E_clISt17integral_constantIbLb1EESY_IbLb0EEEEDaSU_SV_EUlSU_E_NS1_11comp_targetILNS1_3genE4ELNS1_11target_archE910ELNS1_3gpuE8ELNS1_3repE0EEENS1_30default_config_static_selectorELNS0_4arch9wavefront6targetE1EEEvT1_,comdat
	.globl	_ZN7rocprim17ROCPRIM_400000_NS6detail17trampoline_kernelINS0_14default_configENS1_20scan_config_selectorIN3c107complexIfEEEEZZNS1_9scan_implILNS1_25lookback_scan_determinismE0ELb0ELb0ES3_PKS7_PS7_S7_ZZZN2at6native31launch_logcumsumexp_cuda_kernelERKNSE_10TensorBaseESI_lENKUlvE_clEvENKUlvE2_clEvEUlS7_S7_E_S7_EEDaPvRmT3_T4_T5_mT6_P12ihipStream_tbENKUlT_T0_E_clISt17integral_constantIbLb1EESY_IbLb0EEEEDaSU_SV_EUlSU_E_NS1_11comp_targetILNS1_3genE4ELNS1_11target_archE910ELNS1_3gpuE8ELNS1_3repE0EEENS1_30default_config_static_selectorELNS0_4arch9wavefront6targetE1EEEvT1_ ; -- Begin function _ZN7rocprim17ROCPRIM_400000_NS6detail17trampoline_kernelINS0_14default_configENS1_20scan_config_selectorIN3c107complexIfEEEEZZNS1_9scan_implILNS1_25lookback_scan_determinismE0ELb0ELb0ES3_PKS7_PS7_S7_ZZZN2at6native31launch_logcumsumexp_cuda_kernelERKNSE_10TensorBaseESI_lENKUlvE_clEvENKUlvE2_clEvEUlS7_S7_E_S7_EEDaPvRmT3_T4_T5_mT6_P12ihipStream_tbENKUlT_T0_E_clISt17integral_constantIbLb1EESY_IbLb0EEEEDaSU_SV_EUlSU_E_NS1_11comp_targetILNS1_3genE4ELNS1_11target_archE910ELNS1_3gpuE8ELNS1_3repE0EEENS1_30default_config_static_selectorELNS0_4arch9wavefront6targetE1EEEvT1_
	.p2align	8
	.type	_ZN7rocprim17ROCPRIM_400000_NS6detail17trampoline_kernelINS0_14default_configENS1_20scan_config_selectorIN3c107complexIfEEEEZZNS1_9scan_implILNS1_25lookback_scan_determinismE0ELb0ELb0ES3_PKS7_PS7_S7_ZZZN2at6native31launch_logcumsumexp_cuda_kernelERKNSE_10TensorBaseESI_lENKUlvE_clEvENKUlvE2_clEvEUlS7_S7_E_S7_EEDaPvRmT3_T4_T5_mT6_P12ihipStream_tbENKUlT_T0_E_clISt17integral_constantIbLb1EESY_IbLb0EEEEDaSU_SV_EUlSU_E_NS1_11comp_targetILNS1_3genE4ELNS1_11target_archE910ELNS1_3gpuE8ELNS1_3repE0EEENS1_30default_config_static_selectorELNS0_4arch9wavefront6targetE1EEEvT1_,@function
_ZN7rocprim17ROCPRIM_400000_NS6detail17trampoline_kernelINS0_14default_configENS1_20scan_config_selectorIN3c107complexIfEEEEZZNS1_9scan_implILNS1_25lookback_scan_determinismE0ELb0ELb0ES3_PKS7_PS7_S7_ZZZN2at6native31launch_logcumsumexp_cuda_kernelERKNSE_10TensorBaseESI_lENKUlvE_clEvENKUlvE2_clEvEUlS7_S7_E_S7_EEDaPvRmT3_T4_T5_mT6_P12ihipStream_tbENKUlT_T0_E_clISt17integral_constantIbLb1EESY_IbLb0EEEEDaSU_SV_EUlSU_E_NS1_11comp_targetILNS1_3genE4ELNS1_11target_archE910ELNS1_3gpuE8ELNS1_3repE0EEENS1_30default_config_static_selectorELNS0_4arch9wavefront6targetE1EEEvT1_: ; @_ZN7rocprim17ROCPRIM_400000_NS6detail17trampoline_kernelINS0_14default_configENS1_20scan_config_selectorIN3c107complexIfEEEEZZNS1_9scan_implILNS1_25lookback_scan_determinismE0ELb0ELb0ES3_PKS7_PS7_S7_ZZZN2at6native31launch_logcumsumexp_cuda_kernelERKNSE_10TensorBaseESI_lENKUlvE_clEvENKUlvE2_clEvEUlS7_S7_E_S7_EEDaPvRmT3_T4_T5_mT6_P12ihipStream_tbENKUlT_T0_E_clISt17integral_constantIbLb1EESY_IbLb0EEEEDaSU_SV_EUlSU_E_NS1_11comp_targetILNS1_3genE4ELNS1_11target_archE910ELNS1_3gpuE8ELNS1_3repE0EEENS1_30default_config_static_selectorELNS0_4arch9wavefront6targetE1EEEvT1_
; %bb.0:
	.section	.rodata,"a",@progbits
	.p2align	6, 0x0
	.amdhsa_kernel _ZN7rocprim17ROCPRIM_400000_NS6detail17trampoline_kernelINS0_14default_configENS1_20scan_config_selectorIN3c107complexIfEEEEZZNS1_9scan_implILNS1_25lookback_scan_determinismE0ELb0ELb0ES3_PKS7_PS7_S7_ZZZN2at6native31launch_logcumsumexp_cuda_kernelERKNSE_10TensorBaseESI_lENKUlvE_clEvENKUlvE2_clEvEUlS7_S7_E_S7_EEDaPvRmT3_T4_T5_mT6_P12ihipStream_tbENKUlT_T0_E_clISt17integral_constantIbLb1EESY_IbLb0EEEEDaSU_SV_EUlSU_E_NS1_11comp_targetILNS1_3genE4ELNS1_11target_archE910ELNS1_3gpuE8ELNS1_3repE0EEENS1_30default_config_static_selectorELNS0_4arch9wavefront6targetE1EEEvT1_
		.amdhsa_group_segment_fixed_size 0
		.amdhsa_private_segment_fixed_size 0
		.amdhsa_kernarg_size 104
		.amdhsa_user_sgpr_count 2
		.amdhsa_user_sgpr_dispatch_ptr 0
		.amdhsa_user_sgpr_queue_ptr 0
		.amdhsa_user_sgpr_kernarg_segment_ptr 1
		.amdhsa_user_sgpr_dispatch_id 0
		.amdhsa_user_sgpr_kernarg_preload_length 0
		.amdhsa_user_sgpr_kernarg_preload_offset 0
		.amdhsa_user_sgpr_private_segment_size 0
		.amdhsa_uses_dynamic_stack 0
		.amdhsa_enable_private_segment 0
		.amdhsa_system_sgpr_workgroup_id_x 1
		.amdhsa_system_sgpr_workgroup_id_y 0
		.amdhsa_system_sgpr_workgroup_id_z 0
		.amdhsa_system_sgpr_workgroup_info 0
		.amdhsa_system_vgpr_workitem_id 0
		.amdhsa_next_free_vgpr 1
		.amdhsa_next_free_sgpr 0
		.amdhsa_accum_offset 4
		.amdhsa_reserve_vcc 0
		.amdhsa_float_round_mode_32 0
		.amdhsa_float_round_mode_16_64 0
		.amdhsa_float_denorm_mode_32 3
		.amdhsa_float_denorm_mode_16_64 3
		.amdhsa_dx10_clamp 1
		.amdhsa_ieee_mode 1
		.amdhsa_fp16_overflow 0
		.amdhsa_tg_split 0
		.amdhsa_exception_fp_ieee_invalid_op 0
		.amdhsa_exception_fp_denorm_src 0
		.amdhsa_exception_fp_ieee_div_zero 0
		.amdhsa_exception_fp_ieee_overflow 0
		.amdhsa_exception_fp_ieee_underflow 0
		.amdhsa_exception_fp_ieee_inexact 0
		.amdhsa_exception_int_div_zero 0
	.end_amdhsa_kernel
	.section	.text._ZN7rocprim17ROCPRIM_400000_NS6detail17trampoline_kernelINS0_14default_configENS1_20scan_config_selectorIN3c107complexIfEEEEZZNS1_9scan_implILNS1_25lookback_scan_determinismE0ELb0ELb0ES3_PKS7_PS7_S7_ZZZN2at6native31launch_logcumsumexp_cuda_kernelERKNSE_10TensorBaseESI_lENKUlvE_clEvENKUlvE2_clEvEUlS7_S7_E_S7_EEDaPvRmT3_T4_T5_mT6_P12ihipStream_tbENKUlT_T0_E_clISt17integral_constantIbLb1EESY_IbLb0EEEEDaSU_SV_EUlSU_E_NS1_11comp_targetILNS1_3genE4ELNS1_11target_archE910ELNS1_3gpuE8ELNS1_3repE0EEENS1_30default_config_static_selectorELNS0_4arch9wavefront6targetE1EEEvT1_,"axG",@progbits,_ZN7rocprim17ROCPRIM_400000_NS6detail17trampoline_kernelINS0_14default_configENS1_20scan_config_selectorIN3c107complexIfEEEEZZNS1_9scan_implILNS1_25lookback_scan_determinismE0ELb0ELb0ES3_PKS7_PS7_S7_ZZZN2at6native31launch_logcumsumexp_cuda_kernelERKNSE_10TensorBaseESI_lENKUlvE_clEvENKUlvE2_clEvEUlS7_S7_E_S7_EEDaPvRmT3_T4_T5_mT6_P12ihipStream_tbENKUlT_T0_E_clISt17integral_constantIbLb1EESY_IbLb0EEEEDaSU_SV_EUlSU_E_NS1_11comp_targetILNS1_3genE4ELNS1_11target_archE910ELNS1_3gpuE8ELNS1_3repE0EEENS1_30default_config_static_selectorELNS0_4arch9wavefront6targetE1EEEvT1_,comdat
.Lfunc_end320:
	.size	_ZN7rocprim17ROCPRIM_400000_NS6detail17trampoline_kernelINS0_14default_configENS1_20scan_config_selectorIN3c107complexIfEEEEZZNS1_9scan_implILNS1_25lookback_scan_determinismE0ELb0ELb0ES3_PKS7_PS7_S7_ZZZN2at6native31launch_logcumsumexp_cuda_kernelERKNSE_10TensorBaseESI_lENKUlvE_clEvENKUlvE2_clEvEUlS7_S7_E_S7_EEDaPvRmT3_T4_T5_mT6_P12ihipStream_tbENKUlT_T0_E_clISt17integral_constantIbLb1EESY_IbLb0EEEEDaSU_SV_EUlSU_E_NS1_11comp_targetILNS1_3genE4ELNS1_11target_archE910ELNS1_3gpuE8ELNS1_3repE0EEENS1_30default_config_static_selectorELNS0_4arch9wavefront6targetE1EEEvT1_, .Lfunc_end320-_ZN7rocprim17ROCPRIM_400000_NS6detail17trampoline_kernelINS0_14default_configENS1_20scan_config_selectorIN3c107complexIfEEEEZZNS1_9scan_implILNS1_25lookback_scan_determinismE0ELb0ELb0ES3_PKS7_PS7_S7_ZZZN2at6native31launch_logcumsumexp_cuda_kernelERKNSE_10TensorBaseESI_lENKUlvE_clEvENKUlvE2_clEvEUlS7_S7_E_S7_EEDaPvRmT3_T4_T5_mT6_P12ihipStream_tbENKUlT_T0_E_clISt17integral_constantIbLb1EESY_IbLb0EEEEDaSU_SV_EUlSU_E_NS1_11comp_targetILNS1_3genE4ELNS1_11target_archE910ELNS1_3gpuE8ELNS1_3repE0EEENS1_30default_config_static_selectorELNS0_4arch9wavefront6targetE1EEEvT1_
                                        ; -- End function
	.section	.AMDGPU.csdata,"",@progbits
; Kernel info:
; codeLenInByte = 0
; NumSgprs: 6
; NumVgprs: 0
; NumAgprs: 0
; TotalNumVgprs: 0
; ScratchSize: 0
; MemoryBound: 0
; FloatMode: 240
; IeeeMode: 1
; LDSByteSize: 0 bytes/workgroup (compile time only)
; SGPRBlocks: 0
; VGPRBlocks: 0
; NumSGPRsForWavesPerEU: 6
; NumVGPRsForWavesPerEU: 1
; AccumOffset: 4
; Occupancy: 8
; WaveLimiterHint : 0
; COMPUTE_PGM_RSRC2:SCRATCH_EN: 0
; COMPUTE_PGM_RSRC2:USER_SGPR: 2
; COMPUTE_PGM_RSRC2:TRAP_HANDLER: 0
; COMPUTE_PGM_RSRC2:TGID_X_EN: 1
; COMPUTE_PGM_RSRC2:TGID_Y_EN: 0
; COMPUTE_PGM_RSRC2:TGID_Z_EN: 0
; COMPUTE_PGM_RSRC2:TIDIG_COMP_CNT: 0
; COMPUTE_PGM_RSRC3_GFX90A:ACCUM_OFFSET: 0
; COMPUTE_PGM_RSRC3_GFX90A:TG_SPLIT: 0
	.section	.text._ZN7rocprim17ROCPRIM_400000_NS6detail17trampoline_kernelINS0_14default_configENS1_20scan_config_selectorIN3c107complexIfEEEEZZNS1_9scan_implILNS1_25lookback_scan_determinismE0ELb0ELb0ES3_PKS7_PS7_S7_ZZZN2at6native31launch_logcumsumexp_cuda_kernelERKNSE_10TensorBaseESI_lENKUlvE_clEvENKUlvE2_clEvEUlS7_S7_E_S7_EEDaPvRmT3_T4_T5_mT6_P12ihipStream_tbENKUlT_T0_E_clISt17integral_constantIbLb1EESY_IbLb0EEEEDaSU_SV_EUlSU_E_NS1_11comp_targetILNS1_3genE3ELNS1_11target_archE908ELNS1_3gpuE7ELNS1_3repE0EEENS1_30default_config_static_selectorELNS0_4arch9wavefront6targetE1EEEvT1_,"axG",@progbits,_ZN7rocprim17ROCPRIM_400000_NS6detail17trampoline_kernelINS0_14default_configENS1_20scan_config_selectorIN3c107complexIfEEEEZZNS1_9scan_implILNS1_25lookback_scan_determinismE0ELb0ELb0ES3_PKS7_PS7_S7_ZZZN2at6native31launch_logcumsumexp_cuda_kernelERKNSE_10TensorBaseESI_lENKUlvE_clEvENKUlvE2_clEvEUlS7_S7_E_S7_EEDaPvRmT3_T4_T5_mT6_P12ihipStream_tbENKUlT_T0_E_clISt17integral_constantIbLb1EESY_IbLb0EEEEDaSU_SV_EUlSU_E_NS1_11comp_targetILNS1_3genE3ELNS1_11target_archE908ELNS1_3gpuE7ELNS1_3repE0EEENS1_30default_config_static_selectorELNS0_4arch9wavefront6targetE1EEEvT1_,comdat
	.globl	_ZN7rocprim17ROCPRIM_400000_NS6detail17trampoline_kernelINS0_14default_configENS1_20scan_config_selectorIN3c107complexIfEEEEZZNS1_9scan_implILNS1_25lookback_scan_determinismE0ELb0ELb0ES3_PKS7_PS7_S7_ZZZN2at6native31launch_logcumsumexp_cuda_kernelERKNSE_10TensorBaseESI_lENKUlvE_clEvENKUlvE2_clEvEUlS7_S7_E_S7_EEDaPvRmT3_T4_T5_mT6_P12ihipStream_tbENKUlT_T0_E_clISt17integral_constantIbLb1EESY_IbLb0EEEEDaSU_SV_EUlSU_E_NS1_11comp_targetILNS1_3genE3ELNS1_11target_archE908ELNS1_3gpuE7ELNS1_3repE0EEENS1_30default_config_static_selectorELNS0_4arch9wavefront6targetE1EEEvT1_ ; -- Begin function _ZN7rocprim17ROCPRIM_400000_NS6detail17trampoline_kernelINS0_14default_configENS1_20scan_config_selectorIN3c107complexIfEEEEZZNS1_9scan_implILNS1_25lookback_scan_determinismE0ELb0ELb0ES3_PKS7_PS7_S7_ZZZN2at6native31launch_logcumsumexp_cuda_kernelERKNSE_10TensorBaseESI_lENKUlvE_clEvENKUlvE2_clEvEUlS7_S7_E_S7_EEDaPvRmT3_T4_T5_mT6_P12ihipStream_tbENKUlT_T0_E_clISt17integral_constantIbLb1EESY_IbLb0EEEEDaSU_SV_EUlSU_E_NS1_11comp_targetILNS1_3genE3ELNS1_11target_archE908ELNS1_3gpuE7ELNS1_3repE0EEENS1_30default_config_static_selectorELNS0_4arch9wavefront6targetE1EEEvT1_
	.p2align	8
	.type	_ZN7rocprim17ROCPRIM_400000_NS6detail17trampoline_kernelINS0_14default_configENS1_20scan_config_selectorIN3c107complexIfEEEEZZNS1_9scan_implILNS1_25lookback_scan_determinismE0ELb0ELb0ES3_PKS7_PS7_S7_ZZZN2at6native31launch_logcumsumexp_cuda_kernelERKNSE_10TensorBaseESI_lENKUlvE_clEvENKUlvE2_clEvEUlS7_S7_E_S7_EEDaPvRmT3_T4_T5_mT6_P12ihipStream_tbENKUlT_T0_E_clISt17integral_constantIbLb1EESY_IbLb0EEEEDaSU_SV_EUlSU_E_NS1_11comp_targetILNS1_3genE3ELNS1_11target_archE908ELNS1_3gpuE7ELNS1_3repE0EEENS1_30default_config_static_selectorELNS0_4arch9wavefront6targetE1EEEvT1_,@function
_ZN7rocprim17ROCPRIM_400000_NS6detail17trampoline_kernelINS0_14default_configENS1_20scan_config_selectorIN3c107complexIfEEEEZZNS1_9scan_implILNS1_25lookback_scan_determinismE0ELb0ELb0ES3_PKS7_PS7_S7_ZZZN2at6native31launch_logcumsumexp_cuda_kernelERKNSE_10TensorBaseESI_lENKUlvE_clEvENKUlvE2_clEvEUlS7_S7_E_S7_EEDaPvRmT3_T4_T5_mT6_P12ihipStream_tbENKUlT_T0_E_clISt17integral_constantIbLb1EESY_IbLb0EEEEDaSU_SV_EUlSU_E_NS1_11comp_targetILNS1_3genE3ELNS1_11target_archE908ELNS1_3gpuE7ELNS1_3repE0EEENS1_30default_config_static_selectorELNS0_4arch9wavefront6targetE1EEEvT1_: ; @_ZN7rocprim17ROCPRIM_400000_NS6detail17trampoline_kernelINS0_14default_configENS1_20scan_config_selectorIN3c107complexIfEEEEZZNS1_9scan_implILNS1_25lookback_scan_determinismE0ELb0ELb0ES3_PKS7_PS7_S7_ZZZN2at6native31launch_logcumsumexp_cuda_kernelERKNSE_10TensorBaseESI_lENKUlvE_clEvENKUlvE2_clEvEUlS7_S7_E_S7_EEDaPvRmT3_T4_T5_mT6_P12ihipStream_tbENKUlT_T0_E_clISt17integral_constantIbLb1EESY_IbLb0EEEEDaSU_SV_EUlSU_E_NS1_11comp_targetILNS1_3genE3ELNS1_11target_archE908ELNS1_3gpuE7ELNS1_3repE0EEENS1_30default_config_static_selectorELNS0_4arch9wavefront6targetE1EEEvT1_
; %bb.0:
	.section	.rodata,"a",@progbits
	.p2align	6, 0x0
	.amdhsa_kernel _ZN7rocprim17ROCPRIM_400000_NS6detail17trampoline_kernelINS0_14default_configENS1_20scan_config_selectorIN3c107complexIfEEEEZZNS1_9scan_implILNS1_25lookback_scan_determinismE0ELb0ELb0ES3_PKS7_PS7_S7_ZZZN2at6native31launch_logcumsumexp_cuda_kernelERKNSE_10TensorBaseESI_lENKUlvE_clEvENKUlvE2_clEvEUlS7_S7_E_S7_EEDaPvRmT3_T4_T5_mT6_P12ihipStream_tbENKUlT_T0_E_clISt17integral_constantIbLb1EESY_IbLb0EEEEDaSU_SV_EUlSU_E_NS1_11comp_targetILNS1_3genE3ELNS1_11target_archE908ELNS1_3gpuE7ELNS1_3repE0EEENS1_30default_config_static_selectorELNS0_4arch9wavefront6targetE1EEEvT1_
		.amdhsa_group_segment_fixed_size 0
		.amdhsa_private_segment_fixed_size 0
		.amdhsa_kernarg_size 104
		.amdhsa_user_sgpr_count 2
		.amdhsa_user_sgpr_dispatch_ptr 0
		.amdhsa_user_sgpr_queue_ptr 0
		.amdhsa_user_sgpr_kernarg_segment_ptr 1
		.amdhsa_user_sgpr_dispatch_id 0
		.amdhsa_user_sgpr_kernarg_preload_length 0
		.amdhsa_user_sgpr_kernarg_preload_offset 0
		.amdhsa_user_sgpr_private_segment_size 0
		.amdhsa_uses_dynamic_stack 0
		.amdhsa_enable_private_segment 0
		.amdhsa_system_sgpr_workgroup_id_x 1
		.amdhsa_system_sgpr_workgroup_id_y 0
		.amdhsa_system_sgpr_workgroup_id_z 0
		.amdhsa_system_sgpr_workgroup_info 0
		.amdhsa_system_vgpr_workitem_id 0
		.amdhsa_next_free_vgpr 1
		.amdhsa_next_free_sgpr 0
		.amdhsa_accum_offset 4
		.amdhsa_reserve_vcc 0
		.amdhsa_float_round_mode_32 0
		.amdhsa_float_round_mode_16_64 0
		.amdhsa_float_denorm_mode_32 3
		.amdhsa_float_denorm_mode_16_64 3
		.amdhsa_dx10_clamp 1
		.amdhsa_ieee_mode 1
		.amdhsa_fp16_overflow 0
		.amdhsa_tg_split 0
		.amdhsa_exception_fp_ieee_invalid_op 0
		.amdhsa_exception_fp_denorm_src 0
		.amdhsa_exception_fp_ieee_div_zero 0
		.amdhsa_exception_fp_ieee_overflow 0
		.amdhsa_exception_fp_ieee_underflow 0
		.amdhsa_exception_fp_ieee_inexact 0
		.amdhsa_exception_int_div_zero 0
	.end_amdhsa_kernel
	.section	.text._ZN7rocprim17ROCPRIM_400000_NS6detail17trampoline_kernelINS0_14default_configENS1_20scan_config_selectorIN3c107complexIfEEEEZZNS1_9scan_implILNS1_25lookback_scan_determinismE0ELb0ELb0ES3_PKS7_PS7_S7_ZZZN2at6native31launch_logcumsumexp_cuda_kernelERKNSE_10TensorBaseESI_lENKUlvE_clEvENKUlvE2_clEvEUlS7_S7_E_S7_EEDaPvRmT3_T4_T5_mT6_P12ihipStream_tbENKUlT_T0_E_clISt17integral_constantIbLb1EESY_IbLb0EEEEDaSU_SV_EUlSU_E_NS1_11comp_targetILNS1_3genE3ELNS1_11target_archE908ELNS1_3gpuE7ELNS1_3repE0EEENS1_30default_config_static_selectorELNS0_4arch9wavefront6targetE1EEEvT1_,"axG",@progbits,_ZN7rocprim17ROCPRIM_400000_NS6detail17trampoline_kernelINS0_14default_configENS1_20scan_config_selectorIN3c107complexIfEEEEZZNS1_9scan_implILNS1_25lookback_scan_determinismE0ELb0ELb0ES3_PKS7_PS7_S7_ZZZN2at6native31launch_logcumsumexp_cuda_kernelERKNSE_10TensorBaseESI_lENKUlvE_clEvENKUlvE2_clEvEUlS7_S7_E_S7_EEDaPvRmT3_T4_T5_mT6_P12ihipStream_tbENKUlT_T0_E_clISt17integral_constantIbLb1EESY_IbLb0EEEEDaSU_SV_EUlSU_E_NS1_11comp_targetILNS1_3genE3ELNS1_11target_archE908ELNS1_3gpuE7ELNS1_3repE0EEENS1_30default_config_static_selectorELNS0_4arch9wavefront6targetE1EEEvT1_,comdat
.Lfunc_end321:
	.size	_ZN7rocprim17ROCPRIM_400000_NS6detail17trampoline_kernelINS0_14default_configENS1_20scan_config_selectorIN3c107complexIfEEEEZZNS1_9scan_implILNS1_25lookback_scan_determinismE0ELb0ELb0ES3_PKS7_PS7_S7_ZZZN2at6native31launch_logcumsumexp_cuda_kernelERKNSE_10TensorBaseESI_lENKUlvE_clEvENKUlvE2_clEvEUlS7_S7_E_S7_EEDaPvRmT3_T4_T5_mT6_P12ihipStream_tbENKUlT_T0_E_clISt17integral_constantIbLb1EESY_IbLb0EEEEDaSU_SV_EUlSU_E_NS1_11comp_targetILNS1_3genE3ELNS1_11target_archE908ELNS1_3gpuE7ELNS1_3repE0EEENS1_30default_config_static_selectorELNS0_4arch9wavefront6targetE1EEEvT1_, .Lfunc_end321-_ZN7rocprim17ROCPRIM_400000_NS6detail17trampoline_kernelINS0_14default_configENS1_20scan_config_selectorIN3c107complexIfEEEEZZNS1_9scan_implILNS1_25lookback_scan_determinismE0ELb0ELb0ES3_PKS7_PS7_S7_ZZZN2at6native31launch_logcumsumexp_cuda_kernelERKNSE_10TensorBaseESI_lENKUlvE_clEvENKUlvE2_clEvEUlS7_S7_E_S7_EEDaPvRmT3_T4_T5_mT6_P12ihipStream_tbENKUlT_T0_E_clISt17integral_constantIbLb1EESY_IbLb0EEEEDaSU_SV_EUlSU_E_NS1_11comp_targetILNS1_3genE3ELNS1_11target_archE908ELNS1_3gpuE7ELNS1_3repE0EEENS1_30default_config_static_selectorELNS0_4arch9wavefront6targetE1EEEvT1_
                                        ; -- End function
	.section	.AMDGPU.csdata,"",@progbits
; Kernel info:
; codeLenInByte = 0
; NumSgprs: 6
; NumVgprs: 0
; NumAgprs: 0
; TotalNumVgprs: 0
; ScratchSize: 0
; MemoryBound: 0
; FloatMode: 240
; IeeeMode: 1
; LDSByteSize: 0 bytes/workgroup (compile time only)
; SGPRBlocks: 0
; VGPRBlocks: 0
; NumSGPRsForWavesPerEU: 6
; NumVGPRsForWavesPerEU: 1
; AccumOffset: 4
; Occupancy: 8
; WaveLimiterHint : 0
; COMPUTE_PGM_RSRC2:SCRATCH_EN: 0
; COMPUTE_PGM_RSRC2:USER_SGPR: 2
; COMPUTE_PGM_RSRC2:TRAP_HANDLER: 0
; COMPUTE_PGM_RSRC2:TGID_X_EN: 1
; COMPUTE_PGM_RSRC2:TGID_Y_EN: 0
; COMPUTE_PGM_RSRC2:TGID_Z_EN: 0
; COMPUTE_PGM_RSRC2:TIDIG_COMP_CNT: 0
; COMPUTE_PGM_RSRC3_GFX90A:ACCUM_OFFSET: 0
; COMPUTE_PGM_RSRC3_GFX90A:TG_SPLIT: 0
	.section	.text._ZN7rocprim17ROCPRIM_400000_NS6detail17trampoline_kernelINS0_14default_configENS1_20scan_config_selectorIN3c107complexIfEEEEZZNS1_9scan_implILNS1_25lookback_scan_determinismE0ELb0ELb0ES3_PKS7_PS7_S7_ZZZN2at6native31launch_logcumsumexp_cuda_kernelERKNSE_10TensorBaseESI_lENKUlvE_clEvENKUlvE2_clEvEUlS7_S7_E_S7_EEDaPvRmT3_T4_T5_mT6_P12ihipStream_tbENKUlT_T0_E_clISt17integral_constantIbLb1EESY_IbLb0EEEEDaSU_SV_EUlSU_E_NS1_11comp_targetILNS1_3genE2ELNS1_11target_archE906ELNS1_3gpuE6ELNS1_3repE0EEENS1_30default_config_static_selectorELNS0_4arch9wavefront6targetE1EEEvT1_,"axG",@progbits,_ZN7rocprim17ROCPRIM_400000_NS6detail17trampoline_kernelINS0_14default_configENS1_20scan_config_selectorIN3c107complexIfEEEEZZNS1_9scan_implILNS1_25lookback_scan_determinismE0ELb0ELb0ES3_PKS7_PS7_S7_ZZZN2at6native31launch_logcumsumexp_cuda_kernelERKNSE_10TensorBaseESI_lENKUlvE_clEvENKUlvE2_clEvEUlS7_S7_E_S7_EEDaPvRmT3_T4_T5_mT6_P12ihipStream_tbENKUlT_T0_E_clISt17integral_constantIbLb1EESY_IbLb0EEEEDaSU_SV_EUlSU_E_NS1_11comp_targetILNS1_3genE2ELNS1_11target_archE906ELNS1_3gpuE6ELNS1_3repE0EEENS1_30default_config_static_selectorELNS0_4arch9wavefront6targetE1EEEvT1_,comdat
	.globl	_ZN7rocprim17ROCPRIM_400000_NS6detail17trampoline_kernelINS0_14default_configENS1_20scan_config_selectorIN3c107complexIfEEEEZZNS1_9scan_implILNS1_25lookback_scan_determinismE0ELb0ELb0ES3_PKS7_PS7_S7_ZZZN2at6native31launch_logcumsumexp_cuda_kernelERKNSE_10TensorBaseESI_lENKUlvE_clEvENKUlvE2_clEvEUlS7_S7_E_S7_EEDaPvRmT3_T4_T5_mT6_P12ihipStream_tbENKUlT_T0_E_clISt17integral_constantIbLb1EESY_IbLb0EEEEDaSU_SV_EUlSU_E_NS1_11comp_targetILNS1_3genE2ELNS1_11target_archE906ELNS1_3gpuE6ELNS1_3repE0EEENS1_30default_config_static_selectorELNS0_4arch9wavefront6targetE1EEEvT1_ ; -- Begin function _ZN7rocprim17ROCPRIM_400000_NS6detail17trampoline_kernelINS0_14default_configENS1_20scan_config_selectorIN3c107complexIfEEEEZZNS1_9scan_implILNS1_25lookback_scan_determinismE0ELb0ELb0ES3_PKS7_PS7_S7_ZZZN2at6native31launch_logcumsumexp_cuda_kernelERKNSE_10TensorBaseESI_lENKUlvE_clEvENKUlvE2_clEvEUlS7_S7_E_S7_EEDaPvRmT3_T4_T5_mT6_P12ihipStream_tbENKUlT_T0_E_clISt17integral_constantIbLb1EESY_IbLb0EEEEDaSU_SV_EUlSU_E_NS1_11comp_targetILNS1_3genE2ELNS1_11target_archE906ELNS1_3gpuE6ELNS1_3repE0EEENS1_30default_config_static_selectorELNS0_4arch9wavefront6targetE1EEEvT1_
	.p2align	8
	.type	_ZN7rocprim17ROCPRIM_400000_NS6detail17trampoline_kernelINS0_14default_configENS1_20scan_config_selectorIN3c107complexIfEEEEZZNS1_9scan_implILNS1_25lookback_scan_determinismE0ELb0ELb0ES3_PKS7_PS7_S7_ZZZN2at6native31launch_logcumsumexp_cuda_kernelERKNSE_10TensorBaseESI_lENKUlvE_clEvENKUlvE2_clEvEUlS7_S7_E_S7_EEDaPvRmT3_T4_T5_mT6_P12ihipStream_tbENKUlT_T0_E_clISt17integral_constantIbLb1EESY_IbLb0EEEEDaSU_SV_EUlSU_E_NS1_11comp_targetILNS1_3genE2ELNS1_11target_archE906ELNS1_3gpuE6ELNS1_3repE0EEENS1_30default_config_static_selectorELNS0_4arch9wavefront6targetE1EEEvT1_,@function
_ZN7rocprim17ROCPRIM_400000_NS6detail17trampoline_kernelINS0_14default_configENS1_20scan_config_selectorIN3c107complexIfEEEEZZNS1_9scan_implILNS1_25lookback_scan_determinismE0ELb0ELb0ES3_PKS7_PS7_S7_ZZZN2at6native31launch_logcumsumexp_cuda_kernelERKNSE_10TensorBaseESI_lENKUlvE_clEvENKUlvE2_clEvEUlS7_S7_E_S7_EEDaPvRmT3_T4_T5_mT6_P12ihipStream_tbENKUlT_T0_E_clISt17integral_constantIbLb1EESY_IbLb0EEEEDaSU_SV_EUlSU_E_NS1_11comp_targetILNS1_3genE2ELNS1_11target_archE906ELNS1_3gpuE6ELNS1_3repE0EEENS1_30default_config_static_selectorELNS0_4arch9wavefront6targetE1EEEvT1_: ; @_ZN7rocprim17ROCPRIM_400000_NS6detail17trampoline_kernelINS0_14default_configENS1_20scan_config_selectorIN3c107complexIfEEEEZZNS1_9scan_implILNS1_25lookback_scan_determinismE0ELb0ELb0ES3_PKS7_PS7_S7_ZZZN2at6native31launch_logcumsumexp_cuda_kernelERKNSE_10TensorBaseESI_lENKUlvE_clEvENKUlvE2_clEvEUlS7_S7_E_S7_EEDaPvRmT3_T4_T5_mT6_P12ihipStream_tbENKUlT_T0_E_clISt17integral_constantIbLb1EESY_IbLb0EEEEDaSU_SV_EUlSU_E_NS1_11comp_targetILNS1_3genE2ELNS1_11target_archE906ELNS1_3gpuE6ELNS1_3repE0EEENS1_30default_config_static_selectorELNS0_4arch9wavefront6targetE1EEEvT1_
; %bb.0:
	.section	.rodata,"a",@progbits
	.p2align	6, 0x0
	.amdhsa_kernel _ZN7rocprim17ROCPRIM_400000_NS6detail17trampoline_kernelINS0_14default_configENS1_20scan_config_selectorIN3c107complexIfEEEEZZNS1_9scan_implILNS1_25lookback_scan_determinismE0ELb0ELb0ES3_PKS7_PS7_S7_ZZZN2at6native31launch_logcumsumexp_cuda_kernelERKNSE_10TensorBaseESI_lENKUlvE_clEvENKUlvE2_clEvEUlS7_S7_E_S7_EEDaPvRmT3_T4_T5_mT6_P12ihipStream_tbENKUlT_T0_E_clISt17integral_constantIbLb1EESY_IbLb0EEEEDaSU_SV_EUlSU_E_NS1_11comp_targetILNS1_3genE2ELNS1_11target_archE906ELNS1_3gpuE6ELNS1_3repE0EEENS1_30default_config_static_selectorELNS0_4arch9wavefront6targetE1EEEvT1_
		.amdhsa_group_segment_fixed_size 0
		.amdhsa_private_segment_fixed_size 0
		.amdhsa_kernarg_size 104
		.amdhsa_user_sgpr_count 2
		.amdhsa_user_sgpr_dispatch_ptr 0
		.amdhsa_user_sgpr_queue_ptr 0
		.amdhsa_user_sgpr_kernarg_segment_ptr 1
		.amdhsa_user_sgpr_dispatch_id 0
		.amdhsa_user_sgpr_kernarg_preload_length 0
		.amdhsa_user_sgpr_kernarg_preload_offset 0
		.amdhsa_user_sgpr_private_segment_size 0
		.amdhsa_uses_dynamic_stack 0
		.amdhsa_enable_private_segment 0
		.amdhsa_system_sgpr_workgroup_id_x 1
		.amdhsa_system_sgpr_workgroup_id_y 0
		.amdhsa_system_sgpr_workgroup_id_z 0
		.amdhsa_system_sgpr_workgroup_info 0
		.amdhsa_system_vgpr_workitem_id 0
		.amdhsa_next_free_vgpr 1
		.amdhsa_next_free_sgpr 0
		.amdhsa_accum_offset 4
		.amdhsa_reserve_vcc 0
		.amdhsa_float_round_mode_32 0
		.amdhsa_float_round_mode_16_64 0
		.amdhsa_float_denorm_mode_32 3
		.amdhsa_float_denorm_mode_16_64 3
		.amdhsa_dx10_clamp 1
		.amdhsa_ieee_mode 1
		.amdhsa_fp16_overflow 0
		.amdhsa_tg_split 0
		.amdhsa_exception_fp_ieee_invalid_op 0
		.amdhsa_exception_fp_denorm_src 0
		.amdhsa_exception_fp_ieee_div_zero 0
		.amdhsa_exception_fp_ieee_overflow 0
		.amdhsa_exception_fp_ieee_underflow 0
		.amdhsa_exception_fp_ieee_inexact 0
		.amdhsa_exception_int_div_zero 0
	.end_amdhsa_kernel
	.section	.text._ZN7rocprim17ROCPRIM_400000_NS6detail17trampoline_kernelINS0_14default_configENS1_20scan_config_selectorIN3c107complexIfEEEEZZNS1_9scan_implILNS1_25lookback_scan_determinismE0ELb0ELb0ES3_PKS7_PS7_S7_ZZZN2at6native31launch_logcumsumexp_cuda_kernelERKNSE_10TensorBaseESI_lENKUlvE_clEvENKUlvE2_clEvEUlS7_S7_E_S7_EEDaPvRmT3_T4_T5_mT6_P12ihipStream_tbENKUlT_T0_E_clISt17integral_constantIbLb1EESY_IbLb0EEEEDaSU_SV_EUlSU_E_NS1_11comp_targetILNS1_3genE2ELNS1_11target_archE906ELNS1_3gpuE6ELNS1_3repE0EEENS1_30default_config_static_selectorELNS0_4arch9wavefront6targetE1EEEvT1_,"axG",@progbits,_ZN7rocprim17ROCPRIM_400000_NS6detail17trampoline_kernelINS0_14default_configENS1_20scan_config_selectorIN3c107complexIfEEEEZZNS1_9scan_implILNS1_25lookback_scan_determinismE0ELb0ELb0ES3_PKS7_PS7_S7_ZZZN2at6native31launch_logcumsumexp_cuda_kernelERKNSE_10TensorBaseESI_lENKUlvE_clEvENKUlvE2_clEvEUlS7_S7_E_S7_EEDaPvRmT3_T4_T5_mT6_P12ihipStream_tbENKUlT_T0_E_clISt17integral_constantIbLb1EESY_IbLb0EEEEDaSU_SV_EUlSU_E_NS1_11comp_targetILNS1_3genE2ELNS1_11target_archE906ELNS1_3gpuE6ELNS1_3repE0EEENS1_30default_config_static_selectorELNS0_4arch9wavefront6targetE1EEEvT1_,comdat
.Lfunc_end322:
	.size	_ZN7rocprim17ROCPRIM_400000_NS6detail17trampoline_kernelINS0_14default_configENS1_20scan_config_selectorIN3c107complexIfEEEEZZNS1_9scan_implILNS1_25lookback_scan_determinismE0ELb0ELb0ES3_PKS7_PS7_S7_ZZZN2at6native31launch_logcumsumexp_cuda_kernelERKNSE_10TensorBaseESI_lENKUlvE_clEvENKUlvE2_clEvEUlS7_S7_E_S7_EEDaPvRmT3_T4_T5_mT6_P12ihipStream_tbENKUlT_T0_E_clISt17integral_constantIbLb1EESY_IbLb0EEEEDaSU_SV_EUlSU_E_NS1_11comp_targetILNS1_3genE2ELNS1_11target_archE906ELNS1_3gpuE6ELNS1_3repE0EEENS1_30default_config_static_selectorELNS0_4arch9wavefront6targetE1EEEvT1_, .Lfunc_end322-_ZN7rocprim17ROCPRIM_400000_NS6detail17trampoline_kernelINS0_14default_configENS1_20scan_config_selectorIN3c107complexIfEEEEZZNS1_9scan_implILNS1_25lookback_scan_determinismE0ELb0ELb0ES3_PKS7_PS7_S7_ZZZN2at6native31launch_logcumsumexp_cuda_kernelERKNSE_10TensorBaseESI_lENKUlvE_clEvENKUlvE2_clEvEUlS7_S7_E_S7_EEDaPvRmT3_T4_T5_mT6_P12ihipStream_tbENKUlT_T0_E_clISt17integral_constantIbLb1EESY_IbLb0EEEEDaSU_SV_EUlSU_E_NS1_11comp_targetILNS1_3genE2ELNS1_11target_archE906ELNS1_3gpuE6ELNS1_3repE0EEENS1_30default_config_static_selectorELNS0_4arch9wavefront6targetE1EEEvT1_
                                        ; -- End function
	.section	.AMDGPU.csdata,"",@progbits
; Kernel info:
; codeLenInByte = 0
; NumSgprs: 6
; NumVgprs: 0
; NumAgprs: 0
; TotalNumVgprs: 0
; ScratchSize: 0
; MemoryBound: 0
; FloatMode: 240
; IeeeMode: 1
; LDSByteSize: 0 bytes/workgroup (compile time only)
; SGPRBlocks: 0
; VGPRBlocks: 0
; NumSGPRsForWavesPerEU: 6
; NumVGPRsForWavesPerEU: 1
; AccumOffset: 4
; Occupancy: 8
; WaveLimiterHint : 0
; COMPUTE_PGM_RSRC2:SCRATCH_EN: 0
; COMPUTE_PGM_RSRC2:USER_SGPR: 2
; COMPUTE_PGM_RSRC2:TRAP_HANDLER: 0
; COMPUTE_PGM_RSRC2:TGID_X_EN: 1
; COMPUTE_PGM_RSRC2:TGID_Y_EN: 0
; COMPUTE_PGM_RSRC2:TGID_Z_EN: 0
; COMPUTE_PGM_RSRC2:TIDIG_COMP_CNT: 0
; COMPUTE_PGM_RSRC3_GFX90A:ACCUM_OFFSET: 0
; COMPUTE_PGM_RSRC3_GFX90A:TG_SPLIT: 0
	.section	.text._ZN7rocprim17ROCPRIM_400000_NS6detail17trampoline_kernelINS0_14default_configENS1_20scan_config_selectorIN3c107complexIfEEEEZZNS1_9scan_implILNS1_25lookback_scan_determinismE0ELb0ELb0ES3_PKS7_PS7_S7_ZZZN2at6native31launch_logcumsumexp_cuda_kernelERKNSE_10TensorBaseESI_lENKUlvE_clEvENKUlvE2_clEvEUlS7_S7_E_S7_EEDaPvRmT3_T4_T5_mT6_P12ihipStream_tbENKUlT_T0_E_clISt17integral_constantIbLb1EESY_IbLb0EEEEDaSU_SV_EUlSU_E_NS1_11comp_targetILNS1_3genE10ELNS1_11target_archE1201ELNS1_3gpuE5ELNS1_3repE0EEENS1_30default_config_static_selectorELNS0_4arch9wavefront6targetE1EEEvT1_,"axG",@progbits,_ZN7rocprim17ROCPRIM_400000_NS6detail17trampoline_kernelINS0_14default_configENS1_20scan_config_selectorIN3c107complexIfEEEEZZNS1_9scan_implILNS1_25lookback_scan_determinismE0ELb0ELb0ES3_PKS7_PS7_S7_ZZZN2at6native31launch_logcumsumexp_cuda_kernelERKNSE_10TensorBaseESI_lENKUlvE_clEvENKUlvE2_clEvEUlS7_S7_E_S7_EEDaPvRmT3_T4_T5_mT6_P12ihipStream_tbENKUlT_T0_E_clISt17integral_constantIbLb1EESY_IbLb0EEEEDaSU_SV_EUlSU_E_NS1_11comp_targetILNS1_3genE10ELNS1_11target_archE1201ELNS1_3gpuE5ELNS1_3repE0EEENS1_30default_config_static_selectorELNS0_4arch9wavefront6targetE1EEEvT1_,comdat
	.globl	_ZN7rocprim17ROCPRIM_400000_NS6detail17trampoline_kernelINS0_14default_configENS1_20scan_config_selectorIN3c107complexIfEEEEZZNS1_9scan_implILNS1_25lookback_scan_determinismE0ELb0ELb0ES3_PKS7_PS7_S7_ZZZN2at6native31launch_logcumsumexp_cuda_kernelERKNSE_10TensorBaseESI_lENKUlvE_clEvENKUlvE2_clEvEUlS7_S7_E_S7_EEDaPvRmT3_T4_T5_mT6_P12ihipStream_tbENKUlT_T0_E_clISt17integral_constantIbLb1EESY_IbLb0EEEEDaSU_SV_EUlSU_E_NS1_11comp_targetILNS1_3genE10ELNS1_11target_archE1201ELNS1_3gpuE5ELNS1_3repE0EEENS1_30default_config_static_selectorELNS0_4arch9wavefront6targetE1EEEvT1_ ; -- Begin function _ZN7rocprim17ROCPRIM_400000_NS6detail17trampoline_kernelINS0_14default_configENS1_20scan_config_selectorIN3c107complexIfEEEEZZNS1_9scan_implILNS1_25lookback_scan_determinismE0ELb0ELb0ES3_PKS7_PS7_S7_ZZZN2at6native31launch_logcumsumexp_cuda_kernelERKNSE_10TensorBaseESI_lENKUlvE_clEvENKUlvE2_clEvEUlS7_S7_E_S7_EEDaPvRmT3_T4_T5_mT6_P12ihipStream_tbENKUlT_T0_E_clISt17integral_constantIbLb1EESY_IbLb0EEEEDaSU_SV_EUlSU_E_NS1_11comp_targetILNS1_3genE10ELNS1_11target_archE1201ELNS1_3gpuE5ELNS1_3repE0EEENS1_30default_config_static_selectorELNS0_4arch9wavefront6targetE1EEEvT1_
	.p2align	8
	.type	_ZN7rocprim17ROCPRIM_400000_NS6detail17trampoline_kernelINS0_14default_configENS1_20scan_config_selectorIN3c107complexIfEEEEZZNS1_9scan_implILNS1_25lookback_scan_determinismE0ELb0ELb0ES3_PKS7_PS7_S7_ZZZN2at6native31launch_logcumsumexp_cuda_kernelERKNSE_10TensorBaseESI_lENKUlvE_clEvENKUlvE2_clEvEUlS7_S7_E_S7_EEDaPvRmT3_T4_T5_mT6_P12ihipStream_tbENKUlT_T0_E_clISt17integral_constantIbLb1EESY_IbLb0EEEEDaSU_SV_EUlSU_E_NS1_11comp_targetILNS1_3genE10ELNS1_11target_archE1201ELNS1_3gpuE5ELNS1_3repE0EEENS1_30default_config_static_selectorELNS0_4arch9wavefront6targetE1EEEvT1_,@function
_ZN7rocprim17ROCPRIM_400000_NS6detail17trampoline_kernelINS0_14default_configENS1_20scan_config_selectorIN3c107complexIfEEEEZZNS1_9scan_implILNS1_25lookback_scan_determinismE0ELb0ELb0ES3_PKS7_PS7_S7_ZZZN2at6native31launch_logcumsumexp_cuda_kernelERKNSE_10TensorBaseESI_lENKUlvE_clEvENKUlvE2_clEvEUlS7_S7_E_S7_EEDaPvRmT3_T4_T5_mT6_P12ihipStream_tbENKUlT_T0_E_clISt17integral_constantIbLb1EESY_IbLb0EEEEDaSU_SV_EUlSU_E_NS1_11comp_targetILNS1_3genE10ELNS1_11target_archE1201ELNS1_3gpuE5ELNS1_3repE0EEENS1_30default_config_static_selectorELNS0_4arch9wavefront6targetE1EEEvT1_: ; @_ZN7rocprim17ROCPRIM_400000_NS6detail17trampoline_kernelINS0_14default_configENS1_20scan_config_selectorIN3c107complexIfEEEEZZNS1_9scan_implILNS1_25lookback_scan_determinismE0ELb0ELb0ES3_PKS7_PS7_S7_ZZZN2at6native31launch_logcumsumexp_cuda_kernelERKNSE_10TensorBaseESI_lENKUlvE_clEvENKUlvE2_clEvEUlS7_S7_E_S7_EEDaPvRmT3_T4_T5_mT6_P12ihipStream_tbENKUlT_T0_E_clISt17integral_constantIbLb1EESY_IbLb0EEEEDaSU_SV_EUlSU_E_NS1_11comp_targetILNS1_3genE10ELNS1_11target_archE1201ELNS1_3gpuE5ELNS1_3repE0EEENS1_30default_config_static_selectorELNS0_4arch9wavefront6targetE1EEEvT1_
; %bb.0:
	.section	.rodata,"a",@progbits
	.p2align	6, 0x0
	.amdhsa_kernel _ZN7rocprim17ROCPRIM_400000_NS6detail17trampoline_kernelINS0_14default_configENS1_20scan_config_selectorIN3c107complexIfEEEEZZNS1_9scan_implILNS1_25lookback_scan_determinismE0ELb0ELb0ES3_PKS7_PS7_S7_ZZZN2at6native31launch_logcumsumexp_cuda_kernelERKNSE_10TensorBaseESI_lENKUlvE_clEvENKUlvE2_clEvEUlS7_S7_E_S7_EEDaPvRmT3_T4_T5_mT6_P12ihipStream_tbENKUlT_T0_E_clISt17integral_constantIbLb1EESY_IbLb0EEEEDaSU_SV_EUlSU_E_NS1_11comp_targetILNS1_3genE10ELNS1_11target_archE1201ELNS1_3gpuE5ELNS1_3repE0EEENS1_30default_config_static_selectorELNS0_4arch9wavefront6targetE1EEEvT1_
		.amdhsa_group_segment_fixed_size 0
		.amdhsa_private_segment_fixed_size 0
		.amdhsa_kernarg_size 104
		.amdhsa_user_sgpr_count 2
		.amdhsa_user_sgpr_dispatch_ptr 0
		.amdhsa_user_sgpr_queue_ptr 0
		.amdhsa_user_sgpr_kernarg_segment_ptr 1
		.amdhsa_user_sgpr_dispatch_id 0
		.amdhsa_user_sgpr_kernarg_preload_length 0
		.amdhsa_user_sgpr_kernarg_preload_offset 0
		.amdhsa_user_sgpr_private_segment_size 0
		.amdhsa_uses_dynamic_stack 0
		.amdhsa_enable_private_segment 0
		.amdhsa_system_sgpr_workgroup_id_x 1
		.amdhsa_system_sgpr_workgroup_id_y 0
		.amdhsa_system_sgpr_workgroup_id_z 0
		.amdhsa_system_sgpr_workgroup_info 0
		.amdhsa_system_vgpr_workitem_id 0
		.amdhsa_next_free_vgpr 1
		.amdhsa_next_free_sgpr 0
		.amdhsa_accum_offset 4
		.amdhsa_reserve_vcc 0
		.amdhsa_float_round_mode_32 0
		.amdhsa_float_round_mode_16_64 0
		.amdhsa_float_denorm_mode_32 3
		.amdhsa_float_denorm_mode_16_64 3
		.amdhsa_dx10_clamp 1
		.amdhsa_ieee_mode 1
		.amdhsa_fp16_overflow 0
		.amdhsa_tg_split 0
		.amdhsa_exception_fp_ieee_invalid_op 0
		.amdhsa_exception_fp_denorm_src 0
		.amdhsa_exception_fp_ieee_div_zero 0
		.amdhsa_exception_fp_ieee_overflow 0
		.amdhsa_exception_fp_ieee_underflow 0
		.amdhsa_exception_fp_ieee_inexact 0
		.amdhsa_exception_int_div_zero 0
	.end_amdhsa_kernel
	.section	.text._ZN7rocprim17ROCPRIM_400000_NS6detail17trampoline_kernelINS0_14default_configENS1_20scan_config_selectorIN3c107complexIfEEEEZZNS1_9scan_implILNS1_25lookback_scan_determinismE0ELb0ELb0ES3_PKS7_PS7_S7_ZZZN2at6native31launch_logcumsumexp_cuda_kernelERKNSE_10TensorBaseESI_lENKUlvE_clEvENKUlvE2_clEvEUlS7_S7_E_S7_EEDaPvRmT3_T4_T5_mT6_P12ihipStream_tbENKUlT_T0_E_clISt17integral_constantIbLb1EESY_IbLb0EEEEDaSU_SV_EUlSU_E_NS1_11comp_targetILNS1_3genE10ELNS1_11target_archE1201ELNS1_3gpuE5ELNS1_3repE0EEENS1_30default_config_static_selectorELNS0_4arch9wavefront6targetE1EEEvT1_,"axG",@progbits,_ZN7rocprim17ROCPRIM_400000_NS6detail17trampoline_kernelINS0_14default_configENS1_20scan_config_selectorIN3c107complexIfEEEEZZNS1_9scan_implILNS1_25lookback_scan_determinismE0ELb0ELb0ES3_PKS7_PS7_S7_ZZZN2at6native31launch_logcumsumexp_cuda_kernelERKNSE_10TensorBaseESI_lENKUlvE_clEvENKUlvE2_clEvEUlS7_S7_E_S7_EEDaPvRmT3_T4_T5_mT6_P12ihipStream_tbENKUlT_T0_E_clISt17integral_constantIbLb1EESY_IbLb0EEEEDaSU_SV_EUlSU_E_NS1_11comp_targetILNS1_3genE10ELNS1_11target_archE1201ELNS1_3gpuE5ELNS1_3repE0EEENS1_30default_config_static_selectorELNS0_4arch9wavefront6targetE1EEEvT1_,comdat
.Lfunc_end323:
	.size	_ZN7rocprim17ROCPRIM_400000_NS6detail17trampoline_kernelINS0_14default_configENS1_20scan_config_selectorIN3c107complexIfEEEEZZNS1_9scan_implILNS1_25lookback_scan_determinismE0ELb0ELb0ES3_PKS7_PS7_S7_ZZZN2at6native31launch_logcumsumexp_cuda_kernelERKNSE_10TensorBaseESI_lENKUlvE_clEvENKUlvE2_clEvEUlS7_S7_E_S7_EEDaPvRmT3_T4_T5_mT6_P12ihipStream_tbENKUlT_T0_E_clISt17integral_constantIbLb1EESY_IbLb0EEEEDaSU_SV_EUlSU_E_NS1_11comp_targetILNS1_3genE10ELNS1_11target_archE1201ELNS1_3gpuE5ELNS1_3repE0EEENS1_30default_config_static_selectorELNS0_4arch9wavefront6targetE1EEEvT1_, .Lfunc_end323-_ZN7rocprim17ROCPRIM_400000_NS6detail17trampoline_kernelINS0_14default_configENS1_20scan_config_selectorIN3c107complexIfEEEEZZNS1_9scan_implILNS1_25lookback_scan_determinismE0ELb0ELb0ES3_PKS7_PS7_S7_ZZZN2at6native31launch_logcumsumexp_cuda_kernelERKNSE_10TensorBaseESI_lENKUlvE_clEvENKUlvE2_clEvEUlS7_S7_E_S7_EEDaPvRmT3_T4_T5_mT6_P12ihipStream_tbENKUlT_T0_E_clISt17integral_constantIbLb1EESY_IbLb0EEEEDaSU_SV_EUlSU_E_NS1_11comp_targetILNS1_3genE10ELNS1_11target_archE1201ELNS1_3gpuE5ELNS1_3repE0EEENS1_30default_config_static_selectorELNS0_4arch9wavefront6targetE1EEEvT1_
                                        ; -- End function
	.section	.AMDGPU.csdata,"",@progbits
; Kernel info:
; codeLenInByte = 0
; NumSgprs: 6
; NumVgprs: 0
; NumAgprs: 0
; TotalNumVgprs: 0
; ScratchSize: 0
; MemoryBound: 0
; FloatMode: 240
; IeeeMode: 1
; LDSByteSize: 0 bytes/workgroup (compile time only)
; SGPRBlocks: 0
; VGPRBlocks: 0
; NumSGPRsForWavesPerEU: 6
; NumVGPRsForWavesPerEU: 1
; AccumOffset: 4
; Occupancy: 8
; WaveLimiterHint : 0
; COMPUTE_PGM_RSRC2:SCRATCH_EN: 0
; COMPUTE_PGM_RSRC2:USER_SGPR: 2
; COMPUTE_PGM_RSRC2:TRAP_HANDLER: 0
; COMPUTE_PGM_RSRC2:TGID_X_EN: 1
; COMPUTE_PGM_RSRC2:TGID_Y_EN: 0
; COMPUTE_PGM_RSRC2:TGID_Z_EN: 0
; COMPUTE_PGM_RSRC2:TIDIG_COMP_CNT: 0
; COMPUTE_PGM_RSRC3_GFX90A:ACCUM_OFFSET: 0
; COMPUTE_PGM_RSRC3_GFX90A:TG_SPLIT: 0
	.section	.text._ZN7rocprim17ROCPRIM_400000_NS6detail17trampoline_kernelINS0_14default_configENS1_20scan_config_selectorIN3c107complexIfEEEEZZNS1_9scan_implILNS1_25lookback_scan_determinismE0ELb0ELb0ES3_PKS7_PS7_S7_ZZZN2at6native31launch_logcumsumexp_cuda_kernelERKNSE_10TensorBaseESI_lENKUlvE_clEvENKUlvE2_clEvEUlS7_S7_E_S7_EEDaPvRmT3_T4_T5_mT6_P12ihipStream_tbENKUlT_T0_E_clISt17integral_constantIbLb1EESY_IbLb0EEEEDaSU_SV_EUlSU_E_NS1_11comp_targetILNS1_3genE10ELNS1_11target_archE1200ELNS1_3gpuE4ELNS1_3repE0EEENS1_30default_config_static_selectorELNS0_4arch9wavefront6targetE1EEEvT1_,"axG",@progbits,_ZN7rocprim17ROCPRIM_400000_NS6detail17trampoline_kernelINS0_14default_configENS1_20scan_config_selectorIN3c107complexIfEEEEZZNS1_9scan_implILNS1_25lookback_scan_determinismE0ELb0ELb0ES3_PKS7_PS7_S7_ZZZN2at6native31launch_logcumsumexp_cuda_kernelERKNSE_10TensorBaseESI_lENKUlvE_clEvENKUlvE2_clEvEUlS7_S7_E_S7_EEDaPvRmT3_T4_T5_mT6_P12ihipStream_tbENKUlT_T0_E_clISt17integral_constantIbLb1EESY_IbLb0EEEEDaSU_SV_EUlSU_E_NS1_11comp_targetILNS1_3genE10ELNS1_11target_archE1200ELNS1_3gpuE4ELNS1_3repE0EEENS1_30default_config_static_selectorELNS0_4arch9wavefront6targetE1EEEvT1_,comdat
	.globl	_ZN7rocprim17ROCPRIM_400000_NS6detail17trampoline_kernelINS0_14default_configENS1_20scan_config_selectorIN3c107complexIfEEEEZZNS1_9scan_implILNS1_25lookback_scan_determinismE0ELb0ELb0ES3_PKS7_PS7_S7_ZZZN2at6native31launch_logcumsumexp_cuda_kernelERKNSE_10TensorBaseESI_lENKUlvE_clEvENKUlvE2_clEvEUlS7_S7_E_S7_EEDaPvRmT3_T4_T5_mT6_P12ihipStream_tbENKUlT_T0_E_clISt17integral_constantIbLb1EESY_IbLb0EEEEDaSU_SV_EUlSU_E_NS1_11comp_targetILNS1_3genE10ELNS1_11target_archE1200ELNS1_3gpuE4ELNS1_3repE0EEENS1_30default_config_static_selectorELNS0_4arch9wavefront6targetE1EEEvT1_ ; -- Begin function _ZN7rocprim17ROCPRIM_400000_NS6detail17trampoline_kernelINS0_14default_configENS1_20scan_config_selectorIN3c107complexIfEEEEZZNS1_9scan_implILNS1_25lookback_scan_determinismE0ELb0ELb0ES3_PKS7_PS7_S7_ZZZN2at6native31launch_logcumsumexp_cuda_kernelERKNSE_10TensorBaseESI_lENKUlvE_clEvENKUlvE2_clEvEUlS7_S7_E_S7_EEDaPvRmT3_T4_T5_mT6_P12ihipStream_tbENKUlT_T0_E_clISt17integral_constantIbLb1EESY_IbLb0EEEEDaSU_SV_EUlSU_E_NS1_11comp_targetILNS1_3genE10ELNS1_11target_archE1200ELNS1_3gpuE4ELNS1_3repE0EEENS1_30default_config_static_selectorELNS0_4arch9wavefront6targetE1EEEvT1_
	.p2align	8
	.type	_ZN7rocprim17ROCPRIM_400000_NS6detail17trampoline_kernelINS0_14default_configENS1_20scan_config_selectorIN3c107complexIfEEEEZZNS1_9scan_implILNS1_25lookback_scan_determinismE0ELb0ELb0ES3_PKS7_PS7_S7_ZZZN2at6native31launch_logcumsumexp_cuda_kernelERKNSE_10TensorBaseESI_lENKUlvE_clEvENKUlvE2_clEvEUlS7_S7_E_S7_EEDaPvRmT3_T4_T5_mT6_P12ihipStream_tbENKUlT_T0_E_clISt17integral_constantIbLb1EESY_IbLb0EEEEDaSU_SV_EUlSU_E_NS1_11comp_targetILNS1_3genE10ELNS1_11target_archE1200ELNS1_3gpuE4ELNS1_3repE0EEENS1_30default_config_static_selectorELNS0_4arch9wavefront6targetE1EEEvT1_,@function
_ZN7rocprim17ROCPRIM_400000_NS6detail17trampoline_kernelINS0_14default_configENS1_20scan_config_selectorIN3c107complexIfEEEEZZNS1_9scan_implILNS1_25lookback_scan_determinismE0ELb0ELb0ES3_PKS7_PS7_S7_ZZZN2at6native31launch_logcumsumexp_cuda_kernelERKNSE_10TensorBaseESI_lENKUlvE_clEvENKUlvE2_clEvEUlS7_S7_E_S7_EEDaPvRmT3_T4_T5_mT6_P12ihipStream_tbENKUlT_T0_E_clISt17integral_constantIbLb1EESY_IbLb0EEEEDaSU_SV_EUlSU_E_NS1_11comp_targetILNS1_3genE10ELNS1_11target_archE1200ELNS1_3gpuE4ELNS1_3repE0EEENS1_30default_config_static_selectorELNS0_4arch9wavefront6targetE1EEEvT1_: ; @_ZN7rocprim17ROCPRIM_400000_NS6detail17trampoline_kernelINS0_14default_configENS1_20scan_config_selectorIN3c107complexIfEEEEZZNS1_9scan_implILNS1_25lookback_scan_determinismE0ELb0ELb0ES3_PKS7_PS7_S7_ZZZN2at6native31launch_logcumsumexp_cuda_kernelERKNSE_10TensorBaseESI_lENKUlvE_clEvENKUlvE2_clEvEUlS7_S7_E_S7_EEDaPvRmT3_T4_T5_mT6_P12ihipStream_tbENKUlT_T0_E_clISt17integral_constantIbLb1EESY_IbLb0EEEEDaSU_SV_EUlSU_E_NS1_11comp_targetILNS1_3genE10ELNS1_11target_archE1200ELNS1_3gpuE4ELNS1_3repE0EEENS1_30default_config_static_selectorELNS0_4arch9wavefront6targetE1EEEvT1_
; %bb.0:
	.section	.rodata,"a",@progbits
	.p2align	6, 0x0
	.amdhsa_kernel _ZN7rocprim17ROCPRIM_400000_NS6detail17trampoline_kernelINS0_14default_configENS1_20scan_config_selectorIN3c107complexIfEEEEZZNS1_9scan_implILNS1_25lookback_scan_determinismE0ELb0ELb0ES3_PKS7_PS7_S7_ZZZN2at6native31launch_logcumsumexp_cuda_kernelERKNSE_10TensorBaseESI_lENKUlvE_clEvENKUlvE2_clEvEUlS7_S7_E_S7_EEDaPvRmT3_T4_T5_mT6_P12ihipStream_tbENKUlT_T0_E_clISt17integral_constantIbLb1EESY_IbLb0EEEEDaSU_SV_EUlSU_E_NS1_11comp_targetILNS1_3genE10ELNS1_11target_archE1200ELNS1_3gpuE4ELNS1_3repE0EEENS1_30default_config_static_selectorELNS0_4arch9wavefront6targetE1EEEvT1_
		.amdhsa_group_segment_fixed_size 0
		.amdhsa_private_segment_fixed_size 0
		.amdhsa_kernarg_size 104
		.amdhsa_user_sgpr_count 2
		.amdhsa_user_sgpr_dispatch_ptr 0
		.amdhsa_user_sgpr_queue_ptr 0
		.amdhsa_user_sgpr_kernarg_segment_ptr 1
		.amdhsa_user_sgpr_dispatch_id 0
		.amdhsa_user_sgpr_kernarg_preload_length 0
		.amdhsa_user_sgpr_kernarg_preload_offset 0
		.amdhsa_user_sgpr_private_segment_size 0
		.amdhsa_uses_dynamic_stack 0
		.amdhsa_enable_private_segment 0
		.amdhsa_system_sgpr_workgroup_id_x 1
		.amdhsa_system_sgpr_workgroup_id_y 0
		.amdhsa_system_sgpr_workgroup_id_z 0
		.amdhsa_system_sgpr_workgroup_info 0
		.amdhsa_system_vgpr_workitem_id 0
		.amdhsa_next_free_vgpr 1
		.amdhsa_next_free_sgpr 0
		.amdhsa_accum_offset 4
		.amdhsa_reserve_vcc 0
		.amdhsa_float_round_mode_32 0
		.amdhsa_float_round_mode_16_64 0
		.amdhsa_float_denorm_mode_32 3
		.amdhsa_float_denorm_mode_16_64 3
		.amdhsa_dx10_clamp 1
		.amdhsa_ieee_mode 1
		.amdhsa_fp16_overflow 0
		.amdhsa_tg_split 0
		.amdhsa_exception_fp_ieee_invalid_op 0
		.amdhsa_exception_fp_denorm_src 0
		.amdhsa_exception_fp_ieee_div_zero 0
		.amdhsa_exception_fp_ieee_overflow 0
		.amdhsa_exception_fp_ieee_underflow 0
		.amdhsa_exception_fp_ieee_inexact 0
		.amdhsa_exception_int_div_zero 0
	.end_amdhsa_kernel
	.section	.text._ZN7rocprim17ROCPRIM_400000_NS6detail17trampoline_kernelINS0_14default_configENS1_20scan_config_selectorIN3c107complexIfEEEEZZNS1_9scan_implILNS1_25lookback_scan_determinismE0ELb0ELb0ES3_PKS7_PS7_S7_ZZZN2at6native31launch_logcumsumexp_cuda_kernelERKNSE_10TensorBaseESI_lENKUlvE_clEvENKUlvE2_clEvEUlS7_S7_E_S7_EEDaPvRmT3_T4_T5_mT6_P12ihipStream_tbENKUlT_T0_E_clISt17integral_constantIbLb1EESY_IbLb0EEEEDaSU_SV_EUlSU_E_NS1_11comp_targetILNS1_3genE10ELNS1_11target_archE1200ELNS1_3gpuE4ELNS1_3repE0EEENS1_30default_config_static_selectorELNS0_4arch9wavefront6targetE1EEEvT1_,"axG",@progbits,_ZN7rocprim17ROCPRIM_400000_NS6detail17trampoline_kernelINS0_14default_configENS1_20scan_config_selectorIN3c107complexIfEEEEZZNS1_9scan_implILNS1_25lookback_scan_determinismE0ELb0ELb0ES3_PKS7_PS7_S7_ZZZN2at6native31launch_logcumsumexp_cuda_kernelERKNSE_10TensorBaseESI_lENKUlvE_clEvENKUlvE2_clEvEUlS7_S7_E_S7_EEDaPvRmT3_T4_T5_mT6_P12ihipStream_tbENKUlT_T0_E_clISt17integral_constantIbLb1EESY_IbLb0EEEEDaSU_SV_EUlSU_E_NS1_11comp_targetILNS1_3genE10ELNS1_11target_archE1200ELNS1_3gpuE4ELNS1_3repE0EEENS1_30default_config_static_selectorELNS0_4arch9wavefront6targetE1EEEvT1_,comdat
.Lfunc_end324:
	.size	_ZN7rocprim17ROCPRIM_400000_NS6detail17trampoline_kernelINS0_14default_configENS1_20scan_config_selectorIN3c107complexIfEEEEZZNS1_9scan_implILNS1_25lookback_scan_determinismE0ELb0ELb0ES3_PKS7_PS7_S7_ZZZN2at6native31launch_logcumsumexp_cuda_kernelERKNSE_10TensorBaseESI_lENKUlvE_clEvENKUlvE2_clEvEUlS7_S7_E_S7_EEDaPvRmT3_T4_T5_mT6_P12ihipStream_tbENKUlT_T0_E_clISt17integral_constantIbLb1EESY_IbLb0EEEEDaSU_SV_EUlSU_E_NS1_11comp_targetILNS1_3genE10ELNS1_11target_archE1200ELNS1_3gpuE4ELNS1_3repE0EEENS1_30default_config_static_selectorELNS0_4arch9wavefront6targetE1EEEvT1_, .Lfunc_end324-_ZN7rocprim17ROCPRIM_400000_NS6detail17trampoline_kernelINS0_14default_configENS1_20scan_config_selectorIN3c107complexIfEEEEZZNS1_9scan_implILNS1_25lookback_scan_determinismE0ELb0ELb0ES3_PKS7_PS7_S7_ZZZN2at6native31launch_logcumsumexp_cuda_kernelERKNSE_10TensorBaseESI_lENKUlvE_clEvENKUlvE2_clEvEUlS7_S7_E_S7_EEDaPvRmT3_T4_T5_mT6_P12ihipStream_tbENKUlT_T0_E_clISt17integral_constantIbLb1EESY_IbLb0EEEEDaSU_SV_EUlSU_E_NS1_11comp_targetILNS1_3genE10ELNS1_11target_archE1200ELNS1_3gpuE4ELNS1_3repE0EEENS1_30default_config_static_selectorELNS0_4arch9wavefront6targetE1EEEvT1_
                                        ; -- End function
	.section	.AMDGPU.csdata,"",@progbits
; Kernel info:
; codeLenInByte = 0
; NumSgprs: 6
; NumVgprs: 0
; NumAgprs: 0
; TotalNumVgprs: 0
; ScratchSize: 0
; MemoryBound: 0
; FloatMode: 240
; IeeeMode: 1
; LDSByteSize: 0 bytes/workgroup (compile time only)
; SGPRBlocks: 0
; VGPRBlocks: 0
; NumSGPRsForWavesPerEU: 6
; NumVGPRsForWavesPerEU: 1
; AccumOffset: 4
; Occupancy: 8
; WaveLimiterHint : 0
; COMPUTE_PGM_RSRC2:SCRATCH_EN: 0
; COMPUTE_PGM_RSRC2:USER_SGPR: 2
; COMPUTE_PGM_RSRC2:TRAP_HANDLER: 0
; COMPUTE_PGM_RSRC2:TGID_X_EN: 1
; COMPUTE_PGM_RSRC2:TGID_Y_EN: 0
; COMPUTE_PGM_RSRC2:TGID_Z_EN: 0
; COMPUTE_PGM_RSRC2:TIDIG_COMP_CNT: 0
; COMPUTE_PGM_RSRC3_GFX90A:ACCUM_OFFSET: 0
; COMPUTE_PGM_RSRC3_GFX90A:TG_SPLIT: 0
	.section	.text._ZN7rocprim17ROCPRIM_400000_NS6detail17trampoline_kernelINS0_14default_configENS1_20scan_config_selectorIN3c107complexIfEEEEZZNS1_9scan_implILNS1_25lookback_scan_determinismE0ELb0ELb0ES3_PKS7_PS7_S7_ZZZN2at6native31launch_logcumsumexp_cuda_kernelERKNSE_10TensorBaseESI_lENKUlvE_clEvENKUlvE2_clEvEUlS7_S7_E_S7_EEDaPvRmT3_T4_T5_mT6_P12ihipStream_tbENKUlT_T0_E_clISt17integral_constantIbLb1EESY_IbLb0EEEEDaSU_SV_EUlSU_E_NS1_11comp_targetILNS1_3genE9ELNS1_11target_archE1100ELNS1_3gpuE3ELNS1_3repE0EEENS1_30default_config_static_selectorELNS0_4arch9wavefront6targetE1EEEvT1_,"axG",@progbits,_ZN7rocprim17ROCPRIM_400000_NS6detail17trampoline_kernelINS0_14default_configENS1_20scan_config_selectorIN3c107complexIfEEEEZZNS1_9scan_implILNS1_25lookback_scan_determinismE0ELb0ELb0ES3_PKS7_PS7_S7_ZZZN2at6native31launch_logcumsumexp_cuda_kernelERKNSE_10TensorBaseESI_lENKUlvE_clEvENKUlvE2_clEvEUlS7_S7_E_S7_EEDaPvRmT3_T4_T5_mT6_P12ihipStream_tbENKUlT_T0_E_clISt17integral_constantIbLb1EESY_IbLb0EEEEDaSU_SV_EUlSU_E_NS1_11comp_targetILNS1_3genE9ELNS1_11target_archE1100ELNS1_3gpuE3ELNS1_3repE0EEENS1_30default_config_static_selectorELNS0_4arch9wavefront6targetE1EEEvT1_,comdat
	.globl	_ZN7rocprim17ROCPRIM_400000_NS6detail17trampoline_kernelINS0_14default_configENS1_20scan_config_selectorIN3c107complexIfEEEEZZNS1_9scan_implILNS1_25lookback_scan_determinismE0ELb0ELb0ES3_PKS7_PS7_S7_ZZZN2at6native31launch_logcumsumexp_cuda_kernelERKNSE_10TensorBaseESI_lENKUlvE_clEvENKUlvE2_clEvEUlS7_S7_E_S7_EEDaPvRmT3_T4_T5_mT6_P12ihipStream_tbENKUlT_T0_E_clISt17integral_constantIbLb1EESY_IbLb0EEEEDaSU_SV_EUlSU_E_NS1_11comp_targetILNS1_3genE9ELNS1_11target_archE1100ELNS1_3gpuE3ELNS1_3repE0EEENS1_30default_config_static_selectorELNS0_4arch9wavefront6targetE1EEEvT1_ ; -- Begin function _ZN7rocprim17ROCPRIM_400000_NS6detail17trampoline_kernelINS0_14default_configENS1_20scan_config_selectorIN3c107complexIfEEEEZZNS1_9scan_implILNS1_25lookback_scan_determinismE0ELb0ELb0ES3_PKS7_PS7_S7_ZZZN2at6native31launch_logcumsumexp_cuda_kernelERKNSE_10TensorBaseESI_lENKUlvE_clEvENKUlvE2_clEvEUlS7_S7_E_S7_EEDaPvRmT3_T4_T5_mT6_P12ihipStream_tbENKUlT_T0_E_clISt17integral_constantIbLb1EESY_IbLb0EEEEDaSU_SV_EUlSU_E_NS1_11comp_targetILNS1_3genE9ELNS1_11target_archE1100ELNS1_3gpuE3ELNS1_3repE0EEENS1_30default_config_static_selectorELNS0_4arch9wavefront6targetE1EEEvT1_
	.p2align	8
	.type	_ZN7rocprim17ROCPRIM_400000_NS6detail17trampoline_kernelINS0_14default_configENS1_20scan_config_selectorIN3c107complexIfEEEEZZNS1_9scan_implILNS1_25lookback_scan_determinismE0ELb0ELb0ES3_PKS7_PS7_S7_ZZZN2at6native31launch_logcumsumexp_cuda_kernelERKNSE_10TensorBaseESI_lENKUlvE_clEvENKUlvE2_clEvEUlS7_S7_E_S7_EEDaPvRmT3_T4_T5_mT6_P12ihipStream_tbENKUlT_T0_E_clISt17integral_constantIbLb1EESY_IbLb0EEEEDaSU_SV_EUlSU_E_NS1_11comp_targetILNS1_3genE9ELNS1_11target_archE1100ELNS1_3gpuE3ELNS1_3repE0EEENS1_30default_config_static_selectorELNS0_4arch9wavefront6targetE1EEEvT1_,@function
_ZN7rocprim17ROCPRIM_400000_NS6detail17trampoline_kernelINS0_14default_configENS1_20scan_config_selectorIN3c107complexIfEEEEZZNS1_9scan_implILNS1_25lookback_scan_determinismE0ELb0ELb0ES3_PKS7_PS7_S7_ZZZN2at6native31launch_logcumsumexp_cuda_kernelERKNSE_10TensorBaseESI_lENKUlvE_clEvENKUlvE2_clEvEUlS7_S7_E_S7_EEDaPvRmT3_T4_T5_mT6_P12ihipStream_tbENKUlT_T0_E_clISt17integral_constantIbLb1EESY_IbLb0EEEEDaSU_SV_EUlSU_E_NS1_11comp_targetILNS1_3genE9ELNS1_11target_archE1100ELNS1_3gpuE3ELNS1_3repE0EEENS1_30default_config_static_selectorELNS0_4arch9wavefront6targetE1EEEvT1_: ; @_ZN7rocprim17ROCPRIM_400000_NS6detail17trampoline_kernelINS0_14default_configENS1_20scan_config_selectorIN3c107complexIfEEEEZZNS1_9scan_implILNS1_25lookback_scan_determinismE0ELb0ELb0ES3_PKS7_PS7_S7_ZZZN2at6native31launch_logcumsumexp_cuda_kernelERKNSE_10TensorBaseESI_lENKUlvE_clEvENKUlvE2_clEvEUlS7_S7_E_S7_EEDaPvRmT3_T4_T5_mT6_P12ihipStream_tbENKUlT_T0_E_clISt17integral_constantIbLb1EESY_IbLb0EEEEDaSU_SV_EUlSU_E_NS1_11comp_targetILNS1_3genE9ELNS1_11target_archE1100ELNS1_3gpuE3ELNS1_3repE0EEENS1_30default_config_static_selectorELNS0_4arch9wavefront6targetE1EEEvT1_
; %bb.0:
	.section	.rodata,"a",@progbits
	.p2align	6, 0x0
	.amdhsa_kernel _ZN7rocprim17ROCPRIM_400000_NS6detail17trampoline_kernelINS0_14default_configENS1_20scan_config_selectorIN3c107complexIfEEEEZZNS1_9scan_implILNS1_25lookback_scan_determinismE0ELb0ELb0ES3_PKS7_PS7_S7_ZZZN2at6native31launch_logcumsumexp_cuda_kernelERKNSE_10TensorBaseESI_lENKUlvE_clEvENKUlvE2_clEvEUlS7_S7_E_S7_EEDaPvRmT3_T4_T5_mT6_P12ihipStream_tbENKUlT_T0_E_clISt17integral_constantIbLb1EESY_IbLb0EEEEDaSU_SV_EUlSU_E_NS1_11comp_targetILNS1_3genE9ELNS1_11target_archE1100ELNS1_3gpuE3ELNS1_3repE0EEENS1_30default_config_static_selectorELNS0_4arch9wavefront6targetE1EEEvT1_
		.amdhsa_group_segment_fixed_size 0
		.amdhsa_private_segment_fixed_size 0
		.amdhsa_kernarg_size 104
		.amdhsa_user_sgpr_count 2
		.amdhsa_user_sgpr_dispatch_ptr 0
		.amdhsa_user_sgpr_queue_ptr 0
		.amdhsa_user_sgpr_kernarg_segment_ptr 1
		.amdhsa_user_sgpr_dispatch_id 0
		.amdhsa_user_sgpr_kernarg_preload_length 0
		.amdhsa_user_sgpr_kernarg_preload_offset 0
		.amdhsa_user_sgpr_private_segment_size 0
		.amdhsa_uses_dynamic_stack 0
		.amdhsa_enable_private_segment 0
		.amdhsa_system_sgpr_workgroup_id_x 1
		.amdhsa_system_sgpr_workgroup_id_y 0
		.amdhsa_system_sgpr_workgroup_id_z 0
		.amdhsa_system_sgpr_workgroup_info 0
		.amdhsa_system_vgpr_workitem_id 0
		.amdhsa_next_free_vgpr 1
		.amdhsa_next_free_sgpr 0
		.amdhsa_accum_offset 4
		.amdhsa_reserve_vcc 0
		.amdhsa_float_round_mode_32 0
		.amdhsa_float_round_mode_16_64 0
		.amdhsa_float_denorm_mode_32 3
		.amdhsa_float_denorm_mode_16_64 3
		.amdhsa_dx10_clamp 1
		.amdhsa_ieee_mode 1
		.amdhsa_fp16_overflow 0
		.amdhsa_tg_split 0
		.amdhsa_exception_fp_ieee_invalid_op 0
		.amdhsa_exception_fp_denorm_src 0
		.amdhsa_exception_fp_ieee_div_zero 0
		.amdhsa_exception_fp_ieee_overflow 0
		.amdhsa_exception_fp_ieee_underflow 0
		.amdhsa_exception_fp_ieee_inexact 0
		.amdhsa_exception_int_div_zero 0
	.end_amdhsa_kernel
	.section	.text._ZN7rocprim17ROCPRIM_400000_NS6detail17trampoline_kernelINS0_14default_configENS1_20scan_config_selectorIN3c107complexIfEEEEZZNS1_9scan_implILNS1_25lookback_scan_determinismE0ELb0ELb0ES3_PKS7_PS7_S7_ZZZN2at6native31launch_logcumsumexp_cuda_kernelERKNSE_10TensorBaseESI_lENKUlvE_clEvENKUlvE2_clEvEUlS7_S7_E_S7_EEDaPvRmT3_T4_T5_mT6_P12ihipStream_tbENKUlT_T0_E_clISt17integral_constantIbLb1EESY_IbLb0EEEEDaSU_SV_EUlSU_E_NS1_11comp_targetILNS1_3genE9ELNS1_11target_archE1100ELNS1_3gpuE3ELNS1_3repE0EEENS1_30default_config_static_selectorELNS0_4arch9wavefront6targetE1EEEvT1_,"axG",@progbits,_ZN7rocprim17ROCPRIM_400000_NS6detail17trampoline_kernelINS0_14default_configENS1_20scan_config_selectorIN3c107complexIfEEEEZZNS1_9scan_implILNS1_25lookback_scan_determinismE0ELb0ELb0ES3_PKS7_PS7_S7_ZZZN2at6native31launch_logcumsumexp_cuda_kernelERKNSE_10TensorBaseESI_lENKUlvE_clEvENKUlvE2_clEvEUlS7_S7_E_S7_EEDaPvRmT3_T4_T5_mT6_P12ihipStream_tbENKUlT_T0_E_clISt17integral_constantIbLb1EESY_IbLb0EEEEDaSU_SV_EUlSU_E_NS1_11comp_targetILNS1_3genE9ELNS1_11target_archE1100ELNS1_3gpuE3ELNS1_3repE0EEENS1_30default_config_static_selectorELNS0_4arch9wavefront6targetE1EEEvT1_,comdat
.Lfunc_end325:
	.size	_ZN7rocprim17ROCPRIM_400000_NS6detail17trampoline_kernelINS0_14default_configENS1_20scan_config_selectorIN3c107complexIfEEEEZZNS1_9scan_implILNS1_25lookback_scan_determinismE0ELb0ELb0ES3_PKS7_PS7_S7_ZZZN2at6native31launch_logcumsumexp_cuda_kernelERKNSE_10TensorBaseESI_lENKUlvE_clEvENKUlvE2_clEvEUlS7_S7_E_S7_EEDaPvRmT3_T4_T5_mT6_P12ihipStream_tbENKUlT_T0_E_clISt17integral_constantIbLb1EESY_IbLb0EEEEDaSU_SV_EUlSU_E_NS1_11comp_targetILNS1_3genE9ELNS1_11target_archE1100ELNS1_3gpuE3ELNS1_3repE0EEENS1_30default_config_static_selectorELNS0_4arch9wavefront6targetE1EEEvT1_, .Lfunc_end325-_ZN7rocprim17ROCPRIM_400000_NS6detail17trampoline_kernelINS0_14default_configENS1_20scan_config_selectorIN3c107complexIfEEEEZZNS1_9scan_implILNS1_25lookback_scan_determinismE0ELb0ELb0ES3_PKS7_PS7_S7_ZZZN2at6native31launch_logcumsumexp_cuda_kernelERKNSE_10TensorBaseESI_lENKUlvE_clEvENKUlvE2_clEvEUlS7_S7_E_S7_EEDaPvRmT3_T4_T5_mT6_P12ihipStream_tbENKUlT_T0_E_clISt17integral_constantIbLb1EESY_IbLb0EEEEDaSU_SV_EUlSU_E_NS1_11comp_targetILNS1_3genE9ELNS1_11target_archE1100ELNS1_3gpuE3ELNS1_3repE0EEENS1_30default_config_static_selectorELNS0_4arch9wavefront6targetE1EEEvT1_
                                        ; -- End function
	.section	.AMDGPU.csdata,"",@progbits
; Kernel info:
; codeLenInByte = 0
; NumSgprs: 6
; NumVgprs: 0
; NumAgprs: 0
; TotalNumVgprs: 0
; ScratchSize: 0
; MemoryBound: 0
; FloatMode: 240
; IeeeMode: 1
; LDSByteSize: 0 bytes/workgroup (compile time only)
; SGPRBlocks: 0
; VGPRBlocks: 0
; NumSGPRsForWavesPerEU: 6
; NumVGPRsForWavesPerEU: 1
; AccumOffset: 4
; Occupancy: 8
; WaveLimiterHint : 0
; COMPUTE_PGM_RSRC2:SCRATCH_EN: 0
; COMPUTE_PGM_RSRC2:USER_SGPR: 2
; COMPUTE_PGM_RSRC2:TRAP_HANDLER: 0
; COMPUTE_PGM_RSRC2:TGID_X_EN: 1
; COMPUTE_PGM_RSRC2:TGID_Y_EN: 0
; COMPUTE_PGM_RSRC2:TGID_Z_EN: 0
; COMPUTE_PGM_RSRC2:TIDIG_COMP_CNT: 0
; COMPUTE_PGM_RSRC3_GFX90A:ACCUM_OFFSET: 0
; COMPUTE_PGM_RSRC3_GFX90A:TG_SPLIT: 0
	.section	.text._ZN7rocprim17ROCPRIM_400000_NS6detail17trampoline_kernelINS0_14default_configENS1_20scan_config_selectorIN3c107complexIfEEEEZZNS1_9scan_implILNS1_25lookback_scan_determinismE0ELb0ELb0ES3_PKS7_PS7_S7_ZZZN2at6native31launch_logcumsumexp_cuda_kernelERKNSE_10TensorBaseESI_lENKUlvE_clEvENKUlvE2_clEvEUlS7_S7_E_S7_EEDaPvRmT3_T4_T5_mT6_P12ihipStream_tbENKUlT_T0_E_clISt17integral_constantIbLb1EESY_IbLb0EEEEDaSU_SV_EUlSU_E_NS1_11comp_targetILNS1_3genE8ELNS1_11target_archE1030ELNS1_3gpuE2ELNS1_3repE0EEENS1_30default_config_static_selectorELNS0_4arch9wavefront6targetE1EEEvT1_,"axG",@progbits,_ZN7rocprim17ROCPRIM_400000_NS6detail17trampoline_kernelINS0_14default_configENS1_20scan_config_selectorIN3c107complexIfEEEEZZNS1_9scan_implILNS1_25lookback_scan_determinismE0ELb0ELb0ES3_PKS7_PS7_S7_ZZZN2at6native31launch_logcumsumexp_cuda_kernelERKNSE_10TensorBaseESI_lENKUlvE_clEvENKUlvE2_clEvEUlS7_S7_E_S7_EEDaPvRmT3_T4_T5_mT6_P12ihipStream_tbENKUlT_T0_E_clISt17integral_constantIbLb1EESY_IbLb0EEEEDaSU_SV_EUlSU_E_NS1_11comp_targetILNS1_3genE8ELNS1_11target_archE1030ELNS1_3gpuE2ELNS1_3repE0EEENS1_30default_config_static_selectorELNS0_4arch9wavefront6targetE1EEEvT1_,comdat
	.globl	_ZN7rocprim17ROCPRIM_400000_NS6detail17trampoline_kernelINS0_14default_configENS1_20scan_config_selectorIN3c107complexIfEEEEZZNS1_9scan_implILNS1_25lookback_scan_determinismE0ELb0ELb0ES3_PKS7_PS7_S7_ZZZN2at6native31launch_logcumsumexp_cuda_kernelERKNSE_10TensorBaseESI_lENKUlvE_clEvENKUlvE2_clEvEUlS7_S7_E_S7_EEDaPvRmT3_T4_T5_mT6_P12ihipStream_tbENKUlT_T0_E_clISt17integral_constantIbLb1EESY_IbLb0EEEEDaSU_SV_EUlSU_E_NS1_11comp_targetILNS1_3genE8ELNS1_11target_archE1030ELNS1_3gpuE2ELNS1_3repE0EEENS1_30default_config_static_selectorELNS0_4arch9wavefront6targetE1EEEvT1_ ; -- Begin function _ZN7rocprim17ROCPRIM_400000_NS6detail17trampoline_kernelINS0_14default_configENS1_20scan_config_selectorIN3c107complexIfEEEEZZNS1_9scan_implILNS1_25lookback_scan_determinismE0ELb0ELb0ES3_PKS7_PS7_S7_ZZZN2at6native31launch_logcumsumexp_cuda_kernelERKNSE_10TensorBaseESI_lENKUlvE_clEvENKUlvE2_clEvEUlS7_S7_E_S7_EEDaPvRmT3_T4_T5_mT6_P12ihipStream_tbENKUlT_T0_E_clISt17integral_constantIbLb1EESY_IbLb0EEEEDaSU_SV_EUlSU_E_NS1_11comp_targetILNS1_3genE8ELNS1_11target_archE1030ELNS1_3gpuE2ELNS1_3repE0EEENS1_30default_config_static_selectorELNS0_4arch9wavefront6targetE1EEEvT1_
	.p2align	8
	.type	_ZN7rocprim17ROCPRIM_400000_NS6detail17trampoline_kernelINS0_14default_configENS1_20scan_config_selectorIN3c107complexIfEEEEZZNS1_9scan_implILNS1_25lookback_scan_determinismE0ELb0ELb0ES3_PKS7_PS7_S7_ZZZN2at6native31launch_logcumsumexp_cuda_kernelERKNSE_10TensorBaseESI_lENKUlvE_clEvENKUlvE2_clEvEUlS7_S7_E_S7_EEDaPvRmT3_T4_T5_mT6_P12ihipStream_tbENKUlT_T0_E_clISt17integral_constantIbLb1EESY_IbLb0EEEEDaSU_SV_EUlSU_E_NS1_11comp_targetILNS1_3genE8ELNS1_11target_archE1030ELNS1_3gpuE2ELNS1_3repE0EEENS1_30default_config_static_selectorELNS0_4arch9wavefront6targetE1EEEvT1_,@function
_ZN7rocprim17ROCPRIM_400000_NS6detail17trampoline_kernelINS0_14default_configENS1_20scan_config_selectorIN3c107complexIfEEEEZZNS1_9scan_implILNS1_25lookback_scan_determinismE0ELb0ELb0ES3_PKS7_PS7_S7_ZZZN2at6native31launch_logcumsumexp_cuda_kernelERKNSE_10TensorBaseESI_lENKUlvE_clEvENKUlvE2_clEvEUlS7_S7_E_S7_EEDaPvRmT3_T4_T5_mT6_P12ihipStream_tbENKUlT_T0_E_clISt17integral_constantIbLb1EESY_IbLb0EEEEDaSU_SV_EUlSU_E_NS1_11comp_targetILNS1_3genE8ELNS1_11target_archE1030ELNS1_3gpuE2ELNS1_3repE0EEENS1_30default_config_static_selectorELNS0_4arch9wavefront6targetE1EEEvT1_: ; @_ZN7rocprim17ROCPRIM_400000_NS6detail17trampoline_kernelINS0_14default_configENS1_20scan_config_selectorIN3c107complexIfEEEEZZNS1_9scan_implILNS1_25lookback_scan_determinismE0ELb0ELb0ES3_PKS7_PS7_S7_ZZZN2at6native31launch_logcumsumexp_cuda_kernelERKNSE_10TensorBaseESI_lENKUlvE_clEvENKUlvE2_clEvEUlS7_S7_E_S7_EEDaPvRmT3_T4_T5_mT6_P12ihipStream_tbENKUlT_T0_E_clISt17integral_constantIbLb1EESY_IbLb0EEEEDaSU_SV_EUlSU_E_NS1_11comp_targetILNS1_3genE8ELNS1_11target_archE1030ELNS1_3gpuE2ELNS1_3repE0EEENS1_30default_config_static_selectorELNS0_4arch9wavefront6targetE1EEEvT1_
; %bb.0:
	.section	.rodata,"a",@progbits
	.p2align	6, 0x0
	.amdhsa_kernel _ZN7rocprim17ROCPRIM_400000_NS6detail17trampoline_kernelINS0_14default_configENS1_20scan_config_selectorIN3c107complexIfEEEEZZNS1_9scan_implILNS1_25lookback_scan_determinismE0ELb0ELb0ES3_PKS7_PS7_S7_ZZZN2at6native31launch_logcumsumexp_cuda_kernelERKNSE_10TensorBaseESI_lENKUlvE_clEvENKUlvE2_clEvEUlS7_S7_E_S7_EEDaPvRmT3_T4_T5_mT6_P12ihipStream_tbENKUlT_T0_E_clISt17integral_constantIbLb1EESY_IbLb0EEEEDaSU_SV_EUlSU_E_NS1_11comp_targetILNS1_3genE8ELNS1_11target_archE1030ELNS1_3gpuE2ELNS1_3repE0EEENS1_30default_config_static_selectorELNS0_4arch9wavefront6targetE1EEEvT1_
		.amdhsa_group_segment_fixed_size 0
		.amdhsa_private_segment_fixed_size 0
		.amdhsa_kernarg_size 104
		.amdhsa_user_sgpr_count 2
		.amdhsa_user_sgpr_dispatch_ptr 0
		.amdhsa_user_sgpr_queue_ptr 0
		.amdhsa_user_sgpr_kernarg_segment_ptr 1
		.amdhsa_user_sgpr_dispatch_id 0
		.amdhsa_user_sgpr_kernarg_preload_length 0
		.amdhsa_user_sgpr_kernarg_preload_offset 0
		.amdhsa_user_sgpr_private_segment_size 0
		.amdhsa_uses_dynamic_stack 0
		.amdhsa_enable_private_segment 0
		.amdhsa_system_sgpr_workgroup_id_x 1
		.amdhsa_system_sgpr_workgroup_id_y 0
		.amdhsa_system_sgpr_workgroup_id_z 0
		.amdhsa_system_sgpr_workgroup_info 0
		.amdhsa_system_vgpr_workitem_id 0
		.amdhsa_next_free_vgpr 1
		.amdhsa_next_free_sgpr 0
		.amdhsa_accum_offset 4
		.amdhsa_reserve_vcc 0
		.amdhsa_float_round_mode_32 0
		.amdhsa_float_round_mode_16_64 0
		.amdhsa_float_denorm_mode_32 3
		.amdhsa_float_denorm_mode_16_64 3
		.amdhsa_dx10_clamp 1
		.amdhsa_ieee_mode 1
		.amdhsa_fp16_overflow 0
		.amdhsa_tg_split 0
		.amdhsa_exception_fp_ieee_invalid_op 0
		.amdhsa_exception_fp_denorm_src 0
		.amdhsa_exception_fp_ieee_div_zero 0
		.amdhsa_exception_fp_ieee_overflow 0
		.amdhsa_exception_fp_ieee_underflow 0
		.amdhsa_exception_fp_ieee_inexact 0
		.amdhsa_exception_int_div_zero 0
	.end_amdhsa_kernel
	.section	.text._ZN7rocprim17ROCPRIM_400000_NS6detail17trampoline_kernelINS0_14default_configENS1_20scan_config_selectorIN3c107complexIfEEEEZZNS1_9scan_implILNS1_25lookback_scan_determinismE0ELb0ELb0ES3_PKS7_PS7_S7_ZZZN2at6native31launch_logcumsumexp_cuda_kernelERKNSE_10TensorBaseESI_lENKUlvE_clEvENKUlvE2_clEvEUlS7_S7_E_S7_EEDaPvRmT3_T4_T5_mT6_P12ihipStream_tbENKUlT_T0_E_clISt17integral_constantIbLb1EESY_IbLb0EEEEDaSU_SV_EUlSU_E_NS1_11comp_targetILNS1_3genE8ELNS1_11target_archE1030ELNS1_3gpuE2ELNS1_3repE0EEENS1_30default_config_static_selectorELNS0_4arch9wavefront6targetE1EEEvT1_,"axG",@progbits,_ZN7rocprim17ROCPRIM_400000_NS6detail17trampoline_kernelINS0_14default_configENS1_20scan_config_selectorIN3c107complexIfEEEEZZNS1_9scan_implILNS1_25lookback_scan_determinismE0ELb0ELb0ES3_PKS7_PS7_S7_ZZZN2at6native31launch_logcumsumexp_cuda_kernelERKNSE_10TensorBaseESI_lENKUlvE_clEvENKUlvE2_clEvEUlS7_S7_E_S7_EEDaPvRmT3_T4_T5_mT6_P12ihipStream_tbENKUlT_T0_E_clISt17integral_constantIbLb1EESY_IbLb0EEEEDaSU_SV_EUlSU_E_NS1_11comp_targetILNS1_3genE8ELNS1_11target_archE1030ELNS1_3gpuE2ELNS1_3repE0EEENS1_30default_config_static_selectorELNS0_4arch9wavefront6targetE1EEEvT1_,comdat
.Lfunc_end326:
	.size	_ZN7rocprim17ROCPRIM_400000_NS6detail17trampoline_kernelINS0_14default_configENS1_20scan_config_selectorIN3c107complexIfEEEEZZNS1_9scan_implILNS1_25lookback_scan_determinismE0ELb0ELb0ES3_PKS7_PS7_S7_ZZZN2at6native31launch_logcumsumexp_cuda_kernelERKNSE_10TensorBaseESI_lENKUlvE_clEvENKUlvE2_clEvEUlS7_S7_E_S7_EEDaPvRmT3_T4_T5_mT6_P12ihipStream_tbENKUlT_T0_E_clISt17integral_constantIbLb1EESY_IbLb0EEEEDaSU_SV_EUlSU_E_NS1_11comp_targetILNS1_3genE8ELNS1_11target_archE1030ELNS1_3gpuE2ELNS1_3repE0EEENS1_30default_config_static_selectorELNS0_4arch9wavefront6targetE1EEEvT1_, .Lfunc_end326-_ZN7rocprim17ROCPRIM_400000_NS6detail17trampoline_kernelINS0_14default_configENS1_20scan_config_selectorIN3c107complexIfEEEEZZNS1_9scan_implILNS1_25lookback_scan_determinismE0ELb0ELb0ES3_PKS7_PS7_S7_ZZZN2at6native31launch_logcumsumexp_cuda_kernelERKNSE_10TensorBaseESI_lENKUlvE_clEvENKUlvE2_clEvEUlS7_S7_E_S7_EEDaPvRmT3_T4_T5_mT6_P12ihipStream_tbENKUlT_T0_E_clISt17integral_constantIbLb1EESY_IbLb0EEEEDaSU_SV_EUlSU_E_NS1_11comp_targetILNS1_3genE8ELNS1_11target_archE1030ELNS1_3gpuE2ELNS1_3repE0EEENS1_30default_config_static_selectorELNS0_4arch9wavefront6targetE1EEEvT1_
                                        ; -- End function
	.section	.AMDGPU.csdata,"",@progbits
; Kernel info:
; codeLenInByte = 0
; NumSgprs: 6
; NumVgprs: 0
; NumAgprs: 0
; TotalNumVgprs: 0
; ScratchSize: 0
; MemoryBound: 0
; FloatMode: 240
; IeeeMode: 1
; LDSByteSize: 0 bytes/workgroup (compile time only)
; SGPRBlocks: 0
; VGPRBlocks: 0
; NumSGPRsForWavesPerEU: 6
; NumVGPRsForWavesPerEU: 1
; AccumOffset: 4
; Occupancy: 8
; WaveLimiterHint : 0
; COMPUTE_PGM_RSRC2:SCRATCH_EN: 0
; COMPUTE_PGM_RSRC2:USER_SGPR: 2
; COMPUTE_PGM_RSRC2:TRAP_HANDLER: 0
; COMPUTE_PGM_RSRC2:TGID_X_EN: 1
; COMPUTE_PGM_RSRC2:TGID_Y_EN: 0
; COMPUTE_PGM_RSRC2:TGID_Z_EN: 0
; COMPUTE_PGM_RSRC2:TIDIG_COMP_CNT: 0
; COMPUTE_PGM_RSRC3_GFX90A:ACCUM_OFFSET: 0
; COMPUTE_PGM_RSRC3_GFX90A:TG_SPLIT: 0
	.section	.text._ZN7rocprim17ROCPRIM_400000_NS6detail17trampoline_kernelINS0_14default_configENS1_20scan_config_selectorIN3c107complexIfEEEEZZNS1_9scan_implILNS1_25lookback_scan_determinismE0ELb0ELb0ES3_PKS7_PS7_S7_ZZZN2at6native31launch_logcumsumexp_cuda_kernelERKNSE_10TensorBaseESI_lENKUlvE_clEvENKUlvE2_clEvEUlS7_S7_E_S7_EEDaPvRmT3_T4_T5_mT6_P12ihipStream_tbENKUlT_T0_E_clISt17integral_constantIbLb1EESY_IbLb0EEEEDaSU_SV_EUlSU_E0_NS1_11comp_targetILNS1_3genE0ELNS1_11target_archE4294967295ELNS1_3gpuE0ELNS1_3repE0EEENS1_30default_config_static_selectorELNS0_4arch9wavefront6targetE1EEEvT1_,"axG",@progbits,_ZN7rocprim17ROCPRIM_400000_NS6detail17trampoline_kernelINS0_14default_configENS1_20scan_config_selectorIN3c107complexIfEEEEZZNS1_9scan_implILNS1_25lookback_scan_determinismE0ELb0ELb0ES3_PKS7_PS7_S7_ZZZN2at6native31launch_logcumsumexp_cuda_kernelERKNSE_10TensorBaseESI_lENKUlvE_clEvENKUlvE2_clEvEUlS7_S7_E_S7_EEDaPvRmT3_T4_T5_mT6_P12ihipStream_tbENKUlT_T0_E_clISt17integral_constantIbLb1EESY_IbLb0EEEEDaSU_SV_EUlSU_E0_NS1_11comp_targetILNS1_3genE0ELNS1_11target_archE4294967295ELNS1_3gpuE0ELNS1_3repE0EEENS1_30default_config_static_selectorELNS0_4arch9wavefront6targetE1EEEvT1_,comdat
	.globl	_ZN7rocprim17ROCPRIM_400000_NS6detail17trampoline_kernelINS0_14default_configENS1_20scan_config_selectorIN3c107complexIfEEEEZZNS1_9scan_implILNS1_25lookback_scan_determinismE0ELb0ELb0ES3_PKS7_PS7_S7_ZZZN2at6native31launch_logcumsumexp_cuda_kernelERKNSE_10TensorBaseESI_lENKUlvE_clEvENKUlvE2_clEvEUlS7_S7_E_S7_EEDaPvRmT3_T4_T5_mT6_P12ihipStream_tbENKUlT_T0_E_clISt17integral_constantIbLb1EESY_IbLb0EEEEDaSU_SV_EUlSU_E0_NS1_11comp_targetILNS1_3genE0ELNS1_11target_archE4294967295ELNS1_3gpuE0ELNS1_3repE0EEENS1_30default_config_static_selectorELNS0_4arch9wavefront6targetE1EEEvT1_ ; -- Begin function _ZN7rocprim17ROCPRIM_400000_NS6detail17trampoline_kernelINS0_14default_configENS1_20scan_config_selectorIN3c107complexIfEEEEZZNS1_9scan_implILNS1_25lookback_scan_determinismE0ELb0ELb0ES3_PKS7_PS7_S7_ZZZN2at6native31launch_logcumsumexp_cuda_kernelERKNSE_10TensorBaseESI_lENKUlvE_clEvENKUlvE2_clEvEUlS7_S7_E_S7_EEDaPvRmT3_T4_T5_mT6_P12ihipStream_tbENKUlT_T0_E_clISt17integral_constantIbLb1EESY_IbLb0EEEEDaSU_SV_EUlSU_E0_NS1_11comp_targetILNS1_3genE0ELNS1_11target_archE4294967295ELNS1_3gpuE0ELNS1_3repE0EEENS1_30default_config_static_selectorELNS0_4arch9wavefront6targetE1EEEvT1_
	.p2align	8
	.type	_ZN7rocprim17ROCPRIM_400000_NS6detail17trampoline_kernelINS0_14default_configENS1_20scan_config_selectorIN3c107complexIfEEEEZZNS1_9scan_implILNS1_25lookback_scan_determinismE0ELb0ELb0ES3_PKS7_PS7_S7_ZZZN2at6native31launch_logcumsumexp_cuda_kernelERKNSE_10TensorBaseESI_lENKUlvE_clEvENKUlvE2_clEvEUlS7_S7_E_S7_EEDaPvRmT3_T4_T5_mT6_P12ihipStream_tbENKUlT_T0_E_clISt17integral_constantIbLb1EESY_IbLb0EEEEDaSU_SV_EUlSU_E0_NS1_11comp_targetILNS1_3genE0ELNS1_11target_archE4294967295ELNS1_3gpuE0ELNS1_3repE0EEENS1_30default_config_static_selectorELNS0_4arch9wavefront6targetE1EEEvT1_,@function
_ZN7rocprim17ROCPRIM_400000_NS6detail17trampoline_kernelINS0_14default_configENS1_20scan_config_selectorIN3c107complexIfEEEEZZNS1_9scan_implILNS1_25lookback_scan_determinismE0ELb0ELb0ES3_PKS7_PS7_S7_ZZZN2at6native31launch_logcumsumexp_cuda_kernelERKNSE_10TensorBaseESI_lENKUlvE_clEvENKUlvE2_clEvEUlS7_S7_E_S7_EEDaPvRmT3_T4_T5_mT6_P12ihipStream_tbENKUlT_T0_E_clISt17integral_constantIbLb1EESY_IbLb0EEEEDaSU_SV_EUlSU_E0_NS1_11comp_targetILNS1_3genE0ELNS1_11target_archE4294967295ELNS1_3gpuE0ELNS1_3repE0EEENS1_30default_config_static_selectorELNS0_4arch9wavefront6targetE1EEEvT1_: ; @_ZN7rocprim17ROCPRIM_400000_NS6detail17trampoline_kernelINS0_14default_configENS1_20scan_config_selectorIN3c107complexIfEEEEZZNS1_9scan_implILNS1_25lookback_scan_determinismE0ELb0ELb0ES3_PKS7_PS7_S7_ZZZN2at6native31launch_logcumsumexp_cuda_kernelERKNSE_10TensorBaseESI_lENKUlvE_clEvENKUlvE2_clEvEUlS7_S7_E_S7_EEDaPvRmT3_T4_T5_mT6_P12ihipStream_tbENKUlT_T0_E_clISt17integral_constantIbLb1EESY_IbLb0EEEEDaSU_SV_EUlSU_E0_NS1_11comp_targetILNS1_3genE0ELNS1_11target_archE4294967295ELNS1_3gpuE0ELNS1_3repE0EEENS1_30default_config_static_selectorELNS0_4arch9wavefront6targetE1EEEvT1_
; %bb.0:
	.section	.rodata,"a",@progbits
	.p2align	6, 0x0
	.amdhsa_kernel _ZN7rocprim17ROCPRIM_400000_NS6detail17trampoline_kernelINS0_14default_configENS1_20scan_config_selectorIN3c107complexIfEEEEZZNS1_9scan_implILNS1_25lookback_scan_determinismE0ELb0ELb0ES3_PKS7_PS7_S7_ZZZN2at6native31launch_logcumsumexp_cuda_kernelERKNSE_10TensorBaseESI_lENKUlvE_clEvENKUlvE2_clEvEUlS7_S7_E_S7_EEDaPvRmT3_T4_T5_mT6_P12ihipStream_tbENKUlT_T0_E_clISt17integral_constantIbLb1EESY_IbLb0EEEEDaSU_SV_EUlSU_E0_NS1_11comp_targetILNS1_3genE0ELNS1_11target_archE4294967295ELNS1_3gpuE0ELNS1_3repE0EEENS1_30default_config_static_selectorELNS0_4arch9wavefront6targetE1EEEvT1_
		.amdhsa_group_segment_fixed_size 0
		.amdhsa_private_segment_fixed_size 0
		.amdhsa_kernarg_size 40
		.amdhsa_user_sgpr_count 2
		.amdhsa_user_sgpr_dispatch_ptr 0
		.amdhsa_user_sgpr_queue_ptr 0
		.amdhsa_user_sgpr_kernarg_segment_ptr 1
		.amdhsa_user_sgpr_dispatch_id 0
		.amdhsa_user_sgpr_kernarg_preload_length 0
		.amdhsa_user_sgpr_kernarg_preload_offset 0
		.amdhsa_user_sgpr_private_segment_size 0
		.amdhsa_uses_dynamic_stack 0
		.amdhsa_enable_private_segment 0
		.amdhsa_system_sgpr_workgroup_id_x 1
		.amdhsa_system_sgpr_workgroup_id_y 0
		.amdhsa_system_sgpr_workgroup_id_z 0
		.amdhsa_system_sgpr_workgroup_info 0
		.amdhsa_system_vgpr_workitem_id 0
		.amdhsa_next_free_vgpr 1
		.amdhsa_next_free_sgpr 0
		.amdhsa_accum_offset 4
		.amdhsa_reserve_vcc 0
		.amdhsa_float_round_mode_32 0
		.amdhsa_float_round_mode_16_64 0
		.amdhsa_float_denorm_mode_32 3
		.amdhsa_float_denorm_mode_16_64 3
		.amdhsa_dx10_clamp 1
		.amdhsa_ieee_mode 1
		.amdhsa_fp16_overflow 0
		.amdhsa_tg_split 0
		.amdhsa_exception_fp_ieee_invalid_op 0
		.amdhsa_exception_fp_denorm_src 0
		.amdhsa_exception_fp_ieee_div_zero 0
		.amdhsa_exception_fp_ieee_overflow 0
		.amdhsa_exception_fp_ieee_underflow 0
		.amdhsa_exception_fp_ieee_inexact 0
		.amdhsa_exception_int_div_zero 0
	.end_amdhsa_kernel
	.section	.text._ZN7rocprim17ROCPRIM_400000_NS6detail17trampoline_kernelINS0_14default_configENS1_20scan_config_selectorIN3c107complexIfEEEEZZNS1_9scan_implILNS1_25lookback_scan_determinismE0ELb0ELb0ES3_PKS7_PS7_S7_ZZZN2at6native31launch_logcumsumexp_cuda_kernelERKNSE_10TensorBaseESI_lENKUlvE_clEvENKUlvE2_clEvEUlS7_S7_E_S7_EEDaPvRmT3_T4_T5_mT6_P12ihipStream_tbENKUlT_T0_E_clISt17integral_constantIbLb1EESY_IbLb0EEEEDaSU_SV_EUlSU_E0_NS1_11comp_targetILNS1_3genE0ELNS1_11target_archE4294967295ELNS1_3gpuE0ELNS1_3repE0EEENS1_30default_config_static_selectorELNS0_4arch9wavefront6targetE1EEEvT1_,"axG",@progbits,_ZN7rocprim17ROCPRIM_400000_NS6detail17trampoline_kernelINS0_14default_configENS1_20scan_config_selectorIN3c107complexIfEEEEZZNS1_9scan_implILNS1_25lookback_scan_determinismE0ELb0ELb0ES3_PKS7_PS7_S7_ZZZN2at6native31launch_logcumsumexp_cuda_kernelERKNSE_10TensorBaseESI_lENKUlvE_clEvENKUlvE2_clEvEUlS7_S7_E_S7_EEDaPvRmT3_T4_T5_mT6_P12ihipStream_tbENKUlT_T0_E_clISt17integral_constantIbLb1EESY_IbLb0EEEEDaSU_SV_EUlSU_E0_NS1_11comp_targetILNS1_3genE0ELNS1_11target_archE4294967295ELNS1_3gpuE0ELNS1_3repE0EEENS1_30default_config_static_selectorELNS0_4arch9wavefront6targetE1EEEvT1_,comdat
.Lfunc_end327:
	.size	_ZN7rocprim17ROCPRIM_400000_NS6detail17trampoline_kernelINS0_14default_configENS1_20scan_config_selectorIN3c107complexIfEEEEZZNS1_9scan_implILNS1_25lookback_scan_determinismE0ELb0ELb0ES3_PKS7_PS7_S7_ZZZN2at6native31launch_logcumsumexp_cuda_kernelERKNSE_10TensorBaseESI_lENKUlvE_clEvENKUlvE2_clEvEUlS7_S7_E_S7_EEDaPvRmT3_T4_T5_mT6_P12ihipStream_tbENKUlT_T0_E_clISt17integral_constantIbLb1EESY_IbLb0EEEEDaSU_SV_EUlSU_E0_NS1_11comp_targetILNS1_3genE0ELNS1_11target_archE4294967295ELNS1_3gpuE0ELNS1_3repE0EEENS1_30default_config_static_selectorELNS0_4arch9wavefront6targetE1EEEvT1_, .Lfunc_end327-_ZN7rocprim17ROCPRIM_400000_NS6detail17trampoline_kernelINS0_14default_configENS1_20scan_config_selectorIN3c107complexIfEEEEZZNS1_9scan_implILNS1_25lookback_scan_determinismE0ELb0ELb0ES3_PKS7_PS7_S7_ZZZN2at6native31launch_logcumsumexp_cuda_kernelERKNSE_10TensorBaseESI_lENKUlvE_clEvENKUlvE2_clEvEUlS7_S7_E_S7_EEDaPvRmT3_T4_T5_mT6_P12ihipStream_tbENKUlT_T0_E_clISt17integral_constantIbLb1EESY_IbLb0EEEEDaSU_SV_EUlSU_E0_NS1_11comp_targetILNS1_3genE0ELNS1_11target_archE4294967295ELNS1_3gpuE0ELNS1_3repE0EEENS1_30default_config_static_selectorELNS0_4arch9wavefront6targetE1EEEvT1_
                                        ; -- End function
	.section	.AMDGPU.csdata,"",@progbits
; Kernel info:
; codeLenInByte = 0
; NumSgprs: 6
; NumVgprs: 0
; NumAgprs: 0
; TotalNumVgprs: 0
; ScratchSize: 0
; MemoryBound: 0
; FloatMode: 240
; IeeeMode: 1
; LDSByteSize: 0 bytes/workgroup (compile time only)
; SGPRBlocks: 0
; VGPRBlocks: 0
; NumSGPRsForWavesPerEU: 6
; NumVGPRsForWavesPerEU: 1
; AccumOffset: 4
; Occupancy: 8
; WaveLimiterHint : 0
; COMPUTE_PGM_RSRC2:SCRATCH_EN: 0
; COMPUTE_PGM_RSRC2:USER_SGPR: 2
; COMPUTE_PGM_RSRC2:TRAP_HANDLER: 0
; COMPUTE_PGM_RSRC2:TGID_X_EN: 1
; COMPUTE_PGM_RSRC2:TGID_Y_EN: 0
; COMPUTE_PGM_RSRC2:TGID_Z_EN: 0
; COMPUTE_PGM_RSRC2:TIDIG_COMP_CNT: 0
; COMPUTE_PGM_RSRC3_GFX90A:ACCUM_OFFSET: 0
; COMPUTE_PGM_RSRC3_GFX90A:TG_SPLIT: 0
	.section	.text._ZN7rocprim17ROCPRIM_400000_NS6detail17trampoline_kernelINS0_14default_configENS1_20scan_config_selectorIN3c107complexIfEEEEZZNS1_9scan_implILNS1_25lookback_scan_determinismE0ELb0ELb0ES3_PKS7_PS7_S7_ZZZN2at6native31launch_logcumsumexp_cuda_kernelERKNSE_10TensorBaseESI_lENKUlvE_clEvENKUlvE2_clEvEUlS7_S7_E_S7_EEDaPvRmT3_T4_T5_mT6_P12ihipStream_tbENKUlT_T0_E_clISt17integral_constantIbLb1EESY_IbLb0EEEEDaSU_SV_EUlSU_E0_NS1_11comp_targetILNS1_3genE5ELNS1_11target_archE942ELNS1_3gpuE9ELNS1_3repE0EEENS1_30default_config_static_selectorELNS0_4arch9wavefront6targetE1EEEvT1_,"axG",@progbits,_ZN7rocprim17ROCPRIM_400000_NS6detail17trampoline_kernelINS0_14default_configENS1_20scan_config_selectorIN3c107complexIfEEEEZZNS1_9scan_implILNS1_25lookback_scan_determinismE0ELb0ELb0ES3_PKS7_PS7_S7_ZZZN2at6native31launch_logcumsumexp_cuda_kernelERKNSE_10TensorBaseESI_lENKUlvE_clEvENKUlvE2_clEvEUlS7_S7_E_S7_EEDaPvRmT3_T4_T5_mT6_P12ihipStream_tbENKUlT_T0_E_clISt17integral_constantIbLb1EESY_IbLb0EEEEDaSU_SV_EUlSU_E0_NS1_11comp_targetILNS1_3genE5ELNS1_11target_archE942ELNS1_3gpuE9ELNS1_3repE0EEENS1_30default_config_static_selectorELNS0_4arch9wavefront6targetE1EEEvT1_,comdat
	.globl	_ZN7rocprim17ROCPRIM_400000_NS6detail17trampoline_kernelINS0_14default_configENS1_20scan_config_selectorIN3c107complexIfEEEEZZNS1_9scan_implILNS1_25lookback_scan_determinismE0ELb0ELb0ES3_PKS7_PS7_S7_ZZZN2at6native31launch_logcumsumexp_cuda_kernelERKNSE_10TensorBaseESI_lENKUlvE_clEvENKUlvE2_clEvEUlS7_S7_E_S7_EEDaPvRmT3_T4_T5_mT6_P12ihipStream_tbENKUlT_T0_E_clISt17integral_constantIbLb1EESY_IbLb0EEEEDaSU_SV_EUlSU_E0_NS1_11comp_targetILNS1_3genE5ELNS1_11target_archE942ELNS1_3gpuE9ELNS1_3repE0EEENS1_30default_config_static_selectorELNS0_4arch9wavefront6targetE1EEEvT1_ ; -- Begin function _ZN7rocprim17ROCPRIM_400000_NS6detail17trampoline_kernelINS0_14default_configENS1_20scan_config_selectorIN3c107complexIfEEEEZZNS1_9scan_implILNS1_25lookback_scan_determinismE0ELb0ELb0ES3_PKS7_PS7_S7_ZZZN2at6native31launch_logcumsumexp_cuda_kernelERKNSE_10TensorBaseESI_lENKUlvE_clEvENKUlvE2_clEvEUlS7_S7_E_S7_EEDaPvRmT3_T4_T5_mT6_P12ihipStream_tbENKUlT_T0_E_clISt17integral_constantIbLb1EESY_IbLb0EEEEDaSU_SV_EUlSU_E0_NS1_11comp_targetILNS1_3genE5ELNS1_11target_archE942ELNS1_3gpuE9ELNS1_3repE0EEENS1_30default_config_static_selectorELNS0_4arch9wavefront6targetE1EEEvT1_
	.p2align	8
	.type	_ZN7rocprim17ROCPRIM_400000_NS6detail17trampoline_kernelINS0_14default_configENS1_20scan_config_selectorIN3c107complexIfEEEEZZNS1_9scan_implILNS1_25lookback_scan_determinismE0ELb0ELb0ES3_PKS7_PS7_S7_ZZZN2at6native31launch_logcumsumexp_cuda_kernelERKNSE_10TensorBaseESI_lENKUlvE_clEvENKUlvE2_clEvEUlS7_S7_E_S7_EEDaPvRmT3_T4_T5_mT6_P12ihipStream_tbENKUlT_T0_E_clISt17integral_constantIbLb1EESY_IbLb0EEEEDaSU_SV_EUlSU_E0_NS1_11comp_targetILNS1_3genE5ELNS1_11target_archE942ELNS1_3gpuE9ELNS1_3repE0EEENS1_30default_config_static_selectorELNS0_4arch9wavefront6targetE1EEEvT1_,@function
_ZN7rocprim17ROCPRIM_400000_NS6detail17trampoline_kernelINS0_14default_configENS1_20scan_config_selectorIN3c107complexIfEEEEZZNS1_9scan_implILNS1_25lookback_scan_determinismE0ELb0ELb0ES3_PKS7_PS7_S7_ZZZN2at6native31launch_logcumsumexp_cuda_kernelERKNSE_10TensorBaseESI_lENKUlvE_clEvENKUlvE2_clEvEUlS7_S7_E_S7_EEDaPvRmT3_T4_T5_mT6_P12ihipStream_tbENKUlT_T0_E_clISt17integral_constantIbLb1EESY_IbLb0EEEEDaSU_SV_EUlSU_E0_NS1_11comp_targetILNS1_3genE5ELNS1_11target_archE942ELNS1_3gpuE9ELNS1_3repE0EEENS1_30default_config_static_selectorELNS0_4arch9wavefront6targetE1EEEvT1_: ; @_ZN7rocprim17ROCPRIM_400000_NS6detail17trampoline_kernelINS0_14default_configENS1_20scan_config_selectorIN3c107complexIfEEEEZZNS1_9scan_implILNS1_25lookback_scan_determinismE0ELb0ELb0ES3_PKS7_PS7_S7_ZZZN2at6native31launch_logcumsumexp_cuda_kernelERKNSE_10TensorBaseESI_lENKUlvE_clEvENKUlvE2_clEvEUlS7_S7_E_S7_EEDaPvRmT3_T4_T5_mT6_P12ihipStream_tbENKUlT_T0_E_clISt17integral_constantIbLb1EESY_IbLb0EEEEDaSU_SV_EUlSU_E0_NS1_11comp_targetILNS1_3genE5ELNS1_11target_archE942ELNS1_3gpuE9ELNS1_3repE0EEENS1_30default_config_static_selectorELNS0_4arch9wavefront6targetE1EEEvT1_
; %bb.0:
	s_mov_b64 s[50:51], s[0:1]
	s_load_dwordx4 s[0:3], s[0:1], 0x0
	v_mov_b32_e32 v27, v0
	v_lshlrev_b32_e32 v92, 3, v27
	s_mov_b32 s32, 0
	s_waitcnt lgkmcnt(0)
	s_load_dwordx2 s[4:5], s[0:1], 0x0
	v_cmp_gt_u32_e64 s[16:17], s2, v27
	s_waitcnt lgkmcnt(0)
	v_mov_b64_e32 v[0:1], s[4:5]
	s_and_saveexec_b64 s[6:7], s[16:17]
	s_cbranch_execz .LBB328_2
; %bb.1:
	global_load_dwordx2 v[0:1], v92, s[0:1]
.LBB328_2:
	s_or_b64 exec, exec, s[6:7]
	v_or_b32_e32 v2, 0x100, v27
	v_cmp_gt_u32_e64 s[18:19], s2, v2
	v_mov_b64_e32 v[2:3], s[4:5]
	s_and_saveexec_b64 s[6:7], s[18:19]
	s_cbranch_execz .LBB328_4
; %bb.3:
	global_load_dwordx2 v[2:3], v92, s[0:1] offset:2048
.LBB328_4:
	s_or_b64 exec, exec, s[6:7]
	v_or_b32_e32 v6, 0x200, v27
	v_cmp_gt_u32_e64 s[20:21], s2, v6
	v_mov_b64_e32 v[4:5], s[4:5]
	s_and_saveexec_b64 s[6:7], s[20:21]
	s_cbranch_execz .LBB328_6
; %bb.5:
	v_lshlrev_b32_e32 v4, 3, v6
	global_load_dwordx2 v[4:5], v4, s[0:1]
.LBB328_6:
	s_or_b64 exec, exec, s[6:7]
	v_or_b32_e32 v8, 0x300, v27
	v_cmp_gt_u32_e64 s[22:23], s2, v8
	v_mov_b64_e32 v[6:7], s[4:5]
	s_and_saveexec_b64 s[6:7], s[22:23]
	s_cbranch_execz .LBB328_8
; %bb.7:
	v_lshlrev_b32_e32 v6, 3, v8
	global_load_dwordx2 v[6:7], v6, s[0:1]
.LBB328_8:
	;; [unrolled: 10-line block ×13, first 2 shown]
	s_or_b64 exec, exec, s[2:3]
	s_movk_i32 s0, 0x70
	v_mad_u32_u24 v93, v27, s0, v92
	s_waitcnt vmcnt(0)
	ds_write2st64_b64 v92, v[0:1], v[2:3] offset1:4
	ds_write2st64_b64 v92, v[4:5], v[6:7] offset0:8 offset1:12
	ds_write2st64_b64 v92, v[8:9], v[10:11] offset0:16 offset1:20
	;; [unrolled: 1-line block ×6, first 2 shown]
	ds_write_b64 v92, v[30:31] offset:28672
	s_waitcnt lgkmcnt(0)
	s_barrier
	ds_read2_b64 v[28:31], v93 offset1:1
	ds_read2_b64 v[52:55], v93 offset0:2 offset1:3
	ds_read2_b64 v[48:51], v93 offset0:4 offset1:5
	;; [unrolled: 1-line block ×6, first 2 shown]
	ds_read_b64 v[74:75], v93 offset:112
	s_waitcnt lgkmcnt(7)
	v_mov_b32_e32 v0, v28
	v_mov_b32_e32 v1, v29
	;; [unrolled: 1-line block ×4, first 2 shown]
	s_waitcnt lgkmcnt(0)
	s_barrier
	s_getpc_b64 s[54:55]
	s_add_u32 s54, s54, _ZZZZN2at6native31launch_logcumsumexp_cuda_kernelERKNS_10TensorBaseES3_lENKUlvE_clEvENKUlvE2_clEvENKUlN3c107complexIfEES8_E_clES8_S8_@rel32@lo+4
	s_addc_u32 s55, s55, _ZZZZN2at6native31launch_logcumsumexp_cuda_kernelERKNS_10TensorBaseES3_lENKUlvE_clEvENKUlvE2_clEvENKUlN3c107complexIfEES8_E_clES8_S8_@rel32@hi+12
	s_swappc_b64 s[30:31], s[54:55]
	v_mov_b32_e32 v2, v52
	v_mov_b32_e32 v3, v53
	v_mov_b32_e32 v86, v0
	v_mov_b32_e32 v87, v1
	s_swappc_b64 s[30:31], s[54:55]
	v_mov_b32_e32 v2, v54
	v_mov_b32_e32 v3, v55
	v_mov_b32_e32 v56, v0
	v_mov_b32_e32 v57, v1
	;; [unrolled: 5-line block ×13, first 2 shown]
	s_swappc_b64 s[30:31], s[54:55]
	v_mov_b32_e32 v82, v0
	v_lshrrev_b32_e32 v0, 2, v27
	v_and_b32_e32 v0, 56, v0
	v_mov_b32_e32 v83, v1
	v_add_u32_e32 v0, v92, v0
	v_cmp_gt_u32_e32 vcc, 64, v27
	ds_write_b64 v0, v[82:83]
	s_waitcnt lgkmcnt(0)
	s_barrier
	s_and_saveexec_b64 s[52:53], vcc
	s_cbranch_execz .LBB328_44
; %bb.31:
	v_lshlrev_b32_e32 v0, 2, v27
	v_lshrrev_b32_e32 v1, 3, v27
	v_add_lshl_u32 v94, v1, v0, 3
	ds_read_b64 v[84:85], v94
	ds_read2_b64 v[88:91], v94 offset0:1 offset1:2
	s_waitcnt lgkmcnt(1)
	v_mov_b32_e32 v0, v84
	v_mov_b32_e32 v1, v85
	s_waitcnt lgkmcnt(0)
	v_mov_b32_e32 v2, v88
	v_mov_b32_e32 v3, v89
	s_swappc_b64 s[30:31], s[54:55]
	v_mov_b32_e32 v2, v90
	v_mov_b32_e32 v3, v91
	s_swappc_b64 s[30:31], s[54:55]
	ds_read_b64 v[2:3], v94 offset:24
	s_swappc_b64 s[30:31], s[54:55]
	v_mov_b32_e32 v2, v0
	v_mbcnt_lo_u32_b32 v0, -1, 0
	v_mbcnt_hi_u32_b32 v88, -1, v0
	v_mov_b32_e32 v3, v1
	v_and_b32_e32 v89, 15, v88
	v_mov_b32_dpp v0, v2 row_shr:1 row_mask:0xf bank_mask:0xf
	v_mov_b32_dpp v1, v3 row_shr:1 row_mask:0xf bank_mask:0xf
	v_cmp_ne_u32_e32 vcc, 0, v89
	s_and_saveexec_b64 s[54:55], vcc
	s_cbranch_execz .LBB328_33
; %bb.32:
	s_getpc_b64 s[0:1]
	s_add_u32 s0, s0, _ZZZZN2at6native31launch_logcumsumexp_cuda_kernelERKNS_10TensorBaseES3_lENKUlvE_clEvENKUlvE2_clEvENKUlN3c107complexIfEES8_E_clES8_S8_@rel32@lo+4
	s_addc_u32 s1, s1, _ZZZZN2at6native31launch_logcumsumexp_cuda_kernelERKNS_10TensorBaseES3_lENKUlvE_clEvENKUlvE2_clEvENKUlN3c107complexIfEES8_E_clES8_S8_@rel32@hi+12
	s_swappc_b64 s[30:31], s[0:1]
	v_mov_b32_e32 v2, v0
	v_mov_b32_e32 v3, v1
.LBB328_33:
	s_or_b64 exec, exec, s[54:55]
	v_mov_b32_dpp v0, v2 row_shr:2 row_mask:0xf bank_mask:0xf
	v_mov_b32_dpp v1, v3 row_shr:2 row_mask:0xf bank_mask:0xf
	v_cmp_lt_u32_e32 vcc, 1, v89
	s_and_saveexec_b64 s[54:55], vcc
	s_cbranch_execz .LBB328_35
; %bb.34:
	s_getpc_b64 s[0:1]
	s_add_u32 s0, s0, _ZZZZN2at6native31launch_logcumsumexp_cuda_kernelERKNS_10TensorBaseES3_lENKUlvE_clEvENKUlvE2_clEvENKUlN3c107complexIfEES8_E_clES8_S8_@rel32@lo+4
	s_addc_u32 s1, s1, _ZZZZN2at6native31launch_logcumsumexp_cuda_kernelERKNS_10TensorBaseES3_lENKUlvE_clEvENKUlvE2_clEvENKUlN3c107complexIfEES8_E_clES8_S8_@rel32@hi+12
	s_swappc_b64 s[30:31], s[0:1]
	v_mov_b32_e32 v2, v0
	v_mov_b32_e32 v3, v1
.LBB328_35:
	s_or_b64 exec, exec, s[54:55]
	v_mov_b32_dpp v0, v2 row_shr:4 row_mask:0xf bank_mask:0xf
	v_mov_b32_dpp v1, v3 row_shr:4 row_mask:0xf bank_mask:0xf
	v_cmp_lt_u32_e32 vcc, 3, v89
	;; [unrolled: 14-line block ×3, first 2 shown]
	s_and_saveexec_b64 s[54:55], vcc
	s_cbranch_execz .LBB328_39
; %bb.38:
	s_getpc_b64 s[0:1]
	s_add_u32 s0, s0, _ZZZZN2at6native31launch_logcumsumexp_cuda_kernelERKNS_10TensorBaseES3_lENKUlvE_clEvENKUlvE2_clEvENKUlN3c107complexIfEES8_E_clES8_S8_@rel32@lo+4
	s_addc_u32 s1, s1, _ZZZZN2at6native31launch_logcumsumexp_cuda_kernelERKNS_10TensorBaseES3_lENKUlvE_clEvENKUlvE2_clEvENKUlN3c107complexIfEES8_E_clES8_S8_@rel32@hi+12
	s_swappc_b64 s[30:31], s[0:1]
	v_mov_b32_e32 v2, v0
	v_mov_b32_e32 v3, v1
.LBB328_39:
	s_or_b64 exec, exec, s[54:55]
	v_and_b32_e32 v4, 16, v88
	v_mov_b32_dpp v0, v2 row_bcast:15 row_mask:0xf bank_mask:0xf
	v_mov_b32_dpp v1, v3 row_bcast:15 row_mask:0xf bank_mask:0xf
	v_cmp_ne_u32_e32 vcc, 0, v4
	s_and_saveexec_b64 s[54:55], vcc
	s_cbranch_execz .LBB328_41
; %bb.40:
	s_getpc_b64 s[0:1]
	s_add_u32 s0, s0, _ZZZZN2at6native31launch_logcumsumexp_cuda_kernelERKNS_10TensorBaseES3_lENKUlvE_clEvENKUlvE2_clEvENKUlN3c107complexIfEES8_E_clES8_S8_@rel32@lo+4
	s_addc_u32 s1, s1, _ZZZZN2at6native31launch_logcumsumexp_cuda_kernelERKNS_10TensorBaseES3_lENKUlvE_clEvENKUlvE2_clEvENKUlN3c107complexIfEES8_E_clES8_S8_@rel32@hi+12
	s_swappc_b64 s[30:31], s[0:1]
	v_mov_b32_e32 v2, v0
	v_mov_b32_e32 v3, v1
.LBB328_41:
	s_or_b64 exec, exec, s[54:55]
	v_mov_b32_dpp v0, v2 row_bcast:31 row_mask:0xf bank_mask:0xf
	v_mov_b32_dpp v1, v3 row_bcast:31 row_mask:0xf bank_mask:0xf
	v_cmp_lt_u32_e32 vcc, 31, v88
	s_and_saveexec_b64 s[54:55], vcc
	s_cbranch_execz .LBB328_43
; %bb.42:
	s_getpc_b64 s[0:1]
	s_add_u32 s0, s0, _ZZZZN2at6native31launch_logcumsumexp_cuda_kernelERKNS_10TensorBaseES3_lENKUlvE_clEvENKUlvE2_clEvENKUlN3c107complexIfEES8_E_clES8_S8_@rel32@lo+4
	s_addc_u32 s1, s1, _ZZZZN2at6native31launch_logcumsumexp_cuda_kernelERKNS_10TensorBaseES3_lENKUlvE_clEvENKUlvE2_clEvENKUlN3c107complexIfEES8_E_clES8_S8_@rel32@hi+12
	s_swappc_b64 s[30:31], s[0:1]
	v_mov_b32_e32 v2, v0
	v_mov_b32_e32 v3, v1
.LBB328_43:
	s_or_b64 exec, exec, s[54:55]
	v_add_u32_e32 v0, -1, v88
	v_and_b32_e32 v1, 64, v88
	v_cmp_lt_i32_e32 vcc, v0, v1
	s_getpc_b64 s[54:55]
	s_add_u32 s54, s54, _ZZZZN2at6native31launch_logcumsumexp_cuda_kernelERKNS_10TensorBaseES3_lENKUlvE_clEvENKUlvE2_clEvENKUlN3c107complexIfEES8_E_clES8_S8_@rel32@lo+4
	s_addc_u32 s55, s55, _ZZZZN2at6native31launch_logcumsumexp_cuda_kernelERKNS_10TensorBaseES3_lENKUlvE_clEvENKUlvE2_clEvENKUlN3c107complexIfEES8_E_clES8_S8_@rel32@hi+12
	v_cndmask_b32_e32 v0, v0, v88, vcc
	v_lshlrev_b32_e32 v1, 2, v0
	ds_bpermute_b32 v0, v1, v2
	ds_bpermute_b32 v1, v1, v3
	v_mov_b32_e32 v2, v84
	v_mov_b32_e32 v3, v85
	s_swappc_b64 s[30:31], s[54:55]
	v_cmp_eq_u32_e32 vcc, 0, v27
	; wave barrier
	s_nop 1
	v_cndmask_b32_e32 v0, v0, v82, vcc
	v_cndmask_b32_e32 v1, v1, v83, vcc
	ds_write_b64 v94, v[0:1]
	; wave barrier
	ds_read2_b64 v[88:91], v94 offset0:1 offset1:2
	s_waitcnt lgkmcnt(0)
	v_mov_b32_e32 v2, v88
	v_mov_b32_e32 v3, v89
	s_swappc_b64 s[30:31], s[54:55]
	v_mov_b32_e32 v2, v90
	v_mov_b32_e32 v3, v91
	;; [unrolled: 1-line block ×4, first 2 shown]
	s_swappc_b64 s[30:31], s[54:55]
	ds_read_b64 v[2:3], v94 offset:24
	ds_write2_b64 v94, v[84:85], v[0:1] offset0:1 offset1:2
	s_swappc_b64 s[30:31], s[54:55]
	ds_write_b64 v94, v[0:1] offset:24
.LBB328_44:
	s_or_b64 exec, exec, s[52:53]
	s_load_dwordx2 s[50:51], s[50:51], 0x20
	v_cmp_ne_u32_e32 vcc, 0, v27
	v_mov_b32_e32 v1, v83
	v_mov_b32_e32 v0, v82
	s_waitcnt lgkmcnt(0)
	s_barrier
	s_and_saveexec_b64 s[0:1], vcc
	s_cbranch_execnz .LBB328_64
; %bb.45:
	s_or_b64 exec, exec, s[0:1]
	s_and_saveexec_b64 s[0:1], vcc
	s_xor_b64 s[52:53], exec, s[0:1]
	s_cbranch_execnz .LBB328_65
.LBB328_46:
	s_andn2_saveexec_b64 s[0:1], s[52:53]
.LBB328_47:
	v_mov_b32_e32 v30, v86
	v_mov_b32_e32 v31, v87
.LBB328_48:
	s_or_b64 exec, exec, s[0:1]
	s_movk_i32 s0, 0xff90
	v_mad_i32_i24 v24, v27, s0, v93
	s_waitcnt lgkmcnt(0)
	s_barrier
	ds_write2_b64 v93, v[28:29], v[30:31] offset1:1
	ds_write2_b64 v93, v[56:57], v[58:59] offset0:2 offset1:3
	ds_write2_b64 v93, v[60:61], v[62:63] offset0:4 offset1:5
	;; [unrolled: 1-line block ×6, first 2 shown]
	ds_write_b64 v93, v[82:83] offset:112
	s_waitcnt lgkmcnt(0)
	s_barrier
	ds_read2st64_b64 v[20:23], v24 offset0:4 offset1:8
	ds_read2st64_b64 v[16:19], v24 offset0:12 offset1:20
	;; [unrolled: 1-line block ×6, first 2 shown]
	ds_read_b64 v[28:29], v92 offset:24576
	ds_read_b64 v[24:25], v24 offset:28672
	v_mov_b32_e32 v93, 0
	v_lshl_add_u64 v[26:27], s[50:51], 0, v[92:93]
	s_and_saveexec_b64 s[0:1], s[16:17]
	s_cbranch_execnz .LBB328_66
; %bb.49:
	s_or_b64 exec, exec, s[0:1]
	s_and_saveexec_b64 s[0:1], s[18:19]
	s_cbranch_execnz .LBB328_67
.LBB328_50:
	s_or_b64 exec, exec, s[0:1]
	s_and_saveexec_b64 s[0:1], s[20:21]
	s_cbranch_execnz .LBB328_68
.LBB328_51:
	s_or_b64 exec, exec, s[0:1]
	s_and_saveexec_b64 s[0:1], s[22:23]
	s_cbranch_execnz .LBB328_69
.LBB328_52:
	s_or_b64 exec, exec, s[0:1]
	s_and_saveexec_b64 s[0:1], s[24:25]
	s_cbranch_execnz .LBB328_70
.LBB328_53:
	s_or_b64 exec, exec, s[0:1]
	s_and_saveexec_b64 s[0:1], s[26:27]
	s_cbranch_execnz .LBB328_71
.LBB328_54:
	s_or_b64 exec, exec, s[0:1]
	s_and_saveexec_b64 s[0:1], s[28:29]
	s_cbranch_execnz .LBB328_72
.LBB328_55:
	s_or_b64 exec, exec, s[0:1]
	s_and_saveexec_b64 s[0:1], s[34:35]
	s_cbranch_execnz .LBB328_73
.LBB328_56:
	s_or_b64 exec, exec, s[0:1]
	s_and_saveexec_b64 s[0:1], s[36:37]
	s_cbranch_execnz .LBB328_74
.LBB328_57:
	s_or_b64 exec, exec, s[0:1]
	s_and_saveexec_b64 s[0:1], s[38:39]
	s_cbranch_execnz .LBB328_75
.LBB328_58:
	s_or_b64 exec, exec, s[0:1]
	s_and_saveexec_b64 s[0:1], s[40:41]
	s_cbranch_execnz .LBB328_76
.LBB328_59:
	s_or_b64 exec, exec, s[0:1]
	s_and_saveexec_b64 s[0:1], s[42:43]
	s_cbranch_execnz .LBB328_77
.LBB328_60:
	s_or_b64 exec, exec, s[0:1]
	s_and_saveexec_b64 s[0:1], s[44:45]
	s_cbranch_execnz .LBB328_78
.LBB328_61:
	s_or_b64 exec, exec, s[0:1]
	s_and_saveexec_b64 s[0:1], s[46:47]
	s_cbranch_execnz .LBB328_79
.LBB328_62:
	s_or_b64 exec, exec, s[0:1]
	s_and_saveexec_b64 s[0:1], s[48:49]
	s_cbranch_execnz .LBB328_80
.LBB328_63:
	s_endpgm
.LBB328_64:
	v_add_u32_e32 v0, -1, v27
	v_lshrrev_b32_e32 v1, 5, v0
	v_add_lshl_u32 v0, v1, v0, 3
	ds_read_b64 v[0:1], v0
	s_or_b64 exec, exec, s[0:1]
	s_and_saveexec_b64 s[0:1], vcc
	s_xor_b64 s[52:53], exec, s[0:1]
	s_cbranch_execz .LBB328_46
.LBB328_65:
	v_mov_b32_e32 v2, v28
	v_mov_b32_e32 v3, v29
	s_getpc_b64 s[54:55]
	s_add_u32 s54, s54, _ZZZZN2at6native31launch_logcumsumexp_cuda_kernelERKNS_10TensorBaseES3_lENKUlvE_clEvENKUlvE2_clEvENKUlN3c107complexIfEES8_E_clES8_S8_@rel32@lo+4
	s_addc_u32 s55, s55, _ZZZZN2at6native31launch_logcumsumexp_cuda_kernelERKNS_10TensorBaseES3_lENKUlvE_clEvENKUlvE2_clEvENKUlN3c107complexIfEES8_E_clES8_S8_@rel32@hi+12
	s_swappc_b64 s[30:31], s[54:55]
	v_mov_b32_e32 v2, v30
	v_mov_b32_e32 v3, v31
	;; [unrolled: 1-line block ×4, first 2 shown]
	;;#ASMSTART
	;;#ASMEND
	s_swappc_b64 s[30:31], s[54:55]
	v_mov_b32_e32 v2, v52
	v_mov_b32_e32 v3, v53
	v_mov_b32_e32 v30, v0
	v_mov_b32_e32 v31, v1
	s_swappc_b64 s[30:31], s[54:55]
	v_mov_b32_e32 v2, v54
	v_mov_b32_e32 v3, v55
	v_mov_b32_e32 v56, v0
	v_mov_b32_e32 v57, v1
	;; [unrolled: 5-line block ×13, first 2 shown]
	s_swappc_b64 s[30:31], s[54:55]
	v_mov_b32_e32 v82, v0
	v_mov_b32_e32 v83, v1
                                        ; implicit-def: $vgpr86
                                        ; implicit-def: $vgpr87
	s_andn2_saveexec_b64 s[0:1], s[52:53]
	s_cbranch_execnz .LBB328_47
	s_branch .LBB328_48
.LBB328_66:
	ds_read_b64 v[30:31], v92
	s_waitcnt lgkmcnt(0)
	global_store_dwordx2 v[26:27], v[30:31], off
	s_or_b64 exec, exec, s[0:1]
	s_and_saveexec_b64 s[0:1], s[18:19]
	s_cbranch_execz .LBB328_50
.LBB328_67:
	s_waitcnt lgkmcnt(7)
	global_store_dwordx2 v[26:27], v[20:21], off offset:2048
	s_or_b64 exec, exec, s[0:1]
	s_and_saveexec_b64 s[0:1], s[20:21]
	s_cbranch_execz .LBB328_51
.LBB328_68:
	s_waitcnt lgkmcnt(7)
	v_add_co_u32_e32 v20, vcc, 0x1000, v26
	s_nop 1
	v_addc_co_u32_e32 v21, vcc, 0, v27, vcc
	global_store_dwordx2 v[20:21], v[22:23], off
	s_or_b64 exec, exec, s[0:1]
	s_and_saveexec_b64 s[0:1], s[22:23]
	s_cbranch_execz .LBB328_52
.LBB328_69:
	s_waitcnt lgkmcnt(7)
	v_add_co_u32_e32 v20, vcc, 0x1000, v26
	s_nop 1
	v_addc_co_u32_e32 v21, vcc, 0, v27, vcc
	s_waitcnt lgkmcnt(6)
	global_store_dwordx2 v[20:21], v[16:17], off offset:2048
	s_or_b64 exec, exec, s[0:1]
	s_and_saveexec_b64 s[0:1], s[24:25]
	s_cbranch_execz .LBB328_53
.LBB328_70:
	s_waitcnt lgkmcnt(6)
	v_add_co_u32_e32 v16, vcc, 0x2000, v26
	s_nop 1
	v_addc_co_u32_e32 v17, vcc, 0, v27, vcc
	s_waitcnt lgkmcnt(5)
	global_store_dwordx2 v[16:17], v[8:9], off
	s_or_b64 exec, exec, s[0:1]
	s_and_saveexec_b64 s[0:1], s[26:27]
	s_cbranch_execz .LBB328_54
.LBB328_71:
	s_waitcnt lgkmcnt(5)
	v_add_co_u32_e32 v8, vcc, 0x2000, v26
	s_nop 1
	v_addc_co_u32_e32 v9, vcc, 0, v27, vcc
	global_store_dwordx2 v[8:9], v[18:19], off offset:2048
	s_or_b64 exec, exec, s[0:1]
	s_and_saveexec_b64 s[0:1], s[28:29]
	s_cbranch_execz .LBB328_55
.LBB328_72:
	s_waitcnt lgkmcnt(5)
	v_add_co_u32_e32 v8, vcc, 0x3000, v26
	s_nop 1
	v_addc_co_u32_e32 v9, vcc, 0, v27, vcc
	s_waitcnt lgkmcnt(4)
	global_store_dwordx2 v[8:9], v[12:13], off
	s_or_b64 exec, exec, s[0:1]
	s_and_saveexec_b64 s[0:1], s[34:35]
	s_cbranch_execz .LBB328_56
.LBB328_73:
	s_waitcnt lgkmcnt(5)
	v_add_co_u32_e32 v8, vcc, 0x3000, v26
	s_nop 1
	v_addc_co_u32_e32 v9, vcc, 0, v27, vcc
	s_waitcnt lgkmcnt(4)
	global_store_dwordx2 v[8:9], v[14:15], off offset:2048
	s_or_b64 exec, exec, s[0:1]
	s_and_saveexec_b64 s[0:1], s[36:37]
	s_cbranch_execz .LBB328_57
.LBB328_74:
	s_waitcnt lgkmcnt(5)
	v_add_co_u32_e32 v8, vcc, 0x4000, v26
	s_nop 1
	v_addc_co_u32_e32 v9, vcc, 0, v27, vcc
	global_store_dwordx2 v[8:9], v[10:11], off
	s_or_b64 exec, exec, s[0:1]
	s_and_saveexec_b64 s[0:1], s[38:39]
	s_cbranch_execz .LBB328_58
.LBB328_75:
	s_waitcnt lgkmcnt(5)
	v_add_co_u32_e32 v8, vcc, 0x4000, v26
	s_nop 1
	v_addc_co_u32_e32 v9, vcc, 0, v27, vcc
	s_waitcnt lgkmcnt(3)
	global_store_dwordx2 v[8:9], v[4:5], off offset:2048
	s_or_b64 exec, exec, s[0:1]
	s_and_saveexec_b64 s[0:1], s[40:41]
	s_cbranch_execz .LBB328_59
.LBB328_76:
	s_waitcnt lgkmcnt(3)
	v_add_co_u32_e32 v4, vcc, 0x5000, v26
	s_nop 1
	v_addc_co_u32_e32 v5, vcc, 0, v27, vcc
	global_store_dwordx2 v[4:5], v[6:7], off
	s_or_b64 exec, exec, s[0:1]
	s_and_saveexec_b64 s[0:1], s[42:43]
	s_cbranch_execz .LBB328_60
.LBB328_77:
	s_waitcnt lgkmcnt(3)
	v_add_co_u32_e32 v4, vcc, 0x5000, v26
	s_nop 1
	v_addc_co_u32_e32 v5, vcc, 0, v27, vcc
	s_waitcnt lgkmcnt(2)
	global_store_dwordx2 v[4:5], v[0:1], off offset:2048
	s_or_b64 exec, exec, s[0:1]
	s_and_saveexec_b64 s[0:1], s[44:45]
	s_cbranch_execz .LBB328_61
.LBB328_78:
	s_waitcnt lgkmcnt(2)
	v_add_co_u32_e32 v0, vcc, 0x6000, v26
	s_nop 1
	v_addc_co_u32_e32 v1, vcc, 0, v27, vcc
	s_waitcnt lgkmcnt(1)
	global_store_dwordx2 v[0:1], v[28:29], off
	s_or_b64 exec, exec, s[0:1]
	s_and_saveexec_b64 s[0:1], s[46:47]
	s_cbranch_execz .LBB328_62
.LBB328_79:
	s_waitcnt lgkmcnt(2)
	v_add_co_u32_e32 v0, vcc, 0x6000, v26
	s_nop 1
	v_addc_co_u32_e32 v1, vcc, 0, v27, vcc
	global_store_dwordx2 v[0:1], v[2:3], off offset:2048
	s_or_b64 exec, exec, s[0:1]
	s_and_saveexec_b64 s[0:1], s[48:49]
	s_cbranch_execz .LBB328_63
.LBB328_80:
	s_waitcnt lgkmcnt(2)
	v_add_co_u32_e32 v0, vcc, 0x7000, v26
	s_nop 1
	v_addc_co_u32_e32 v1, vcc, 0, v27, vcc
	s_waitcnt lgkmcnt(0)
	global_store_dwordx2 v[0:1], v[24:25], off
	s_endpgm
	.section	.rodata,"a",@progbits
	.p2align	6, 0x0
	.amdhsa_kernel _ZN7rocprim17ROCPRIM_400000_NS6detail17trampoline_kernelINS0_14default_configENS1_20scan_config_selectorIN3c107complexIfEEEEZZNS1_9scan_implILNS1_25lookback_scan_determinismE0ELb0ELb0ES3_PKS7_PS7_S7_ZZZN2at6native31launch_logcumsumexp_cuda_kernelERKNSE_10TensorBaseESI_lENKUlvE_clEvENKUlvE2_clEvEUlS7_S7_E_S7_EEDaPvRmT3_T4_T5_mT6_P12ihipStream_tbENKUlT_T0_E_clISt17integral_constantIbLb1EESY_IbLb0EEEEDaSU_SV_EUlSU_E0_NS1_11comp_targetILNS1_3genE5ELNS1_11target_archE942ELNS1_3gpuE9ELNS1_3repE0EEENS1_30default_config_static_selectorELNS0_4arch9wavefront6targetE1EEEvT1_
		.amdhsa_group_segment_fixed_size 30720
		.amdhsa_private_segment_fixed_size 0
		.amdhsa_kernarg_size 40
		.amdhsa_user_sgpr_count 2
		.amdhsa_user_sgpr_dispatch_ptr 0
		.amdhsa_user_sgpr_queue_ptr 0
		.amdhsa_user_sgpr_kernarg_segment_ptr 1
		.amdhsa_user_sgpr_dispatch_id 0
		.amdhsa_user_sgpr_kernarg_preload_length 0
		.amdhsa_user_sgpr_kernarg_preload_offset 0
		.amdhsa_user_sgpr_private_segment_size 0
		.amdhsa_uses_dynamic_stack 0
		.amdhsa_enable_private_segment 0
		.amdhsa_system_sgpr_workgroup_id_x 1
		.amdhsa_system_sgpr_workgroup_id_y 0
		.amdhsa_system_sgpr_workgroup_id_z 0
		.amdhsa_system_sgpr_workgroup_info 0
		.amdhsa_system_vgpr_workitem_id 0
		.amdhsa_next_free_vgpr 95
		.amdhsa_next_free_sgpr 56
		.amdhsa_accum_offset 96
		.amdhsa_reserve_vcc 1
		.amdhsa_float_round_mode_32 0
		.amdhsa_float_round_mode_16_64 0
		.amdhsa_float_denorm_mode_32 3
		.amdhsa_float_denorm_mode_16_64 3
		.amdhsa_dx10_clamp 1
		.amdhsa_ieee_mode 1
		.amdhsa_fp16_overflow 0
		.amdhsa_tg_split 0
		.amdhsa_exception_fp_ieee_invalid_op 0
		.amdhsa_exception_fp_denorm_src 0
		.amdhsa_exception_fp_ieee_div_zero 0
		.amdhsa_exception_fp_ieee_overflow 0
		.amdhsa_exception_fp_ieee_underflow 0
		.amdhsa_exception_fp_ieee_inexact 0
		.amdhsa_exception_int_div_zero 0
	.end_amdhsa_kernel
	.section	.text._ZN7rocprim17ROCPRIM_400000_NS6detail17trampoline_kernelINS0_14default_configENS1_20scan_config_selectorIN3c107complexIfEEEEZZNS1_9scan_implILNS1_25lookback_scan_determinismE0ELb0ELb0ES3_PKS7_PS7_S7_ZZZN2at6native31launch_logcumsumexp_cuda_kernelERKNSE_10TensorBaseESI_lENKUlvE_clEvENKUlvE2_clEvEUlS7_S7_E_S7_EEDaPvRmT3_T4_T5_mT6_P12ihipStream_tbENKUlT_T0_E_clISt17integral_constantIbLb1EESY_IbLb0EEEEDaSU_SV_EUlSU_E0_NS1_11comp_targetILNS1_3genE5ELNS1_11target_archE942ELNS1_3gpuE9ELNS1_3repE0EEENS1_30default_config_static_selectorELNS0_4arch9wavefront6targetE1EEEvT1_,"axG",@progbits,_ZN7rocprim17ROCPRIM_400000_NS6detail17trampoline_kernelINS0_14default_configENS1_20scan_config_selectorIN3c107complexIfEEEEZZNS1_9scan_implILNS1_25lookback_scan_determinismE0ELb0ELb0ES3_PKS7_PS7_S7_ZZZN2at6native31launch_logcumsumexp_cuda_kernelERKNSE_10TensorBaseESI_lENKUlvE_clEvENKUlvE2_clEvEUlS7_S7_E_S7_EEDaPvRmT3_T4_T5_mT6_P12ihipStream_tbENKUlT_T0_E_clISt17integral_constantIbLb1EESY_IbLb0EEEEDaSU_SV_EUlSU_E0_NS1_11comp_targetILNS1_3genE5ELNS1_11target_archE942ELNS1_3gpuE9ELNS1_3repE0EEENS1_30default_config_static_selectorELNS0_4arch9wavefront6targetE1EEEvT1_,comdat
.Lfunc_end328:
	.size	_ZN7rocprim17ROCPRIM_400000_NS6detail17trampoline_kernelINS0_14default_configENS1_20scan_config_selectorIN3c107complexIfEEEEZZNS1_9scan_implILNS1_25lookback_scan_determinismE0ELb0ELb0ES3_PKS7_PS7_S7_ZZZN2at6native31launch_logcumsumexp_cuda_kernelERKNSE_10TensorBaseESI_lENKUlvE_clEvENKUlvE2_clEvEUlS7_S7_E_S7_EEDaPvRmT3_T4_T5_mT6_P12ihipStream_tbENKUlT_T0_E_clISt17integral_constantIbLb1EESY_IbLb0EEEEDaSU_SV_EUlSU_E0_NS1_11comp_targetILNS1_3genE5ELNS1_11target_archE942ELNS1_3gpuE9ELNS1_3repE0EEENS1_30default_config_static_selectorELNS0_4arch9wavefront6targetE1EEEvT1_, .Lfunc_end328-_ZN7rocprim17ROCPRIM_400000_NS6detail17trampoline_kernelINS0_14default_configENS1_20scan_config_selectorIN3c107complexIfEEEEZZNS1_9scan_implILNS1_25lookback_scan_determinismE0ELb0ELb0ES3_PKS7_PS7_S7_ZZZN2at6native31launch_logcumsumexp_cuda_kernelERKNSE_10TensorBaseESI_lENKUlvE_clEvENKUlvE2_clEvEUlS7_S7_E_S7_EEDaPvRmT3_T4_T5_mT6_P12ihipStream_tbENKUlT_T0_E_clISt17integral_constantIbLb1EESY_IbLb0EEEEDaSU_SV_EUlSU_E0_NS1_11comp_targetILNS1_3genE5ELNS1_11target_archE942ELNS1_3gpuE9ELNS1_3repE0EEENS1_30default_config_static_selectorELNS0_4arch9wavefront6targetE1EEEvT1_
                                        ; -- End function
	.section	.AMDGPU.csdata,"",@progbits
; Kernel info:
; codeLenInByte = 3252
; NumSgprs: 62
; NumVgprs: 95
; NumAgprs: 0
; TotalNumVgprs: 95
; ScratchSize: 0
; MemoryBound: 0
; FloatMode: 240
; IeeeMode: 1
; LDSByteSize: 30720 bytes/workgroup (compile time only)
; SGPRBlocks: 7
; VGPRBlocks: 11
; NumSGPRsForWavesPerEU: 62
; NumVGPRsForWavesPerEU: 95
; AccumOffset: 96
; Occupancy: 2
; WaveLimiterHint : 0
; COMPUTE_PGM_RSRC2:SCRATCH_EN: 0
; COMPUTE_PGM_RSRC2:USER_SGPR: 2
; COMPUTE_PGM_RSRC2:TRAP_HANDLER: 0
; COMPUTE_PGM_RSRC2:TGID_X_EN: 1
; COMPUTE_PGM_RSRC2:TGID_Y_EN: 0
; COMPUTE_PGM_RSRC2:TGID_Z_EN: 0
; COMPUTE_PGM_RSRC2:TIDIG_COMP_CNT: 0
; COMPUTE_PGM_RSRC3_GFX90A:ACCUM_OFFSET: 23
; COMPUTE_PGM_RSRC3_GFX90A:TG_SPLIT: 0
	.section	.text._ZN7rocprim17ROCPRIM_400000_NS6detail17trampoline_kernelINS0_14default_configENS1_20scan_config_selectorIN3c107complexIfEEEEZZNS1_9scan_implILNS1_25lookback_scan_determinismE0ELb0ELb0ES3_PKS7_PS7_S7_ZZZN2at6native31launch_logcumsumexp_cuda_kernelERKNSE_10TensorBaseESI_lENKUlvE_clEvENKUlvE2_clEvEUlS7_S7_E_S7_EEDaPvRmT3_T4_T5_mT6_P12ihipStream_tbENKUlT_T0_E_clISt17integral_constantIbLb1EESY_IbLb0EEEEDaSU_SV_EUlSU_E0_NS1_11comp_targetILNS1_3genE4ELNS1_11target_archE910ELNS1_3gpuE8ELNS1_3repE0EEENS1_30default_config_static_selectorELNS0_4arch9wavefront6targetE1EEEvT1_,"axG",@progbits,_ZN7rocprim17ROCPRIM_400000_NS6detail17trampoline_kernelINS0_14default_configENS1_20scan_config_selectorIN3c107complexIfEEEEZZNS1_9scan_implILNS1_25lookback_scan_determinismE0ELb0ELb0ES3_PKS7_PS7_S7_ZZZN2at6native31launch_logcumsumexp_cuda_kernelERKNSE_10TensorBaseESI_lENKUlvE_clEvENKUlvE2_clEvEUlS7_S7_E_S7_EEDaPvRmT3_T4_T5_mT6_P12ihipStream_tbENKUlT_T0_E_clISt17integral_constantIbLb1EESY_IbLb0EEEEDaSU_SV_EUlSU_E0_NS1_11comp_targetILNS1_3genE4ELNS1_11target_archE910ELNS1_3gpuE8ELNS1_3repE0EEENS1_30default_config_static_selectorELNS0_4arch9wavefront6targetE1EEEvT1_,comdat
	.globl	_ZN7rocprim17ROCPRIM_400000_NS6detail17trampoline_kernelINS0_14default_configENS1_20scan_config_selectorIN3c107complexIfEEEEZZNS1_9scan_implILNS1_25lookback_scan_determinismE0ELb0ELb0ES3_PKS7_PS7_S7_ZZZN2at6native31launch_logcumsumexp_cuda_kernelERKNSE_10TensorBaseESI_lENKUlvE_clEvENKUlvE2_clEvEUlS7_S7_E_S7_EEDaPvRmT3_T4_T5_mT6_P12ihipStream_tbENKUlT_T0_E_clISt17integral_constantIbLb1EESY_IbLb0EEEEDaSU_SV_EUlSU_E0_NS1_11comp_targetILNS1_3genE4ELNS1_11target_archE910ELNS1_3gpuE8ELNS1_3repE0EEENS1_30default_config_static_selectorELNS0_4arch9wavefront6targetE1EEEvT1_ ; -- Begin function _ZN7rocprim17ROCPRIM_400000_NS6detail17trampoline_kernelINS0_14default_configENS1_20scan_config_selectorIN3c107complexIfEEEEZZNS1_9scan_implILNS1_25lookback_scan_determinismE0ELb0ELb0ES3_PKS7_PS7_S7_ZZZN2at6native31launch_logcumsumexp_cuda_kernelERKNSE_10TensorBaseESI_lENKUlvE_clEvENKUlvE2_clEvEUlS7_S7_E_S7_EEDaPvRmT3_T4_T5_mT6_P12ihipStream_tbENKUlT_T0_E_clISt17integral_constantIbLb1EESY_IbLb0EEEEDaSU_SV_EUlSU_E0_NS1_11comp_targetILNS1_3genE4ELNS1_11target_archE910ELNS1_3gpuE8ELNS1_3repE0EEENS1_30default_config_static_selectorELNS0_4arch9wavefront6targetE1EEEvT1_
	.p2align	8
	.type	_ZN7rocprim17ROCPRIM_400000_NS6detail17trampoline_kernelINS0_14default_configENS1_20scan_config_selectorIN3c107complexIfEEEEZZNS1_9scan_implILNS1_25lookback_scan_determinismE0ELb0ELb0ES3_PKS7_PS7_S7_ZZZN2at6native31launch_logcumsumexp_cuda_kernelERKNSE_10TensorBaseESI_lENKUlvE_clEvENKUlvE2_clEvEUlS7_S7_E_S7_EEDaPvRmT3_T4_T5_mT6_P12ihipStream_tbENKUlT_T0_E_clISt17integral_constantIbLb1EESY_IbLb0EEEEDaSU_SV_EUlSU_E0_NS1_11comp_targetILNS1_3genE4ELNS1_11target_archE910ELNS1_3gpuE8ELNS1_3repE0EEENS1_30default_config_static_selectorELNS0_4arch9wavefront6targetE1EEEvT1_,@function
_ZN7rocprim17ROCPRIM_400000_NS6detail17trampoline_kernelINS0_14default_configENS1_20scan_config_selectorIN3c107complexIfEEEEZZNS1_9scan_implILNS1_25lookback_scan_determinismE0ELb0ELb0ES3_PKS7_PS7_S7_ZZZN2at6native31launch_logcumsumexp_cuda_kernelERKNSE_10TensorBaseESI_lENKUlvE_clEvENKUlvE2_clEvEUlS7_S7_E_S7_EEDaPvRmT3_T4_T5_mT6_P12ihipStream_tbENKUlT_T0_E_clISt17integral_constantIbLb1EESY_IbLb0EEEEDaSU_SV_EUlSU_E0_NS1_11comp_targetILNS1_3genE4ELNS1_11target_archE910ELNS1_3gpuE8ELNS1_3repE0EEENS1_30default_config_static_selectorELNS0_4arch9wavefront6targetE1EEEvT1_: ; @_ZN7rocprim17ROCPRIM_400000_NS6detail17trampoline_kernelINS0_14default_configENS1_20scan_config_selectorIN3c107complexIfEEEEZZNS1_9scan_implILNS1_25lookback_scan_determinismE0ELb0ELb0ES3_PKS7_PS7_S7_ZZZN2at6native31launch_logcumsumexp_cuda_kernelERKNSE_10TensorBaseESI_lENKUlvE_clEvENKUlvE2_clEvEUlS7_S7_E_S7_EEDaPvRmT3_T4_T5_mT6_P12ihipStream_tbENKUlT_T0_E_clISt17integral_constantIbLb1EESY_IbLb0EEEEDaSU_SV_EUlSU_E0_NS1_11comp_targetILNS1_3genE4ELNS1_11target_archE910ELNS1_3gpuE8ELNS1_3repE0EEENS1_30default_config_static_selectorELNS0_4arch9wavefront6targetE1EEEvT1_
; %bb.0:
	.section	.rodata,"a",@progbits
	.p2align	6, 0x0
	.amdhsa_kernel _ZN7rocprim17ROCPRIM_400000_NS6detail17trampoline_kernelINS0_14default_configENS1_20scan_config_selectorIN3c107complexIfEEEEZZNS1_9scan_implILNS1_25lookback_scan_determinismE0ELb0ELb0ES3_PKS7_PS7_S7_ZZZN2at6native31launch_logcumsumexp_cuda_kernelERKNSE_10TensorBaseESI_lENKUlvE_clEvENKUlvE2_clEvEUlS7_S7_E_S7_EEDaPvRmT3_T4_T5_mT6_P12ihipStream_tbENKUlT_T0_E_clISt17integral_constantIbLb1EESY_IbLb0EEEEDaSU_SV_EUlSU_E0_NS1_11comp_targetILNS1_3genE4ELNS1_11target_archE910ELNS1_3gpuE8ELNS1_3repE0EEENS1_30default_config_static_selectorELNS0_4arch9wavefront6targetE1EEEvT1_
		.amdhsa_group_segment_fixed_size 0
		.amdhsa_private_segment_fixed_size 0
		.amdhsa_kernarg_size 40
		.amdhsa_user_sgpr_count 2
		.amdhsa_user_sgpr_dispatch_ptr 0
		.amdhsa_user_sgpr_queue_ptr 0
		.amdhsa_user_sgpr_kernarg_segment_ptr 1
		.amdhsa_user_sgpr_dispatch_id 0
		.amdhsa_user_sgpr_kernarg_preload_length 0
		.amdhsa_user_sgpr_kernarg_preload_offset 0
		.amdhsa_user_sgpr_private_segment_size 0
		.amdhsa_uses_dynamic_stack 0
		.amdhsa_enable_private_segment 0
		.amdhsa_system_sgpr_workgroup_id_x 1
		.amdhsa_system_sgpr_workgroup_id_y 0
		.amdhsa_system_sgpr_workgroup_id_z 0
		.amdhsa_system_sgpr_workgroup_info 0
		.amdhsa_system_vgpr_workitem_id 0
		.amdhsa_next_free_vgpr 1
		.amdhsa_next_free_sgpr 0
		.amdhsa_accum_offset 4
		.amdhsa_reserve_vcc 0
		.amdhsa_float_round_mode_32 0
		.amdhsa_float_round_mode_16_64 0
		.amdhsa_float_denorm_mode_32 3
		.amdhsa_float_denorm_mode_16_64 3
		.amdhsa_dx10_clamp 1
		.amdhsa_ieee_mode 1
		.amdhsa_fp16_overflow 0
		.amdhsa_tg_split 0
		.amdhsa_exception_fp_ieee_invalid_op 0
		.amdhsa_exception_fp_denorm_src 0
		.amdhsa_exception_fp_ieee_div_zero 0
		.amdhsa_exception_fp_ieee_overflow 0
		.amdhsa_exception_fp_ieee_underflow 0
		.amdhsa_exception_fp_ieee_inexact 0
		.amdhsa_exception_int_div_zero 0
	.end_amdhsa_kernel
	.section	.text._ZN7rocprim17ROCPRIM_400000_NS6detail17trampoline_kernelINS0_14default_configENS1_20scan_config_selectorIN3c107complexIfEEEEZZNS1_9scan_implILNS1_25lookback_scan_determinismE0ELb0ELb0ES3_PKS7_PS7_S7_ZZZN2at6native31launch_logcumsumexp_cuda_kernelERKNSE_10TensorBaseESI_lENKUlvE_clEvENKUlvE2_clEvEUlS7_S7_E_S7_EEDaPvRmT3_T4_T5_mT6_P12ihipStream_tbENKUlT_T0_E_clISt17integral_constantIbLb1EESY_IbLb0EEEEDaSU_SV_EUlSU_E0_NS1_11comp_targetILNS1_3genE4ELNS1_11target_archE910ELNS1_3gpuE8ELNS1_3repE0EEENS1_30default_config_static_selectorELNS0_4arch9wavefront6targetE1EEEvT1_,"axG",@progbits,_ZN7rocprim17ROCPRIM_400000_NS6detail17trampoline_kernelINS0_14default_configENS1_20scan_config_selectorIN3c107complexIfEEEEZZNS1_9scan_implILNS1_25lookback_scan_determinismE0ELb0ELb0ES3_PKS7_PS7_S7_ZZZN2at6native31launch_logcumsumexp_cuda_kernelERKNSE_10TensorBaseESI_lENKUlvE_clEvENKUlvE2_clEvEUlS7_S7_E_S7_EEDaPvRmT3_T4_T5_mT6_P12ihipStream_tbENKUlT_T0_E_clISt17integral_constantIbLb1EESY_IbLb0EEEEDaSU_SV_EUlSU_E0_NS1_11comp_targetILNS1_3genE4ELNS1_11target_archE910ELNS1_3gpuE8ELNS1_3repE0EEENS1_30default_config_static_selectorELNS0_4arch9wavefront6targetE1EEEvT1_,comdat
.Lfunc_end329:
	.size	_ZN7rocprim17ROCPRIM_400000_NS6detail17trampoline_kernelINS0_14default_configENS1_20scan_config_selectorIN3c107complexIfEEEEZZNS1_9scan_implILNS1_25lookback_scan_determinismE0ELb0ELb0ES3_PKS7_PS7_S7_ZZZN2at6native31launch_logcumsumexp_cuda_kernelERKNSE_10TensorBaseESI_lENKUlvE_clEvENKUlvE2_clEvEUlS7_S7_E_S7_EEDaPvRmT3_T4_T5_mT6_P12ihipStream_tbENKUlT_T0_E_clISt17integral_constantIbLb1EESY_IbLb0EEEEDaSU_SV_EUlSU_E0_NS1_11comp_targetILNS1_3genE4ELNS1_11target_archE910ELNS1_3gpuE8ELNS1_3repE0EEENS1_30default_config_static_selectorELNS0_4arch9wavefront6targetE1EEEvT1_, .Lfunc_end329-_ZN7rocprim17ROCPRIM_400000_NS6detail17trampoline_kernelINS0_14default_configENS1_20scan_config_selectorIN3c107complexIfEEEEZZNS1_9scan_implILNS1_25lookback_scan_determinismE0ELb0ELb0ES3_PKS7_PS7_S7_ZZZN2at6native31launch_logcumsumexp_cuda_kernelERKNSE_10TensorBaseESI_lENKUlvE_clEvENKUlvE2_clEvEUlS7_S7_E_S7_EEDaPvRmT3_T4_T5_mT6_P12ihipStream_tbENKUlT_T0_E_clISt17integral_constantIbLb1EESY_IbLb0EEEEDaSU_SV_EUlSU_E0_NS1_11comp_targetILNS1_3genE4ELNS1_11target_archE910ELNS1_3gpuE8ELNS1_3repE0EEENS1_30default_config_static_selectorELNS0_4arch9wavefront6targetE1EEEvT1_
                                        ; -- End function
	.section	.AMDGPU.csdata,"",@progbits
; Kernel info:
; codeLenInByte = 0
; NumSgprs: 6
; NumVgprs: 0
; NumAgprs: 0
; TotalNumVgprs: 0
; ScratchSize: 0
; MemoryBound: 0
; FloatMode: 240
; IeeeMode: 1
; LDSByteSize: 0 bytes/workgroup (compile time only)
; SGPRBlocks: 0
; VGPRBlocks: 0
; NumSGPRsForWavesPerEU: 6
; NumVGPRsForWavesPerEU: 1
; AccumOffset: 4
; Occupancy: 8
; WaveLimiterHint : 0
; COMPUTE_PGM_RSRC2:SCRATCH_EN: 0
; COMPUTE_PGM_RSRC2:USER_SGPR: 2
; COMPUTE_PGM_RSRC2:TRAP_HANDLER: 0
; COMPUTE_PGM_RSRC2:TGID_X_EN: 1
; COMPUTE_PGM_RSRC2:TGID_Y_EN: 0
; COMPUTE_PGM_RSRC2:TGID_Z_EN: 0
; COMPUTE_PGM_RSRC2:TIDIG_COMP_CNT: 0
; COMPUTE_PGM_RSRC3_GFX90A:ACCUM_OFFSET: 0
; COMPUTE_PGM_RSRC3_GFX90A:TG_SPLIT: 0
	.section	.text._ZN7rocprim17ROCPRIM_400000_NS6detail17trampoline_kernelINS0_14default_configENS1_20scan_config_selectorIN3c107complexIfEEEEZZNS1_9scan_implILNS1_25lookback_scan_determinismE0ELb0ELb0ES3_PKS7_PS7_S7_ZZZN2at6native31launch_logcumsumexp_cuda_kernelERKNSE_10TensorBaseESI_lENKUlvE_clEvENKUlvE2_clEvEUlS7_S7_E_S7_EEDaPvRmT3_T4_T5_mT6_P12ihipStream_tbENKUlT_T0_E_clISt17integral_constantIbLb1EESY_IbLb0EEEEDaSU_SV_EUlSU_E0_NS1_11comp_targetILNS1_3genE3ELNS1_11target_archE908ELNS1_3gpuE7ELNS1_3repE0EEENS1_30default_config_static_selectorELNS0_4arch9wavefront6targetE1EEEvT1_,"axG",@progbits,_ZN7rocprim17ROCPRIM_400000_NS6detail17trampoline_kernelINS0_14default_configENS1_20scan_config_selectorIN3c107complexIfEEEEZZNS1_9scan_implILNS1_25lookback_scan_determinismE0ELb0ELb0ES3_PKS7_PS7_S7_ZZZN2at6native31launch_logcumsumexp_cuda_kernelERKNSE_10TensorBaseESI_lENKUlvE_clEvENKUlvE2_clEvEUlS7_S7_E_S7_EEDaPvRmT3_T4_T5_mT6_P12ihipStream_tbENKUlT_T0_E_clISt17integral_constantIbLb1EESY_IbLb0EEEEDaSU_SV_EUlSU_E0_NS1_11comp_targetILNS1_3genE3ELNS1_11target_archE908ELNS1_3gpuE7ELNS1_3repE0EEENS1_30default_config_static_selectorELNS0_4arch9wavefront6targetE1EEEvT1_,comdat
	.globl	_ZN7rocprim17ROCPRIM_400000_NS6detail17trampoline_kernelINS0_14default_configENS1_20scan_config_selectorIN3c107complexIfEEEEZZNS1_9scan_implILNS1_25lookback_scan_determinismE0ELb0ELb0ES3_PKS7_PS7_S7_ZZZN2at6native31launch_logcumsumexp_cuda_kernelERKNSE_10TensorBaseESI_lENKUlvE_clEvENKUlvE2_clEvEUlS7_S7_E_S7_EEDaPvRmT3_T4_T5_mT6_P12ihipStream_tbENKUlT_T0_E_clISt17integral_constantIbLb1EESY_IbLb0EEEEDaSU_SV_EUlSU_E0_NS1_11comp_targetILNS1_3genE3ELNS1_11target_archE908ELNS1_3gpuE7ELNS1_3repE0EEENS1_30default_config_static_selectorELNS0_4arch9wavefront6targetE1EEEvT1_ ; -- Begin function _ZN7rocprim17ROCPRIM_400000_NS6detail17trampoline_kernelINS0_14default_configENS1_20scan_config_selectorIN3c107complexIfEEEEZZNS1_9scan_implILNS1_25lookback_scan_determinismE0ELb0ELb0ES3_PKS7_PS7_S7_ZZZN2at6native31launch_logcumsumexp_cuda_kernelERKNSE_10TensorBaseESI_lENKUlvE_clEvENKUlvE2_clEvEUlS7_S7_E_S7_EEDaPvRmT3_T4_T5_mT6_P12ihipStream_tbENKUlT_T0_E_clISt17integral_constantIbLb1EESY_IbLb0EEEEDaSU_SV_EUlSU_E0_NS1_11comp_targetILNS1_3genE3ELNS1_11target_archE908ELNS1_3gpuE7ELNS1_3repE0EEENS1_30default_config_static_selectorELNS0_4arch9wavefront6targetE1EEEvT1_
	.p2align	8
	.type	_ZN7rocprim17ROCPRIM_400000_NS6detail17trampoline_kernelINS0_14default_configENS1_20scan_config_selectorIN3c107complexIfEEEEZZNS1_9scan_implILNS1_25lookback_scan_determinismE0ELb0ELb0ES3_PKS7_PS7_S7_ZZZN2at6native31launch_logcumsumexp_cuda_kernelERKNSE_10TensorBaseESI_lENKUlvE_clEvENKUlvE2_clEvEUlS7_S7_E_S7_EEDaPvRmT3_T4_T5_mT6_P12ihipStream_tbENKUlT_T0_E_clISt17integral_constantIbLb1EESY_IbLb0EEEEDaSU_SV_EUlSU_E0_NS1_11comp_targetILNS1_3genE3ELNS1_11target_archE908ELNS1_3gpuE7ELNS1_3repE0EEENS1_30default_config_static_selectorELNS0_4arch9wavefront6targetE1EEEvT1_,@function
_ZN7rocprim17ROCPRIM_400000_NS6detail17trampoline_kernelINS0_14default_configENS1_20scan_config_selectorIN3c107complexIfEEEEZZNS1_9scan_implILNS1_25lookback_scan_determinismE0ELb0ELb0ES3_PKS7_PS7_S7_ZZZN2at6native31launch_logcumsumexp_cuda_kernelERKNSE_10TensorBaseESI_lENKUlvE_clEvENKUlvE2_clEvEUlS7_S7_E_S7_EEDaPvRmT3_T4_T5_mT6_P12ihipStream_tbENKUlT_T0_E_clISt17integral_constantIbLb1EESY_IbLb0EEEEDaSU_SV_EUlSU_E0_NS1_11comp_targetILNS1_3genE3ELNS1_11target_archE908ELNS1_3gpuE7ELNS1_3repE0EEENS1_30default_config_static_selectorELNS0_4arch9wavefront6targetE1EEEvT1_: ; @_ZN7rocprim17ROCPRIM_400000_NS6detail17trampoline_kernelINS0_14default_configENS1_20scan_config_selectorIN3c107complexIfEEEEZZNS1_9scan_implILNS1_25lookback_scan_determinismE0ELb0ELb0ES3_PKS7_PS7_S7_ZZZN2at6native31launch_logcumsumexp_cuda_kernelERKNSE_10TensorBaseESI_lENKUlvE_clEvENKUlvE2_clEvEUlS7_S7_E_S7_EEDaPvRmT3_T4_T5_mT6_P12ihipStream_tbENKUlT_T0_E_clISt17integral_constantIbLb1EESY_IbLb0EEEEDaSU_SV_EUlSU_E0_NS1_11comp_targetILNS1_3genE3ELNS1_11target_archE908ELNS1_3gpuE7ELNS1_3repE0EEENS1_30default_config_static_selectorELNS0_4arch9wavefront6targetE1EEEvT1_
; %bb.0:
	.section	.rodata,"a",@progbits
	.p2align	6, 0x0
	.amdhsa_kernel _ZN7rocprim17ROCPRIM_400000_NS6detail17trampoline_kernelINS0_14default_configENS1_20scan_config_selectorIN3c107complexIfEEEEZZNS1_9scan_implILNS1_25lookback_scan_determinismE0ELb0ELb0ES3_PKS7_PS7_S7_ZZZN2at6native31launch_logcumsumexp_cuda_kernelERKNSE_10TensorBaseESI_lENKUlvE_clEvENKUlvE2_clEvEUlS7_S7_E_S7_EEDaPvRmT3_T4_T5_mT6_P12ihipStream_tbENKUlT_T0_E_clISt17integral_constantIbLb1EESY_IbLb0EEEEDaSU_SV_EUlSU_E0_NS1_11comp_targetILNS1_3genE3ELNS1_11target_archE908ELNS1_3gpuE7ELNS1_3repE0EEENS1_30default_config_static_selectorELNS0_4arch9wavefront6targetE1EEEvT1_
		.amdhsa_group_segment_fixed_size 0
		.amdhsa_private_segment_fixed_size 0
		.amdhsa_kernarg_size 40
		.amdhsa_user_sgpr_count 2
		.amdhsa_user_sgpr_dispatch_ptr 0
		.amdhsa_user_sgpr_queue_ptr 0
		.amdhsa_user_sgpr_kernarg_segment_ptr 1
		.amdhsa_user_sgpr_dispatch_id 0
		.amdhsa_user_sgpr_kernarg_preload_length 0
		.amdhsa_user_sgpr_kernarg_preload_offset 0
		.amdhsa_user_sgpr_private_segment_size 0
		.amdhsa_uses_dynamic_stack 0
		.amdhsa_enable_private_segment 0
		.amdhsa_system_sgpr_workgroup_id_x 1
		.amdhsa_system_sgpr_workgroup_id_y 0
		.amdhsa_system_sgpr_workgroup_id_z 0
		.amdhsa_system_sgpr_workgroup_info 0
		.amdhsa_system_vgpr_workitem_id 0
		.amdhsa_next_free_vgpr 1
		.amdhsa_next_free_sgpr 0
		.amdhsa_accum_offset 4
		.amdhsa_reserve_vcc 0
		.amdhsa_float_round_mode_32 0
		.amdhsa_float_round_mode_16_64 0
		.amdhsa_float_denorm_mode_32 3
		.amdhsa_float_denorm_mode_16_64 3
		.amdhsa_dx10_clamp 1
		.amdhsa_ieee_mode 1
		.amdhsa_fp16_overflow 0
		.amdhsa_tg_split 0
		.amdhsa_exception_fp_ieee_invalid_op 0
		.amdhsa_exception_fp_denorm_src 0
		.amdhsa_exception_fp_ieee_div_zero 0
		.amdhsa_exception_fp_ieee_overflow 0
		.amdhsa_exception_fp_ieee_underflow 0
		.amdhsa_exception_fp_ieee_inexact 0
		.amdhsa_exception_int_div_zero 0
	.end_amdhsa_kernel
	.section	.text._ZN7rocprim17ROCPRIM_400000_NS6detail17trampoline_kernelINS0_14default_configENS1_20scan_config_selectorIN3c107complexIfEEEEZZNS1_9scan_implILNS1_25lookback_scan_determinismE0ELb0ELb0ES3_PKS7_PS7_S7_ZZZN2at6native31launch_logcumsumexp_cuda_kernelERKNSE_10TensorBaseESI_lENKUlvE_clEvENKUlvE2_clEvEUlS7_S7_E_S7_EEDaPvRmT3_T4_T5_mT6_P12ihipStream_tbENKUlT_T0_E_clISt17integral_constantIbLb1EESY_IbLb0EEEEDaSU_SV_EUlSU_E0_NS1_11comp_targetILNS1_3genE3ELNS1_11target_archE908ELNS1_3gpuE7ELNS1_3repE0EEENS1_30default_config_static_selectorELNS0_4arch9wavefront6targetE1EEEvT1_,"axG",@progbits,_ZN7rocprim17ROCPRIM_400000_NS6detail17trampoline_kernelINS0_14default_configENS1_20scan_config_selectorIN3c107complexIfEEEEZZNS1_9scan_implILNS1_25lookback_scan_determinismE0ELb0ELb0ES3_PKS7_PS7_S7_ZZZN2at6native31launch_logcumsumexp_cuda_kernelERKNSE_10TensorBaseESI_lENKUlvE_clEvENKUlvE2_clEvEUlS7_S7_E_S7_EEDaPvRmT3_T4_T5_mT6_P12ihipStream_tbENKUlT_T0_E_clISt17integral_constantIbLb1EESY_IbLb0EEEEDaSU_SV_EUlSU_E0_NS1_11comp_targetILNS1_3genE3ELNS1_11target_archE908ELNS1_3gpuE7ELNS1_3repE0EEENS1_30default_config_static_selectorELNS0_4arch9wavefront6targetE1EEEvT1_,comdat
.Lfunc_end330:
	.size	_ZN7rocprim17ROCPRIM_400000_NS6detail17trampoline_kernelINS0_14default_configENS1_20scan_config_selectorIN3c107complexIfEEEEZZNS1_9scan_implILNS1_25lookback_scan_determinismE0ELb0ELb0ES3_PKS7_PS7_S7_ZZZN2at6native31launch_logcumsumexp_cuda_kernelERKNSE_10TensorBaseESI_lENKUlvE_clEvENKUlvE2_clEvEUlS7_S7_E_S7_EEDaPvRmT3_T4_T5_mT6_P12ihipStream_tbENKUlT_T0_E_clISt17integral_constantIbLb1EESY_IbLb0EEEEDaSU_SV_EUlSU_E0_NS1_11comp_targetILNS1_3genE3ELNS1_11target_archE908ELNS1_3gpuE7ELNS1_3repE0EEENS1_30default_config_static_selectorELNS0_4arch9wavefront6targetE1EEEvT1_, .Lfunc_end330-_ZN7rocprim17ROCPRIM_400000_NS6detail17trampoline_kernelINS0_14default_configENS1_20scan_config_selectorIN3c107complexIfEEEEZZNS1_9scan_implILNS1_25lookback_scan_determinismE0ELb0ELb0ES3_PKS7_PS7_S7_ZZZN2at6native31launch_logcumsumexp_cuda_kernelERKNSE_10TensorBaseESI_lENKUlvE_clEvENKUlvE2_clEvEUlS7_S7_E_S7_EEDaPvRmT3_T4_T5_mT6_P12ihipStream_tbENKUlT_T0_E_clISt17integral_constantIbLb1EESY_IbLb0EEEEDaSU_SV_EUlSU_E0_NS1_11comp_targetILNS1_3genE3ELNS1_11target_archE908ELNS1_3gpuE7ELNS1_3repE0EEENS1_30default_config_static_selectorELNS0_4arch9wavefront6targetE1EEEvT1_
                                        ; -- End function
	.section	.AMDGPU.csdata,"",@progbits
; Kernel info:
; codeLenInByte = 0
; NumSgprs: 6
; NumVgprs: 0
; NumAgprs: 0
; TotalNumVgprs: 0
; ScratchSize: 0
; MemoryBound: 0
; FloatMode: 240
; IeeeMode: 1
; LDSByteSize: 0 bytes/workgroup (compile time only)
; SGPRBlocks: 0
; VGPRBlocks: 0
; NumSGPRsForWavesPerEU: 6
; NumVGPRsForWavesPerEU: 1
; AccumOffset: 4
; Occupancy: 8
; WaveLimiterHint : 0
; COMPUTE_PGM_RSRC2:SCRATCH_EN: 0
; COMPUTE_PGM_RSRC2:USER_SGPR: 2
; COMPUTE_PGM_RSRC2:TRAP_HANDLER: 0
; COMPUTE_PGM_RSRC2:TGID_X_EN: 1
; COMPUTE_PGM_RSRC2:TGID_Y_EN: 0
; COMPUTE_PGM_RSRC2:TGID_Z_EN: 0
; COMPUTE_PGM_RSRC2:TIDIG_COMP_CNT: 0
; COMPUTE_PGM_RSRC3_GFX90A:ACCUM_OFFSET: 0
; COMPUTE_PGM_RSRC3_GFX90A:TG_SPLIT: 0
	.section	.text._ZN7rocprim17ROCPRIM_400000_NS6detail17trampoline_kernelINS0_14default_configENS1_20scan_config_selectorIN3c107complexIfEEEEZZNS1_9scan_implILNS1_25lookback_scan_determinismE0ELb0ELb0ES3_PKS7_PS7_S7_ZZZN2at6native31launch_logcumsumexp_cuda_kernelERKNSE_10TensorBaseESI_lENKUlvE_clEvENKUlvE2_clEvEUlS7_S7_E_S7_EEDaPvRmT3_T4_T5_mT6_P12ihipStream_tbENKUlT_T0_E_clISt17integral_constantIbLb1EESY_IbLb0EEEEDaSU_SV_EUlSU_E0_NS1_11comp_targetILNS1_3genE2ELNS1_11target_archE906ELNS1_3gpuE6ELNS1_3repE0EEENS1_30default_config_static_selectorELNS0_4arch9wavefront6targetE1EEEvT1_,"axG",@progbits,_ZN7rocprim17ROCPRIM_400000_NS6detail17trampoline_kernelINS0_14default_configENS1_20scan_config_selectorIN3c107complexIfEEEEZZNS1_9scan_implILNS1_25lookback_scan_determinismE0ELb0ELb0ES3_PKS7_PS7_S7_ZZZN2at6native31launch_logcumsumexp_cuda_kernelERKNSE_10TensorBaseESI_lENKUlvE_clEvENKUlvE2_clEvEUlS7_S7_E_S7_EEDaPvRmT3_T4_T5_mT6_P12ihipStream_tbENKUlT_T0_E_clISt17integral_constantIbLb1EESY_IbLb0EEEEDaSU_SV_EUlSU_E0_NS1_11comp_targetILNS1_3genE2ELNS1_11target_archE906ELNS1_3gpuE6ELNS1_3repE0EEENS1_30default_config_static_selectorELNS0_4arch9wavefront6targetE1EEEvT1_,comdat
	.globl	_ZN7rocprim17ROCPRIM_400000_NS6detail17trampoline_kernelINS0_14default_configENS1_20scan_config_selectorIN3c107complexIfEEEEZZNS1_9scan_implILNS1_25lookback_scan_determinismE0ELb0ELb0ES3_PKS7_PS7_S7_ZZZN2at6native31launch_logcumsumexp_cuda_kernelERKNSE_10TensorBaseESI_lENKUlvE_clEvENKUlvE2_clEvEUlS7_S7_E_S7_EEDaPvRmT3_T4_T5_mT6_P12ihipStream_tbENKUlT_T0_E_clISt17integral_constantIbLb1EESY_IbLb0EEEEDaSU_SV_EUlSU_E0_NS1_11comp_targetILNS1_3genE2ELNS1_11target_archE906ELNS1_3gpuE6ELNS1_3repE0EEENS1_30default_config_static_selectorELNS0_4arch9wavefront6targetE1EEEvT1_ ; -- Begin function _ZN7rocprim17ROCPRIM_400000_NS6detail17trampoline_kernelINS0_14default_configENS1_20scan_config_selectorIN3c107complexIfEEEEZZNS1_9scan_implILNS1_25lookback_scan_determinismE0ELb0ELb0ES3_PKS7_PS7_S7_ZZZN2at6native31launch_logcumsumexp_cuda_kernelERKNSE_10TensorBaseESI_lENKUlvE_clEvENKUlvE2_clEvEUlS7_S7_E_S7_EEDaPvRmT3_T4_T5_mT6_P12ihipStream_tbENKUlT_T0_E_clISt17integral_constantIbLb1EESY_IbLb0EEEEDaSU_SV_EUlSU_E0_NS1_11comp_targetILNS1_3genE2ELNS1_11target_archE906ELNS1_3gpuE6ELNS1_3repE0EEENS1_30default_config_static_selectorELNS0_4arch9wavefront6targetE1EEEvT1_
	.p2align	8
	.type	_ZN7rocprim17ROCPRIM_400000_NS6detail17trampoline_kernelINS0_14default_configENS1_20scan_config_selectorIN3c107complexIfEEEEZZNS1_9scan_implILNS1_25lookback_scan_determinismE0ELb0ELb0ES3_PKS7_PS7_S7_ZZZN2at6native31launch_logcumsumexp_cuda_kernelERKNSE_10TensorBaseESI_lENKUlvE_clEvENKUlvE2_clEvEUlS7_S7_E_S7_EEDaPvRmT3_T4_T5_mT6_P12ihipStream_tbENKUlT_T0_E_clISt17integral_constantIbLb1EESY_IbLb0EEEEDaSU_SV_EUlSU_E0_NS1_11comp_targetILNS1_3genE2ELNS1_11target_archE906ELNS1_3gpuE6ELNS1_3repE0EEENS1_30default_config_static_selectorELNS0_4arch9wavefront6targetE1EEEvT1_,@function
_ZN7rocprim17ROCPRIM_400000_NS6detail17trampoline_kernelINS0_14default_configENS1_20scan_config_selectorIN3c107complexIfEEEEZZNS1_9scan_implILNS1_25lookback_scan_determinismE0ELb0ELb0ES3_PKS7_PS7_S7_ZZZN2at6native31launch_logcumsumexp_cuda_kernelERKNSE_10TensorBaseESI_lENKUlvE_clEvENKUlvE2_clEvEUlS7_S7_E_S7_EEDaPvRmT3_T4_T5_mT6_P12ihipStream_tbENKUlT_T0_E_clISt17integral_constantIbLb1EESY_IbLb0EEEEDaSU_SV_EUlSU_E0_NS1_11comp_targetILNS1_3genE2ELNS1_11target_archE906ELNS1_3gpuE6ELNS1_3repE0EEENS1_30default_config_static_selectorELNS0_4arch9wavefront6targetE1EEEvT1_: ; @_ZN7rocprim17ROCPRIM_400000_NS6detail17trampoline_kernelINS0_14default_configENS1_20scan_config_selectorIN3c107complexIfEEEEZZNS1_9scan_implILNS1_25lookback_scan_determinismE0ELb0ELb0ES3_PKS7_PS7_S7_ZZZN2at6native31launch_logcumsumexp_cuda_kernelERKNSE_10TensorBaseESI_lENKUlvE_clEvENKUlvE2_clEvEUlS7_S7_E_S7_EEDaPvRmT3_T4_T5_mT6_P12ihipStream_tbENKUlT_T0_E_clISt17integral_constantIbLb1EESY_IbLb0EEEEDaSU_SV_EUlSU_E0_NS1_11comp_targetILNS1_3genE2ELNS1_11target_archE906ELNS1_3gpuE6ELNS1_3repE0EEENS1_30default_config_static_selectorELNS0_4arch9wavefront6targetE1EEEvT1_
; %bb.0:
	.section	.rodata,"a",@progbits
	.p2align	6, 0x0
	.amdhsa_kernel _ZN7rocprim17ROCPRIM_400000_NS6detail17trampoline_kernelINS0_14default_configENS1_20scan_config_selectorIN3c107complexIfEEEEZZNS1_9scan_implILNS1_25lookback_scan_determinismE0ELb0ELb0ES3_PKS7_PS7_S7_ZZZN2at6native31launch_logcumsumexp_cuda_kernelERKNSE_10TensorBaseESI_lENKUlvE_clEvENKUlvE2_clEvEUlS7_S7_E_S7_EEDaPvRmT3_T4_T5_mT6_P12ihipStream_tbENKUlT_T0_E_clISt17integral_constantIbLb1EESY_IbLb0EEEEDaSU_SV_EUlSU_E0_NS1_11comp_targetILNS1_3genE2ELNS1_11target_archE906ELNS1_3gpuE6ELNS1_3repE0EEENS1_30default_config_static_selectorELNS0_4arch9wavefront6targetE1EEEvT1_
		.amdhsa_group_segment_fixed_size 0
		.amdhsa_private_segment_fixed_size 0
		.amdhsa_kernarg_size 40
		.amdhsa_user_sgpr_count 2
		.amdhsa_user_sgpr_dispatch_ptr 0
		.amdhsa_user_sgpr_queue_ptr 0
		.amdhsa_user_sgpr_kernarg_segment_ptr 1
		.amdhsa_user_sgpr_dispatch_id 0
		.amdhsa_user_sgpr_kernarg_preload_length 0
		.amdhsa_user_sgpr_kernarg_preload_offset 0
		.amdhsa_user_sgpr_private_segment_size 0
		.amdhsa_uses_dynamic_stack 0
		.amdhsa_enable_private_segment 0
		.amdhsa_system_sgpr_workgroup_id_x 1
		.amdhsa_system_sgpr_workgroup_id_y 0
		.amdhsa_system_sgpr_workgroup_id_z 0
		.amdhsa_system_sgpr_workgroup_info 0
		.amdhsa_system_vgpr_workitem_id 0
		.amdhsa_next_free_vgpr 1
		.amdhsa_next_free_sgpr 0
		.amdhsa_accum_offset 4
		.amdhsa_reserve_vcc 0
		.amdhsa_float_round_mode_32 0
		.amdhsa_float_round_mode_16_64 0
		.amdhsa_float_denorm_mode_32 3
		.amdhsa_float_denorm_mode_16_64 3
		.amdhsa_dx10_clamp 1
		.amdhsa_ieee_mode 1
		.amdhsa_fp16_overflow 0
		.amdhsa_tg_split 0
		.amdhsa_exception_fp_ieee_invalid_op 0
		.amdhsa_exception_fp_denorm_src 0
		.amdhsa_exception_fp_ieee_div_zero 0
		.amdhsa_exception_fp_ieee_overflow 0
		.amdhsa_exception_fp_ieee_underflow 0
		.amdhsa_exception_fp_ieee_inexact 0
		.amdhsa_exception_int_div_zero 0
	.end_amdhsa_kernel
	.section	.text._ZN7rocprim17ROCPRIM_400000_NS6detail17trampoline_kernelINS0_14default_configENS1_20scan_config_selectorIN3c107complexIfEEEEZZNS1_9scan_implILNS1_25lookback_scan_determinismE0ELb0ELb0ES3_PKS7_PS7_S7_ZZZN2at6native31launch_logcumsumexp_cuda_kernelERKNSE_10TensorBaseESI_lENKUlvE_clEvENKUlvE2_clEvEUlS7_S7_E_S7_EEDaPvRmT3_T4_T5_mT6_P12ihipStream_tbENKUlT_T0_E_clISt17integral_constantIbLb1EESY_IbLb0EEEEDaSU_SV_EUlSU_E0_NS1_11comp_targetILNS1_3genE2ELNS1_11target_archE906ELNS1_3gpuE6ELNS1_3repE0EEENS1_30default_config_static_selectorELNS0_4arch9wavefront6targetE1EEEvT1_,"axG",@progbits,_ZN7rocprim17ROCPRIM_400000_NS6detail17trampoline_kernelINS0_14default_configENS1_20scan_config_selectorIN3c107complexIfEEEEZZNS1_9scan_implILNS1_25lookback_scan_determinismE0ELb0ELb0ES3_PKS7_PS7_S7_ZZZN2at6native31launch_logcumsumexp_cuda_kernelERKNSE_10TensorBaseESI_lENKUlvE_clEvENKUlvE2_clEvEUlS7_S7_E_S7_EEDaPvRmT3_T4_T5_mT6_P12ihipStream_tbENKUlT_T0_E_clISt17integral_constantIbLb1EESY_IbLb0EEEEDaSU_SV_EUlSU_E0_NS1_11comp_targetILNS1_3genE2ELNS1_11target_archE906ELNS1_3gpuE6ELNS1_3repE0EEENS1_30default_config_static_selectorELNS0_4arch9wavefront6targetE1EEEvT1_,comdat
.Lfunc_end331:
	.size	_ZN7rocprim17ROCPRIM_400000_NS6detail17trampoline_kernelINS0_14default_configENS1_20scan_config_selectorIN3c107complexIfEEEEZZNS1_9scan_implILNS1_25lookback_scan_determinismE0ELb0ELb0ES3_PKS7_PS7_S7_ZZZN2at6native31launch_logcumsumexp_cuda_kernelERKNSE_10TensorBaseESI_lENKUlvE_clEvENKUlvE2_clEvEUlS7_S7_E_S7_EEDaPvRmT3_T4_T5_mT6_P12ihipStream_tbENKUlT_T0_E_clISt17integral_constantIbLb1EESY_IbLb0EEEEDaSU_SV_EUlSU_E0_NS1_11comp_targetILNS1_3genE2ELNS1_11target_archE906ELNS1_3gpuE6ELNS1_3repE0EEENS1_30default_config_static_selectorELNS0_4arch9wavefront6targetE1EEEvT1_, .Lfunc_end331-_ZN7rocprim17ROCPRIM_400000_NS6detail17trampoline_kernelINS0_14default_configENS1_20scan_config_selectorIN3c107complexIfEEEEZZNS1_9scan_implILNS1_25lookback_scan_determinismE0ELb0ELb0ES3_PKS7_PS7_S7_ZZZN2at6native31launch_logcumsumexp_cuda_kernelERKNSE_10TensorBaseESI_lENKUlvE_clEvENKUlvE2_clEvEUlS7_S7_E_S7_EEDaPvRmT3_T4_T5_mT6_P12ihipStream_tbENKUlT_T0_E_clISt17integral_constantIbLb1EESY_IbLb0EEEEDaSU_SV_EUlSU_E0_NS1_11comp_targetILNS1_3genE2ELNS1_11target_archE906ELNS1_3gpuE6ELNS1_3repE0EEENS1_30default_config_static_selectorELNS0_4arch9wavefront6targetE1EEEvT1_
                                        ; -- End function
	.section	.AMDGPU.csdata,"",@progbits
; Kernel info:
; codeLenInByte = 0
; NumSgprs: 6
; NumVgprs: 0
; NumAgprs: 0
; TotalNumVgprs: 0
; ScratchSize: 0
; MemoryBound: 0
; FloatMode: 240
; IeeeMode: 1
; LDSByteSize: 0 bytes/workgroup (compile time only)
; SGPRBlocks: 0
; VGPRBlocks: 0
; NumSGPRsForWavesPerEU: 6
; NumVGPRsForWavesPerEU: 1
; AccumOffset: 4
; Occupancy: 8
; WaveLimiterHint : 0
; COMPUTE_PGM_RSRC2:SCRATCH_EN: 0
; COMPUTE_PGM_RSRC2:USER_SGPR: 2
; COMPUTE_PGM_RSRC2:TRAP_HANDLER: 0
; COMPUTE_PGM_RSRC2:TGID_X_EN: 1
; COMPUTE_PGM_RSRC2:TGID_Y_EN: 0
; COMPUTE_PGM_RSRC2:TGID_Z_EN: 0
; COMPUTE_PGM_RSRC2:TIDIG_COMP_CNT: 0
; COMPUTE_PGM_RSRC3_GFX90A:ACCUM_OFFSET: 0
; COMPUTE_PGM_RSRC3_GFX90A:TG_SPLIT: 0
	.section	.text._ZN7rocprim17ROCPRIM_400000_NS6detail17trampoline_kernelINS0_14default_configENS1_20scan_config_selectorIN3c107complexIfEEEEZZNS1_9scan_implILNS1_25lookback_scan_determinismE0ELb0ELb0ES3_PKS7_PS7_S7_ZZZN2at6native31launch_logcumsumexp_cuda_kernelERKNSE_10TensorBaseESI_lENKUlvE_clEvENKUlvE2_clEvEUlS7_S7_E_S7_EEDaPvRmT3_T4_T5_mT6_P12ihipStream_tbENKUlT_T0_E_clISt17integral_constantIbLb1EESY_IbLb0EEEEDaSU_SV_EUlSU_E0_NS1_11comp_targetILNS1_3genE10ELNS1_11target_archE1201ELNS1_3gpuE5ELNS1_3repE0EEENS1_30default_config_static_selectorELNS0_4arch9wavefront6targetE1EEEvT1_,"axG",@progbits,_ZN7rocprim17ROCPRIM_400000_NS6detail17trampoline_kernelINS0_14default_configENS1_20scan_config_selectorIN3c107complexIfEEEEZZNS1_9scan_implILNS1_25lookback_scan_determinismE0ELb0ELb0ES3_PKS7_PS7_S7_ZZZN2at6native31launch_logcumsumexp_cuda_kernelERKNSE_10TensorBaseESI_lENKUlvE_clEvENKUlvE2_clEvEUlS7_S7_E_S7_EEDaPvRmT3_T4_T5_mT6_P12ihipStream_tbENKUlT_T0_E_clISt17integral_constantIbLb1EESY_IbLb0EEEEDaSU_SV_EUlSU_E0_NS1_11comp_targetILNS1_3genE10ELNS1_11target_archE1201ELNS1_3gpuE5ELNS1_3repE0EEENS1_30default_config_static_selectorELNS0_4arch9wavefront6targetE1EEEvT1_,comdat
	.globl	_ZN7rocprim17ROCPRIM_400000_NS6detail17trampoline_kernelINS0_14default_configENS1_20scan_config_selectorIN3c107complexIfEEEEZZNS1_9scan_implILNS1_25lookback_scan_determinismE0ELb0ELb0ES3_PKS7_PS7_S7_ZZZN2at6native31launch_logcumsumexp_cuda_kernelERKNSE_10TensorBaseESI_lENKUlvE_clEvENKUlvE2_clEvEUlS7_S7_E_S7_EEDaPvRmT3_T4_T5_mT6_P12ihipStream_tbENKUlT_T0_E_clISt17integral_constantIbLb1EESY_IbLb0EEEEDaSU_SV_EUlSU_E0_NS1_11comp_targetILNS1_3genE10ELNS1_11target_archE1201ELNS1_3gpuE5ELNS1_3repE0EEENS1_30default_config_static_selectorELNS0_4arch9wavefront6targetE1EEEvT1_ ; -- Begin function _ZN7rocprim17ROCPRIM_400000_NS6detail17trampoline_kernelINS0_14default_configENS1_20scan_config_selectorIN3c107complexIfEEEEZZNS1_9scan_implILNS1_25lookback_scan_determinismE0ELb0ELb0ES3_PKS7_PS7_S7_ZZZN2at6native31launch_logcumsumexp_cuda_kernelERKNSE_10TensorBaseESI_lENKUlvE_clEvENKUlvE2_clEvEUlS7_S7_E_S7_EEDaPvRmT3_T4_T5_mT6_P12ihipStream_tbENKUlT_T0_E_clISt17integral_constantIbLb1EESY_IbLb0EEEEDaSU_SV_EUlSU_E0_NS1_11comp_targetILNS1_3genE10ELNS1_11target_archE1201ELNS1_3gpuE5ELNS1_3repE0EEENS1_30default_config_static_selectorELNS0_4arch9wavefront6targetE1EEEvT1_
	.p2align	8
	.type	_ZN7rocprim17ROCPRIM_400000_NS6detail17trampoline_kernelINS0_14default_configENS1_20scan_config_selectorIN3c107complexIfEEEEZZNS1_9scan_implILNS1_25lookback_scan_determinismE0ELb0ELb0ES3_PKS7_PS7_S7_ZZZN2at6native31launch_logcumsumexp_cuda_kernelERKNSE_10TensorBaseESI_lENKUlvE_clEvENKUlvE2_clEvEUlS7_S7_E_S7_EEDaPvRmT3_T4_T5_mT6_P12ihipStream_tbENKUlT_T0_E_clISt17integral_constantIbLb1EESY_IbLb0EEEEDaSU_SV_EUlSU_E0_NS1_11comp_targetILNS1_3genE10ELNS1_11target_archE1201ELNS1_3gpuE5ELNS1_3repE0EEENS1_30default_config_static_selectorELNS0_4arch9wavefront6targetE1EEEvT1_,@function
_ZN7rocprim17ROCPRIM_400000_NS6detail17trampoline_kernelINS0_14default_configENS1_20scan_config_selectorIN3c107complexIfEEEEZZNS1_9scan_implILNS1_25lookback_scan_determinismE0ELb0ELb0ES3_PKS7_PS7_S7_ZZZN2at6native31launch_logcumsumexp_cuda_kernelERKNSE_10TensorBaseESI_lENKUlvE_clEvENKUlvE2_clEvEUlS7_S7_E_S7_EEDaPvRmT3_T4_T5_mT6_P12ihipStream_tbENKUlT_T0_E_clISt17integral_constantIbLb1EESY_IbLb0EEEEDaSU_SV_EUlSU_E0_NS1_11comp_targetILNS1_3genE10ELNS1_11target_archE1201ELNS1_3gpuE5ELNS1_3repE0EEENS1_30default_config_static_selectorELNS0_4arch9wavefront6targetE1EEEvT1_: ; @_ZN7rocprim17ROCPRIM_400000_NS6detail17trampoline_kernelINS0_14default_configENS1_20scan_config_selectorIN3c107complexIfEEEEZZNS1_9scan_implILNS1_25lookback_scan_determinismE0ELb0ELb0ES3_PKS7_PS7_S7_ZZZN2at6native31launch_logcumsumexp_cuda_kernelERKNSE_10TensorBaseESI_lENKUlvE_clEvENKUlvE2_clEvEUlS7_S7_E_S7_EEDaPvRmT3_T4_T5_mT6_P12ihipStream_tbENKUlT_T0_E_clISt17integral_constantIbLb1EESY_IbLb0EEEEDaSU_SV_EUlSU_E0_NS1_11comp_targetILNS1_3genE10ELNS1_11target_archE1201ELNS1_3gpuE5ELNS1_3repE0EEENS1_30default_config_static_selectorELNS0_4arch9wavefront6targetE1EEEvT1_
; %bb.0:
	.section	.rodata,"a",@progbits
	.p2align	6, 0x0
	.amdhsa_kernel _ZN7rocprim17ROCPRIM_400000_NS6detail17trampoline_kernelINS0_14default_configENS1_20scan_config_selectorIN3c107complexIfEEEEZZNS1_9scan_implILNS1_25lookback_scan_determinismE0ELb0ELb0ES3_PKS7_PS7_S7_ZZZN2at6native31launch_logcumsumexp_cuda_kernelERKNSE_10TensorBaseESI_lENKUlvE_clEvENKUlvE2_clEvEUlS7_S7_E_S7_EEDaPvRmT3_T4_T5_mT6_P12ihipStream_tbENKUlT_T0_E_clISt17integral_constantIbLb1EESY_IbLb0EEEEDaSU_SV_EUlSU_E0_NS1_11comp_targetILNS1_3genE10ELNS1_11target_archE1201ELNS1_3gpuE5ELNS1_3repE0EEENS1_30default_config_static_selectorELNS0_4arch9wavefront6targetE1EEEvT1_
		.amdhsa_group_segment_fixed_size 0
		.amdhsa_private_segment_fixed_size 0
		.amdhsa_kernarg_size 40
		.amdhsa_user_sgpr_count 2
		.amdhsa_user_sgpr_dispatch_ptr 0
		.amdhsa_user_sgpr_queue_ptr 0
		.amdhsa_user_sgpr_kernarg_segment_ptr 1
		.amdhsa_user_sgpr_dispatch_id 0
		.amdhsa_user_sgpr_kernarg_preload_length 0
		.amdhsa_user_sgpr_kernarg_preload_offset 0
		.amdhsa_user_sgpr_private_segment_size 0
		.amdhsa_uses_dynamic_stack 0
		.amdhsa_enable_private_segment 0
		.amdhsa_system_sgpr_workgroup_id_x 1
		.amdhsa_system_sgpr_workgroup_id_y 0
		.amdhsa_system_sgpr_workgroup_id_z 0
		.amdhsa_system_sgpr_workgroup_info 0
		.amdhsa_system_vgpr_workitem_id 0
		.amdhsa_next_free_vgpr 1
		.amdhsa_next_free_sgpr 0
		.amdhsa_accum_offset 4
		.amdhsa_reserve_vcc 0
		.amdhsa_float_round_mode_32 0
		.amdhsa_float_round_mode_16_64 0
		.amdhsa_float_denorm_mode_32 3
		.amdhsa_float_denorm_mode_16_64 3
		.amdhsa_dx10_clamp 1
		.amdhsa_ieee_mode 1
		.amdhsa_fp16_overflow 0
		.amdhsa_tg_split 0
		.amdhsa_exception_fp_ieee_invalid_op 0
		.amdhsa_exception_fp_denorm_src 0
		.amdhsa_exception_fp_ieee_div_zero 0
		.amdhsa_exception_fp_ieee_overflow 0
		.amdhsa_exception_fp_ieee_underflow 0
		.amdhsa_exception_fp_ieee_inexact 0
		.amdhsa_exception_int_div_zero 0
	.end_amdhsa_kernel
	.section	.text._ZN7rocprim17ROCPRIM_400000_NS6detail17trampoline_kernelINS0_14default_configENS1_20scan_config_selectorIN3c107complexIfEEEEZZNS1_9scan_implILNS1_25lookback_scan_determinismE0ELb0ELb0ES3_PKS7_PS7_S7_ZZZN2at6native31launch_logcumsumexp_cuda_kernelERKNSE_10TensorBaseESI_lENKUlvE_clEvENKUlvE2_clEvEUlS7_S7_E_S7_EEDaPvRmT3_T4_T5_mT6_P12ihipStream_tbENKUlT_T0_E_clISt17integral_constantIbLb1EESY_IbLb0EEEEDaSU_SV_EUlSU_E0_NS1_11comp_targetILNS1_3genE10ELNS1_11target_archE1201ELNS1_3gpuE5ELNS1_3repE0EEENS1_30default_config_static_selectorELNS0_4arch9wavefront6targetE1EEEvT1_,"axG",@progbits,_ZN7rocprim17ROCPRIM_400000_NS6detail17trampoline_kernelINS0_14default_configENS1_20scan_config_selectorIN3c107complexIfEEEEZZNS1_9scan_implILNS1_25lookback_scan_determinismE0ELb0ELb0ES3_PKS7_PS7_S7_ZZZN2at6native31launch_logcumsumexp_cuda_kernelERKNSE_10TensorBaseESI_lENKUlvE_clEvENKUlvE2_clEvEUlS7_S7_E_S7_EEDaPvRmT3_T4_T5_mT6_P12ihipStream_tbENKUlT_T0_E_clISt17integral_constantIbLb1EESY_IbLb0EEEEDaSU_SV_EUlSU_E0_NS1_11comp_targetILNS1_3genE10ELNS1_11target_archE1201ELNS1_3gpuE5ELNS1_3repE0EEENS1_30default_config_static_selectorELNS0_4arch9wavefront6targetE1EEEvT1_,comdat
.Lfunc_end332:
	.size	_ZN7rocprim17ROCPRIM_400000_NS6detail17trampoline_kernelINS0_14default_configENS1_20scan_config_selectorIN3c107complexIfEEEEZZNS1_9scan_implILNS1_25lookback_scan_determinismE0ELb0ELb0ES3_PKS7_PS7_S7_ZZZN2at6native31launch_logcumsumexp_cuda_kernelERKNSE_10TensorBaseESI_lENKUlvE_clEvENKUlvE2_clEvEUlS7_S7_E_S7_EEDaPvRmT3_T4_T5_mT6_P12ihipStream_tbENKUlT_T0_E_clISt17integral_constantIbLb1EESY_IbLb0EEEEDaSU_SV_EUlSU_E0_NS1_11comp_targetILNS1_3genE10ELNS1_11target_archE1201ELNS1_3gpuE5ELNS1_3repE0EEENS1_30default_config_static_selectorELNS0_4arch9wavefront6targetE1EEEvT1_, .Lfunc_end332-_ZN7rocprim17ROCPRIM_400000_NS6detail17trampoline_kernelINS0_14default_configENS1_20scan_config_selectorIN3c107complexIfEEEEZZNS1_9scan_implILNS1_25lookback_scan_determinismE0ELb0ELb0ES3_PKS7_PS7_S7_ZZZN2at6native31launch_logcumsumexp_cuda_kernelERKNSE_10TensorBaseESI_lENKUlvE_clEvENKUlvE2_clEvEUlS7_S7_E_S7_EEDaPvRmT3_T4_T5_mT6_P12ihipStream_tbENKUlT_T0_E_clISt17integral_constantIbLb1EESY_IbLb0EEEEDaSU_SV_EUlSU_E0_NS1_11comp_targetILNS1_3genE10ELNS1_11target_archE1201ELNS1_3gpuE5ELNS1_3repE0EEENS1_30default_config_static_selectorELNS0_4arch9wavefront6targetE1EEEvT1_
                                        ; -- End function
	.section	.AMDGPU.csdata,"",@progbits
; Kernel info:
; codeLenInByte = 0
; NumSgprs: 6
; NumVgprs: 0
; NumAgprs: 0
; TotalNumVgprs: 0
; ScratchSize: 0
; MemoryBound: 0
; FloatMode: 240
; IeeeMode: 1
; LDSByteSize: 0 bytes/workgroup (compile time only)
; SGPRBlocks: 0
; VGPRBlocks: 0
; NumSGPRsForWavesPerEU: 6
; NumVGPRsForWavesPerEU: 1
; AccumOffset: 4
; Occupancy: 8
; WaveLimiterHint : 0
; COMPUTE_PGM_RSRC2:SCRATCH_EN: 0
; COMPUTE_PGM_RSRC2:USER_SGPR: 2
; COMPUTE_PGM_RSRC2:TRAP_HANDLER: 0
; COMPUTE_PGM_RSRC2:TGID_X_EN: 1
; COMPUTE_PGM_RSRC2:TGID_Y_EN: 0
; COMPUTE_PGM_RSRC2:TGID_Z_EN: 0
; COMPUTE_PGM_RSRC2:TIDIG_COMP_CNT: 0
; COMPUTE_PGM_RSRC3_GFX90A:ACCUM_OFFSET: 0
; COMPUTE_PGM_RSRC3_GFX90A:TG_SPLIT: 0
	.section	.text._ZN7rocprim17ROCPRIM_400000_NS6detail17trampoline_kernelINS0_14default_configENS1_20scan_config_selectorIN3c107complexIfEEEEZZNS1_9scan_implILNS1_25lookback_scan_determinismE0ELb0ELb0ES3_PKS7_PS7_S7_ZZZN2at6native31launch_logcumsumexp_cuda_kernelERKNSE_10TensorBaseESI_lENKUlvE_clEvENKUlvE2_clEvEUlS7_S7_E_S7_EEDaPvRmT3_T4_T5_mT6_P12ihipStream_tbENKUlT_T0_E_clISt17integral_constantIbLb1EESY_IbLb0EEEEDaSU_SV_EUlSU_E0_NS1_11comp_targetILNS1_3genE10ELNS1_11target_archE1200ELNS1_3gpuE4ELNS1_3repE0EEENS1_30default_config_static_selectorELNS0_4arch9wavefront6targetE1EEEvT1_,"axG",@progbits,_ZN7rocprim17ROCPRIM_400000_NS6detail17trampoline_kernelINS0_14default_configENS1_20scan_config_selectorIN3c107complexIfEEEEZZNS1_9scan_implILNS1_25lookback_scan_determinismE0ELb0ELb0ES3_PKS7_PS7_S7_ZZZN2at6native31launch_logcumsumexp_cuda_kernelERKNSE_10TensorBaseESI_lENKUlvE_clEvENKUlvE2_clEvEUlS7_S7_E_S7_EEDaPvRmT3_T4_T5_mT6_P12ihipStream_tbENKUlT_T0_E_clISt17integral_constantIbLb1EESY_IbLb0EEEEDaSU_SV_EUlSU_E0_NS1_11comp_targetILNS1_3genE10ELNS1_11target_archE1200ELNS1_3gpuE4ELNS1_3repE0EEENS1_30default_config_static_selectorELNS0_4arch9wavefront6targetE1EEEvT1_,comdat
	.globl	_ZN7rocprim17ROCPRIM_400000_NS6detail17trampoline_kernelINS0_14default_configENS1_20scan_config_selectorIN3c107complexIfEEEEZZNS1_9scan_implILNS1_25lookback_scan_determinismE0ELb0ELb0ES3_PKS7_PS7_S7_ZZZN2at6native31launch_logcumsumexp_cuda_kernelERKNSE_10TensorBaseESI_lENKUlvE_clEvENKUlvE2_clEvEUlS7_S7_E_S7_EEDaPvRmT3_T4_T5_mT6_P12ihipStream_tbENKUlT_T0_E_clISt17integral_constantIbLb1EESY_IbLb0EEEEDaSU_SV_EUlSU_E0_NS1_11comp_targetILNS1_3genE10ELNS1_11target_archE1200ELNS1_3gpuE4ELNS1_3repE0EEENS1_30default_config_static_selectorELNS0_4arch9wavefront6targetE1EEEvT1_ ; -- Begin function _ZN7rocprim17ROCPRIM_400000_NS6detail17trampoline_kernelINS0_14default_configENS1_20scan_config_selectorIN3c107complexIfEEEEZZNS1_9scan_implILNS1_25lookback_scan_determinismE0ELb0ELb0ES3_PKS7_PS7_S7_ZZZN2at6native31launch_logcumsumexp_cuda_kernelERKNSE_10TensorBaseESI_lENKUlvE_clEvENKUlvE2_clEvEUlS7_S7_E_S7_EEDaPvRmT3_T4_T5_mT6_P12ihipStream_tbENKUlT_T0_E_clISt17integral_constantIbLb1EESY_IbLb0EEEEDaSU_SV_EUlSU_E0_NS1_11comp_targetILNS1_3genE10ELNS1_11target_archE1200ELNS1_3gpuE4ELNS1_3repE0EEENS1_30default_config_static_selectorELNS0_4arch9wavefront6targetE1EEEvT1_
	.p2align	8
	.type	_ZN7rocprim17ROCPRIM_400000_NS6detail17trampoline_kernelINS0_14default_configENS1_20scan_config_selectorIN3c107complexIfEEEEZZNS1_9scan_implILNS1_25lookback_scan_determinismE0ELb0ELb0ES3_PKS7_PS7_S7_ZZZN2at6native31launch_logcumsumexp_cuda_kernelERKNSE_10TensorBaseESI_lENKUlvE_clEvENKUlvE2_clEvEUlS7_S7_E_S7_EEDaPvRmT3_T4_T5_mT6_P12ihipStream_tbENKUlT_T0_E_clISt17integral_constantIbLb1EESY_IbLb0EEEEDaSU_SV_EUlSU_E0_NS1_11comp_targetILNS1_3genE10ELNS1_11target_archE1200ELNS1_3gpuE4ELNS1_3repE0EEENS1_30default_config_static_selectorELNS0_4arch9wavefront6targetE1EEEvT1_,@function
_ZN7rocprim17ROCPRIM_400000_NS6detail17trampoline_kernelINS0_14default_configENS1_20scan_config_selectorIN3c107complexIfEEEEZZNS1_9scan_implILNS1_25lookback_scan_determinismE0ELb0ELb0ES3_PKS7_PS7_S7_ZZZN2at6native31launch_logcumsumexp_cuda_kernelERKNSE_10TensorBaseESI_lENKUlvE_clEvENKUlvE2_clEvEUlS7_S7_E_S7_EEDaPvRmT3_T4_T5_mT6_P12ihipStream_tbENKUlT_T0_E_clISt17integral_constantIbLb1EESY_IbLb0EEEEDaSU_SV_EUlSU_E0_NS1_11comp_targetILNS1_3genE10ELNS1_11target_archE1200ELNS1_3gpuE4ELNS1_3repE0EEENS1_30default_config_static_selectorELNS0_4arch9wavefront6targetE1EEEvT1_: ; @_ZN7rocprim17ROCPRIM_400000_NS6detail17trampoline_kernelINS0_14default_configENS1_20scan_config_selectorIN3c107complexIfEEEEZZNS1_9scan_implILNS1_25lookback_scan_determinismE0ELb0ELb0ES3_PKS7_PS7_S7_ZZZN2at6native31launch_logcumsumexp_cuda_kernelERKNSE_10TensorBaseESI_lENKUlvE_clEvENKUlvE2_clEvEUlS7_S7_E_S7_EEDaPvRmT3_T4_T5_mT6_P12ihipStream_tbENKUlT_T0_E_clISt17integral_constantIbLb1EESY_IbLb0EEEEDaSU_SV_EUlSU_E0_NS1_11comp_targetILNS1_3genE10ELNS1_11target_archE1200ELNS1_3gpuE4ELNS1_3repE0EEENS1_30default_config_static_selectorELNS0_4arch9wavefront6targetE1EEEvT1_
; %bb.0:
	.section	.rodata,"a",@progbits
	.p2align	6, 0x0
	.amdhsa_kernel _ZN7rocprim17ROCPRIM_400000_NS6detail17trampoline_kernelINS0_14default_configENS1_20scan_config_selectorIN3c107complexIfEEEEZZNS1_9scan_implILNS1_25lookback_scan_determinismE0ELb0ELb0ES3_PKS7_PS7_S7_ZZZN2at6native31launch_logcumsumexp_cuda_kernelERKNSE_10TensorBaseESI_lENKUlvE_clEvENKUlvE2_clEvEUlS7_S7_E_S7_EEDaPvRmT3_T4_T5_mT6_P12ihipStream_tbENKUlT_T0_E_clISt17integral_constantIbLb1EESY_IbLb0EEEEDaSU_SV_EUlSU_E0_NS1_11comp_targetILNS1_3genE10ELNS1_11target_archE1200ELNS1_3gpuE4ELNS1_3repE0EEENS1_30default_config_static_selectorELNS0_4arch9wavefront6targetE1EEEvT1_
		.amdhsa_group_segment_fixed_size 0
		.amdhsa_private_segment_fixed_size 0
		.amdhsa_kernarg_size 40
		.amdhsa_user_sgpr_count 2
		.amdhsa_user_sgpr_dispatch_ptr 0
		.amdhsa_user_sgpr_queue_ptr 0
		.amdhsa_user_sgpr_kernarg_segment_ptr 1
		.amdhsa_user_sgpr_dispatch_id 0
		.amdhsa_user_sgpr_kernarg_preload_length 0
		.amdhsa_user_sgpr_kernarg_preload_offset 0
		.amdhsa_user_sgpr_private_segment_size 0
		.amdhsa_uses_dynamic_stack 0
		.amdhsa_enable_private_segment 0
		.amdhsa_system_sgpr_workgroup_id_x 1
		.amdhsa_system_sgpr_workgroup_id_y 0
		.amdhsa_system_sgpr_workgroup_id_z 0
		.amdhsa_system_sgpr_workgroup_info 0
		.amdhsa_system_vgpr_workitem_id 0
		.amdhsa_next_free_vgpr 1
		.amdhsa_next_free_sgpr 0
		.amdhsa_accum_offset 4
		.amdhsa_reserve_vcc 0
		.amdhsa_float_round_mode_32 0
		.amdhsa_float_round_mode_16_64 0
		.amdhsa_float_denorm_mode_32 3
		.amdhsa_float_denorm_mode_16_64 3
		.amdhsa_dx10_clamp 1
		.amdhsa_ieee_mode 1
		.amdhsa_fp16_overflow 0
		.amdhsa_tg_split 0
		.amdhsa_exception_fp_ieee_invalid_op 0
		.amdhsa_exception_fp_denorm_src 0
		.amdhsa_exception_fp_ieee_div_zero 0
		.amdhsa_exception_fp_ieee_overflow 0
		.amdhsa_exception_fp_ieee_underflow 0
		.amdhsa_exception_fp_ieee_inexact 0
		.amdhsa_exception_int_div_zero 0
	.end_amdhsa_kernel
	.section	.text._ZN7rocprim17ROCPRIM_400000_NS6detail17trampoline_kernelINS0_14default_configENS1_20scan_config_selectorIN3c107complexIfEEEEZZNS1_9scan_implILNS1_25lookback_scan_determinismE0ELb0ELb0ES3_PKS7_PS7_S7_ZZZN2at6native31launch_logcumsumexp_cuda_kernelERKNSE_10TensorBaseESI_lENKUlvE_clEvENKUlvE2_clEvEUlS7_S7_E_S7_EEDaPvRmT3_T4_T5_mT6_P12ihipStream_tbENKUlT_T0_E_clISt17integral_constantIbLb1EESY_IbLb0EEEEDaSU_SV_EUlSU_E0_NS1_11comp_targetILNS1_3genE10ELNS1_11target_archE1200ELNS1_3gpuE4ELNS1_3repE0EEENS1_30default_config_static_selectorELNS0_4arch9wavefront6targetE1EEEvT1_,"axG",@progbits,_ZN7rocprim17ROCPRIM_400000_NS6detail17trampoline_kernelINS0_14default_configENS1_20scan_config_selectorIN3c107complexIfEEEEZZNS1_9scan_implILNS1_25lookback_scan_determinismE0ELb0ELb0ES3_PKS7_PS7_S7_ZZZN2at6native31launch_logcumsumexp_cuda_kernelERKNSE_10TensorBaseESI_lENKUlvE_clEvENKUlvE2_clEvEUlS7_S7_E_S7_EEDaPvRmT3_T4_T5_mT6_P12ihipStream_tbENKUlT_T0_E_clISt17integral_constantIbLb1EESY_IbLb0EEEEDaSU_SV_EUlSU_E0_NS1_11comp_targetILNS1_3genE10ELNS1_11target_archE1200ELNS1_3gpuE4ELNS1_3repE0EEENS1_30default_config_static_selectorELNS0_4arch9wavefront6targetE1EEEvT1_,comdat
.Lfunc_end333:
	.size	_ZN7rocprim17ROCPRIM_400000_NS6detail17trampoline_kernelINS0_14default_configENS1_20scan_config_selectorIN3c107complexIfEEEEZZNS1_9scan_implILNS1_25lookback_scan_determinismE0ELb0ELb0ES3_PKS7_PS7_S7_ZZZN2at6native31launch_logcumsumexp_cuda_kernelERKNSE_10TensorBaseESI_lENKUlvE_clEvENKUlvE2_clEvEUlS7_S7_E_S7_EEDaPvRmT3_T4_T5_mT6_P12ihipStream_tbENKUlT_T0_E_clISt17integral_constantIbLb1EESY_IbLb0EEEEDaSU_SV_EUlSU_E0_NS1_11comp_targetILNS1_3genE10ELNS1_11target_archE1200ELNS1_3gpuE4ELNS1_3repE0EEENS1_30default_config_static_selectorELNS0_4arch9wavefront6targetE1EEEvT1_, .Lfunc_end333-_ZN7rocprim17ROCPRIM_400000_NS6detail17trampoline_kernelINS0_14default_configENS1_20scan_config_selectorIN3c107complexIfEEEEZZNS1_9scan_implILNS1_25lookback_scan_determinismE0ELb0ELb0ES3_PKS7_PS7_S7_ZZZN2at6native31launch_logcumsumexp_cuda_kernelERKNSE_10TensorBaseESI_lENKUlvE_clEvENKUlvE2_clEvEUlS7_S7_E_S7_EEDaPvRmT3_T4_T5_mT6_P12ihipStream_tbENKUlT_T0_E_clISt17integral_constantIbLb1EESY_IbLb0EEEEDaSU_SV_EUlSU_E0_NS1_11comp_targetILNS1_3genE10ELNS1_11target_archE1200ELNS1_3gpuE4ELNS1_3repE0EEENS1_30default_config_static_selectorELNS0_4arch9wavefront6targetE1EEEvT1_
                                        ; -- End function
	.section	.AMDGPU.csdata,"",@progbits
; Kernel info:
; codeLenInByte = 0
; NumSgprs: 6
; NumVgprs: 0
; NumAgprs: 0
; TotalNumVgprs: 0
; ScratchSize: 0
; MemoryBound: 0
; FloatMode: 240
; IeeeMode: 1
; LDSByteSize: 0 bytes/workgroup (compile time only)
; SGPRBlocks: 0
; VGPRBlocks: 0
; NumSGPRsForWavesPerEU: 6
; NumVGPRsForWavesPerEU: 1
; AccumOffset: 4
; Occupancy: 8
; WaveLimiterHint : 0
; COMPUTE_PGM_RSRC2:SCRATCH_EN: 0
; COMPUTE_PGM_RSRC2:USER_SGPR: 2
; COMPUTE_PGM_RSRC2:TRAP_HANDLER: 0
; COMPUTE_PGM_RSRC2:TGID_X_EN: 1
; COMPUTE_PGM_RSRC2:TGID_Y_EN: 0
; COMPUTE_PGM_RSRC2:TGID_Z_EN: 0
; COMPUTE_PGM_RSRC2:TIDIG_COMP_CNT: 0
; COMPUTE_PGM_RSRC3_GFX90A:ACCUM_OFFSET: 0
; COMPUTE_PGM_RSRC3_GFX90A:TG_SPLIT: 0
	.section	.text._ZN7rocprim17ROCPRIM_400000_NS6detail17trampoline_kernelINS0_14default_configENS1_20scan_config_selectorIN3c107complexIfEEEEZZNS1_9scan_implILNS1_25lookback_scan_determinismE0ELb0ELb0ES3_PKS7_PS7_S7_ZZZN2at6native31launch_logcumsumexp_cuda_kernelERKNSE_10TensorBaseESI_lENKUlvE_clEvENKUlvE2_clEvEUlS7_S7_E_S7_EEDaPvRmT3_T4_T5_mT6_P12ihipStream_tbENKUlT_T0_E_clISt17integral_constantIbLb1EESY_IbLb0EEEEDaSU_SV_EUlSU_E0_NS1_11comp_targetILNS1_3genE9ELNS1_11target_archE1100ELNS1_3gpuE3ELNS1_3repE0EEENS1_30default_config_static_selectorELNS0_4arch9wavefront6targetE1EEEvT1_,"axG",@progbits,_ZN7rocprim17ROCPRIM_400000_NS6detail17trampoline_kernelINS0_14default_configENS1_20scan_config_selectorIN3c107complexIfEEEEZZNS1_9scan_implILNS1_25lookback_scan_determinismE0ELb0ELb0ES3_PKS7_PS7_S7_ZZZN2at6native31launch_logcumsumexp_cuda_kernelERKNSE_10TensorBaseESI_lENKUlvE_clEvENKUlvE2_clEvEUlS7_S7_E_S7_EEDaPvRmT3_T4_T5_mT6_P12ihipStream_tbENKUlT_T0_E_clISt17integral_constantIbLb1EESY_IbLb0EEEEDaSU_SV_EUlSU_E0_NS1_11comp_targetILNS1_3genE9ELNS1_11target_archE1100ELNS1_3gpuE3ELNS1_3repE0EEENS1_30default_config_static_selectorELNS0_4arch9wavefront6targetE1EEEvT1_,comdat
	.globl	_ZN7rocprim17ROCPRIM_400000_NS6detail17trampoline_kernelINS0_14default_configENS1_20scan_config_selectorIN3c107complexIfEEEEZZNS1_9scan_implILNS1_25lookback_scan_determinismE0ELb0ELb0ES3_PKS7_PS7_S7_ZZZN2at6native31launch_logcumsumexp_cuda_kernelERKNSE_10TensorBaseESI_lENKUlvE_clEvENKUlvE2_clEvEUlS7_S7_E_S7_EEDaPvRmT3_T4_T5_mT6_P12ihipStream_tbENKUlT_T0_E_clISt17integral_constantIbLb1EESY_IbLb0EEEEDaSU_SV_EUlSU_E0_NS1_11comp_targetILNS1_3genE9ELNS1_11target_archE1100ELNS1_3gpuE3ELNS1_3repE0EEENS1_30default_config_static_selectorELNS0_4arch9wavefront6targetE1EEEvT1_ ; -- Begin function _ZN7rocprim17ROCPRIM_400000_NS6detail17trampoline_kernelINS0_14default_configENS1_20scan_config_selectorIN3c107complexIfEEEEZZNS1_9scan_implILNS1_25lookback_scan_determinismE0ELb0ELb0ES3_PKS7_PS7_S7_ZZZN2at6native31launch_logcumsumexp_cuda_kernelERKNSE_10TensorBaseESI_lENKUlvE_clEvENKUlvE2_clEvEUlS7_S7_E_S7_EEDaPvRmT3_T4_T5_mT6_P12ihipStream_tbENKUlT_T0_E_clISt17integral_constantIbLb1EESY_IbLb0EEEEDaSU_SV_EUlSU_E0_NS1_11comp_targetILNS1_3genE9ELNS1_11target_archE1100ELNS1_3gpuE3ELNS1_3repE0EEENS1_30default_config_static_selectorELNS0_4arch9wavefront6targetE1EEEvT1_
	.p2align	8
	.type	_ZN7rocprim17ROCPRIM_400000_NS6detail17trampoline_kernelINS0_14default_configENS1_20scan_config_selectorIN3c107complexIfEEEEZZNS1_9scan_implILNS1_25lookback_scan_determinismE0ELb0ELb0ES3_PKS7_PS7_S7_ZZZN2at6native31launch_logcumsumexp_cuda_kernelERKNSE_10TensorBaseESI_lENKUlvE_clEvENKUlvE2_clEvEUlS7_S7_E_S7_EEDaPvRmT3_T4_T5_mT6_P12ihipStream_tbENKUlT_T0_E_clISt17integral_constantIbLb1EESY_IbLb0EEEEDaSU_SV_EUlSU_E0_NS1_11comp_targetILNS1_3genE9ELNS1_11target_archE1100ELNS1_3gpuE3ELNS1_3repE0EEENS1_30default_config_static_selectorELNS0_4arch9wavefront6targetE1EEEvT1_,@function
_ZN7rocprim17ROCPRIM_400000_NS6detail17trampoline_kernelINS0_14default_configENS1_20scan_config_selectorIN3c107complexIfEEEEZZNS1_9scan_implILNS1_25lookback_scan_determinismE0ELb0ELb0ES3_PKS7_PS7_S7_ZZZN2at6native31launch_logcumsumexp_cuda_kernelERKNSE_10TensorBaseESI_lENKUlvE_clEvENKUlvE2_clEvEUlS7_S7_E_S7_EEDaPvRmT3_T4_T5_mT6_P12ihipStream_tbENKUlT_T0_E_clISt17integral_constantIbLb1EESY_IbLb0EEEEDaSU_SV_EUlSU_E0_NS1_11comp_targetILNS1_3genE9ELNS1_11target_archE1100ELNS1_3gpuE3ELNS1_3repE0EEENS1_30default_config_static_selectorELNS0_4arch9wavefront6targetE1EEEvT1_: ; @_ZN7rocprim17ROCPRIM_400000_NS6detail17trampoline_kernelINS0_14default_configENS1_20scan_config_selectorIN3c107complexIfEEEEZZNS1_9scan_implILNS1_25lookback_scan_determinismE0ELb0ELb0ES3_PKS7_PS7_S7_ZZZN2at6native31launch_logcumsumexp_cuda_kernelERKNSE_10TensorBaseESI_lENKUlvE_clEvENKUlvE2_clEvEUlS7_S7_E_S7_EEDaPvRmT3_T4_T5_mT6_P12ihipStream_tbENKUlT_T0_E_clISt17integral_constantIbLb1EESY_IbLb0EEEEDaSU_SV_EUlSU_E0_NS1_11comp_targetILNS1_3genE9ELNS1_11target_archE1100ELNS1_3gpuE3ELNS1_3repE0EEENS1_30default_config_static_selectorELNS0_4arch9wavefront6targetE1EEEvT1_
; %bb.0:
	.section	.rodata,"a",@progbits
	.p2align	6, 0x0
	.amdhsa_kernel _ZN7rocprim17ROCPRIM_400000_NS6detail17trampoline_kernelINS0_14default_configENS1_20scan_config_selectorIN3c107complexIfEEEEZZNS1_9scan_implILNS1_25lookback_scan_determinismE0ELb0ELb0ES3_PKS7_PS7_S7_ZZZN2at6native31launch_logcumsumexp_cuda_kernelERKNSE_10TensorBaseESI_lENKUlvE_clEvENKUlvE2_clEvEUlS7_S7_E_S7_EEDaPvRmT3_T4_T5_mT6_P12ihipStream_tbENKUlT_T0_E_clISt17integral_constantIbLb1EESY_IbLb0EEEEDaSU_SV_EUlSU_E0_NS1_11comp_targetILNS1_3genE9ELNS1_11target_archE1100ELNS1_3gpuE3ELNS1_3repE0EEENS1_30default_config_static_selectorELNS0_4arch9wavefront6targetE1EEEvT1_
		.amdhsa_group_segment_fixed_size 0
		.amdhsa_private_segment_fixed_size 0
		.amdhsa_kernarg_size 40
		.amdhsa_user_sgpr_count 2
		.amdhsa_user_sgpr_dispatch_ptr 0
		.amdhsa_user_sgpr_queue_ptr 0
		.amdhsa_user_sgpr_kernarg_segment_ptr 1
		.amdhsa_user_sgpr_dispatch_id 0
		.amdhsa_user_sgpr_kernarg_preload_length 0
		.amdhsa_user_sgpr_kernarg_preload_offset 0
		.amdhsa_user_sgpr_private_segment_size 0
		.amdhsa_uses_dynamic_stack 0
		.amdhsa_enable_private_segment 0
		.amdhsa_system_sgpr_workgroup_id_x 1
		.amdhsa_system_sgpr_workgroup_id_y 0
		.amdhsa_system_sgpr_workgroup_id_z 0
		.amdhsa_system_sgpr_workgroup_info 0
		.amdhsa_system_vgpr_workitem_id 0
		.amdhsa_next_free_vgpr 1
		.amdhsa_next_free_sgpr 0
		.amdhsa_accum_offset 4
		.amdhsa_reserve_vcc 0
		.amdhsa_float_round_mode_32 0
		.amdhsa_float_round_mode_16_64 0
		.amdhsa_float_denorm_mode_32 3
		.amdhsa_float_denorm_mode_16_64 3
		.amdhsa_dx10_clamp 1
		.amdhsa_ieee_mode 1
		.amdhsa_fp16_overflow 0
		.amdhsa_tg_split 0
		.amdhsa_exception_fp_ieee_invalid_op 0
		.amdhsa_exception_fp_denorm_src 0
		.amdhsa_exception_fp_ieee_div_zero 0
		.amdhsa_exception_fp_ieee_overflow 0
		.amdhsa_exception_fp_ieee_underflow 0
		.amdhsa_exception_fp_ieee_inexact 0
		.amdhsa_exception_int_div_zero 0
	.end_amdhsa_kernel
	.section	.text._ZN7rocprim17ROCPRIM_400000_NS6detail17trampoline_kernelINS0_14default_configENS1_20scan_config_selectorIN3c107complexIfEEEEZZNS1_9scan_implILNS1_25lookback_scan_determinismE0ELb0ELb0ES3_PKS7_PS7_S7_ZZZN2at6native31launch_logcumsumexp_cuda_kernelERKNSE_10TensorBaseESI_lENKUlvE_clEvENKUlvE2_clEvEUlS7_S7_E_S7_EEDaPvRmT3_T4_T5_mT6_P12ihipStream_tbENKUlT_T0_E_clISt17integral_constantIbLb1EESY_IbLb0EEEEDaSU_SV_EUlSU_E0_NS1_11comp_targetILNS1_3genE9ELNS1_11target_archE1100ELNS1_3gpuE3ELNS1_3repE0EEENS1_30default_config_static_selectorELNS0_4arch9wavefront6targetE1EEEvT1_,"axG",@progbits,_ZN7rocprim17ROCPRIM_400000_NS6detail17trampoline_kernelINS0_14default_configENS1_20scan_config_selectorIN3c107complexIfEEEEZZNS1_9scan_implILNS1_25lookback_scan_determinismE0ELb0ELb0ES3_PKS7_PS7_S7_ZZZN2at6native31launch_logcumsumexp_cuda_kernelERKNSE_10TensorBaseESI_lENKUlvE_clEvENKUlvE2_clEvEUlS7_S7_E_S7_EEDaPvRmT3_T4_T5_mT6_P12ihipStream_tbENKUlT_T0_E_clISt17integral_constantIbLb1EESY_IbLb0EEEEDaSU_SV_EUlSU_E0_NS1_11comp_targetILNS1_3genE9ELNS1_11target_archE1100ELNS1_3gpuE3ELNS1_3repE0EEENS1_30default_config_static_selectorELNS0_4arch9wavefront6targetE1EEEvT1_,comdat
.Lfunc_end334:
	.size	_ZN7rocprim17ROCPRIM_400000_NS6detail17trampoline_kernelINS0_14default_configENS1_20scan_config_selectorIN3c107complexIfEEEEZZNS1_9scan_implILNS1_25lookback_scan_determinismE0ELb0ELb0ES3_PKS7_PS7_S7_ZZZN2at6native31launch_logcumsumexp_cuda_kernelERKNSE_10TensorBaseESI_lENKUlvE_clEvENKUlvE2_clEvEUlS7_S7_E_S7_EEDaPvRmT3_T4_T5_mT6_P12ihipStream_tbENKUlT_T0_E_clISt17integral_constantIbLb1EESY_IbLb0EEEEDaSU_SV_EUlSU_E0_NS1_11comp_targetILNS1_3genE9ELNS1_11target_archE1100ELNS1_3gpuE3ELNS1_3repE0EEENS1_30default_config_static_selectorELNS0_4arch9wavefront6targetE1EEEvT1_, .Lfunc_end334-_ZN7rocprim17ROCPRIM_400000_NS6detail17trampoline_kernelINS0_14default_configENS1_20scan_config_selectorIN3c107complexIfEEEEZZNS1_9scan_implILNS1_25lookback_scan_determinismE0ELb0ELb0ES3_PKS7_PS7_S7_ZZZN2at6native31launch_logcumsumexp_cuda_kernelERKNSE_10TensorBaseESI_lENKUlvE_clEvENKUlvE2_clEvEUlS7_S7_E_S7_EEDaPvRmT3_T4_T5_mT6_P12ihipStream_tbENKUlT_T0_E_clISt17integral_constantIbLb1EESY_IbLb0EEEEDaSU_SV_EUlSU_E0_NS1_11comp_targetILNS1_3genE9ELNS1_11target_archE1100ELNS1_3gpuE3ELNS1_3repE0EEENS1_30default_config_static_selectorELNS0_4arch9wavefront6targetE1EEEvT1_
                                        ; -- End function
	.section	.AMDGPU.csdata,"",@progbits
; Kernel info:
; codeLenInByte = 0
; NumSgprs: 6
; NumVgprs: 0
; NumAgprs: 0
; TotalNumVgprs: 0
; ScratchSize: 0
; MemoryBound: 0
; FloatMode: 240
; IeeeMode: 1
; LDSByteSize: 0 bytes/workgroup (compile time only)
; SGPRBlocks: 0
; VGPRBlocks: 0
; NumSGPRsForWavesPerEU: 6
; NumVGPRsForWavesPerEU: 1
; AccumOffset: 4
; Occupancy: 8
; WaveLimiterHint : 0
; COMPUTE_PGM_RSRC2:SCRATCH_EN: 0
; COMPUTE_PGM_RSRC2:USER_SGPR: 2
; COMPUTE_PGM_RSRC2:TRAP_HANDLER: 0
; COMPUTE_PGM_RSRC2:TGID_X_EN: 1
; COMPUTE_PGM_RSRC2:TGID_Y_EN: 0
; COMPUTE_PGM_RSRC2:TGID_Z_EN: 0
; COMPUTE_PGM_RSRC2:TIDIG_COMP_CNT: 0
; COMPUTE_PGM_RSRC3_GFX90A:ACCUM_OFFSET: 0
; COMPUTE_PGM_RSRC3_GFX90A:TG_SPLIT: 0
	.section	.text._ZN7rocprim17ROCPRIM_400000_NS6detail17trampoline_kernelINS0_14default_configENS1_20scan_config_selectorIN3c107complexIfEEEEZZNS1_9scan_implILNS1_25lookback_scan_determinismE0ELb0ELb0ES3_PKS7_PS7_S7_ZZZN2at6native31launch_logcumsumexp_cuda_kernelERKNSE_10TensorBaseESI_lENKUlvE_clEvENKUlvE2_clEvEUlS7_S7_E_S7_EEDaPvRmT3_T4_T5_mT6_P12ihipStream_tbENKUlT_T0_E_clISt17integral_constantIbLb1EESY_IbLb0EEEEDaSU_SV_EUlSU_E0_NS1_11comp_targetILNS1_3genE8ELNS1_11target_archE1030ELNS1_3gpuE2ELNS1_3repE0EEENS1_30default_config_static_selectorELNS0_4arch9wavefront6targetE1EEEvT1_,"axG",@progbits,_ZN7rocprim17ROCPRIM_400000_NS6detail17trampoline_kernelINS0_14default_configENS1_20scan_config_selectorIN3c107complexIfEEEEZZNS1_9scan_implILNS1_25lookback_scan_determinismE0ELb0ELb0ES3_PKS7_PS7_S7_ZZZN2at6native31launch_logcumsumexp_cuda_kernelERKNSE_10TensorBaseESI_lENKUlvE_clEvENKUlvE2_clEvEUlS7_S7_E_S7_EEDaPvRmT3_T4_T5_mT6_P12ihipStream_tbENKUlT_T0_E_clISt17integral_constantIbLb1EESY_IbLb0EEEEDaSU_SV_EUlSU_E0_NS1_11comp_targetILNS1_3genE8ELNS1_11target_archE1030ELNS1_3gpuE2ELNS1_3repE0EEENS1_30default_config_static_selectorELNS0_4arch9wavefront6targetE1EEEvT1_,comdat
	.globl	_ZN7rocprim17ROCPRIM_400000_NS6detail17trampoline_kernelINS0_14default_configENS1_20scan_config_selectorIN3c107complexIfEEEEZZNS1_9scan_implILNS1_25lookback_scan_determinismE0ELb0ELb0ES3_PKS7_PS7_S7_ZZZN2at6native31launch_logcumsumexp_cuda_kernelERKNSE_10TensorBaseESI_lENKUlvE_clEvENKUlvE2_clEvEUlS7_S7_E_S7_EEDaPvRmT3_T4_T5_mT6_P12ihipStream_tbENKUlT_T0_E_clISt17integral_constantIbLb1EESY_IbLb0EEEEDaSU_SV_EUlSU_E0_NS1_11comp_targetILNS1_3genE8ELNS1_11target_archE1030ELNS1_3gpuE2ELNS1_3repE0EEENS1_30default_config_static_selectorELNS0_4arch9wavefront6targetE1EEEvT1_ ; -- Begin function _ZN7rocprim17ROCPRIM_400000_NS6detail17trampoline_kernelINS0_14default_configENS1_20scan_config_selectorIN3c107complexIfEEEEZZNS1_9scan_implILNS1_25lookback_scan_determinismE0ELb0ELb0ES3_PKS7_PS7_S7_ZZZN2at6native31launch_logcumsumexp_cuda_kernelERKNSE_10TensorBaseESI_lENKUlvE_clEvENKUlvE2_clEvEUlS7_S7_E_S7_EEDaPvRmT3_T4_T5_mT6_P12ihipStream_tbENKUlT_T0_E_clISt17integral_constantIbLb1EESY_IbLb0EEEEDaSU_SV_EUlSU_E0_NS1_11comp_targetILNS1_3genE8ELNS1_11target_archE1030ELNS1_3gpuE2ELNS1_3repE0EEENS1_30default_config_static_selectorELNS0_4arch9wavefront6targetE1EEEvT1_
	.p2align	8
	.type	_ZN7rocprim17ROCPRIM_400000_NS6detail17trampoline_kernelINS0_14default_configENS1_20scan_config_selectorIN3c107complexIfEEEEZZNS1_9scan_implILNS1_25lookback_scan_determinismE0ELb0ELb0ES3_PKS7_PS7_S7_ZZZN2at6native31launch_logcumsumexp_cuda_kernelERKNSE_10TensorBaseESI_lENKUlvE_clEvENKUlvE2_clEvEUlS7_S7_E_S7_EEDaPvRmT3_T4_T5_mT6_P12ihipStream_tbENKUlT_T0_E_clISt17integral_constantIbLb1EESY_IbLb0EEEEDaSU_SV_EUlSU_E0_NS1_11comp_targetILNS1_3genE8ELNS1_11target_archE1030ELNS1_3gpuE2ELNS1_3repE0EEENS1_30default_config_static_selectorELNS0_4arch9wavefront6targetE1EEEvT1_,@function
_ZN7rocprim17ROCPRIM_400000_NS6detail17trampoline_kernelINS0_14default_configENS1_20scan_config_selectorIN3c107complexIfEEEEZZNS1_9scan_implILNS1_25lookback_scan_determinismE0ELb0ELb0ES3_PKS7_PS7_S7_ZZZN2at6native31launch_logcumsumexp_cuda_kernelERKNSE_10TensorBaseESI_lENKUlvE_clEvENKUlvE2_clEvEUlS7_S7_E_S7_EEDaPvRmT3_T4_T5_mT6_P12ihipStream_tbENKUlT_T0_E_clISt17integral_constantIbLb1EESY_IbLb0EEEEDaSU_SV_EUlSU_E0_NS1_11comp_targetILNS1_3genE8ELNS1_11target_archE1030ELNS1_3gpuE2ELNS1_3repE0EEENS1_30default_config_static_selectorELNS0_4arch9wavefront6targetE1EEEvT1_: ; @_ZN7rocprim17ROCPRIM_400000_NS6detail17trampoline_kernelINS0_14default_configENS1_20scan_config_selectorIN3c107complexIfEEEEZZNS1_9scan_implILNS1_25lookback_scan_determinismE0ELb0ELb0ES3_PKS7_PS7_S7_ZZZN2at6native31launch_logcumsumexp_cuda_kernelERKNSE_10TensorBaseESI_lENKUlvE_clEvENKUlvE2_clEvEUlS7_S7_E_S7_EEDaPvRmT3_T4_T5_mT6_P12ihipStream_tbENKUlT_T0_E_clISt17integral_constantIbLb1EESY_IbLb0EEEEDaSU_SV_EUlSU_E0_NS1_11comp_targetILNS1_3genE8ELNS1_11target_archE1030ELNS1_3gpuE2ELNS1_3repE0EEENS1_30default_config_static_selectorELNS0_4arch9wavefront6targetE1EEEvT1_
; %bb.0:
	.section	.rodata,"a",@progbits
	.p2align	6, 0x0
	.amdhsa_kernel _ZN7rocprim17ROCPRIM_400000_NS6detail17trampoline_kernelINS0_14default_configENS1_20scan_config_selectorIN3c107complexIfEEEEZZNS1_9scan_implILNS1_25lookback_scan_determinismE0ELb0ELb0ES3_PKS7_PS7_S7_ZZZN2at6native31launch_logcumsumexp_cuda_kernelERKNSE_10TensorBaseESI_lENKUlvE_clEvENKUlvE2_clEvEUlS7_S7_E_S7_EEDaPvRmT3_T4_T5_mT6_P12ihipStream_tbENKUlT_T0_E_clISt17integral_constantIbLb1EESY_IbLb0EEEEDaSU_SV_EUlSU_E0_NS1_11comp_targetILNS1_3genE8ELNS1_11target_archE1030ELNS1_3gpuE2ELNS1_3repE0EEENS1_30default_config_static_selectorELNS0_4arch9wavefront6targetE1EEEvT1_
		.amdhsa_group_segment_fixed_size 0
		.amdhsa_private_segment_fixed_size 0
		.amdhsa_kernarg_size 40
		.amdhsa_user_sgpr_count 2
		.amdhsa_user_sgpr_dispatch_ptr 0
		.amdhsa_user_sgpr_queue_ptr 0
		.amdhsa_user_sgpr_kernarg_segment_ptr 1
		.amdhsa_user_sgpr_dispatch_id 0
		.amdhsa_user_sgpr_kernarg_preload_length 0
		.amdhsa_user_sgpr_kernarg_preload_offset 0
		.amdhsa_user_sgpr_private_segment_size 0
		.amdhsa_uses_dynamic_stack 0
		.amdhsa_enable_private_segment 0
		.amdhsa_system_sgpr_workgroup_id_x 1
		.amdhsa_system_sgpr_workgroup_id_y 0
		.amdhsa_system_sgpr_workgroup_id_z 0
		.amdhsa_system_sgpr_workgroup_info 0
		.amdhsa_system_vgpr_workitem_id 0
		.amdhsa_next_free_vgpr 1
		.amdhsa_next_free_sgpr 0
		.amdhsa_accum_offset 4
		.amdhsa_reserve_vcc 0
		.amdhsa_float_round_mode_32 0
		.amdhsa_float_round_mode_16_64 0
		.amdhsa_float_denorm_mode_32 3
		.amdhsa_float_denorm_mode_16_64 3
		.amdhsa_dx10_clamp 1
		.amdhsa_ieee_mode 1
		.amdhsa_fp16_overflow 0
		.amdhsa_tg_split 0
		.amdhsa_exception_fp_ieee_invalid_op 0
		.amdhsa_exception_fp_denorm_src 0
		.amdhsa_exception_fp_ieee_div_zero 0
		.amdhsa_exception_fp_ieee_overflow 0
		.amdhsa_exception_fp_ieee_underflow 0
		.amdhsa_exception_fp_ieee_inexact 0
		.amdhsa_exception_int_div_zero 0
	.end_amdhsa_kernel
	.section	.text._ZN7rocprim17ROCPRIM_400000_NS6detail17trampoline_kernelINS0_14default_configENS1_20scan_config_selectorIN3c107complexIfEEEEZZNS1_9scan_implILNS1_25lookback_scan_determinismE0ELb0ELb0ES3_PKS7_PS7_S7_ZZZN2at6native31launch_logcumsumexp_cuda_kernelERKNSE_10TensorBaseESI_lENKUlvE_clEvENKUlvE2_clEvEUlS7_S7_E_S7_EEDaPvRmT3_T4_T5_mT6_P12ihipStream_tbENKUlT_T0_E_clISt17integral_constantIbLb1EESY_IbLb0EEEEDaSU_SV_EUlSU_E0_NS1_11comp_targetILNS1_3genE8ELNS1_11target_archE1030ELNS1_3gpuE2ELNS1_3repE0EEENS1_30default_config_static_selectorELNS0_4arch9wavefront6targetE1EEEvT1_,"axG",@progbits,_ZN7rocprim17ROCPRIM_400000_NS6detail17trampoline_kernelINS0_14default_configENS1_20scan_config_selectorIN3c107complexIfEEEEZZNS1_9scan_implILNS1_25lookback_scan_determinismE0ELb0ELb0ES3_PKS7_PS7_S7_ZZZN2at6native31launch_logcumsumexp_cuda_kernelERKNSE_10TensorBaseESI_lENKUlvE_clEvENKUlvE2_clEvEUlS7_S7_E_S7_EEDaPvRmT3_T4_T5_mT6_P12ihipStream_tbENKUlT_T0_E_clISt17integral_constantIbLb1EESY_IbLb0EEEEDaSU_SV_EUlSU_E0_NS1_11comp_targetILNS1_3genE8ELNS1_11target_archE1030ELNS1_3gpuE2ELNS1_3repE0EEENS1_30default_config_static_selectorELNS0_4arch9wavefront6targetE1EEEvT1_,comdat
.Lfunc_end335:
	.size	_ZN7rocprim17ROCPRIM_400000_NS6detail17trampoline_kernelINS0_14default_configENS1_20scan_config_selectorIN3c107complexIfEEEEZZNS1_9scan_implILNS1_25lookback_scan_determinismE0ELb0ELb0ES3_PKS7_PS7_S7_ZZZN2at6native31launch_logcumsumexp_cuda_kernelERKNSE_10TensorBaseESI_lENKUlvE_clEvENKUlvE2_clEvEUlS7_S7_E_S7_EEDaPvRmT3_T4_T5_mT6_P12ihipStream_tbENKUlT_T0_E_clISt17integral_constantIbLb1EESY_IbLb0EEEEDaSU_SV_EUlSU_E0_NS1_11comp_targetILNS1_3genE8ELNS1_11target_archE1030ELNS1_3gpuE2ELNS1_3repE0EEENS1_30default_config_static_selectorELNS0_4arch9wavefront6targetE1EEEvT1_, .Lfunc_end335-_ZN7rocprim17ROCPRIM_400000_NS6detail17trampoline_kernelINS0_14default_configENS1_20scan_config_selectorIN3c107complexIfEEEEZZNS1_9scan_implILNS1_25lookback_scan_determinismE0ELb0ELb0ES3_PKS7_PS7_S7_ZZZN2at6native31launch_logcumsumexp_cuda_kernelERKNSE_10TensorBaseESI_lENKUlvE_clEvENKUlvE2_clEvEUlS7_S7_E_S7_EEDaPvRmT3_T4_T5_mT6_P12ihipStream_tbENKUlT_T0_E_clISt17integral_constantIbLb1EESY_IbLb0EEEEDaSU_SV_EUlSU_E0_NS1_11comp_targetILNS1_3genE8ELNS1_11target_archE1030ELNS1_3gpuE2ELNS1_3repE0EEENS1_30default_config_static_selectorELNS0_4arch9wavefront6targetE1EEEvT1_
                                        ; -- End function
	.section	.AMDGPU.csdata,"",@progbits
; Kernel info:
; codeLenInByte = 0
; NumSgprs: 6
; NumVgprs: 0
; NumAgprs: 0
; TotalNumVgprs: 0
; ScratchSize: 0
; MemoryBound: 0
; FloatMode: 240
; IeeeMode: 1
; LDSByteSize: 0 bytes/workgroup (compile time only)
; SGPRBlocks: 0
; VGPRBlocks: 0
; NumSGPRsForWavesPerEU: 6
; NumVGPRsForWavesPerEU: 1
; AccumOffset: 4
; Occupancy: 8
; WaveLimiterHint : 0
; COMPUTE_PGM_RSRC2:SCRATCH_EN: 0
; COMPUTE_PGM_RSRC2:USER_SGPR: 2
; COMPUTE_PGM_RSRC2:TRAP_HANDLER: 0
; COMPUTE_PGM_RSRC2:TGID_X_EN: 1
; COMPUTE_PGM_RSRC2:TGID_Y_EN: 0
; COMPUTE_PGM_RSRC2:TGID_Z_EN: 0
; COMPUTE_PGM_RSRC2:TIDIG_COMP_CNT: 0
; COMPUTE_PGM_RSRC3_GFX90A:ACCUM_OFFSET: 0
; COMPUTE_PGM_RSRC3_GFX90A:TG_SPLIT: 0
	.section	.text._ZN7rocprim17ROCPRIM_400000_NS6detail31init_lookback_scan_state_kernelINS1_19lookback_scan_stateIN3c107complexIfEELb0ELb1EEENS1_16block_id_wrapperIjLb1EEEEEvT_jT0_jPNSA_10value_typeE,"axG",@progbits,_ZN7rocprim17ROCPRIM_400000_NS6detail31init_lookback_scan_state_kernelINS1_19lookback_scan_stateIN3c107complexIfEELb0ELb1EEENS1_16block_id_wrapperIjLb1EEEEEvT_jT0_jPNSA_10value_typeE,comdat
	.protected	_ZN7rocprim17ROCPRIM_400000_NS6detail31init_lookback_scan_state_kernelINS1_19lookback_scan_stateIN3c107complexIfEELb0ELb1EEENS1_16block_id_wrapperIjLb1EEEEEvT_jT0_jPNSA_10value_typeE ; -- Begin function _ZN7rocprim17ROCPRIM_400000_NS6detail31init_lookback_scan_state_kernelINS1_19lookback_scan_stateIN3c107complexIfEELb0ELb1EEENS1_16block_id_wrapperIjLb1EEEEEvT_jT0_jPNSA_10value_typeE
	.globl	_ZN7rocprim17ROCPRIM_400000_NS6detail31init_lookback_scan_state_kernelINS1_19lookback_scan_stateIN3c107complexIfEELb0ELb1EEENS1_16block_id_wrapperIjLb1EEEEEvT_jT0_jPNSA_10value_typeE
	.p2align	8
	.type	_ZN7rocprim17ROCPRIM_400000_NS6detail31init_lookback_scan_state_kernelINS1_19lookback_scan_stateIN3c107complexIfEELb0ELb1EEENS1_16block_id_wrapperIjLb1EEEEEvT_jT0_jPNSA_10value_typeE,@function
_ZN7rocprim17ROCPRIM_400000_NS6detail31init_lookback_scan_state_kernelINS1_19lookback_scan_stateIN3c107complexIfEELb0ELb1EEENS1_16block_id_wrapperIjLb1EEEEEvT_jT0_jPNSA_10value_typeE: ; @_ZN7rocprim17ROCPRIM_400000_NS6detail31init_lookback_scan_state_kernelINS1_19lookback_scan_stateIN3c107complexIfEELb0ELb1EEENS1_16block_id_wrapperIjLb1EEEEEvT_jT0_jPNSA_10value_typeE
; %bb.0:
	s_load_dword s3, s[0:1], 0x34
	s_load_dwordx2 s[6:7], s[0:1], 0x20
	s_load_dwordx2 s[4:5], s[0:1], 0x0
	s_load_dword s14, s[0:1], 0x8
	s_waitcnt lgkmcnt(0)
	s_and_b32 s3, s3, 0xffff
	s_mul_i32 s2, s2, s3
	s_cmp_eq_u64 s[6:7], 0
	v_add_u32_e32 v0, s2, v0
	s_cbranch_scc1 .LBB336_8
; %bb.1:
	s_load_dword s8, s[0:1], 0x18
	s_mov_b32 s9, 0
	s_waitcnt lgkmcnt(0)
	s_cmp_lt_u32 s8, s14
	s_cselect_b32 s2, s8, 0
	v_cmp_eq_u32_e32 vcc, s2, v0
	s_and_saveexec_b64 s[2:3], vcc
	s_cbranch_execz .LBB336_7
; %bb.2:
	s_add_i32 s8, s8, 64
	s_lshl_b64 s[8:9], s[8:9], 4
	s_add_u32 s12, s4, s8
	s_addc_u32 s13, s5, s9
	v_mov_b64_e32 v[2:3], s[12:13]
	;;#ASMSTART
	global_load_dwordx4 v[2:5], v[2:3] off sc1	
s_waitcnt vmcnt(0)
	;;#ASMEND
	v_mov_b32_e32 v7, 0
	v_and_b32_e32 v6, 0xff, v4
	v_mov_b32_e32 v8, v3
	s_mov_b64 s[10:11], 0
	v_cmp_eq_u64_e32 vcc, 0, v[6:7]
	s_and_saveexec_b64 s[8:9], vcc
	s_cbranch_execz .LBB336_6
; %bb.3:
	v_mov_b64_e32 v[8:9], s[12:13]
.LBB336_4:                              ; =>This Inner Loop Header: Depth=1
	;;#ASMSTART
	global_load_dwordx4 v[2:5], v[8:9] off sc1	
s_waitcnt vmcnt(0)
	;;#ASMEND
	s_nop 0
	v_and_b32_e32 v6, 0xff, v4
	v_cmp_ne_u64_e32 vcc, 0, v[6:7]
	s_or_b64 s[10:11], vcc, s[10:11]
	s_andn2_b64 exec, exec, s[10:11]
	s_cbranch_execnz .LBB336_4
; %bb.5:
	s_or_b64 exec, exec, s[10:11]
	v_mov_b32_e32 v8, v3
.LBB336_6:
	s_or_b64 exec, exec, s[8:9]
	v_mov_b32_e32 v3, v8
	v_mov_b32_e32 v1, 0
	global_store_dwordx2 v1, v[2:3], s[6:7]
.LBB336_7:
	s_or_b64 exec, exec, s[2:3]
.LBB336_8:
	v_cmp_eq_u32_e32 vcc, 0, v0
	s_and_saveexec_b64 s[2:3], vcc
	s_cbranch_execnz .LBB336_12
; %bb.9:
	s_or_b64 exec, exec, s[2:3]
	v_cmp_gt_u32_e32 vcc, s14, v0
	s_and_saveexec_b64 s[0:1], vcc
	s_cbranch_execnz .LBB336_13
.LBB336_10:
	s_or_b64 exec, exec, s[0:1]
	v_cmp_gt_u32_e32 vcc, 64, v0
	s_and_saveexec_b64 s[0:1], vcc
	s_cbranch_execnz .LBB336_14
.LBB336_11:
	s_endpgm
.LBB336_12:
	s_load_dwordx2 s[0:1], s[0:1], 0x10
	v_mov_b32_e32 v1, 0
	s_waitcnt lgkmcnt(0)
	global_store_dword v1, v1, s[0:1]
	s_or_b64 exec, exec, s[2:3]
	v_cmp_gt_u32_e32 vcc, s14, v0
	s_and_saveexec_b64 s[0:1], vcc
	s_cbranch_execz .LBB336_10
.LBB336_13:
	v_add_u32_e32 v2, 64, v0
	v_mov_b32_e32 v3, 0
	v_lshl_add_u64 v[6:7], v[2:3], 4, s[4:5]
	v_mov_b32_e32 v2, v3
	v_mov_b32_e32 v4, v3
	;; [unrolled: 1-line block ×3, first 2 shown]
	global_store_dwordx4 v[6:7], v[2:5], off
	s_or_b64 exec, exec, s[0:1]
	v_cmp_gt_u32_e32 vcc, 64, v0
	s_and_saveexec_b64 s[0:1], vcc
	s_cbranch_execz .LBB336_11
.LBB336_14:
	v_mov_b32_e32 v1, 0
	v_lshl_add_u64 v[4:5], v[0:1], 4, s[4:5]
	v_mov_b32_e32 v2, 0xff
	v_mov_b32_e32 v0, v1
	;; [unrolled: 1-line block ×3, first 2 shown]
	global_store_dwordx4 v[4:5], v[0:3], off
	s_endpgm
	.section	.rodata,"a",@progbits
	.p2align	6, 0x0
	.amdhsa_kernel _ZN7rocprim17ROCPRIM_400000_NS6detail31init_lookback_scan_state_kernelINS1_19lookback_scan_stateIN3c107complexIfEELb0ELb1EEENS1_16block_id_wrapperIjLb1EEEEEvT_jT0_jPNSA_10value_typeE
		.amdhsa_group_segment_fixed_size 0
		.amdhsa_private_segment_fixed_size 0
		.amdhsa_kernarg_size 296
		.amdhsa_user_sgpr_count 2
		.amdhsa_user_sgpr_dispatch_ptr 0
		.amdhsa_user_sgpr_queue_ptr 0
		.amdhsa_user_sgpr_kernarg_segment_ptr 1
		.amdhsa_user_sgpr_dispatch_id 0
		.amdhsa_user_sgpr_kernarg_preload_length 0
		.amdhsa_user_sgpr_kernarg_preload_offset 0
		.amdhsa_user_sgpr_private_segment_size 0
		.amdhsa_uses_dynamic_stack 0
		.amdhsa_enable_private_segment 0
		.amdhsa_system_sgpr_workgroup_id_x 1
		.amdhsa_system_sgpr_workgroup_id_y 0
		.amdhsa_system_sgpr_workgroup_id_z 0
		.amdhsa_system_sgpr_workgroup_info 0
		.amdhsa_system_vgpr_workitem_id 0
		.amdhsa_next_free_vgpr 10
		.amdhsa_next_free_sgpr 15
		.amdhsa_accum_offset 12
		.amdhsa_reserve_vcc 1
		.amdhsa_float_round_mode_32 0
		.amdhsa_float_round_mode_16_64 0
		.amdhsa_float_denorm_mode_32 3
		.amdhsa_float_denorm_mode_16_64 3
		.amdhsa_dx10_clamp 1
		.amdhsa_ieee_mode 1
		.amdhsa_fp16_overflow 0
		.amdhsa_tg_split 0
		.amdhsa_exception_fp_ieee_invalid_op 0
		.amdhsa_exception_fp_denorm_src 0
		.amdhsa_exception_fp_ieee_div_zero 0
		.amdhsa_exception_fp_ieee_overflow 0
		.amdhsa_exception_fp_ieee_underflow 0
		.amdhsa_exception_fp_ieee_inexact 0
		.amdhsa_exception_int_div_zero 0
	.end_amdhsa_kernel
	.section	.text._ZN7rocprim17ROCPRIM_400000_NS6detail31init_lookback_scan_state_kernelINS1_19lookback_scan_stateIN3c107complexIfEELb0ELb1EEENS1_16block_id_wrapperIjLb1EEEEEvT_jT0_jPNSA_10value_typeE,"axG",@progbits,_ZN7rocprim17ROCPRIM_400000_NS6detail31init_lookback_scan_state_kernelINS1_19lookback_scan_stateIN3c107complexIfEELb0ELb1EEENS1_16block_id_wrapperIjLb1EEEEEvT_jT0_jPNSA_10value_typeE,comdat
.Lfunc_end336:
	.size	_ZN7rocprim17ROCPRIM_400000_NS6detail31init_lookback_scan_state_kernelINS1_19lookback_scan_stateIN3c107complexIfEELb0ELb1EEENS1_16block_id_wrapperIjLb1EEEEEvT_jT0_jPNSA_10value_typeE, .Lfunc_end336-_ZN7rocprim17ROCPRIM_400000_NS6detail31init_lookback_scan_state_kernelINS1_19lookback_scan_stateIN3c107complexIfEELb0ELb1EEENS1_16block_id_wrapperIjLb1EEEEEvT_jT0_jPNSA_10value_typeE
                                        ; -- End function
	.section	.AMDGPU.csdata,"",@progbits
; Kernel info:
; codeLenInByte = 424
; NumSgprs: 21
; NumVgprs: 10
; NumAgprs: 0
; TotalNumVgprs: 10
; ScratchSize: 0
; MemoryBound: 0
; FloatMode: 240
; IeeeMode: 1
; LDSByteSize: 0 bytes/workgroup (compile time only)
; SGPRBlocks: 2
; VGPRBlocks: 1
; NumSGPRsForWavesPerEU: 21
; NumVGPRsForWavesPerEU: 10
; AccumOffset: 12
; Occupancy: 8
; WaveLimiterHint : 0
; COMPUTE_PGM_RSRC2:SCRATCH_EN: 0
; COMPUTE_PGM_RSRC2:USER_SGPR: 2
; COMPUTE_PGM_RSRC2:TRAP_HANDLER: 0
; COMPUTE_PGM_RSRC2:TGID_X_EN: 1
; COMPUTE_PGM_RSRC2:TGID_Y_EN: 0
; COMPUTE_PGM_RSRC2:TGID_Z_EN: 0
; COMPUTE_PGM_RSRC2:TIDIG_COMP_CNT: 0
; COMPUTE_PGM_RSRC3_GFX90A:ACCUM_OFFSET: 2
; COMPUTE_PGM_RSRC3_GFX90A:TG_SPLIT: 0
	.section	.text._ZN7rocprim17ROCPRIM_400000_NS6detail17trampoline_kernelINS0_14default_configENS1_20scan_config_selectorIN3c107complexIfEEEEZZNS1_9scan_implILNS1_25lookback_scan_determinismE0ELb0ELb0ES3_PKS7_PS7_S7_ZZZN2at6native31launch_logcumsumexp_cuda_kernelERKNSE_10TensorBaseESI_lENKUlvE_clEvENKUlvE2_clEvEUlS7_S7_E_S7_EEDaPvRmT3_T4_T5_mT6_P12ihipStream_tbENKUlT_T0_E_clISt17integral_constantIbLb0EESY_IbLb1EEEEDaSU_SV_EUlSU_E_NS1_11comp_targetILNS1_3genE0ELNS1_11target_archE4294967295ELNS1_3gpuE0ELNS1_3repE0EEENS1_30default_config_static_selectorELNS0_4arch9wavefront6targetE1EEEvT1_,"axG",@progbits,_ZN7rocprim17ROCPRIM_400000_NS6detail17trampoline_kernelINS0_14default_configENS1_20scan_config_selectorIN3c107complexIfEEEEZZNS1_9scan_implILNS1_25lookback_scan_determinismE0ELb0ELb0ES3_PKS7_PS7_S7_ZZZN2at6native31launch_logcumsumexp_cuda_kernelERKNSE_10TensorBaseESI_lENKUlvE_clEvENKUlvE2_clEvEUlS7_S7_E_S7_EEDaPvRmT3_T4_T5_mT6_P12ihipStream_tbENKUlT_T0_E_clISt17integral_constantIbLb0EESY_IbLb1EEEEDaSU_SV_EUlSU_E_NS1_11comp_targetILNS1_3genE0ELNS1_11target_archE4294967295ELNS1_3gpuE0ELNS1_3repE0EEENS1_30default_config_static_selectorELNS0_4arch9wavefront6targetE1EEEvT1_,comdat
	.globl	_ZN7rocprim17ROCPRIM_400000_NS6detail17trampoline_kernelINS0_14default_configENS1_20scan_config_selectorIN3c107complexIfEEEEZZNS1_9scan_implILNS1_25lookback_scan_determinismE0ELb0ELb0ES3_PKS7_PS7_S7_ZZZN2at6native31launch_logcumsumexp_cuda_kernelERKNSE_10TensorBaseESI_lENKUlvE_clEvENKUlvE2_clEvEUlS7_S7_E_S7_EEDaPvRmT3_T4_T5_mT6_P12ihipStream_tbENKUlT_T0_E_clISt17integral_constantIbLb0EESY_IbLb1EEEEDaSU_SV_EUlSU_E_NS1_11comp_targetILNS1_3genE0ELNS1_11target_archE4294967295ELNS1_3gpuE0ELNS1_3repE0EEENS1_30default_config_static_selectorELNS0_4arch9wavefront6targetE1EEEvT1_ ; -- Begin function _ZN7rocprim17ROCPRIM_400000_NS6detail17trampoline_kernelINS0_14default_configENS1_20scan_config_selectorIN3c107complexIfEEEEZZNS1_9scan_implILNS1_25lookback_scan_determinismE0ELb0ELb0ES3_PKS7_PS7_S7_ZZZN2at6native31launch_logcumsumexp_cuda_kernelERKNSE_10TensorBaseESI_lENKUlvE_clEvENKUlvE2_clEvEUlS7_S7_E_S7_EEDaPvRmT3_T4_T5_mT6_P12ihipStream_tbENKUlT_T0_E_clISt17integral_constantIbLb0EESY_IbLb1EEEEDaSU_SV_EUlSU_E_NS1_11comp_targetILNS1_3genE0ELNS1_11target_archE4294967295ELNS1_3gpuE0ELNS1_3repE0EEENS1_30default_config_static_selectorELNS0_4arch9wavefront6targetE1EEEvT1_
	.p2align	8
	.type	_ZN7rocprim17ROCPRIM_400000_NS6detail17trampoline_kernelINS0_14default_configENS1_20scan_config_selectorIN3c107complexIfEEEEZZNS1_9scan_implILNS1_25lookback_scan_determinismE0ELb0ELb0ES3_PKS7_PS7_S7_ZZZN2at6native31launch_logcumsumexp_cuda_kernelERKNSE_10TensorBaseESI_lENKUlvE_clEvENKUlvE2_clEvEUlS7_S7_E_S7_EEDaPvRmT3_T4_T5_mT6_P12ihipStream_tbENKUlT_T0_E_clISt17integral_constantIbLb0EESY_IbLb1EEEEDaSU_SV_EUlSU_E_NS1_11comp_targetILNS1_3genE0ELNS1_11target_archE4294967295ELNS1_3gpuE0ELNS1_3repE0EEENS1_30default_config_static_selectorELNS0_4arch9wavefront6targetE1EEEvT1_,@function
_ZN7rocprim17ROCPRIM_400000_NS6detail17trampoline_kernelINS0_14default_configENS1_20scan_config_selectorIN3c107complexIfEEEEZZNS1_9scan_implILNS1_25lookback_scan_determinismE0ELb0ELb0ES3_PKS7_PS7_S7_ZZZN2at6native31launch_logcumsumexp_cuda_kernelERKNSE_10TensorBaseESI_lENKUlvE_clEvENKUlvE2_clEvEUlS7_S7_E_S7_EEDaPvRmT3_T4_T5_mT6_P12ihipStream_tbENKUlT_T0_E_clISt17integral_constantIbLb0EESY_IbLb1EEEEDaSU_SV_EUlSU_E_NS1_11comp_targetILNS1_3genE0ELNS1_11target_archE4294967295ELNS1_3gpuE0ELNS1_3repE0EEENS1_30default_config_static_selectorELNS0_4arch9wavefront6targetE1EEEvT1_: ; @_ZN7rocprim17ROCPRIM_400000_NS6detail17trampoline_kernelINS0_14default_configENS1_20scan_config_selectorIN3c107complexIfEEEEZZNS1_9scan_implILNS1_25lookback_scan_determinismE0ELb0ELb0ES3_PKS7_PS7_S7_ZZZN2at6native31launch_logcumsumexp_cuda_kernelERKNSE_10TensorBaseESI_lENKUlvE_clEvENKUlvE2_clEvEUlS7_S7_E_S7_EEDaPvRmT3_T4_T5_mT6_P12ihipStream_tbENKUlT_T0_E_clISt17integral_constantIbLb0EESY_IbLb1EEEEDaSU_SV_EUlSU_E_NS1_11comp_targetILNS1_3genE0ELNS1_11target_archE4294967295ELNS1_3gpuE0ELNS1_3repE0EEENS1_30default_config_static_selectorELNS0_4arch9wavefront6targetE1EEEvT1_
; %bb.0:
	.section	.rodata,"a",@progbits
	.p2align	6, 0x0
	.amdhsa_kernel _ZN7rocprim17ROCPRIM_400000_NS6detail17trampoline_kernelINS0_14default_configENS1_20scan_config_selectorIN3c107complexIfEEEEZZNS1_9scan_implILNS1_25lookback_scan_determinismE0ELb0ELb0ES3_PKS7_PS7_S7_ZZZN2at6native31launch_logcumsumexp_cuda_kernelERKNSE_10TensorBaseESI_lENKUlvE_clEvENKUlvE2_clEvEUlS7_S7_E_S7_EEDaPvRmT3_T4_T5_mT6_P12ihipStream_tbENKUlT_T0_E_clISt17integral_constantIbLb0EESY_IbLb1EEEEDaSU_SV_EUlSU_E_NS1_11comp_targetILNS1_3genE0ELNS1_11target_archE4294967295ELNS1_3gpuE0ELNS1_3repE0EEENS1_30default_config_static_selectorELNS0_4arch9wavefront6targetE1EEEvT1_
		.amdhsa_group_segment_fixed_size 0
		.amdhsa_private_segment_fixed_size 0
		.amdhsa_kernarg_size 104
		.amdhsa_user_sgpr_count 2
		.amdhsa_user_sgpr_dispatch_ptr 0
		.amdhsa_user_sgpr_queue_ptr 0
		.amdhsa_user_sgpr_kernarg_segment_ptr 1
		.amdhsa_user_sgpr_dispatch_id 0
		.amdhsa_user_sgpr_kernarg_preload_length 0
		.amdhsa_user_sgpr_kernarg_preload_offset 0
		.amdhsa_user_sgpr_private_segment_size 0
		.amdhsa_uses_dynamic_stack 0
		.amdhsa_enable_private_segment 0
		.amdhsa_system_sgpr_workgroup_id_x 1
		.amdhsa_system_sgpr_workgroup_id_y 0
		.amdhsa_system_sgpr_workgroup_id_z 0
		.amdhsa_system_sgpr_workgroup_info 0
		.amdhsa_system_vgpr_workitem_id 0
		.amdhsa_next_free_vgpr 1
		.amdhsa_next_free_sgpr 0
		.amdhsa_accum_offset 4
		.amdhsa_reserve_vcc 0
		.amdhsa_float_round_mode_32 0
		.amdhsa_float_round_mode_16_64 0
		.amdhsa_float_denorm_mode_32 3
		.amdhsa_float_denorm_mode_16_64 3
		.amdhsa_dx10_clamp 1
		.amdhsa_ieee_mode 1
		.amdhsa_fp16_overflow 0
		.amdhsa_tg_split 0
		.amdhsa_exception_fp_ieee_invalid_op 0
		.amdhsa_exception_fp_denorm_src 0
		.amdhsa_exception_fp_ieee_div_zero 0
		.amdhsa_exception_fp_ieee_overflow 0
		.amdhsa_exception_fp_ieee_underflow 0
		.amdhsa_exception_fp_ieee_inexact 0
		.amdhsa_exception_int_div_zero 0
	.end_amdhsa_kernel
	.section	.text._ZN7rocprim17ROCPRIM_400000_NS6detail17trampoline_kernelINS0_14default_configENS1_20scan_config_selectorIN3c107complexIfEEEEZZNS1_9scan_implILNS1_25lookback_scan_determinismE0ELb0ELb0ES3_PKS7_PS7_S7_ZZZN2at6native31launch_logcumsumexp_cuda_kernelERKNSE_10TensorBaseESI_lENKUlvE_clEvENKUlvE2_clEvEUlS7_S7_E_S7_EEDaPvRmT3_T4_T5_mT6_P12ihipStream_tbENKUlT_T0_E_clISt17integral_constantIbLb0EESY_IbLb1EEEEDaSU_SV_EUlSU_E_NS1_11comp_targetILNS1_3genE0ELNS1_11target_archE4294967295ELNS1_3gpuE0ELNS1_3repE0EEENS1_30default_config_static_selectorELNS0_4arch9wavefront6targetE1EEEvT1_,"axG",@progbits,_ZN7rocprim17ROCPRIM_400000_NS6detail17trampoline_kernelINS0_14default_configENS1_20scan_config_selectorIN3c107complexIfEEEEZZNS1_9scan_implILNS1_25lookback_scan_determinismE0ELb0ELb0ES3_PKS7_PS7_S7_ZZZN2at6native31launch_logcumsumexp_cuda_kernelERKNSE_10TensorBaseESI_lENKUlvE_clEvENKUlvE2_clEvEUlS7_S7_E_S7_EEDaPvRmT3_T4_T5_mT6_P12ihipStream_tbENKUlT_T0_E_clISt17integral_constantIbLb0EESY_IbLb1EEEEDaSU_SV_EUlSU_E_NS1_11comp_targetILNS1_3genE0ELNS1_11target_archE4294967295ELNS1_3gpuE0ELNS1_3repE0EEENS1_30default_config_static_selectorELNS0_4arch9wavefront6targetE1EEEvT1_,comdat
.Lfunc_end337:
	.size	_ZN7rocprim17ROCPRIM_400000_NS6detail17trampoline_kernelINS0_14default_configENS1_20scan_config_selectorIN3c107complexIfEEEEZZNS1_9scan_implILNS1_25lookback_scan_determinismE0ELb0ELb0ES3_PKS7_PS7_S7_ZZZN2at6native31launch_logcumsumexp_cuda_kernelERKNSE_10TensorBaseESI_lENKUlvE_clEvENKUlvE2_clEvEUlS7_S7_E_S7_EEDaPvRmT3_T4_T5_mT6_P12ihipStream_tbENKUlT_T0_E_clISt17integral_constantIbLb0EESY_IbLb1EEEEDaSU_SV_EUlSU_E_NS1_11comp_targetILNS1_3genE0ELNS1_11target_archE4294967295ELNS1_3gpuE0ELNS1_3repE0EEENS1_30default_config_static_selectorELNS0_4arch9wavefront6targetE1EEEvT1_, .Lfunc_end337-_ZN7rocprim17ROCPRIM_400000_NS6detail17trampoline_kernelINS0_14default_configENS1_20scan_config_selectorIN3c107complexIfEEEEZZNS1_9scan_implILNS1_25lookback_scan_determinismE0ELb0ELb0ES3_PKS7_PS7_S7_ZZZN2at6native31launch_logcumsumexp_cuda_kernelERKNSE_10TensorBaseESI_lENKUlvE_clEvENKUlvE2_clEvEUlS7_S7_E_S7_EEDaPvRmT3_T4_T5_mT6_P12ihipStream_tbENKUlT_T0_E_clISt17integral_constantIbLb0EESY_IbLb1EEEEDaSU_SV_EUlSU_E_NS1_11comp_targetILNS1_3genE0ELNS1_11target_archE4294967295ELNS1_3gpuE0ELNS1_3repE0EEENS1_30default_config_static_selectorELNS0_4arch9wavefront6targetE1EEEvT1_
                                        ; -- End function
	.section	.AMDGPU.csdata,"",@progbits
; Kernel info:
; codeLenInByte = 0
; NumSgprs: 6
; NumVgprs: 0
; NumAgprs: 0
; TotalNumVgprs: 0
; ScratchSize: 0
; MemoryBound: 0
; FloatMode: 240
; IeeeMode: 1
; LDSByteSize: 0 bytes/workgroup (compile time only)
; SGPRBlocks: 0
; VGPRBlocks: 0
; NumSGPRsForWavesPerEU: 6
; NumVGPRsForWavesPerEU: 1
; AccumOffset: 4
; Occupancy: 8
; WaveLimiterHint : 0
; COMPUTE_PGM_RSRC2:SCRATCH_EN: 0
; COMPUTE_PGM_RSRC2:USER_SGPR: 2
; COMPUTE_PGM_RSRC2:TRAP_HANDLER: 0
; COMPUTE_PGM_RSRC2:TGID_X_EN: 1
; COMPUTE_PGM_RSRC2:TGID_Y_EN: 0
; COMPUTE_PGM_RSRC2:TGID_Z_EN: 0
; COMPUTE_PGM_RSRC2:TIDIG_COMP_CNT: 0
; COMPUTE_PGM_RSRC3_GFX90A:ACCUM_OFFSET: 0
; COMPUTE_PGM_RSRC3_GFX90A:TG_SPLIT: 0
	.section	.text._ZN7rocprim17ROCPRIM_400000_NS6detail17trampoline_kernelINS0_14default_configENS1_20scan_config_selectorIN3c107complexIfEEEEZZNS1_9scan_implILNS1_25lookback_scan_determinismE0ELb0ELb0ES3_PKS7_PS7_S7_ZZZN2at6native31launch_logcumsumexp_cuda_kernelERKNSE_10TensorBaseESI_lENKUlvE_clEvENKUlvE2_clEvEUlS7_S7_E_S7_EEDaPvRmT3_T4_T5_mT6_P12ihipStream_tbENKUlT_T0_E_clISt17integral_constantIbLb0EESY_IbLb1EEEEDaSU_SV_EUlSU_E_NS1_11comp_targetILNS1_3genE5ELNS1_11target_archE942ELNS1_3gpuE9ELNS1_3repE0EEENS1_30default_config_static_selectorELNS0_4arch9wavefront6targetE1EEEvT1_,"axG",@progbits,_ZN7rocprim17ROCPRIM_400000_NS6detail17trampoline_kernelINS0_14default_configENS1_20scan_config_selectorIN3c107complexIfEEEEZZNS1_9scan_implILNS1_25lookback_scan_determinismE0ELb0ELb0ES3_PKS7_PS7_S7_ZZZN2at6native31launch_logcumsumexp_cuda_kernelERKNSE_10TensorBaseESI_lENKUlvE_clEvENKUlvE2_clEvEUlS7_S7_E_S7_EEDaPvRmT3_T4_T5_mT6_P12ihipStream_tbENKUlT_T0_E_clISt17integral_constantIbLb0EESY_IbLb1EEEEDaSU_SV_EUlSU_E_NS1_11comp_targetILNS1_3genE5ELNS1_11target_archE942ELNS1_3gpuE9ELNS1_3repE0EEENS1_30default_config_static_selectorELNS0_4arch9wavefront6targetE1EEEvT1_,comdat
	.globl	_ZN7rocprim17ROCPRIM_400000_NS6detail17trampoline_kernelINS0_14default_configENS1_20scan_config_selectorIN3c107complexIfEEEEZZNS1_9scan_implILNS1_25lookback_scan_determinismE0ELb0ELb0ES3_PKS7_PS7_S7_ZZZN2at6native31launch_logcumsumexp_cuda_kernelERKNSE_10TensorBaseESI_lENKUlvE_clEvENKUlvE2_clEvEUlS7_S7_E_S7_EEDaPvRmT3_T4_T5_mT6_P12ihipStream_tbENKUlT_T0_E_clISt17integral_constantIbLb0EESY_IbLb1EEEEDaSU_SV_EUlSU_E_NS1_11comp_targetILNS1_3genE5ELNS1_11target_archE942ELNS1_3gpuE9ELNS1_3repE0EEENS1_30default_config_static_selectorELNS0_4arch9wavefront6targetE1EEEvT1_ ; -- Begin function _ZN7rocprim17ROCPRIM_400000_NS6detail17trampoline_kernelINS0_14default_configENS1_20scan_config_selectorIN3c107complexIfEEEEZZNS1_9scan_implILNS1_25lookback_scan_determinismE0ELb0ELb0ES3_PKS7_PS7_S7_ZZZN2at6native31launch_logcumsumexp_cuda_kernelERKNSE_10TensorBaseESI_lENKUlvE_clEvENKUlvE2_clEvEUlS7_S7_E_S7_EEDaPvRmT3_T4_T5_mT6_P12ihipStream_tbENKUlT_T0_E_clISt17integral_constantIbLb0EESY_IbLb1EEEEDaSU_SV_EUlSU_E_NS1_11comp_targetILNS1_3genE5ELNS1_11target_archE942ELNS1_3gpuE9ELNS1_3repE0EEENS1_30default_config_static_selectorELNS0_4arch9wavefront6targetE1EEEvT1_
	.p2align	8
	.type	_ZN7rocprim17ROCPRIM_400000_NS6detail17trampoline_kernelINS0_14default_configENS1_20scan_config_selectorIN3c107complexIfEEEEZZNS1_9scan_implILNS1_25lookback_scan_determinismE0ELb0ELb0ES3_PKS7_PS7_S7_ZZZN2at6native31launch_logcumsumexp_cuda_kernelERKNSE_10TensorBaseESI_lENKUlvE_clEvENKUlvE2_clEvEUlS7_S7_E_S7_EEDaPvRmT3_T4_T5_mT6_P12ihipStream_tbENKUlT_T0_E_clISt17integral_constantIbLb0EESY_IbLb1EEEEDaSU_SV_EUlSU_E_NS1_11comp_targetILNS1_3genE5ELNS1_11target_archE942ELNS1_3gpuE9ELNS1_3repE0EEENS1_30default_config_static_selectorELNS0_4arch9wavefront6targetE1EEEvT1_,@function
_ZN7rocprim17ROCPRIM_400000_NS6detail17trampoline_kernelINS0_14default_configENS1_20scan_config_selectorIN3c107complexIfEEEEZZNS1_9scan_implILNS1_25lookback_scan_determinismE0ELb0ELb0ES3_PKS7_PS7_S7_ZZZN2at6native31launch_logcumsumexp_cuda_kernelERKNSE_10TensorBaseESI_lENKUlvE_clEvENKUlvE2_clEvEUlS7_S7_E_S7_EEDaPvRmT3_T4_T5_mT6_P12ihipStream_tbENKUlT_T0_E_clISt17integral_constantIbLb0EESY_IbLb1EEEEDaSU_SV_EUlSU_E_NS1_11comp_targetILNS1_3genE5ELNS1_11target_archE942ELNS1_3gpuE9ELNS1_3repE0EEENS1_30default_config_static_selectorELNS0_4arch9wavefront6targetE1EEEvT1_: ; @_ZN7rocprim17ROCPRIM_400000_NS6detail17trampoline_kernelINS0_14default_configENS1_20scan_config_selectorIN3c107complexIfEEEEZZNS1_9scan_implILNS1_25lookback_scan_determinismE0ELb0ELb0ES3_PKS7_PS7_S7_ZZZN2at6native31launch_logcumsumexp_cuda_kernelERKNSE_10TensorBaseESI_lENKUlvE_clEvENKUlvE2_clEvEUlS7_S7_E_S7_EEDaPvRmT3_T4_T5_mT6_P12ihipStream_tbENKUlT_T0_E_clISt17integral_constantIbLb0EESY_IbLb1EEEEDaSU_SV_EUlSU_E_NS1_11comp_targetILNS1_3genE5ELNS1_11target_archE942ELNS1_3gpuE9ELNS1_3repE0EEENS1_30default_config_static_selectorELNS0_4arch9wavefront6targetE1EEEvT1_
; %bb.0:
	s_load_dwordx2 s[34:35], s[0:1], 0x30
	v_mov_b32_e32 v64, v0
	v_cmp_ne_u32_e64 s[16:17], 0, v64
	v_cmp_eq_u32_e64 s[18:19], 0, v64
	s_mov_b32 s32, 0
	s_and_saveexec_b64 s[2:3], s[18:19]
	s_cbranch_execz .LBB338_4
; %bb.1:
	s_mov_b64 s[6:7], exec
	v_mbcnt_lo_u32_b32 v0, s6, 0
	v_mbcnt_hi_u32_b32 v0, s7, v0
	v_cmp_eq_u32_e32 vcc, 0, v0
                                        ; implicit-def: $vgpr1
	s_and_saveexec_b64 s[4:5], vcc
	s_cbranch_execz .LBB338_3
; %bb.2:
	s_load_dwordx2 s[8:9], s[0:1], 0x60
	s_bcnt1_i32_b64 s6, s[6:7]
	v_mov_b32_e32 v1, 0
	v_mov_b32_e32 v2, s6
	s_waitcnt lgkmcnt(0)
	global_atomic_add v1, v1, v2, s[8:9] sc0
.LBB338_3:
	s_or_b64 exec, exec, s[4:5]
	s_waitcnt vmcnt(0)
	v_readfirstlane_b32 s4, v1
	v_mov_b32_e32 v1, 0
	s_nop 0
	v_add_u32_e32 v0, s4, v0
	ds_write_b32 v1, v0
.LBB338_4:
	s_or_b64 exec, exec, s[2:3]
	s_load_dwordx8 s[20:27], s[0:1], 0x0
	s_load_dword s2, s[0:1], 0x38
	s_load_dwordx8 s[36:43], s[0:1], 0x40
	v_mov_b32_e32 v95, 0
	s_waitcnt lgkmcnt(0)
	s_barrier
	ds_read_b32 v0, v95
	s_lshl_b64 s[22:23], s[22:23], 3
	s_add_u32 s3, s20, s22
	s_addc_u32 s4, s21, s23
	s_add_i32 s2, s2, -1
	s_mul_i32 s5, s2, 0xf00
	s_sub_u32 s33, s26, s5
	s_waitcnt lgkmcnt(0)
	v_readfirstlane_b32 s53, v0
	s_subb_u32 s52, s27, 0
	s_mov_b32 s1, 0
	s_mul_i32 s0, s53, 0xf00
	s_cmp_lg_u32 s53, s2
	s_cselect_b64 s[26:27], -1, 0
	s_lshl_b64 s[28:29], s[0:1], 3
	s_add_u32 s2, s3, s28
	s_addc_u32 s3, s4, s29
	s_mov_b64 s[0:1], -1
	s_and_b64 vcc, exec, s[26:27]
	v_lshlrev_b32_e32 v94, 3, v64
	s_barrier
	s_cbranch_vccz .LBB338_6
; %bb.5:
	v_lshl_add_u64 v[0:1], s[2:3], 0, v[94:95]
	v_add_co_u32_e32 v6, vcc, 0x1000, v0
	global_load_dwordx2 v[2:3], v94, s[2:3]
	global_load_dwordx2 v[4:5], v94, s[2:3] offset:2048
	v_addc_co_u32_e32 v7, vcc, 0, v1, vcc
	v_add_co_u32_e32 v8, vcc, 0x2000, v0
	s_mov_b64 s[0:1], 0
	s_nop 0
	v_addc_co_u32_e32 v9, vcc, 0, v1, vcc
	global_load_dwordx2 v[10:11], v[6:7], off
	global_load_dwordx2 v[12:13], v[6:7], off offset:2048
	global_load_dwordx2 v[14:15], v[8:9], off
	global_load_dwordx2 v[16:17], v[8:9], off offset:2048
	v_add_co_u32_e32 v6, vcc, 0x3000, v0
	s_nop 1
	v_addc_co_u32_e32 v7, vcc, 0, v1, vcc
	v_add_co_u32_e32 v8, vcc, 0x4000, v0
	s_nop 1
	v_addc_co_u32_e32 v9, vcc, 0, v1, vcc
	global_load_dwordx2 v[18:19], v[6:7], off
	global_load_dwordx2 v[20:21], v[6:7], off offset:2048
	global_load_dwordx2 v[22:23], v[8:9], off
	global_load_dwordx2 v[24:25], v[8:9], off offset:2048
	v_add_co_u32_e32 v6, vcc, 0x5000, v0
	s_nop 1
	v_addc_co_u32_e32 v7, vcc, 0, v1, vcc
	v_add_co_u32_e32 v8, vcc, 0x6000, v0
	s_nop 1
	v_addc_co_u32_e32 v9, vcc, 0, v1, vcc
	global_load_dwordx2 v[26:27], v[6:7], off
	global_load_dwordx2 v[28:29], v[6:7], off offset:2048
	global_load_dwordx2 v[30:31], v[8:9], off
	global_load_dwordx2 v[32:33], v[8:9], off offset:2048
	v_add_co_u32_e32 v0, vcc, 0x7000, v0
	s_nop 1
	v_addc_co_u32_e32 v1, vcc, 0, v1, vcc
	global_load_dwordx2 v[0:1], v[0:1], off
	s_waitcnt vmcnt(13)
	ds_write2st64_b64 v94, v[2:3], v[4:5] offset1:4
	s_waitcnt vmcnt(11)
	ds_write2st64_b64 v94, v[10:11], v[12:13] offset0:8 offset1:12
	s_waitcnt vmcnt(9)
	ds_write2st64_b64 v94, v[14:15], v[16:17] offset0:16 offset1:20
	;; [unrolled: 2-line block ×6, first 2 shown]
	s_waitcnt vmcnt(0)
	ds_write_b64 v94, v[0:1] offset:28672
	s_waitcnt lgkmcnt(0)
	s_barrier
.LBB338_6:
	s_andn2_b64 vcc, exec, s[0:1]
	v_cmp_gt_u32_e64 s[0:1], s33, v64
	s_cbranch_vccnz .LBB338_38
; %bb.7:
	v_mov_b32_e32 v0, 0
	global_load_dwordx2 v[0:1], v0, s[2:3]
	s_waitcnt vmcnt(0)
	v_mov_b64_e32 v[2:3], v[0:1]
	s_and_saveexec_b64 s[4:5], s[0:1]
	s_cbranch_execz .LBB338_9
; %bb.8:
	global_load_dwordx2 v[2:3], v94, s[2:3]
.LBB338_9:
	s_or_b64 exec, exec, s[4:5]
	v_or_b32_e32 v4, 0x100, v64
	v_cmp_gt_u32_e32 vcc, s33, v4
	v_mov_b64_e32 v[4:5], v[0:1]
	s_and_saveexec_b64 s[0:1], vcc
	s_cbranch_execz .LBB338_11
; %bb.10:
	global_load_dwordx2 v[4:5], v94, s[2:3] offset:2048
.LBB338_11:
	s_or_b64 exec, exec, s[0:1]
	v_or_b32_e32 v8, 0x200, v64
	v_cmp_gt_u32_e32 vcc, s33, v8
	v_mov_b64_e32 v[6:7], v[0:1]
	s_and_saveexec_b64 s[0:1], vcc
	s_cbranch_execz .LBB338_13
; %bb.12:
	v_lshlrev_b32_e32 v6, 3, v8
	global_load_dwordx2 v[6:7], v6, s[2:3]
.LBB338_13:
	s_or_b64 exec, exec, s[0:1]
	v_or_b32_e32 v10, 0x300, v64
	v_cmp_gt_u32_e32 vcc, s33, v10
	v_mov_b64_e32 v[8:9], v[0:1]
	s_and_saveexec_b64 s[0:1], vcc
	s_cbranch_execz .LBB338_15
; %bb.14:
	v_lshlrev_b32_e32 v8, 3, v10
	global_load_dwordx2 v[8:9], v8, s[2:3]
.LBB338_15:
	;; [unrolled: 10-line block ×12, first 2 shown]
	s_or_b64 exec, exec, s[0:1]
	v_or_b32_e32 v30, 0xe00, v64
	v_cmp_gt_u32_e32 vcc, s33, v30
	s_and_saveexec_b64 s[0:1], vcc
	s_cbranch_execz .LBB338_37
; %bb.36:
	v_lshlrev_b32_e32 v0, 3, v30
	global_load_dwordx2 v[0:1], v0, s[2:3]
.LBB338_37:
	s_or_b64 exec, exec, s[0:1]
	s_waitcnt vmcnt(0)
	ds_write2st64_b64 v94, v[2:3], v[4:5] offset1:4
	ds_write2st64_b64 v94, v[6:7], v[8:9] offset0:8 offset1:12
	ds_write2st64_b64 v94, v[10:11], v[12:13] offset0:16 offset1:20
	;; [unrolled: 1-line block ×6, first 2 shown]
	ds_write_b64 v94, v[0:1] offset:28672
	s_waitcnt lgkmcnt(0)
	s_barrier
.LBB338_38:
	v_mul_u32_u24_e32 v96, 15, v64
	v_lshlrev_b32_e32 v65, 3, v96
	ds_read2_b64 v[28:31], v65 offset1:1
	ds_read2_b64 v[52:55], v65 offset0:2 offset1:3
	ds_read2_b64 v[48:51], v65 offset0:4 offset1:5
	;; [unrolled: 1-line block ×6, first 2 shown]
	ds_read_b64 v[66:67], v65 offset:112
	s_cmp_lg_u32 s53, 0
	s_waitcnt lgkmcnt(0)
	s_barrier
	s_cbranch_scc0 .LBB338_96
; %bb.39:
	v_mov_b32_e32 v0, v28
	v_mov_b32_e32 v1, v29
	;; [unrolled: 1-line block ×4, first 2 shown]
	s_getpc_b64 s[46:47]
	s_add_u32 s46, s46, _ZZZZN2at6native31launch_logcumsumexp_cuda_kernelERKNS_10TensorBaseES3_lENKUlvE_clEvENKUlvE2_clEvENKUlN3c107complexIfEES8_E_clES8_S8_@rel32@lo+4
	s_addc_u32 s47, s47, _ZZZZN2at6native31launch_logcumsumexp_cuda_kernelERKNS_10TensorBaseES3_lENKUlvE_clEvENKUlvE2_clEvENKUlN3c107complexIfEES8_E_clES8_S8_@rel32@hi+12
	s_swappc_b64 s[30:31], s[46:47]
	v_mov_b32_e32 v2, v52
	v_mov_b32_e32 v3, v53
	s_swappc_b64 s[30:31], s[46:47]
	v_mov_b32_e32 v2, v54
	v_mov_b32_e32 v3, v55
	;; [unrolled: 3-line block ×13, first 2 shown]
	s_swappc_b64 s[30:31], s[46:47]
	v_mov_b32_e32 v68, v0
	v_lshrrev_b32_e32 v0, 5, v64
	v_mov_b32_e32 v69, v1
	v_add_lshl_u32 v0, v0, v64, 3
	v_cmp_gt_u32_e64 s[20:21], 64, v64
	ds_write_b64 v0, v[68:69]
	s_waitcnt lgkmcnt(0)
	s_barrier
	s_and_saveexec_b64 s[44:45], s[20:21]
	s_cbranch_execz .LBB338_53
; %bb.40:
	v_lshlrev_b32_e32 v0, 2, v64
	v_lshrrev_b32_e32 v1, 3, v64
	v_add_lshl_u32 v27, v1, v0, 3
	ds_read_b64 v[56:57], v27
	ds_read2_b64 v[58:61], v27 offset0:1 offset1:2
	s_waitcnt lgkmcnt(1)
	v_mov_b32_e32 v0, v56
	v_mov_b32_e32 v1, v57
	s_waitcnt lgkmcnt(0)
	v_mov_b32_e32 v2, v58
	v_mov_b32_e32 v3, v59
	s_swappc_b64 s[30:31], s[46:47]
	v_mov_b32_e32 v2, v60
	v_mov_b32_e32 v3, v61
	s_swappc_b64 s[30:31], s[46:47]
	ds_read_b64 v[2:3], v27 offset:24
	s_swappc_b64 s[30:31], s[46:47]
	v_mov_b32_e32 v2, v0
	v_mbcnt_lo_u32_b32 v0, -1, 0
	v_mbcnt_hi_u32_b32 v58, -1, v0
	v_mov_b32_e32 v3, v1
	v_and_b32_e32 v59, 15, v58
	v_mov_b32_dpp v0, v2 row_shr:1 row_mask:0xf bank_mask:0xf
	v_mov_b32_dpp v1, v3 row_shr:1 row_mask:0xf bank_mask:0xf
	v_cmp_ne_u32_e32 vcc, 0, v59
	s_and_saveexec_b64 s[46:47], vcc
	s_cbranch_execz .LBB338_42
; %bb.41:
	s_getpc_b64 s[0:1]
	s_add_u32 s0, s0, _ZZZZN2at6native31launch_logcumsumexp_cuda_kernelERKNS_10TensorBaseES3_lENKUlvE_clEvENKUlvE2_clEvENKUlN3c107complexIfEES8_E_clES8_S8_@rel32@lo+4
	s_addc_u32 s1, s1, _ZZZZN2at6native31launch_logcumsumexp_cuda_kernelERKNS_10TensorBaseES3_lENKUlvE_clEvENKUlvE2_clEvENKUlN3c107complexIfEES8_E_clES8_S8_@rel32@hi+12
	s_swappc_b64 s[30:31], s[0:1]
	v_mov_b32_e32 v2, v0
	v_mov_b32_e32 v3, v1
.LBB338_42:
	s_or_b64 exec, exec, s[46:47]
	v_mov_b32_dpp v0, v2 row_shr:2 row_mask:0xf bank_mask:0xf
	v_mov_b32_dpp v1, v3 row_shr:2 row_mask:0xf bank_mask:0xf
	v_cmp_lt_u32_e32 vcc, 1, v59
	s_and_saveexec_b64 s[46:47], vcc
	s_cbranch_execz .LBB338_44
; %bb.43:
	s_getpc_b64 s[0:1]
	s_add_u32 s0, s0, _ZZZZN2at6native31launch_logcumsumexp_cuda_kernelERKNS_10TensorBaseES3_lENKUlvE_clEvENKUlvE2_clEvENKUlN3c107complexIfEES8_E_clES8_S8_@rel32@lo+4
	s_addc_u32 s1, s1, _ZZZZN2at6native31launch_logcumsumexp_cuda_kernelERKNS_10TensorBaseES3_lENKUlvE_clEvENKUlvE2_clEvENKUlN3c107complexIfEES8_E_clES8_S8_@rel32@hi+12
	s_swappc_b64 s[30:31], s[0:1]
	v_mov_b32_e32 v2, v0
	v_mov_b32_e32 v3, v1
.LBB338_44:
	s_or_b64 exec, exec, s[46:47]
	v_mov_b32_dpp v0, v2 row_shr:4 row_mask:0xf bank_mask:0xf
	v_mov_b32_dpp v1, v3 row_shr:4 row_mask:0xf bank_mask:0xf
	v_cmp_lt_u32_e32 vcc, 3, v59
	;; [unrolled: 14-line block ×3, first 2 shown]
	s_and_saveexec_b64 s[46:47], vcc
	s_cbranch_execz .LBB338_48
; %bb.47:
	s_getpc_b64 s[0:1]
	s_add_u32 s0, s0, _ZZZZN2at6native31launch_logcumsumexp_cuda_kernelERKNS_10TensorBaseES3_lENKUlvE_clEvENKUlvE2_clEvENKUlN3c107complexIfEES8_E_clES8_S8_@rel32@lo+4
	s_addc_u32 s1, s1, _ZZZZN2at6native31launch_logcumsumexp_cuda_kernelERKNS_10TensorBaseES3_lENKUlvE_clEvENKUlvE2_clEvENKUlN3c107complexIfEES8_E_clES8_S8_@rel32@hi+12
	s_swappc_b64 s[30:31], s[0:1]
	v_mov_b32_e32 v2, v0
	v_mov_b32_e32 v3, v1
.LBB338_48:
	s_or_b64 exec, exec, s[46:47]
	v_and_b32_e32 v4, 16, v58
	v_mov_b32_dpp v0, v2 row_bcast:15 row_mask:0xf bank_mask:0xf
	v_mov_b32_dpp v1, v3 row_bcast:15 row_mask:0xf bank_mask:0xf
	v_cmp_ne_u32_e32 vcc, 0, v4
	s_and_saveexec_b64 s[46:47], vcc
	s_cbranch_execz .LBB338_50
; %bb.49:
	s_getpc_b64 s[0:1]
	s_add_u32 s0, s0, _ZZZZN2at6native31launch_logcumsumexp_cuda_kernelERKNS_10TensorBaseES3_lENKUlvE_clEvENKUlvE2_clEvENKUlN3c107complexIfEES8_E_clES8_S8_@rel32@lo+4
	s_addc_u32 s1, s1, _ZZZZN2at6native31launch_logcumsumexp_cuda_kernelERKNS_10TensorBaseES3_lENKUlvE_clEvENKUlvE2_clEvENKUlN3c107complexIfEES8_E_clES8_S8_@rel32@hi+12
	s_swappc_b64 s[30:31], s[0:1]
	v_mov_b32_e32 v2, v0
	v_mov_b32_e32 v3, v1
.LBB338_50:
	s_or_b64 exec, exec, s[46:47]
	v_mov_b32_dpp v0, v2 row_bcast:31 row_mask:0xf bank_mask:0xf
	v_mov_b32_dpp v1, v3 row_bcast:31 row_mask:0xf bank_mask:0xf
	v_cmp_lt_u32_e32 vcc, 31, v58
	s_and_saveexec_b64 s[46:47], vcc
	s_cbranch_execz .LBB338_52
; %bb.51:
	s_getpc_b64 s[0:1]
	s_add_u32 s0, s0, _ZZZZN2at6native31launch_logcumsumexp_cuda_kernelERKNS_10TensorBaseES3_lENKUlvE_clEvENKUlvE2_clEvENKUlN3c107complexIfEES8_E_clES8_S8_@rel32@lo+4
	s_addc_u32 s1, s1, _ZZZZN2at6native31launch_logcumsumexp_cuda_kernelERKNS_10TensorBaseES3_lENKUlvE_clEvENKUlvE2_clEvENKUlN3c107complexIfEES8_E_clES8_S8_@rel32@hi+12
	s_swappc_b64 s[30:31], s[0:1]
	v_mov_b32_e32 v2, v0
	v_mov_b32_e32 v3, v1
.LBB338_52:
	s_or_b64 exec, exec, s[46:47]
	v_add_u32_e32 v0, -1, v58
	v_and_b32_e32 v1, 64, v58
	v_cmp_lt_i32_e32 vcc, v0, v1
	s_getpc_b64 s[46:47]
	s_add_u32 s46, s46, _ZZZZN2at6native31launch_logcumsumexp_cuda_kernelERKNS_10TensorBaseES3_lENKUlvE_clEvENKUlvE2_clEvENKUlN3c107complexIfEES8_E_clES8_S8_@rel32@lo+4
	s_addc_u32 s47, s47, _ZZZZN2at6native31launch_logcumsumexp_cuda_kernelERKNS_10TensorBaseES3_lENKUlvE_clEvENKUlvE2_clEvENKUlN3c107complexIfEES8_E_clES8_S8_@rel32@hi+12
	v_cndmask_b32_e32 v0, v0, v58, vcc
	v_lshlrev_b32_e32 v1, 2, v0
	ds_bpermute_b32 v0, v1, v2
	ds_bpermute_b32 v1, v1, v3
	v_mov_b32_e32 v2, v56
	v_mov_b32_e32 v3, v57
	s_swappc_b64 s[30:31], s[46:47]
	v_cndmask_b32_e64 v0, v0, v68, s[18:19]
	v_cndmask_b32_e64 v1, v1, v69, s[18:19]
	; wave barrier
	ds_write_b64 v27, v[0:1]
	; wave barrier
	ds_read2_b64 v[56:59], v27 offset0:1 offset1:2
	s_waitcnt lgkmcnt(0)
	v_mov_b32_e32 v2, v56
	v_mov_b32_e32 v3, v57
	s_swappc_b64 s[30:31], s[46:47]
	v_mov_b32_e32 v2, v58
	v_mov_b32_e32 v3, v59
	v_mov_b32_e32 v56, v0
	v_mov_b32_e32 v57, v1
	s_swappc_b64 s[30:31], s[46:47]
	ds_read_b64 v[2:3], v27 offset:24
	ds_write2_b64 v27, v[56:57], v[0:1] offset0:1 offset1:2
	s_swappc_b64 s[30:31], s[46:47]
	ds_write_b64 v27, v[0:1] offset:24
.LBB338_53:
	s_or_b64 exec, exec, s[44:45]
	s_waitcnt lgkmcnt(0)
	s_barrier
	s_and_saveexec_b64 s[0:1], s[16:17]
	s_cbranch_execz .LBB338_55
; %bb.54:
	v_add_u32_e32 v0, -1, v64
	v_lshrrev_b32_e32 v1, 5, v0
	v_add_lshl_u32 v0, v1, v0, 3
	ds_read_b64 v[68:69], v0
.LBB338_55:
	s_or_b64 exec, exec, s[0:1]
	s_and_saveexec_b64 s[44:45], s[20:21]
	s_cbranch_execz .LBB338_101
; %bb.56:
	v_mov_b32_e32 v59, 0
	ds_read_b64 v[56:57], v59 offset:2096
	v_mbcnt_lo_u32_b32 v0, -1, 0
	v_mbcnt_hi_u32_b32 v71, -1, v0
	s_mov_b32 s3, 0
	v_cmp_eq_u32_e64 s[20:21], 0, v71
	s_waitcnt lgkmcnt(0)
	v_readfirstlane_b32 s54, v57
	s_and_saveexec_b64 s[0:1], s[20:21]
	s_cbranch_execz .LBB338_58
; %bb.57:
	s_add_i32 s2, s53, 64
	s_lshl_b64 s[4:5], s[2:3], 4
	s_add_u32 s4, s34, s4
	s_addc_u32 s5, s35, s5
	s_and_b32 s7, s54, 0xff000000
	s_mov_b32 s6, s3
	s_and_b32 s9, s54, 0xff0000
	s_mov_b32 s8, s3
	s_or_b64 s[6:7], s[8:9], s[6:7]
	s_and_b32 s9, s54, 0xff00
	s_or_b64 s[6:7], s[6:7], s[8:9]
	s_and_b32 s9, s54, 0xff
	s_or_b64 s[2:3], s[6:7], s[8:9]
	v_mov_b32_e32 v57, s3
	v_mov_b32_e32 v58, 1
	v_mov_b64_e32 v[0:1], s[4:5]
	;;#ASMSTART
	global_store_dwordx4 v[0:1], v[56:59] off sc1	
s_waitcnt vmcnt(0)
	;;#ASMEND
.LBB338_58:
	s_or_b64 exec, exec, s[0:1]
	v_xad_u32 v70, v71, -1, s53
	v_add_u32_e32 v58, 64, v70
	s_mov_b32 s0, 0x1000706
	v_lshl_add_u64 v[0:1], v[58:59], 4, s[34:35]
	;;#ASMSTART
	global_load_dwordx4 v[60:63], v[0:1] off sc1	
s_waitcnt vmcnt(0)
	;;#ASMEND
	s_mov_b32 s1, 0x7020504
	v_perm_b32 v2, v61, v62, s0
	s_mov_b32 s2, 0x3060504
	v_lshlrev_b32_e32 v2, 16, v2
	v_perm_b32 v27, v61, v2, s1
	v_perm_b32 v61, v60, v60, s2
	v_cmp_eq_u16_sdwa s[2:3], v62, v59 src0_sel:BYTE_0 src1_sel:DWORD
	s_and_saveexec_b64 s[0:1], s[2:3]
	s_cbranch_execz .LBB338_62
; %bb.59:
	s_mov_b64 s[2:3], 0
	v_mov_b32_e32 v2, 0
.LBB338_60:                             ; =>This Inner Loop Header: Depth=1
	;;#ASMSTART
	global_load_dwordx4 v[60:63], v[0:1] off sc1	
s_waitcnt vmcnt(0)
	;;#ASMEND
	s_nop 0
	v_cmp_ne_u16_sdwa s[4:5], v62, v2 src0_sel:BYTE_0 src1_sel:DWORD
	s_or_b64 s[2:3], s[4:5], s[2:3]
	s_andn2_b64 exec, exec, s[2:3]
	s_cbranch_execnz .LBB338_60
; %bb.61:
	s_or_b64 exec, exec, s[2:3]
	s_mov_b32 s2, 0x2010007
	v_perm_b32 v0, v61, v62, s2
	s_mov_b32 s2, 0x1000706
	v_perm_b32 v1, v61, v62, s2
	v_lshlrev_b32_e32 v1, 16, v1
	s_mov_b32 s2, 0xc060100
	v_perm_b32 v1, v1, v61, s2
	s_mov_b32 s2, 0x3020504
	v_lshl_or_b32 v27, v0, 24, v1
	v_perm_b32 v61, v60, v60, s2
.LBB338_62:
	s_or_b64 exec, exec, s[0:1]
	v_mov_b32_e32 v0, 2
	v_cmp_eq_u16_sdwa s[0:1], v62, v0 src0_sel:BYTE_0 src1_sel:DWORD
	v_lshlrev_b64 v[72:73], v71, -1
	v_and_b32_e32 v74, 63, v71
	v_and_b32_e32 v0, s1, v73
	v_or_b32_e32 v0, 0x80000000, v0
	v_cmp_ne_u32_e32 vcc, 63, v74
	v_ffbl_b32_e32 v3, v0
	v_and_b32_e32 v2, s0, v72
	v_addc_co_u32_e32 v0, vcc, 0, v71, vcc
	v_lshlrev_b32_e32 v75, 2, v0
	ds_bpermute_b32 v0, v75, v61
	ds_bpermute_b32 v1, v75, v27
	v_add_u32_e32 v3, 32, v3
	v_ffbl_b32_e32 v2, v2
	v_min_u32_e32 v58, v2, v3
	v_cmp_lt_u32_e32 vcc, v74, v58
	s_and_saveexec_b64 s[46:47], vcc
	s_cbranch_execz .LBB338_64
; %bb.63:
	v_mov_b32_e32 v2, v61
	v_mov_b32_e32 v3, v27
	s_getpc_b64 s[0:1]
	s_add_u32 s0, s0, _ZZZZN2at6native31launch_logcumsumexp_cuda_kernelERKNS_10TensorBaseES3_lENKUlvE_clEvENKUlvE2_clEvENKUlN3c107complexIfEES8_E_clES8_S8_@rel32@lo+4
	s_addc_u32 s1, s1, _ZZZZN2at6native31launch_logcumsumexp_cuda_kernelERKNS_10TensorBaseES3_lENKUlvE_clEvENKUlvE2_clEvENKUlN3c107complexIfEES8_E_clES8_S8_@rel32@hi+12
	s_swappc_b64 s[30:31], s[0:1]
	v_mov_b32_e32 v61, v0
	v_mov_b32_e32 v27, v1
.LBB338_64:
	s_or_b64 exec, exec, s[46:47]
	v_cmp_gt_u32_e32 vcc, 62, v74
	v_add_u32_e32 v77, 2, v74
	s_waitcnt lgkmcnt(1)
	v_cndmask_b32_e64 v0, 0, 1, vcc
	v_lshlrev_b32_e32 v0, 1, v0
	v_add_lshl_u32 v76, v0, v71, 2
	ds_bpermute_b32 v0, v76, v61
	s_waitcnt lgkmcnt(1)
	ds_bpermute_b32 v1, v76, v27
	v_cmp_le_u32_e32 vcc, v77, v58
	s_and_saveexec_b64 s[46:47], vcc
	s_cbranch_execz .LBB338_66
; %bb.65:
	v_mov_b32_e32 v2, v61
	v_mov_b32_e32 v3, v27
	s_getpc_b64 s[0:1]
	s_add_u32 s0, s0, _ZZZZN2at6native31launch_logcumsumexp_cuda_kernelERKNS_10TensorBaseES3_lENKUlvE_clEvENKUlvE2_clEvENKUlN3c107complexIfEES8_E_clES8_S8_@rel32@lo+4
	s_addc_u32 s1, s1, _ZZZZN2at6native31launch_logcumsumexp_cuda_kernelERKNS_10TensorBaseES3_lENKUlvE_clEvENKUlvE2_clEvENKUlN3c107complexIfEES8_E_clES8_S8_@rel32@hi+12
	s_swappc_b64 s[30:31], s[0:1]
	v_mov_b32_e32 v61, v0
	v_mov_b32_e32 v27, v1
.LBB338_66:
	s_or_b64 exec, exec, s[46:47]
	v_cmp_gt_u32_e32 vcc, 60, v74
	v_add_u32_e32 v79, 4, v74
	s_waitcnt lgkmcnt(1)
	v_cndmask_b32_e64 v0, 0, 1, vcc
	v_lshlrev_b32_e32 v0, 2, v0
	v_add_lshl_u32 v78, v0, v71, 2
	ds_bpermute_b32 v0, v78, v61
	s_waitcnt lgkmcnt(1)
	ds_bpermute_b32 v1, v78, v27
	v_cmp_le_u32_e32 vcc, v79, v58
	;; [unrolled: 23-line block ×4, first 2 shown]
	s_and_saveexec_b64 s[46:47], vcc
	s_cbranch_execz .LBB338_72
; %bb.71:
	v_mov_b32_e32 v2, v61
	v_mov_b32_e32 v3, v27
	s_getpc_b64 s[0:1]
	s_add_u32 s0, s0, _ZZZZN2at6native31launch_logcumsumexp_cuda_kernelERKNS_10TensorBaseES3_lENKUlvE_clEvENKUlvE2_clEvENKUlN3c107complexIfEES8_E_clES8_S8_@rel32@lo+4
	s_addc_u32 s1, s1, _ZZZZN2at6native31launch_logcumsumexp_cuda_kernelERKNS_10TensorBaseES3_lENKUlvE_clEvENKUlvE2_clEvENKUlN3c107complexIfEES8_E_clES8_S8_@rel32@hi+12
	s_swappc_b64 s[30:31], s[0:1]
	v_mov_b32_e32 v61, v0
	v_mov_b32_e32 v27, v1
.LBB338_72:
	s_or_b64 exec, exec, s[46:47]
	v_cmp_gt_u32_e32 vcc, 32, v74
	v_add_u32_e32 v84, 32, v74
	v_cmp_gt_u32_e64 s[0:1], v84, v58
	s_waitcnt lgkmcnt(1)
	v_cndmask_b32_e64 v0, 0, 1, vcc
	v_lshlrev_b32_e32 v0, 5, v0
	v_add_lshl_u32 v85, v0, v71, 2
	ds_bpermute_b32 v60, v85, v61
	ds_bpermute_b32 v57, v85, v27
	s_mov_b64 s[46:47], 0
	v_mov_b32_e32 v71, 0
	s_mov_b32 s55, 0x70605
	s_mov_b32 s56, 0x1000706
	;; [unrolled: 1-line block ×4, first 2 shown]
	v_mov_b32_e32 v86, 2
	s_waitcnt lgkmcnt(2)
	v_mov_b32_e32 v1, v27
	v_mov_b32_e32 v0, v61
                                        ; implicit-def: $sgpr48_sgpr49
	s_branch .LBB338_75
.LBB338_73:                             ;   in Loop: Header=BB338_75 Depth=1
	s_or_b64 exec, exec, s[46:47]
	v_subrev_u32_e32 v70, 64, v70
	s_mov_b64 s[0:1], 0
.LBB338_74:                             ;   in Loop: Header=BB338_75 Depth=1
	s_and_b64 vcc, exec, s[0:1]
	s_mov_b64 s[46:47], 0
	v_mov_b32_e32 v27, v59
	v_mov_b32_e32 v61, v58
                                        ; implicit-def: $sgpr48_sgpr49
                                        ; implicit-def: $vgpr1
                                        ; implicit-def: $vgpr0
	s_cbranch_vccnz .LBB338_97
.LBB338_75:                             ; =>This Loop Header: Depth=1
                                        ;     Child Loop BB338_81 Depth 2
	s_waitcnt lgkmcnt(1)
	v_mov_b32_e32 v58, v0
	s_waitcnt lgkmcnt(0)
	v_mov_b32_e32 v59, v1
	s_xor_b64 s[4:5], s[0:1], -1
	s_or_b64 s[48:49], s[48:49], exec
                                        ; implicit-def: $sgpr2_sgpr3
                                        ; implicit-def: $vgpr0
                                        ; implicit-def: $vgpr1
	s_and_saveexec_b64 s[6:7], s[4:5]
	s_xor_b64 s[50:51], exec, s[6:7]
	s_cbranch_execz .LBB338_77
; %bb.76:                               ;   in Loop: Header=BB338_75 Depth=1
	s_waitcnt lgkmcnt(1)
	v_mov_b32_e32 v0, v60
	s_waitcnt lgkmcnt(0)
	v_mov_b32_e32 v1, v57
	v_mov_b32_e32 v2, v61
	;; [unrolled: 1-line block ×3, first 2 shown]
	s_getpc_b64 s[0:1]
	s_add_u32 s0, s0, _ZZZZN2at6native31launch_logcumsumexp_cuda_kernelERKNS_10TensorBaseES3_lENKUlvE_clEvENKUlvE2_clEvENKUlN3c107complexIfEES8_E_clES8_S8_@rel32@lo+4
	s_addc_u32 s1, s1, _ZZZZN2at6native31launch_logcumsumexp_cuda_kernelERKNS_10TensorBaseES3_lENKUlvE_clEvENKUlvE2_clEvENKUlN3c107complexIfEES8_E_clES8_S8_@rel32@hi+12
	s_swappc_b64 s[30:31], s[0:1]
	s_mov_b64 s[2:3], -1
	s_andn2_b64 s[48:49], s[48:49], exec
                                        ; implicit-def: $sgpr0_sgpr1
.LBB338_77:                             ;   in Loop: Header=BB338_75 Depth=1
	s_or_b64 exec, exec, s[50:51]
	s_and_b64 s[4:5], exec, s[48:49]
	s_or_b64 s[46:47], s[4:5], s[46:47]
	s_andn2_b64 s[0:1], s[0:1], exec
	s_and_b64 s[2:3], s[2:3], exec
	s_or_b64 s[0:1], s[0:1], s[2:3]
	s_andn2_b64 exec, exec, s[46:47]
	s_cbranch_execnz .LBB338_75
; %bb.78:                               ;   in Loop: Header=BB338_75 Depth=1
	s_or_b64 exec, exec, s[46:47]
	v_cmp_ne_u16_sdwa s[0:1], v62, v86 src0_sel:BYTE_0 src1_sel:DWORD
	s_nop 1
	v_cndmask_b32_e64 v0, 0, 1, s[0:1]
	;;#ASMSTART
	;;#ASMEND
	s_nop 0
	v_cmp_ne_u32_e32 vcc, 0, v0
	s_cmp_lg_u64 vcc, exec
	s_cbranch_scc1 .LBB338_95
; %bb.79:                               ;   in Loop: Header=BB338_75 Depth=1
	v_lshl_add_u64 v[0:1], v[70:71], 4, s[34:35]
	s_waitcnt lgkmcnt(1)
	;;#ASMSTART
	global_load_dwordx4 v[60:63], v[0:1] off sc1	
s_waitcnt vmcnt(0)
	;;#ASMEND
	s_nop 0
	v_perm_b32 v2, v61, v62, s55
	v_perm_b32 v3, v61, v62, s56
	;; [unrolled: 1-line block ×3, first 2 shown]
	v_lshlrev_b32_e32 v2, 8, v2
	v_lshlrev_b32_e32 v3, 16, v3
	v_perm_b32 v2, v2, v61, s58
	v_and_b32_e32 v3, 0xff0000, v3
	v_lshlrev_b32_e32 v4, 24, v4
	s_waitcnt lgkmcnt(0)
	v_or3_b32 v57, v2, v3, v4
	v_cmp_eq_u16_sdwa s[2:3], v62, v71 src0_sel:BYTE_0 src1_sel:DWORD
	s_and_saveexec_b64 s[0:1], s[2:3]
	s_cbranch_execz .LBB338_83
; %bb.80:                               ;   in Loop: Header=BB338_75 Depth=1
	s_mov_b64 s[2:3], 0
.LBB338_81:                             ;   Parent Loop BB338_75 Depth=1
                                        ; =>  This Inner Loop Header: Depth=2
	;;#ASMSTART
	global_load_dwordx4 v[60:63], v[0:1] off sc1	
s_waitcnt vmcnt(0)
	;;#ASMEND
	s_nop 0
	v_cmp_ne_u16_sdwa s[4:5], v62, v71 src0_sel:BYTE_0 src1_sel:DWORD
	s_or_b64 s[2:3], s[4:5], s[2:3]
	s_andn2_b64 exec, exec, s[2:3]
	s_cbranch_execnz .LBB338_81
; %bb.82:                               ;   in Loop: Header=BB338_75 Depth=1
	s_or_b64 exec, exec, s[2:3]
	v_perm_b32 v0, v61, v62, s55
	v_perm_b32 v1, v61, v62, s56
	;; [unrolled: 1-line block ×3, first 2 shown]
	v_lshlrev_b32_e32 v0, 8, v0
	v_lshlrev_b32_e32 v1, 16, v1
	v_perm_b32 v0, v0, v61, s58
	v_and_b32_e32 v1, 0xff0000, v1
	v_lshlrev_b32_e32 v2, 24, v2
	v_or3_b32 v57, v0, v1, v2
.LBB338_83:                             ;   in Loop: Header=BB338_75 Depth=1
	s_or_b64 exec, exec, s[0:1]
	v_cmp_eq_u16_sdwa s[0:1], v62, v86 src0_sel:BYTE_0 src1_sel:DWORD
	ds_bpermute_b32 v1, v75, v57
	s_nop 0
	v_and_b32_e32 v0, s1, v73
	v_or_b32_e32 v0, 0x80000000, v0
	v_ffbl_b32_e32 v3, v0
	ds_bpermute_b32 v0, v75, v60
	v_and_b32_e32 v2, s0, v72
	v_add_u32_e32 v3, 32, v3
	v_ffbl_b32_e32 v2, v2
	v_min_u32_e32 v27, v2, v3
	v_cmp_lt_u32_e32 vcc, v74, v27
	s_and_saveexec_b64 s[46:47], vcc
	s_cbranch_execz .LBB338_85
; %bb.84:                               ;   in Loop: Header=BB338_75 Depth=1
	v_mov_b32_e32 v2, v60
	v_mov_b32_e32 v3, v57
	s_getpc_b64 s[0:1]
	s_add_u32 s0, s0, _ZZZZN2at6native31launch_logcumsumexp_cuda_kernelERKNS_10TensorBaseES3_lENKUlvE_clEvENKUlvE2_clEvENKUlN3c107complexIfEES8_E_clES8_S8_@rel32@lo+4
	s_addc_u32 s1, s1, _ZZZZN2at6native31launch_logcumsumexp_cuda_kernelERKNS_10TensorBaseES3_lENKUlvE_clEvENKUlvE2_clEvENKUlN3c107complexIfEES8_E_clES8_S8_@rel32@hi+12
	s_swappc_b64 s[30:31], s[0:1]
	v_mov_b32_e32 v60, v0
	v_mov_b32_e32 v57, v1
.LBB338_85:                             ;   in Loop: Header=BB338_75 Depth=1
	s_or_b64 exec, exec, s[46:47]
	s_waitcnt lgkmcnt(0)
	ds_bpermute_b32 v0, v76, v60
	ds_bpermute_b32 v1, v76, v57
	v_cmp_le_u32_e32 vcc, v77, v27
	s_and_saveexec_b64 s[46:47], vcc
	s_cbranch_execz .LBB338_87
; %bb.86:                               ;   in Loop: Header=BB338_75 Depth=1
	v_mov_b32_e32 v2, v60
	v_mov_b32_e32 v3, v57
	s_getpc_b64 s[0:1]
	s_add_u32 s0, s0, _ZZZZN2at6native31launch_logcumsumexp_cuda_kernelERKNS_10TensorBaseES3_lENKUlvE_clEvENKUlvE2_clEvENKUlN3c107complexIfEES8_E_clES8_S8_@rel32@lo+4
	s_addc_u32 s1, s1, _ZZZZN2at6native31launch_logcumsumexp_cuda_kernelERKNS_10TensorBaseES3_lENKUlvE_clEvENKUlvE2_clEvENKUlN3c107complexIfEES8_E_clES8_S8_@rel32@hi+12
	s_swappc_b64 s[30:31], s[0:1]
	v_mov_b32_e32 v60, v0
	v_mov_b32_e32 v57, v1
.LBB338_87:                             ;   in Loop: Header=BB338_75 Depth=1
	s_or_b64 exec, exec, s[46:47]
	s_waitcnt lgkmcnt(1)
	ds_bpermute_b32 v0, v78, v60
	s_waitcnt lgkmcnt(1)
	ds_bpermute_b32 v1, v78, v57
	v_cmp_le_u32_e32 vcc, v79, v27
	s_and_saveexec_b64 s[46:47], vcc
	s_cbranch_execz .LBB338_89
; %bb.88:                               ;   in Loop: Header=BB338_75 Depth=1
	v_mov_b32_e32 v2, v60
	v_mov_b32_e32 v3, v57
	s_getpc_b64 s[0:1]
	s_add_u32 s0, s0, _ZZZZN2at6native31launch_logcumsumexp_cuda_kernelERKNS_10TensorBaseES3_lENKUlvE_clEvENKUlvE2_clEvENKUlN3c107complexIfEES8_E_clES8_S8_@rel32@lo+4
	s_addc_u32 s1, s1, _ZZZZN2at6native31launch_logcumsumexp_cuda_kernelERKNS_10TensorBaseES3_lENKUlvE_clEvENKUlvE2_clEvENKUlN3c107complexIfEES8_E_clES8_S8_@rel32@hi+12
	s_swappc_b64 s[30:31], s[0:1]
	v_mov_b32_e32 v60, v0
	v_mov_b32_e32 v57, v1
.LBB338_89:                             ;   in Loop: Header=BB338_75 Depth=1
	s_or_b64 exec, exec, s[46:47]
	s_waitcnt lgkmcnt(1)
	ds_bpermute_b32 v0, v80, v60
	s_waitcnt lgkmcnt(1)
	;; [unrolled: 18-line block ×4, first 2 shown]
	ds_bpermute_b32 v1, v85, v57
	v_cmp_le_u32_e32 vcc, v84, v27
	s_and_saveexec_b64 s[46:47], vcc
	s_cbranch_execz .LBB338_73
; %bb.94:                               ;   in Loop: Header=BB338_75 Depth=1
	v_mov_b32_e32 v2, v60
	v_mov_b32_e32 v3, v57
	s_getpc_b64 s[0:1]
	s_add_u32 s0, s0, _ZZZZN2at6native31launch_logcumsumexp_cuda_kernelERKNS_10TensorBaseES3_lENKUlvE_clEvENKUlvE2_clEvENKUlN3c107complexIfEES8_E_clES8_S8_@rel32@lo+4
	s_addc_u32 s1, s1, _ZZZZN2at6native31launch_logcumsumexp_cuda_kernelERKNS_10TensorBaseES3_lENKUlvE_clEvENKUlvE2_clEvENKUlN3c107complexIfEES8_E_clES8_S8_@rel32@hi+12
	s_swappc_b64 s[30:31], s[0:1]
	v_mov_b32_e32 v60, v0
	v_mov_b32_e32 v57, v1
	s_branch .LBB338_73
.LBB338_95:                             ;   in Loop: Header=BB338_75 Depth=1
	s_mov_b64 s[0:1], -1
                                        ; implicit-def: $vgpr60
                                        ; implicit-def: $vgpr57
	s_branch .LBB338_74
.LBB338_96:
                                        ; implicit-def: $vgpr90_vgpr91_vgpr92_vgpr93
                                        ; implicit-def: $vgpr88_vgpr89_vgpr90_vgpr91
                                        ; implicit-def: $vgpr73
                                        ; implicit-def: $vgpr75
                                        ; implicit-def: $vgpr56
                                        ; implicit-def: $vgpr58
                                        ; implicit-def: $vgpr60
                                        ; implicit-def: $vgpr62
                                        ; implicit-def: $vgpr68
                                        ; implicit-def: $vgpr70
                                        ; implicit-def: $vgpr86_vgpr87_vgpr88_vgpr89
                                        ; implicit-def: $vgpr84_vgpr85_vgpr86_vgpr87
                                        ; implicit-def: $vgpr82_vgpr83_vgpr84_vgpr85
                                        ; implicit-def: $vgpr80_vgpr81_vgpr82_vgpr83
                                        ; implicit-def: $vgpr78_vgpr79_vgpr80_vgpr81
	s_cbranch_execnz .LBB338_104
	s_branch .LBB338_127
.LBB338_97:
	s_and_saveexec_b64 s[46:47], s[20:21]
	s_cbranch_execz .LBB338_99
; %bb.98:
	s_waitcnt lgkmcnt(1)
	v_mov_b32_e32 v0, v58
	s_waitcnt lgkmcnt(0)
	v_mov_b32_e32 v1, v59
	v_mov_b32_e32 v2, v56
	;; [unrolled: 1-line block ×3, first 2 shown]
	s_getpc_b64 s[0:1]
	s_add_u32 s0, s0, _ZZZZN2at6native31launch_logcumsumexp_cuda_kernelERKNS_10TensorBaseES3_lENKUlvE_clEvENKUlvE2_clEvENKUlN3c107complexIfEES8_E_clES8_S8_@rel32@lo+4
	s_addc_u32 s1, s1, _ZZZZN2at6native31launch_logcumsumexp_cuda_kernelERKNS_10TensorBaseES3_lENKUlvE_clEvENKUlvE2_clEvENKUlN3c107complexIfEES8_E_clES8_S8_@rel32@hi+12
	s_swappc_b64 s[30:31], s[0:1]
	s_add_i32 s0, s53, 64
	s_mov_b32 s1, 0
	s_lshl_b64 s[0:1], s[0:1], 4
	s_add_u32 s0, s34, s0
	v_and_b32_e32 v2, 0xff000000, v1
	v_and_b32_e32 v4, 0xff0000, v1
	s_addc_u32 s1, s35, s1
	v_or_b32_e32 v2, v4, v2
	v_and_b32_e32 v4, 0xff00, v1
	v_and_b32_e32 v1, 0xff, v1
	v_mov_b32_e32 v3, 0
	v_or3_b32 v1, v2, v4, v1
	v_mov_b32_e32 v2, 2
	v_mov_b64_e32 v[4:5], s[0:1]
	;;#ASMSTART
	global_store_dwordx4 v[4:5], v[0:3] off sc1	
s_waitcnt vmcnt(0)
	;;#ASMEND
.LBB338_99:
	s_or_b64 exec, exec, s[46:47]
	s_and_b64 exec, exec, s[18:19]
	s_cbranch_execz .LBB338_101
; %bb.100:
	s_waitcnt lgkmcnt(1)
	v_mov_b32_e32 v0, 0
	ds_write_b64 v0, v[58:59]
.LBB338_101:
	s_or_b64 exec, exec, s[44:45]
	s_waitcnt lgkmcnt(1)
	v_mov_b32_e32 v0, 0
	s_waitcnt lgkmcnt(0)
	s_barrier
	ds_read_b64 v[56:57], v0
	v_mov_b32_e32 v2, v28
	v_mov_b32_e32 v3, v29
	s_and_saveexec_b64 s[20:21], s[16:17]
	s_cbranch_execz .LBB338_103
; %bb.102:
	v_mov_b32_e32 v0, v68
	v_mov_b32_e32 v1, v69
	;; [unrolled: 1-line block ×4, first 2 shown]
	s_getpc_b64 s[0:1]
	s_add_u32 s0, s0, _ZZZZN2at6native31launch_logcumsumexp_cuda_kernelERKNS_10TensorBaseES3_lENKUlvE_clEvENKUlvE2_clEvENKUlN3c107complexIfEES8_E_clES8_S8_@rel32@lo+4
	s_addc_u32 s1, s1, _ZZZZN2at6native31launch_logcumsumexp_cuda_kernelERKNS_10TensorBaseES3_lENKUlvE_clEvENKUlvE2_clEvENKUlN3c107complexIfEES8_E_clES8_S8_@rel32@hi+12
	s_swappc_b64 s[30:31], s[0:1]
	v_mov_b32_e32 v2, v0
	v_mov_b32_e32 v3, v1
.LBB338_103:
	s_or_b64 exec, exec, s[20:21]
	s_waitcnt lgkmcnt(0)
	v_mov_b32_e32 v0, v56
	v_mov_b32_e32 v1, v57
	s_getpc_b64 s[20:21]
	s_add_u32 s20, s20, _ZZZZN2at6native31launch_logcumsumexp_cuda_kernelERKNS_10TensorBaseES3_lENKUlvE_clEvENKUlvE2_clEvENKUlN3c107complexIfEES8_E_clES8_S8_@rel32@lo+4
	s_addc_u32 s21, s21, _ZZZZN2at6native31launch_logcumsumexp_cuda_kernelERKNS_10TensorBaseES3_lENKUlvE_clEvENKUlvE2_clEvENKUlN3c107complexIfEES8_E_clES8_S8_@rel32@hi+12
	s_swappc_b64 s[30:31], s[20:21]
	v_mov_b32_e32 v2, v30
	v_mov_b32_e32 v3, v31
	v_mov_b32_e32 v74, v0
	v_mov_b32_e32 v75, v1
	s_swappc_b64 s[30:31], s[20:21]
	v_mov_b32_e32 v2, v52
	v_mov_b32_e32 v3, v53
	v_mov_b32_e32 v80, v0
	v_mov_b32_e32 v81, v1
	;; [unrolled: 5-line block ×14, first 2 shown]
	s_swappc_b64 s[30:31], s[20:21]
	v_mov_b32_e32 v72, v0
	v_mov_b32_e32 v73, v1
	s_branch .LBB338_127
.LBB338_104:
	s_cmp_lg_u64 s[40:41], 0
	s_cselect_b64 s[0:1], -1, 0
	s_and_b64 s[0:1], s[18:19], s[0:1]
	s_and_saveexec_b64 s[20:21], s[0:1]
	s_cbranch_execz .LBB338_106
; %bb.105:
	v_mov_b32_e32 v0, 0
	global_load_dwordx2 v[0:1], v0, s[36:37]
	v_mov_b32_e32 v2, v28
	v_mov_b32_e32 v3, v29
	s_getpc_b64 s[0:1]
	s_add_u32 s0, s0, _ZZZZN2at6native31launch_logcumsumexp_cuda_kernelERKNS_10TensorBaseES3_lENKUlvE_clEvENKUlvE2_clEvENKUlN3c107complexIfEES8_E_clES8_S8_@rel32@lo+4
	s_addc_u32 s1, s1, _ZZZZN2at6native31launch_logcumsumexp_cuda_kernelERKNS_10TensorBaseES3_lENKUlvE_clEvENKUlvE2_clEvENKUlN3c107complexIfEES8_E_clES8_S8_@rel32@hi+12
	s_swappc_b64 s[30:31], s[0:1]
	v_mov_b32_e32 v28, v0
	v_mov_b32_e32 v29, v1
.LBB338_106:
	s_or_b64 exec, exec, s[20:21]
	v_mov_b32_e32 v0, v28
	v_mov_b32_e32 v1, v29
	;; [unrolled: 1-line block ×4, first 2 shown]
	s_getpc_b64 s[36:37]
	s_add_u32 s36, s36, _ZZZZN2at6native31launch_logcumsumexp_cuda_kernelERKNS_10TensorBaseES3_lENKUlvE_clEvENKUlvE2_clEvENKUlN3c107complexIfEES8_E_clES8_S8_@rel32@lo+4
	s_addc_u32 s37, s37, _ZZZZN2at6native31launch_logcumsumexp_cuda_kernelERKNS_10TensorBaseES3_lENKUlvE_clEvENKUlvE2_clEvENKUlN3c107complexIfEES8_E_clES8_S8_@rel32@hi+12
	s_swappc_b64 s[30:31], s[36:37]
	v_mov_b32_e32 v2, v52
	v_mov_b32_e32 v3, v53
	v_mov_b32_e32 v80, v0
	v_mov_b32_e32 v81, v1
	s_swappc_b64 s[30:31], s[36:37]
	v_mov_b32_e32 v2, v54
	v_mov_b32_e32 v3, v55
	v_mov_b32_e32 v56, v0
	v_mov_b32_e32 v57, v1
	;; [unrolled: 5-line block ×13, first 2 shown]
	s_swappc_b64 s[30:31], s[36:37]
	v_mov_b32_e32 v72, v0
	v_lshrrev_b32_e32 v0, 5, v64
	v_mov_b32_e32 v73, v1
	v_add_lshl_u32 v0, v0, v64, 3
	v_cmp_gt_u32_e32 vcc, 64, v64
	ds_write_b64 v0, v[72:73]
	s_waitcnt lgkmcnt(0)
	s_barrier
	s_and_saveexec_b64 s[20:21], vcc
	s_cbranch_execz .LBB338_120
; %bb.107:
	v_lshlrev_b32_e32 v0, 2, v64
	v_lshrrev_b32_e32 v1, 3, v64
	v_add_lshl_u32 v27, v1, v0, 3
	ds_read_b64 v[74:75], v27
	ds_read2_b64 v[76:79], v27 offset0:1 offset1:2
	s_waitcnt lgkmcnt(1)
	v_mov_b32_e32 v0, v74
	v_mov_b32_e32 v1, v75
	s_waitcnt lgkmcnt(0)
	v_mov_b32_e32 v2, v76
	v_mov_b32_e32 v3, v77
	s_swappc_b64 s[30:31], s[36:37]
	v_mov_b32_e32 v2, v78
	v_mov_b32_e32 v3, v79
	s_swappc_b64 s[30:31], s[36:37]
	ds_read_b64 v[2:3], v27 offset:24
	s_swappc_b64 s[30:31], s[36:37]
	v_mov_b32_e32 v2, v0
	v_mbcnt_lo_u32_b32 v0, -1, 0
	v_mbcnt_hi_u32_b32 v76, -1, v0
	v_mov_b32_e32 v3, v1
	v_and_b32_e32 v77, 15, v76
	v_mov_b32_dpp v0, v2 row_shr:1 row_mask:0xf bank_mask:0xf
	v_mov_b32_dpp v1, v3 row_shr:1 row_mask:0xf bank_mask:0xf
	v_cmp_ne_u32_e32 vcc, 0, v77
	s_and_saveexec_b64 s[36:37], vcc
	s_cbranch_execz .LBB338_109
; %bb.108:
	s_getpc_b64 s[0:1]
	s_add_u32 s0, s0, _ZZZZN2at6native31launch_logcumsumexp_cuda_kernelERKNS_10TensorBaseES3_lENKUlvE_clEvENKUlvE2_clEvENKUlN3c107complexIfEES8_E_clES8_S8_@rel32@lo+4
	s_addc_u32 s1, s1, _ZZZZN2at6native31launch_logcumsumexp_cuda_kernelERKNS_10TensorBaseES3_lENKUlvE_clEvENKUlvE2_clEvENKUlN3c107complexIfEES8_E_clES8_S8_@rel32@hi+12
	s_swappc_b64 s[30:31], s[0:1]
	v_mov_b32_e32 v2, v0
	v_mov_b32_e32 v3, v1
.LBB338_109:
	s_or_b64 exec, exec, s[36:37]
	v_mov_b32_dpp v0, v2 row_shr:2 row_mask:0xf bank_mask:0xf
	v_mov_b32_dpp v1, v3 row_shr:2 row_mask:0xf bank_mask:0xf
	v_cmp_lt_u32_e32 vcc, 1, v77
	s_and_saveexec_b64 s[36:37], vcc
	s_cbranch_execz .LBB338_111
; %bb.110:
	s_getpc_b64 s[0:1]
	s_add_u32 s0, s0, _ZZZZN2at6native31launch_logcumsumexp_cuda_kernelERKNS_10TensorBaseES3_lENKUlvE_clEvENKUlvE2_clEvENKUlN3c107complexIfEES8_E_clES8_S8_@rel32@lo+4
	s_addc_u32 s1, s1, _ZZZZN2at6native31launch_logcumsumexp_cuda_kernelERKNS_10TensorBaseES3_lENKUlvE_clEvENKUlvE2_clEvENKUlN3c107complexIfEES8_E_clES8_S8_@rel32@hi+12
	s_swappc_b64 s[30:31], s[0:1]
	v_mov_b32_e32 v2, v0
	v_mov_b32_e32 v3, v1
.LBB338_111:
	s_or_b64 exec, exec, s[36:37]
	v_mov_b32_dpp v0, v2 row_shr:4 row_mask:0xf bank_mask:0xf
	v_mov_b32_dpp v1, v3 row_shr:4 row_mask:0xf bank_mask:0xf
	v_cmp_lt_u32_e32 vcc, 3, v77
	;; [unrolled: 14-line block ×3, first 2 shown]
	s_and_saveexec_b64 s[36:37], vcc
	s_cbranch_execz .LBB338_115
; %bb.114:
	s_getpc_b64 s[0:1]
	s_add_u32 s0, s0, _ZZZZN2at6native31launch_logcumsumexp_cuda_kernelERKNS_10TensorBaseES3_lENKUlvE_clEvENKUlvE2_clEvENKUlN3c107complexIfEES8_E_clES8_S8_@rel32@lo+4
	s_addc_u32 s1, s1, _ZZZZN2at6native31launch_logcumsumexp_cuda_kernelERKNS_10TensorBaseES3_lENKUlvE_clEvENKUlvE2_clEvENKUlN3c107complexIfEES8_E_clES8_S8_@rel32@hi+12
	s_swappc_b64 s[30:31], s[0:1]
	v_mov_b32_e32 v2, v0
	v_mov_b32_e32 v3, v1
.LBB338_115:
	s_or_b64 exec, exec, s[36:37]
	v_and_b32_e32 v4, 16, v76
	v_mov_b32_dpp v0, v2 row_bcast:15 row_mask:0xf bank_mask:0xf
	v_mov_b32_dpp v1, v3 row_bcast:15 row_mask:0xf bank_mask:0xf
	v_cmp_ne_u32_e32 vcc, 0, v4
	s_and_saveexec_b64 s[36:37], vcc
	s_cbranch_execz .LBB338_117
; %bb.116:
	s_getpc_b64 s[0:1]
	s_add_u32 s0, s0, _ZZZZN2at6native31launch_logcumsumexp_cuda_kernelERKNS_10TensorBaseES3_lENKUlvE_clEvENKUlvE2_clEvENKUlN3c107complexIfEES8_E_clES8_S8_@rel32@lo+4
	s_addc_u32 s1, s1, _ZZZZN2at6native31launch_logcumsumexp_cuda_kernelERKNS_10TensorBaseES3_lENKUlvE_clEvENKUlvE2_clEvENKUlN3c107complexIfEES8_E_clES8_S8_@rel32@hi+12
	s_swappc_b64 s[30:31], s[0:1]
	v_mov_b32_e32 v2, v0
	v_mov_b32_e32 v3, v1
.LBB338_117:
	s_or_b64 exec, exec, s[36:37]
	v_mov_b32_dpp v0, v2 row_bcast:31 row_mask:0xf bank_mask:0xf
	v_mov_b32_dpp v1, v3 row_bcast:31 row_mask:0xf bank_mask:0xf
	v_cmp_lt_u32_e32 vcc, 31, v76
	s_and_saveexec_b64 s[36:37], vcc
	s_cbranch_execz .LBB338_119
; %bb.118:
	s_getpc_b64 s[0:1]
	s_add_u32 s0, s0, _ZZZZN2at6native31launch_logcumsumexp_cuda_kernelERKNS_10TensorBaseES3_lENKUlvE_clEvENKUlvE2_clEvENKUlN3c107complexIfEES8_E_clES8_S8_@rel32@lo+4
	s_addc_u32 s1, s1, _ZZZZN2at6native31launch_logcumsumexp_cuda_kernelERKNS_10TensorBaseES3_lENKUlvE_clEvENKUlvE2_clEvENKUlN3c107complexIfEES8_E_clES8_S8_@rel32@hi+12
	s_swappc_b64 s[30:31], s[0:1]
	v_mov_b32_e32 v2, v0
	v_mov_b32_e32 v3, v1
.LBB338_119:
	s_or_b64 exec, exec, s[36:37]
	v_add_u32_e32 v0, -1, v76
	v_and_b32_e32 v1, 64, v76
	v_cmp_lt_i32_e32 vcc, v0, v1
	s_getpc_b64 s[36:37]
	s_add_u32 s36, s36, _ZZZZN2at6native31launch_logcumsumexp_cuda_kernelERKNS_10TensorBaseES3_lENKUlvE_clEvENKUlvE2_clEvENKUlN3c107complexIfEES8_E_clES8_S8_@rel32@lo+4
	s_addc_u32 s37, s37, _ZZZZN2at6native31launch_logcumsumexp_cuda_kernelERKNS_10TensorBaseES3_lENKUlvE_clEvENKUlvE2_clEvENKUlN3c107complexIfEES8_E_clES8_S8_@rel32@hi+12
	v_cndmask_b32_e32 v0, v0, v76, vcc
	v_lshlrev_b32_e32 v1, 2, v0
	ds_bpermute_b32 v0, v1, v2
	ds_bpermute_b32 v1, v1, v3
	v_mov_b32_e32 v2, v74
	v_mov_b32_e32 v3, v75
	s_swappc_b64 s[30:31], s[36:37]
	v_cndmask_b32_e64 v0, v0, v72, s[18:19]
	v_cndmask_b32_e64 v1, v1, v73, s[18:19]
	; wave barrier
	ds_write_b64 v27, v[0:1]
	; wave barrier
	ds_read2_b64 v[74:77], v27 offset0:1 offset1:2
	s_waitcnt lgkmcnt(0)
	v_mov_b32_e32 v2, v74
	v_mov_b32_e32 v3, v75
	s_swappc_b64 s[30:31], s[36:37]
	v_mov_b32_e32 v2, v76
	v_mov_b32_e32 v3, v77
	;; [unrolled: 1-line block ×4, first 2 shown]
	s_swappc_b64 s[30:31], s[36:37]
	ds_read_b64 v[2:3], v27 offset:24
	ds_write2_b64 v27, v[74:75], v[0:1] offset0:1 offset1:2
	s_swappc_b64 s[30:31], s[36:37]
	ds_write_b64 v27, v[0:1] offset:24
.LBB338_120:
	s_or_b64 exec, exec, s[20:21]
	v_mov_b32_e32 v1, v73
	v_mov_b32_e32 v0, v72
	s_waitcnt lgkmcnt(0)
	s_barrier
	s_and_saveexec_b64 s[0:1], s[16:17]
	s_cbranch_execz .LBB338_122
; %bb.121:
	v_add_u32_e32 v0, -1, v64
	v_lshrrev_b32_e32 v1, 5, v0
	v_add_lshl_u32 v0, v1, v0, 3
	ds_read_b64 v[0:1], v0
.LBB338_122:
	s_or_b64 exec, exec, s[0:1]
	s_and_saveexec_b64 s[18:19], s[16:17]
	s_cbranch_execz .LBB338_124
; %bb.123:
	v_mov_b32_e32 v2, v28
	v_mov_b32_e32 v3, v29
	s_getpc_b64 s[16:17]
	s_add_u32 s16, s16, _ZZZZN2at6native31launch_logcumsumexp_cuda_kernelERKNS_10TensorBaseES3_lENKUlvE_clEvENKUlvE2_clEvENKUlN3c107complexIfEES8_E_clES8_S8_@rel32@lo+4
	s_addc_u32 s17, s17, _ZZZZN2at6native31launch_logcumsumexp_cuda_kernelERKNS_10TensorBaseES3_lENKUlvE_clEvENKUlvE2_clEvENKUlN3c107complexIfEES8_E_clES8_S8_@rel32@hi+12
	s_swappc_b64 s[30:31], s[16:17]
	v_mov_b32_e32 v2, v30
	v_mov_b32_e32 v3, v31
	v_mov_b32_e32 v28, v0
	v_mov_b32_e32 v29, v1
	;;#ASMSTART
	;;#ASMEND
	s_swappc_b64 s[30:31], s[16:17]
	v_mov_b32_e32 v2, v52
	v_mov_b32_e32 v3, v53
	v_mov_b32_e32 v80, v0
	v_mov_b32_e32 v81, v1
	s_swappc_b64 s[30:31], s[16:17]
	v_mov_b32_e32 v2, v54
	v_mov_b32_e32 v3, v55
	v_mov_b32_e32 v56, v0
	v_mov_b32_e32 v57, v1
	;; [unrolled: 5-line block ×13, first 2 shown]
	s_swappc_b64 s[30:31], s[16:17]
	v_mov_b32_e32 v72, v0
	v_mov_b32_e32 v73, v1
.LBB338_124:
	s_or_b64 exec, exec, s[18:19]
	s_movk_i32 s0, 0xff
	v_cmp_eq_u32_e32 vcc, s0, v64
	s_and_saveexec_b64 s[0:1], vcc
	s_cbranch_execz .LBB338_126
; %bb.125:
	s_add_u32 s2, s34, 0x400
	s_waitcnt lgkmcnt(0)
	v_and_b32_e32 v0, 0xff000000, v73
	v_and_b32_e32 v1, 0xff0000, v73
	s_addc_u32 s3, s35, 0
	v_or_b32_e32 v0, v1, v0
	v_and_b32_e32 v1, 0xff00, v73
	v_and_b32_e32 v2, 0xff, v73
	v_mov_b32_e32 v3, 0
	v_or3_b32 v1, v0, v1, v2
	v_mov_b32_e32 v2, 2
	v_mov_b32_e32 v0, v72
	v_mov_b64_e32 v[4:5], s[2:3]
	;;#ASMSTART
	global_store_dwordx4 v[4:5], v[0:3] off sc1	
s_waitcnt vmcnt(0)
	;;#ASMEND
.LBB338_126:
	s_or_b64 exec, exec, s[0:1]
	v_mov_b32_e32 v75, v29
	v_mov_b32_e32 v74, v28
.LBB338_127:
	s_add_u32 s0, s24, s22
	s_addc_u32 s1, s25, s23
	s_add_u32 s0, s0, s28
	s_addc_u32 s1, s1, s29
	s_mov_b64 s[2:3], -1
	s_and_b64 vcc, exec, s[26:27]
	s_waitcnt lgkmcnt(0)
	s_barrier
	s_cbranch_vccz .LBB338_129
; %bb.128:
	v_mul_u32_u24_e32 v0, 0x78, v64
	s_movk_i32 s2, 0x78
	ds_write2_b64 v0, v[74:75], v[80:81] offset1:1
	ds_write2_b64 v0, v[56:57], v[82:83] offset0:2 offset1:3
	ds_write2_b64 v0, v[58:59], v[84:85] offset0:4 offset1:5
	;; [unrolled: 1-line block ×6, first 2 shown]
	ds_write_b64 v0, v[72:73] offset:112
	v_mul_i32_i24_e32 v0, 0xffffff90, v64
	v_mad_u32_u24 v28, v64, s2, v0
	v_mov_b32_e32 v95, 0
	s_waitcnt lgkmcnt(0)
	s_barrier
	ds_read2st64_b64 v[0:3], v28 offset1:4
	ds_read2st64_b64 v[4:7], v28 offset0:8 offset1:12
	ds_read2st64_b64 v[8:11], v28 offset0:16 offset1:20
	;; [unrolled: 1-line block ×6, first 2 shown]
	ds_read_b64 v[28:29], v28 offset:28672
	v_lshl_add_u64 v[30:31], s[0:1], 0, v[94:95]
	s_movk_i32 s2, 0x1000
	s_waitcnt lgkmcnt(7)
	global_store_dwordx2 v94, v[0:1], s[0:1]
	global_store_dwordx2 v94, v[2:3], s[0:1] offset:2048
	v_add_co_u32_e32 v0, vcc, s2, v30
	s_movk_i32 s2, 0x2000
	s_nop 0
	v_addc_co_u32_e32 v1, vcc, 0, v31, vcc
	v_add_co_u32_e32 v2, vcc, s2, v30
	s_movk_i32 s2, 0x3000
	s_nop 0
	v_addc_co_u32_e32 v3, vcc, 0, v31, vcc
	s_waitcnt lgkmcnt(6)
	global_store_dwordx2 v[2:3], v[4:5], off offset:-4096
	global_store_dwordx2 v[0:1], v[6:7], off offset:2048
	s_waitcnt lgkmcnt(5)
	global_store_dwordx2 v[2:3], v[8:9], off
	global_store_dwordx2 v[2:3], v[10:11], off offset:2048
	v_add_co_u32_e32 v0, vcc, s2, v30
	s_movk_i32 s2, 0x4000
	s_nop 0
	v_addc_co_u32_e32 v1, vcc, 0, v31, vcc
	v_add_co_u32_e32 v2, vcc, s2, v30
	s_movk_i32 s2, 0x5000
	s_nop 0
	v_addc_co_u32_e32 v3, vcc, 0, v31, vcc
	s_waitcnt lgkmcnt(4)
	global_store_dwordx2 v[2:3], v[12:13], off offset:-4096
	global_store_dwordx2 v[0:1], v[14:15], off offset:2048
	s_waitcnt lgkmcnt(3)
	global_store_dwordx2 v[2:3], v[16:17], off
	global_store_dwordx2 v[2:3], v[18:19], off offset:2048
	v_add_co_u32_e32 v0, vcc, s2, v30
	s_mov_b64 s[2:3], 0
	s_nop 0
	v_addc_co_u32_e32 v1, vcc, 0, v31, vcc
	s_waitcnt lgkmcnt(2)
	global_store_dwordx2 v[0:1], v[20:21], off
	global_store_dwordx2 v[0:1], v[22:23], off offset:2048
	v_add_co_u32_e32 v0, vcc, 0x6000, v30
	s_nop 1
	v_addc_co_u32_e32 v1, vcc, 0, v31, vcc
	s_waitcnt lgkmcnt(1)
	global_store_dwordx2 v[0:1], v[24:25], off
	global_store_dwordx2 v[0:1], v[26:27], off offset:2048
	v_add_co_u32_e32 v0, vcc, 0x7000, v30
	s_nop 1
	v_addc_co_u32_e32 v1, vcc, 0, v31, vcc
	s_waitcnt lgkmcnt(0)
	global_store_dwordx2 v[0:1], v[28:29], off
.LBB338_129:
	s_andn2_b64 vcc, exec, s[2:3]
	s_cbranch_vccnz .LBB338_215
; %bb.130:
	s_movk_i32 s2, 0xff90
	v_mad_i32_i24 v28, v64, s2, v65
	ds_write2_b64 v65, v[74:75], v[80:81] offset1:1
	ds_write2_b64 v65, v[56:57], v[82:83] offset0:2 offset1:3
	ds_write2_b64 v65, v[58:59], v[84:85] offset0:4 offset1:5
	;; [unrolled: 1-line block ×6, first 2 shown]
	ds_write_b64 v65, v[72:73] offset:112
	s_waitcnt lgkmcnt(0)
	s_barrier
	ds_read2st64_b64 v[4:7], v28 offset1:4
	ds_read2st64_b64 v[12:15], v28 offset0:8 offset1:12
	ds_read2st64_b64 v[8:11], v28 offset0:16 offset1:20
	;; [unrolled: 1-line block ×6, first 2 shown]
	ds_read_b64 v[28:29], v28 offset:28672
	v_mov_b32_e32 v95, 0
	v_lshl_add_u64 v[30:31], s[0:1], 0, v[94:95]
	v_cmp_gt_u32_e32 vcc, s33, v64
	s_and_saveexec_b64 s[0:1], vcc
	s_cbranch_execz .LBB338_132
; %bb.131:
	s_waitcnt lgkmcnt(7)
	global_store_dwordx2 v[30:31], v[4:5], off
.LBB338_132:
	s_or_b64 exec, exec, s[0:1]
	v_or_b32_e32 v32, 0x100, v64
	v_cmp_gt_u32_e32 vcc, s33, v32
	s_and_saveexec_b64 s[0:1], vcc
	s_cbranch_execz .LBB338_134
; %bb.133:
	s_waitcnt lgkmcnt(7)
	global_store_dwordx2 v[30:31], v[6:7], off offset:2048
.LBB338_134:
	s_or_b64 exec, exec, s[0:1]
	v_or_b32_e32 v32, 0x200, v64
	v_cmp_gt_u32_e32 vcc, s33, v32
	s_and_saveexec_b64 s[0:1], vcc
	s_cbranch_execz .LBB338_136
; %bb.135:
	v_add_co_u32_e32 v32, vcc, 0x1000, v30
	s_nop 1
	v_addc_co_u32_e32 v33, vcc, 0, v31, vcc
	s_waitcnt lgkmcnt(6)
	global_store_dwordx2 v[32:33], v[12:13], off
.LBB338_136:
	s_or_b64 exec, exec, s[0:1]
	v_or_b32_e32 v32, 0x300, v64
	v_cmp_gt_u32_e32 vcc, s33, v32
	s_and_saveexec_b64 s[0:1], vcc
	s_cbranch_execz .LBB338_138
; %bb.137:
	v_add_co_u32_e32 v32, vcc, 0x1000, v30
	s_nop 1
	v_addc_co_u32_e32 v33, vcc, 0, v31, vcc
	s_waitcnt lgkmcnt(6)
	global_store_dwordx2 v[32:33], v[14:15], off offset:2048
.LBB338_138:
	s_or_b64 exec, exec, s[0:1]
	v_or_b32_e32 v32, 0x400, v64
	v_cmp_gt_u32_e32 vcc, s33, v32
	s_and_saveexec_b64 s[0:1], vcc
	s_cbranch_execz .LBB338_140
; %bb.139:
	v_add_co_u32_e32 v32, vcc, 0x2000, v30
	s_nop 1
	v_addc_co_u32_e32 v33, vcc, 0, v31, vcc
	s_waitcnt lgkmcnt(5)
	global_store_dwordx2 v[32:33], v[8:9], off
.LBB338_140:
	s_or_b64 exec, exec, s[0:1]
	v_or_b32_e32 v32, 0x500, v64
	v_cmp_gt_u32_e32 vcc, s33, v32
	s_and_saveexec_b64 s[0:1], vcc
	s_cbranch_execz .LBB338_142
; %bb.141:
	v_add_co_u32_e32 v32, vcc, 0x2000, v30
	s_nop 1
	v_addc_co_u32_e32 v33, vcc, 0, v31, vcc
	s_waitcnt lgkmcnt(5)
	global_store_dwordx2 v[32:33], v[10:11], off offset:2048
.LBB338_142:
	;; [unrolled: 24-line block ×6, first 2 shown]
	s_or_b64 exec, exec, s[0:1]
	v_or_b32_e32 v32, 0xe00, v64
	v_cmp_gt_u32_e32 vcc, s33, v32
	s_and_saveexec_b64 s[0:1], vcc
	s_cbranch_execz .LBB338_160
; %bb.159:
	v_add_co_u32_e32 v30, vcc, 0x7000, v30
	s_nop 1
	v_addc_co_u32_e32 v31, vcc, 0, v31, vcc
	s_waitcnt lgkmcnt(0)
	global_store_dwordx2 v[30:31], v[28:29], off
.LBB338_160:
	s_or_b64 exec, exec, s[0:1]
	v_cmp_lt_u64_e64 s[0:1], s[42:43], 2
	s_and_b64 vcc, exec, s[0:1]
	s_cbranch_vccnz .LBB338_215
; %bb.161:
	s_add_u32 s0, s33, -1
	s_addc_u32 s1, s52, -1
	s_add_u32 s2, 0, 0x11108400
	s_addc_u32 s3, 0, 49
	s_add_i32 s3, s3, 0x111110e0
	s_mul_hi_u32 s7, s2, -15
	s_sub_i32 s7, s7, s2
	s_mul_i32 s8, s3, -15
	s_mul_i32 s4, s2, -15
	s_add_i32 s7, s7, s8
	s_mul_hi_u32 s5, s3, s4
	s_mul_i32 s6, s3, s4
	s_mul_i32 s9, s2, s7
	s_mul_hi_u32 s4, s2, s4
	s_mul_hi_u32 s8, s2, s7
	s_add_u32 s4, s4, s9
	s_addc_u32 s8, 0, s8
	s_add_u32 s4, s4, s6
	s_mul_hi_u32 s9, s3, s7
	s_addc_u32 s4, s8, s5
	s_addc_u32 s5, s9, 0
	s_mul_i32 s6, s3, s7
	s_add_u32 s4, s4, s6
	v_mov_b32_e32 v30, s4
	s_addc_u32 s5, 0, s5
	v_add_co_u32_e32 v30, vcc, s2, v30
	s_cmp_lg_u64 vcc, 0
	s_addc_u32 s2, s3, s5
	v_readfirstlane_b32 s5, v30
	s_mul_i32 s4, s0, s2
	s_mul_hi_u32 s6, s0, s5
	s_mul_hi_u32 s3, s0, s2
	s_add_u32 s4, s6, s4
	s_addc_u32 s3, 0, s3
	s_mul_hi_u32 s7, s1, s5
	s_mul_i32 s5, s1, s5
	s_add_u32 s4, s4, s5
	s_mul_hi_u32 s6, s1, s2
	s_addc_u32 s3, s3, s7
	s_addc_u32 s4, s6, 0
	s_mul_i32 s2, s1, s2
	s_add_u32 s2, s3, s2
	s_addc_u32 s3, 0, s4
	s_add_u32 s4, s2, 1
	s_addc_u32 s5, s3, 0
	s_add_u32 s6, s2, 2
	s_mul_i32 s8, s3, 15
	s_mul_hi_u32 s9, s2, 15
	s_addc_u32 s7, s3, 0
	s_add_i32 s9, s9, s8
	s_mul_i32 s8, s2, 15
	v_mov_b32_e32 v30, s8
	v_sub_co_u32_e32 v30, vcc, s0, v30
	s_cmp_lg_u64 vcc, 0
	s_subb_u32 s8, s1, s9
	v_subrev_co_u32_e32 v31, vcc, 15, v30
	s_cmp_lg_u64 vcc, 0
	s_subb_u32 s9, s8, 0
	v_readfirstlane_b32 s10, v31
	s_cmp_gt_u32 s10, 14
	s_cselect_b32 s10, -1, 0
	s_cmp_eq_u32 s9, 0
	s_cselect_b32 s9, s10, -1
	s_cmp_lg_u32 s9, 0
	s_cselect_b32 s4, s6, s4
	v_readfirstlane_b32 s6, v30
	s_cselect_b32 s5, s7, s5
	s_cmp_gt_u32 s6, 14
	s_cselect_b32 s6, -1, 0
	s_cmp_eq_u32 s8, 0
	s_cselect_b32 s6, s6, -1
	s_cmp_lg_u32 s6, 0
	v_mov_b32_e32 v65, v95
	s_cselect_b32 s3, s5, s3
	s_cselect_b32 s2, s4, s2
	v_cmp_eq_u64_e32 vcc, s[2:3], v[64:65]
	s_and_saveexec_b64 s[2:3], vcc
	s_cbranch_execz .LBB338_215
; %bb.162:
	v_mul_hi_u32_u24_e32 v31, 15, v64
	v_mov_b32_e32 v32, s1
	v_sub_co_u32_e32 v30, vcc, s0, v96
	s_nop 1
	v_subb_co_u32_e32 v31, vcc, v32, v31, vcc
	v_cmp_lt_i64_e32 vcc, 7, v[30:31]
	s_and_saveexec_b64 s[0:1], vcc
	s_xor_b64 s[0:1], exec, s[0:1]
	s_cbranch_execz .LBB338_188
; %bb.163:
	v_cmp_lt_i64_e32 vcc, 10, v[30:31]
	s_and_saveexec_b64 s[2:3], vcc
	s_xor_b64 s[2:3], exec, s[2:3]
	s_cbranch_execz .LBB338_177
; %bb.164:
	;; [unrolled: 5-line block ×4, first 2 shown]
	s_waitcnt lgkmcnt(2)
	v_mov_b32_e32 v0, 0
	s_waitcnt lgkmcnt(0)
	global_store_dwordx2 v0, v[28:29], s[38:39]
                                        ; implicit-def: $vgpr20_vgpr21_vgpr22_vgpr23
.LBB338_167:
	s_andn2_saveexec_b64 s[6:7], s[6:7]
	s_cbranch_execz .LBB338_169
; %bb.168:
	s_waitcnt lgkmcnt(2)
	v_mov_b32_e32 v0, 0
	s_waitcnt lgkmcnt(1)
	global_store_dwordx2 v0, v[22:23], s[38:39]
.LBB338_169:
	s_or_b64 exec, exec, s[6:7]
                                        ; implicit-def: $vgpr0_vgpr1_vgpr2_vgpr3
                                        ; implicit-def: $vgpr30_vgpr31
                                        ; implicit-def: $vgpr20_vgpr21_vgpr22_vgpr23
.LBB338_170:
	s_andn2_saveexec_b64 s[4:5], s[4:5]
	s_cbranch_execz .LBB338_176
; %bb.171:
	v_cmp_lt_i64_e32 vcc, 11, v[30:31]
	s_and_saveexec_b64 s[6:7], vcc
	s_xor_b64 s[6:7], exec, s[6:7]
	s_cbranch_execz .LBB338_173
; %bb.172:
	s_waitcnt lgkmcnt(2)
	v_mov_b32_e32 v0, 0
	s_waitcnt lgkmcnt(1)
	global_store_dwordx2 v0, v[20:21], s[38:39]
                                        ; implicit-def: $vgpr0_vgpr1_vgpr2_vgpr3
.LBB338_173:
	s_andn2_saveexec_b64 s[6:7], s[6:7]
	s_cbranch_execz .LBB338_175
; %bb.174:
	s_waitcnt lgkmcnt(2)
	v_mov_b32_e32 v0, 0
	global_store_dwordx2 v0, v[2:3], s[38:39]
.LBB338_175:
	s_or_b64 exec, exec, s[6:7]
.LBB338_176:
	s_or_b64 exec, exec, s[4:5]
                                        ; implicit-def: $vgpr16_vgpr17_vgpr18_vgpr19
                                        ; implicit-def: $vgpr30_vgpr31
                                        ; implicit-def: $vgpr0_vgpr1_vgpr2_vgpr3
.LBB338_177:
	s_andn2_saveexec_b64 s[2:3], s[2:3]
	s_cbranch_execz .LBB338_187
; %bb.178:
	v_cmp_lt_i64_e32 vcc, 8, v[30:31]
	s_and_saveexec_b64 s[4:5], vcc
	s_xor_b64 s[4:5], exec, s[4:5]
	s_cbranch_execz .LBB338_184
; %bb.179:
	v_cmp_lt_i64_e32 vcc, 9, v[30:31]
	s_and_saveexec_b64 s[6:7], vcc
	s_xor_b64 s[6:7], exec, s[6:7]
	s_cbranch_execz .LBB338_181
; %bb.180:
	s_waitcnt lgkmcnt(2)
	v_mov_b32_e32 v2, 0
	global_store_dwordx2 v2, v[0:1], s[38:39]
                                        ; implicit-def: $vgpr16_vgpr17_vgpr18_vgpr19
.LBB338_181:
	s_andn2_saveexec_b64 s[6:7], s[6:7]
	s_cbranch_execz .LBB338_183
; %bb.182:
	s_waitcnt lgkmcnt(2)
	v_mov_b32_e32 v0, 0
	global_store_dwordx2 v0, v[18:19], s[38:39]
.LBB338_183:
	s_or_b64 exec, exec, s[6:7]
                                        ; implicit-def: $vgpr16_vgpr17_vgpr18_vgpr19
.LBB338_184:
	s_andn2_saveexec_b64 s[4:5], s[4:5]
	s_cbranch_execz .LBB338_186
; %bb.185:
	s_waitcnt lgkmcnt(2)
	v_mov_b32_e32 v0, 0
	global_store_dwordx2 v0, v[16:17], s[38:39]
.LBB338_186:
	s_or_b64 exec, exec, s[4:5]
.LBB338_187:
	s_or_b64 exec, exec, s[2:3]
                                        ; implicit-def: $vgpr30_vgpr31
                                        ; implicit-def: $vgpr4_vgpr5_vgpr6_vgpr7
                                        ; implicit-def: $vgpr8_vgpr9_vgpr10_vgpr11
                                        ; implicit-def: $vgpr12_vgpr13_vgpr14_vgpr15
                                        ; implicit-def: $vgpr24_vgpr25_vgpr26_vgpr27
.LBB338_188:
	s_andn2_saveexec_b64 s[0:1], s[0:1]
	s_cbranch_execz .LBB338_215
; %bb.189:
	v_cmp_lt_i64_e32 vcc, 3, v[30:31]
	s_and_saveexec_b64 s[0:1], vcc
	s_xor_b64 s[0:1], exec, s[0:1]
	s_cbranch_execz .LBB338_203
; %bb.190:
	v_cmp_lt_i64_e32 vcc, 5, v[30:31]
	s_and_saveexec_b64 s[2:3], vcc
	s_xor_b64 s[2:3], exec, s[2:3]
	;; [unrolled: 5-line block ×3, first 2 shown]
	s_cbranch_execz .LBB338_193
; %bb.192:
	s_waitcnt lgkmcnt(2)
	v_mov_b32_e32 v0, 0
	global_store_dwordx2 v0, v[26:27], s[38:39]
                                        ; implicit-def: $vgpr24_vgpr25_vgpr26_vgpr27
.LBB338_193:
	s_andn2_saveexec_b64 s[4:5], s[4:5]
	s_cbranch_execz .LBB338_195
; %bb.194:
	s_waitcnt lgkmcnt(2)
	v_mov_b32_e32 v0, 0
	global_store_dwordx2 v0, v[24:25], s[38:39]
.LBB338_195:
	s_or_b64 exec, exec, s[4:5]
                                        ; implicit-def: $vgpr8_vgpr9_vgpr10_vgpr11
                                        ; implicit-def: $vgpr30_vgpr31
.LBB338_196:
	s_andn2_saveexec_b64 s[2:3], s[2:3]
	s_cbranch_execz .LBB338_202
; %bb.197:
	v_cmp_lt_i64_e32 vcc, 4, v[30:31]
	s_and_saveexec_b64 s[4:5], vcc
	s_xor_b64 s[4:5], exec, s[4:5]
	s_cbranch_execz .LBB338_199
; %bb.198:
	s_waitcnt lgkmcnt(2)
	v_mov_b32_e32 v0, 0
	global_store_dwordx2 v0, v[10:11], s[38:39]
                                        ; implicit-def: $vgpr8_vgpr9_vgpr10_vgpr11
.LBB338_199:
	s_andn2_saveexec_b64 s[4:5], s[4:5]
	s_cbranch_execz .LBB338_201
; %bb.200:
	s_waitcnt lgkmcnt(2)
	v_mov_b32_e32 v0, 0
	global_store_dwordx2 v0, v[8:9], s[38:39]
.LBB338_201:
	s_or_b64 exec, exec, s[4:5]
.LBB338_202:
	s_or_b64 exec, exec, s[2:3]
                                        ; implicit-def: $vgpr30_vgpr31
                                        ; implicit-def: $vgpr4_vgpr5_vgpr6_vgpr7
                                        ; implicit-def: $vgpr12_vgpr13_vgpr14_vgpr15
.LBB338_203:
	s_andn2_saveexec_b64 s[0:1], s[0:1]
	s_cbranch_execz .LBB338_215
; %bb.204:
	v_cmp_lt_i64_e32 vcc, 1, v[30:31]
	s_and_saveexec_b64 s[0:1], vcc
	s_xor_b64 s[0:1], exec, s[0:1]
	s_cbranch_execz .LBB338_210
; %bb.205:
	v_cmp_lt_i64_e32 vcc, 2, v[30:31]
	s_and_saveexec_b64 s[2:3], vcc
	s_xor_b64 s[2:3], exec, s[2:3]
	s_cbranch_execz .LBB338_207
; %bb.206:
	s_waitcnt lgkmcnt(2)
	v_mov_b32_e32 v0, 0
	global_store_dwordx2 v0, v[14:15], s[38:39]
                                        ; implicit-def: $vgpr12_vgpr13_vgpr14_vgpr15
.LBB338_207:
	s_andn2_saveexec_b64 s[2:3], s[2:3]
	s_cbranch_execz .LBB338_209
; %bb.208:
	s_waitcnt lgkmcnt(2)
	v_mov_b32_e32 v0, 0
	global_store_dwordx2 v0, v[12:13], s[38:39]
.LBB338_209:
	s_or_b64 exec, exec, s[2:3]
                                        ; implicit-def: $vgpr4_vgpr5_vgpr6_vgpr7
                                        ; implicit-def: $vgpr30_vgpr31
.LBB338_210:
	s_andn2_saveexec_b64 s[0:1], s[0:1]
	s_cbranch_execz .LBB338_215
; %bb.211:
	v_cmp_ne_u64_e32 vcc, 1, v[30:31]
	s_and_saveexec_b64 s[0:1], vcc
	s_xor_b64 s[0:1], exec, s[0:1]
	s_cbranch_execz .LBB338_213
; %bb.212:
	s_waitcnt lgkmcnt(2)
	v_mov_b32_e32 v0, 0
	global_store_dwordx2 v0, v[4:5], s[38:39]
                                        ; implicit-def: $vgpr4_vgpr5_vgpr6_vgpr7
.LBB338_213:
	s_andn2_saveexec_b64 s[0:1], s[0:1]
	s_cbranch_execz .LBB338_215
; %bb.214:
	s_waitcnt lgkmcnt(2)
	v_mov_b32_e32 v0, 0
	global_store_dwordx2 v0, v[6:7], s[38:39]
.LBB338_215:
	s_endpgm
	.section	.rodata,"a",@progbits
	.p2align	6, 0x0
	.amdhsa_kernel _ZN7rocprim17ROCPRIM_400000_NS6detail17trampoline_kernelINS0_14default_configENS1_20scan_config_selectorIN3c107complexIfEEEEZZNS1_9scan_implILNS1_25lookback_scan_determinismE0ELb0ELb0ES3_PKS7_PS7_S7_ZZZN2at6native31launch_logcumsumexp_cuda_kernelERKNSE_10TensorBaseESI_lENKUlvE_clEvENKUlvE2_clEvEUlS7_S7_E_S7_EEDaPvRmT3_T4_T5_mT6_P12ihipStream_tbENKUlT_T0_E_clISt17integral_constantIbLb0EESY_IbLb1EEEEDaSU_SV_EUlSU_E_NS1_11comp_targetILNS1_3genE5ELNS1_11target_archE942ELNS1_3gpuE9ELNS1_3repE0EEENS1_30default_config_static_selectorELNS0_4arch9wavefront6targetE1EEEvT1_
		.amdhsa_group_segment_fixed_size 30720
		.amdhsa_private_segment_fixed_size 0
		.amdhsa_kernarg_size 104
		.amdhsa_user_sgpr_count 2
		.amdhsa_user_sgpr_dispatch_ptr 0
		.amdhsa_user_sgpr_queue_ptr 0
		.amdhsa_user_sgpr_kernarg_segment_ptr 1
		.amdhsa_user_sgpr_dispatch_id 0
		.amdhsa_user_sgpr_kernarg_preload_length 0
		.amdhsa_user_sgpr_kernarg_preload_offset 0
		.amdhsa_user_sgpr_private_segment_size 0
		.amdhsa_uses_dynamic_stack 0
		.amdhsa_enable_private_segment 0
		.amdhsa_system_sgpr_workgroup_id_x 1
		.amdhsa_system_sgpr_workgroup_id_y 0
		.amdhsa_system_sgpr_workgroup_id_z 0
		.amdhsa_system_sgpr_workgroup_info 0
		.amdhsa_system_vgpr_workitem_id 0
		.amdhsa_next_free_vgpr 97
		.amdhsa_next_free_sgpr 59
		.amdhsa_accum_offset 100
		.amdhsa_reserve_vcc 1
		.amdhsa_float_round_mode_32 0
		.amdhsa_float_round_mode_16_64 0
		.amdhsa_float_denorm_mode_32 3
		.amdhsa_float_denorm_mode_16_64 3
		.amdhsa_dx10_clamp 1
		.amdhsa_ieee_mode 1
		.amdhsa_fp16_overflow 0
		.amdhsa_tg_split 0
		.amdhsa_exception_fp_ieee_invalid_op 0
		.amdhsa_exception_fp_denorm_src 0
		.amdhsa_exception_fp_ieee_div_zero 0
		.amdhsa_exception_fp_ieee_overflow 0
		.amdhsa_exception_fp_ieee_underflow 0
		.amdhsa_exception_fp_ieee_inexact 0
		.amdhsa_exception_int_div_zero 0
	.end_amdhsa_kernel
	.section	.text._ZN7rocprim17ROCPRIM_400000_NS6detail17trampoline_kernelINS0_14default_configENS1_20scan_config_selectorIN3c107complexIfEEEEZZNS1_9scan_implILNS1_25lookback_scan_determinismE0ELb0ELb0ES3_PKS7_PS7_S7_ZZZN2at6native31launch_logcumsumexp_cuda_kernelERKNSE_10TensorBaseESI_lENKUlvE_clEvENKUlvE2_clEvEUlS7_S7_E_S7_EEDaPvRmT3_T4_T5_mT6_P12ihipStream_tbENKUlT_T0_E_clISt17integral_constantIbLb0EESY_IbLb1EEEEDaSU_SV_EUlSU_E_NS1_11comp_targetILNS1_3genE5ELNS1_11target_archE942ELNS1_3gpuE9ELNS1_3repE0EEENS1_30default_config_static_selectorELNS0_4arch9wavefront6targetE1EEEvT1_,"axG",@progbits,_ZN7rocprim17ROCPRIM_400000_NS6detail17trampoline_kernelINS0_14default_configENS1_20scan_config_selectorIN3c107complexIfEEEEZZNS1_9scan_implILNS1_25lookback_scan_determinismE0ELb0ELb0ES3_PKS7_PS7_S7_ZZZN2at6native31launch_logcumsumexp_cuda_kernelERKNSE_10TensorBaseESI_lENKUlvE_clEvENKUlvE2_clEvEUlS7_S7_E_S7_EEDaPvRmT3_T4_T5_mT6_P12ihipStream_tbENKUlT_T0_E_clISt17integral_constantIbLb0EESY_IbLb1EEEEDaSU_SV_EUlSU_E_NS1_11comp_targetILNS1_3genE5ELNS1_11target_archE942ELNS1_3gpuE9ELNS1_3repE0EEENS1_30default_config_static_selectorELNS0_4arch9wavefront6targetE1EEEvT1_,comdat
.Lfunc_end338:
	.size	_ZN7rocprim17ROCPRIM_400000_NS6detail17trampoline_kernelINS0_14default_configENS1_20scan_config_selectorIN3c107complexIfEEEEZZNS1_9scan_implILNS1_25lookback_scan_determinismE0ELb0ELb0ES3_PKS7_PS7_S7_ZZZN2at6native31launch_logcumsumexp_cuda_kernelERKNSE_10TensorBaseESI_lENKUlvE_clEvENKUlvE2_clEvEUlS7_S7_E_S7_EEDaPvRmT3_T4_T5_mT6_P12ihipStream_tbENKUlT_T0_E_clISt17integral_constantIbLb0EESY_IbLb1EEEEDaSU_SV_EUlSU_E_NS1_11comp_targetILNS1_3genE5ELNS1_11target_archE942ELNS1_3gpuE9ELNS1_3repE0EEENS1_30default_config_static_selectorELNS0_4arch9wavefront6targetE1EEEvT1_, .Lfunc_end338-_ZN7rocprim17ROCPRIM_400000_NS6detail17trampoline_kernelINS0_14default_configENS1_20scan_config_selectorIN3c107complexIfEEEEZZNS1_9scan_implILNS1_25lookback_scan_determinismE0ELb0ELb0ES3_PKS7_PS7_S7_ZZZN2at6native31launch_logcumsumexp_cuda_kernelERKNSE_10TensorBaseESI_lENKUlvE_clEvENKUlvE2_clEvEUlS7_S7_E_S7_EEDaPvRmT3_T4_T5_mT6_P12ihipStream_tbENKUlT_T0_E_clISt17integral_constantIbLb0EESY_IbLb1EEEEDaSU_SV_EUlSU_E_NS1_11comp_targetILNS1_3genE5ELNS1_11target_archE942ELNS1_3gpuE9ELNS1_3repE0EEENS1_30default_config_static_selectorELNS0_4arch9wavefront6targetE1EEEvT1_
                                        ; -- End function
	.section	.AMDGPU.csdata,"",@progbits
; Kernel info:
; codeLenInByte = 8960
; NumSgprs: 65
; NumVgprs: 97
; NumAgprs: 0
; TotalNumVgprs: 97
; ScratchSize: 0
; MemoryBound: 0
; FloatMode: 240
; IeeeMode: 1
; LDSByteSize: 30720 bytes/workgroup (compile time only)
; SGPRBlocks: 8
; VGPRBlocks: 12
; NumSGPRsForWavesPerEU: 65
; NumVGPRsForWavesPerEU: 97
; AccumOffset: 100
; Occupancy: 2
; WaveLimiterHint : 0
; COMPUTE_PGM_RSRC2:SCRATCH_EN: 0
; COMPUTE_PGM_RSRC2:USER_SGPR: 2
; COMPUTE_PGM_RSRC2:TRAP_HANDLER: 0
; COMPUTE_PGM_RSRC2:TGID_X_EN: 1
; COMPUTE_PGM_RSRC2:TGID_Y_EN: 0
; COMPUTE_PGM_RSRC2:TGID_Z_EN: 0
; COMPUTE_PGM_RSRC2:TIDIG_COMP_CNT: 0
; COMPUTE_PGM_RSRC3_GFX90A:ACCUM_OFFSET: 24
; COMPUTE_PGM_RSRC3_GFX90A:TG_SPLIT: 0
	.section	.text._ZN7rocprim17ROCPRIM_400000_NS6detail17trampoline_kernelINS0_14default_configENS1_20scan_config_selectorIN3c107complexIfEEEEZZNS1_9scan_implILNS1_25lookback_scan_determinismE0ELb0ELb0ES3_PKS7_PS7_S7_ZZZN2at6native31launch_logcumsumexp_cuda_kernelERKNSE_10TensorBaseESI_lENKUlvE_clEvENKUlvE2_clEvEUlS7_S7_E_S7_EEDaPvRmT3_T4_T5_mT6_P12ihipStream_tbENKUlT_T0_E_clISt17integral_constantIbLb0EESY_IbLb1EEEEDaSU_SV_EUlSU_E_NS1_11comp_targetILNS1_3genE4ELNS1_11target_archE910ELNS1_3gpuE8ELNS1_3repE0EEENS1_30default_config_static_selectorELNS0_4arch9wavefront6targetE1EEEvT1_,"axG",@progbits,_ZN7rocprim17ROCPRIM_400000_NS6detail17trampoline_kernelINS0_14default_configENS1_20scan_config_selectorIN3c107complexIfEEEEZZNS1_9scan_implILNS1_25lookback_scan_determinismE0ELb0ELb0ES3_PKS7_PS7_S7_ZZZN2at6native31launch_logcumsumexp_cuda_kernelERKNSE_10TensorBaseESI_lENKUlvE_clEvENKUlvE2_clEvEUlS7_S7_E_S7_EEDaPvRmT3_T4_T5_mT6_P12ihipStream_tbENKUlT_T0_E_clISt17integral_constantIbLb0EESY_IbLb1EEEEDaSU_SV_EUlSU_E_NS1_11comp_targetILNS1_3genE4ELNS1_11target_archE910ELNS1_3gpuE8ELNS1_3repE0EEENS1_30default_config_static_selectorELNS0_4arch9wavefront6targetE1EEEvT1_,comdat
	.globl	_ZN7rocprim17ROCPRIM_400000_NS6detail17trampoline_kernelINS0_14default_configENS1_20scan_config_selectorIN3c107complexIfEEEEZZNS1_9scan_implILNS1_25lookback_scan_determinismE0ELb0ELb0ES3_PKS7_PS7_S7_ZZZN2at6native31launch_logcumsumexp_cuda_kernelERKNSE_10TensorBaseESI_lENKUlvE_clEvENKUlvE2_clEvEUlS7_S7_E_S7_EEDaPvRmT3_T4_T5_mT6_P12ihipStream_tbENKUlT_T0_E_clISt17integral_constantIbLb0EESY_IbLb1EEEEDaSU_SV_EUlSU_E_NS1_11comp_targetILNS1_3genE4ELNS1_11target_archE910ELNS1_3gpuE8ELNS1_3repE0EEENS1_30default_config_static_selectorELNS0_4arch9wavefront6targetE1EEEvT1_ ; -- Begin function _ZN7rocprim17ROCPRIM_400000_NS6detail17trampoline_kernelINS0_14default_configENS1_20scan_config_selectorIN3c107complexIfEEEEZZNS1_9scan_implILNS1_25lookback_scan_determinismE0ELb0ELb0ES3_PKS7_PS7_S7_ZZZN2at6native31launch_logcumsumexp_cuda_kernelERKNSE_10TensorBaseESI_lENKUlvE_clEvENKUlvE2_clEvEUlS7_S7_E_S7_EEDaPvRmT3_T4_T5_mT6_P12ihipStream_tbENKUlT_T0_E_clISt17integral_constantIbLb0EESY_IbLb1EEEEDaSU_SV_EUlSU_E_NS1_11comp_targetILNS1_3genE4ELNS1_11target_archE910ELNS1_3gpuE8ELNS1_3repE0EEENS1_30default_config_static_selectorELNS0_4arch9wavefront6targetE1EEEvT1_
	.p2align	8
	.type	_ZN7rocprim17ROCPRIM_400000_NS6detail17trampoline_kernelINS0_14default_configENS1_20scan_config_selectorIN3c107complexIfEEEEZZNS1_9scan_implILNS1_25lookback_scan_determinismE0ELb0ELb0ES3_PKS7_PS7_S7_ZZZN2at6native31launch_logcumsumexp_cuda_kernelERKNSE_10TensorBaseESI_lENKUlvE_clEvENKUlvE2_clEvEUlS7_S7_E_S7_EEDaPvRmT3_T4_T5_mT6_P12ihipStream_tbENKUlT_T0_E_clISt17integral_constantIbLb0EESY_IbLb1EEEEDaSU_SV_EUlSU_E_NS1_11comp_targetILNS1_3genE4ELNS1_11target_archE910ELNS1_3gpuE8ELNS1_3repE0EEENS1_30default_config_static_selectorELNS0_4arch9wavefront6targetE1EEEvT1_,@function
_ZN7rocprim17ROCPRIM_400000_NS6detail17trampoline_kernelINS0_14default_configENS1_20scan_config_selectorIN3c107complexIfEEEEZZNS1_9scan_implILNS1_25lookback_scan_determinismE0ELb0ELb0ES3_PKS7_PS7_S7_ZZZN2at6native31launch_logcumsumexp_cuda_kernelERKNSE_10TensorBaseESI_lENKUlvE_clEvENKUlvE2_clEvEUlS7_S7_E_S7_EEDaPvRmT3_T4_T5_mT6_P12ihipStream_tbENKUlT_T0_E_clISt17integral_constantIbLb0EESY_IbLb1EEEEDaSU_SV_EUlSU_E_NS1_11comp_targetILNS1_3genE4ELNS1_11target_archE910ELNS1_3gpuE8ELNS1_3repE0EEENS1_30default_config_static_selectorELNS0_4arch9wavefront6targetE1EEEvT1_: ; @_ZN7rocprim17ROCPRIM_400000_NS6detail17trampoline_kernelINS0_14default_configENS1_20scan_config_selectorIN3c107complexIfEEEEZZNS1_9scan_implILNS1_25lookback_scan_determinismE0ELb0ELb0ES3_PKS7_PS7_S7_ZZZN2at6native31launch_logcumsumexp_cuda_kernelERKNSE_10TensorBaseESI_lENKUlvE_clEvENKUlvE2_clEvEUlS7_S7_E_S7_EEDaPvRmT3_T4_T5_mT6_P12ihipStream_tbENKUlT_T0_E_clISt17integral_constantIbLb0EESY_IbLb1EEEEDaSU_SV_EUlSU_E_NS1_11comp_targetILNS1_3genE4ELNS1_11target_archE910ELNS1_3gpuE8ELNS1_3repE0EEENS1_30default_config_static_selectorELNS0_4arch9wavefront6targetE1EEEvT1_
; %bb.0:
	.section	.rodata,"a",@progbits
	.p2align	6, 0x0
	.amdhsa_kernel _ZN7rocprim17ROCPRIM_400000_NS6detail17trampoline_kernelINS0_14default_configENS1_20scan_config_selectorIN3c107complexIfEEEEZZNS1_9scan_implILNS1_25lookback_scan_determinismE0ELb0ELb0ES3_PKS7_PS7_S7_ZZZN2at6native31launch_logcumsumexp_cuda_kernelERKNSE_10TensorBaseESI_lENKUlvE_clEvENKUlvE2_clEvEUlS7_S7_E_S7_EEDaPvRmT3_T4_T5_mT6_P12ihipStream_tbENKUlT_T0_E_clISt17integral_constantIbLb0EESY_IbLb1EEEEDaSU_SV_EUlSU_E_NS1_11comp_targetILNS1_3genE4ELNS1_11target_archE910ELNS1_3gpuE8ELNS1_3repE0EEENS1_30default_config_static_selectorELNS0_4arch9wavefront6targetE1EEEvT1_
		.amdhsa_group_segment_fixed_size 0
		.amdhsa_private_segment_fixed_size 0
		.amdhsa_kernarg_size 104
		.amdhsa_user_sgpr_count 2
		.amdhsa_user_sgpr_dispatch_ptr 0
		.amdhsa_user_sgpr_queue_ptr 0
		.amdhsa_user_sgpr_kernarg_segment_ptr 1
		.amdhsa_user_sgpr_dispatch_id 0
		.amdhsa_user_sgpr_kernarg_preload_length 0
		.amdhsa_user_sgpr_kernarg_preload_offset 0
		.amdhsa_user_sgpr_private_segment_size 0
		.amdhsa_uses_dynamic_stack 0
		.amdhsa_enable_private_segment 0
		.amdhsa_system_sgpr_workgroup_id_x 1
		.amdhsa_system_sgpr_workgroup_id_y 0
		.amdhsa_system_sgpr_workgroup_id_z 0
		.amdhsa_system_sgpr_workgroup_info 0
		.amdhsa_system_vgpr_workitem_id 0
		.amdhsa_next_free_vgpr 1
		.amdhsa_next_free_sgpr 0
		.amdhsa_accum_offset 4
		.amdhsa_reserve_vcc 0
		.amdhsa_float_round_mode_32 0
		.amdhsa_float_round_mode_16_64 0
		.amdhsa_float_denorm_mode_32 3
		.amdhsa_float_denorm_mode_16_64 3
		.amdhsa_dx10_clamp 1
		.amdhsa_ieee_mode 1
		.amdhsa_fp16_overflow 0
		.amdhsa_tg_split 0
		.amdhsa_exception_fp_ieee_invalid_op 0
		.amdhsa_exception_fp_denorm_src 0
		.amdhsa_exception_fp_ieee_div_zero 0
		.amdhsa_exception_fp_ieee_overflow 0
		.amdhsa_exception_fp_ieee_underflow 0
		.amdhsa_exception_fp_ieee_inexact 0
		.amdhsa_exception_int_div_zero 0
	.end_amdhsa_kernel
	.section	.text._ZN7rocprim17ROCPRIM_400000_NS6detail17trampoline_kernelINS0_14default_configENS1_20scan_config_selectorIN3c107complexIfEEEEZZNS1_9scan_implILNS1_25lookback_scan_determinismE0ELb0ELb0ES3_PKS7_PS7_S7_ZZZN2at6native31launch_logcumsumexp_cuda_kernelERKNSE_10TensorBaseESI_lENKUlvE_clEvENKUlvE2_clEvEUlS7_S7_E_S7_EEDaPvRmT3_T4_T5_mT6_P12ihipStream_tbENKUlT_T0_E_clISt17integral_constantIbLb0EESY_IbLb1EEEEDaSU_SV_EUlSU_E_NS1_11comp_targetILNS1_3genE4ELNS1_11target_archE910ELNS1_3gpuE8ELNS1_3repE0EEENS1_30default_config_static_selectorELNS0_4arch9wavefront6targetE1EEEvT1_,"axG",@progbits,_ZN7rocprim17ROCPRIM_400000_NS6detail17trampoline_kernelINS0_14default_configENS1_20scan_config_selectorIN3c107complexIfEEEEZZNS1_9scan_implILNS1_25lookback_scan_determinismE0ELb0ELb0ES3_PKS7_PS7_S7_ZZZN2at6native31launch_logcumsumexp_cuda_kernelERKNSE_10TensorBaseESI_lENKUlvE_clEvENKUlvE2_clEvEUlS7_S7_E_S7_EEDaPvRmT3_T4_T5_mT6_P12ihipStream_tbENKUlT_T0_E_clISt17integral_constantIbLb0EESY_IbLb1EEEEDaSU_SV_EUlSU_E_NS1_11comp_targetILNS1_3genE4ELNS1_11target_archE910ELNS1_3gpuE8ELNS1_3repE0EEENS1_30default_config_static_selectorELNS0_4arch9wavefront6targetE1EEEvT1_,comdat
.Lfunc_end339:
	.size	_ZN7rocprim17ROCPRIM_400000_NS6detail17trampoline_kernelINS0_14default_configENS1_20scan_config_selectorIN3c107complexIfEEEEZZNS1_9scan_implILNS1_25lookback_scan_determinismE0ELb0ELb0ES3_PKS7_PS7_S7_ZZZN2at6native31launch_logcumsumexp_cuda_kernelERKNSE_10TensorBaseESI_lENKUlvE_clEvENKUlvE2_clEvEUlS7_S7_E_S7_EEDaPvRmT3_T4_T5_mT6_P12ihipStream_tbENKUlT_T0_E_clISt17integral_constantIbLb0EESY_IbLb1EEEEDaSU_SV_EUlSU_E_NS1_11comp_targetILNS1_3genE4ELNS1_11target_archE910ELNS1_3gpuE8ELNS1_3repE0EEENS1_30default_config_static_selectorELNS0_4arch9wavefront6targetE1EEEvT1_, .Lfunc_end339-_ZN7rocprim17ROCPRIM_400000_NS6detail17trampoline_kernelINS0_14default_configENS1_20scan_config_selectorIN3c107complexIfEEEEZZNS1_9scan_implILNS1_25lookback_scan_determinismE0ELb0ELb0ES3_PKS7_PS7_S7_ZZZN2at6native31launch_logcumsumexp_cuda_kernelERKNSE_10TensorBaseESI_lENKUlvE_clEvENKUlvE2_clEvEUlS7_S7_E_S7_EEDaPvRmT3_T4_T5_mT6_P12ihipStream_tbENKUlT_T0_E_clISt17integral_constantIbLb0EESY_IbLb1EEEEDaSU_SV_EUlSU_E_NS1_11comp_targetILNS1_3genE4ELNS1_11target_archE910ELNS1_3gpuE8ELNS1_3repE0EEENS1_30default_config_static_selectorELNS0_4arch9wavefront6targetE1EEEvT1_
                                        ; -- End function
	.section	.AMDGPU.csdata,"",@progbits
; Kernel info:
; codeLenInByte = 0
; NumSgprs: 6
; NumVgprs: 0
; NumAgprs: 0
; TotalNumVgprs: 0
; ScratchSize: 0
; MemoryBound: 0
; FloatMode: 240
; IeeeMode: 1
; LDSByteSize: 0 bytes/workgroup (compile time only)
; SGPRBlocks: 0
; VGPRBlocks: 0
; NumSGPRsForWavesPerEU: 6
; NumVGPRsForWavesPerEU: 1
; AccumOffset: 4
; Occupancy: 8
; WaveLimiterHint : 0
; COMPUTE_PGM_RSRC2:SCRATCH_EN: 0
; COMPUTE_PGM_RSRC2:USER_SGPR: 2
; COMPUTE_PGM_RSRC2:TRAP_HANDLER: 0
; COMPUTE_PGM_RSRC2:TGID_X_EN: 1
; COMPUTE_PGM_RSRC2:TGID_Y_EN: 0
; COMPUTE_PGM_RSRC2:TGID_Z_EN: 0
; COMPUTE_PGM_RSRC2:TIDIG_COMP_CNT: 0
; COMPUTE_PGM_RSRC3_GFX90A:ACCUM_OFFSET: 0
; COMPUTE_PGM_RSRC3_GFX90A:TG_SPLIT: 0
	.section	.text._ZN7rocprim17ROCPRIM_400000_NS6detail17trampoline_kernelINS0_14default_configENS1_20scan_config_selectorIN3c107complexIfEEEEZZNS1_9scan_implILNS1_25lookback_scan_determinismE0ELb0ELb0ES3_PKS7_PS7_S7_ZZZN2at6native31launch_logcumsumexp_cuda_kernelERKNSE_10TensorBaseESI_lENKUlvE_clEvENKUlvE2_clEvEUlS7_S7_E_S7_EEDaPvRmT3_T4_T5_mT6_P12ihipStream_tbENKUlT_T0_E_clISt17integral_constantIbLb0EESY_IbLb1EEEEDaSU_SV_EUlSU_E_NS1_11comp_targetILNS1_3genE3ELNS1_11target_archE908ELNS1_3gpuE7ELNS1_3repE0EEENS1_30default_config_static_selectorELNS0_4arch9wavefront6targetE1EEEvT1_,"axG",@progbits,_ZN7rocprim17ROCPRIM_400000_NS6detail17trampoline_kernelINS0_14default_configENS1_20scan_config_selectorIN3c107complexIfEEEEZZNS1_9scan_implILNS1_25lookback_scan_determinismE0ELb0ELb0ES3_PKS7_PS7_S7_ZZZN2at6native31launch_logcumsumexp_cuda_kernelERKNSE_10TensorBaseESI_lENKUlvE_clEvENKUlvE2_clEvEUlS7_S7_E_S7_EEDaPvRmT3_T4_T5_mT6_P12ihipStream_tbENKUlT_T0_E_clISt17integral_constantIbLb0EESY_IbLb1EEEEDaSU_SV_EUlSU_E_NS1_11comp_targetILNS1_3genE3ELNS1_11target_archE908ELNS1_3gpuE7ELNS1_3repE0EEENS1_30default_config_static_selectorELNS0_4arch9wavefront6targetE1EEEvT1_,comdat
	.globl	_ZN7rocprim17ROCPRIM_400000_NS6detail17trampoline_kernelINS0_14default_configENS1_20scan_config_selectorIN3c107complexIfEEEEZZNS1_9scan_implILNS1_25lookback_scan_determinismE0ELb0ELb0ES3_PKS7_PS7_S7_ZZZN2at6native31launch_logcumsumexp_cuda_kernelERKNSE_10TensorBaseESI_lENKUlvE_clEvENKUlvE2_clEvEUlS7_S7_E_S7_EEDaPvRmT3_T4_T5_mT6_P12ihipStream_tbENKUlT_T0_E_clISt17integral_constantIbLb0EESY_IbLb1EEEEDaSU_SV_EUlSU_E_NS1_11comp_targetILNS1_3genE3ELNS1_11target_archE908ELNS1_3gpuE7ELNS1_3repE0EEENS1_30default_config_static_selectorELNS0_4arch9wavefront6targetE1EEEvT1_ ; -- Begin function _ZN7rocprim17ROCPRIM_400000_NS6detail17trampoline_kernelINS0_14default_configENS1_20scan_config_selectorIN3c107complexIfEEEEZZNS1_9scan_implILNS1_25lookback_scan_determinismE0ELb0ELb0ES3_PKS7_PS7_S7_ZZZN2at6native31launch_logcumsumexp_cuda_kernelERKNSE_10TensorBaseESI_lENKUlvE_clEvENKUlvE2_clEvEUlS7_S7_E_S7_EEDaPvRmT3_T4_T5_mT6_P12ihipStream_tbENKUlT_T0_E_clISt17integral_constantIbLb0EESY_IbLb1EEEEDaSU_SV_EUlSU_E_NS1_11comp_targetILNS1_3genE3ELNS1_11target_archE908ELNS1_3gpuE7ELNS1_3repE0EEENS1_30default_config_static_selectorELNS0_4arch9wavefront6targetE1EEEvT1_
	.p2align	8
	.type	_ZN7rocprim17ROCPRIM_400000_NS6detail17trampoline_kernelINS0_14default_configENS1_20scan_config_selectorIN3c107complexIfEEEEZZNS1_9scan_implILNS1_25lookback_scan_determinismE0ELb0ELb0ES3_PKS7_PS7_S7_ZZZN2at6native31launch_logcumsumexp_cuda_kernelERKNSE_10TensorBaseESI_lENKUlvE_clEvENKUlvE2_clEvEUlS7_S7_E_S7_EEDaPvRmT3_T4_T5_mT6_P12ihipStream_tbENKUlT_T0_E_clISt17integral_constantIbLb0EESY_IbLb1EEEEDaSU_SV_EUlSU_E_NS1_11comp_targetILNS1_3genE3ELNS1_11target_archE908ELNS1_3gpuE7ELNS1_3repE0EEENS1_30default_config_static_selectorELNS0_4arch9wavefront6targetE1EEEvT1_,@function
_ZN7rocprim17ROCPRIM_400000_NS6detail17trampoline_kernelINS0_14default_configENS1_20scan_config_selectorIN3c107complexIfEEEEZZNS1_9scan_implILNS1_25lookback_scan_determinismE0ELb0ELb0ES3_PKS7_PS7_S7_ZZZN2at6native31launch_logcumsumexp_cuda_kernelERKNSE_10TensorBaseESI_lENKUlvE_clEvENKUlvE2_clEvEUlS7_S7_E_S7_EEDaPvRmT3_T4_T5_mT6_P12ihipStream_tbENKUlT_T0_E_clISt17integral_constantIbLb0EESY_IbLb1EEEEDaSU_SV_EUlSU_E_NS1_11comp_targetILNS1_3genE3ELNS1_11target_archE908ELNS1_3gpuE7ELNS1_3repE0EEENS1_30default_config_static_selectorELNS0_4arch9wavefront6targetE1EEEvT1_: ; @_ZN7rocprim17ROCPRIM_400000_NS6detail17trampoline_kernelINS0_14default_configENS1_20scan_config_selectorIN3c107complexIfEEEEZZNS1_9scan_implILNS1_25lookback_scan_determinismE0ELb0ELb0ES3_PKS7_PS7_S7_ZZZN2at6native31launch_logcumsumexp_cuda_kernelERKNSE_10TensorBaseESI_lENKUlvE_clEvENKUlvE2_clEvEUlS7_S7_E_S7_EEDaPvRmT3_T4_T5_mT6_P12ihipStream_tbENKUlT_T0_E_clISt17integral_constantIbLb0EESY_IbLb1EEEEDaSU_SV_EUlSU_E_NS1_11comp_targetILNS1_3genE3ELNS1_11target_archE908ELNS1_3gpuE7ELNS1_3repE0EEENS1_30default_config_static_selectorELNS0_4arch9wavefront6targetE1EEEvT1_
; %bb.0:
	.section	.rodata,"a",@progbits
	.p2align	6, 0x0
	.amdhsa_kernel _ZN7rocprim17ROCPRIM_400000_NS6detail17trampoline_kernelINS0_14default_configENS1_20scan_config_selectorIN3c107complexIfEEEEZZNS1_9scan_implILNS1_25lookback_scan_determinismE0ELb0ELb0ES3_PKS7_PS7_S7_ZZZN2at6native31launch_logcumsumexp_cuda_kernelERKNSE_10TensorBaseESI_lENKUlvE_clEvENKUlvE2_clEvEUlS7_S7_E_S7_EEDaPvRmT3_T4_T5_mT6_P12ihipStream_tbENKUlT_T0_E_clISt17integral_constantIbLb0EESY_IbLb1EEEEDaSU_SV_EUlSU_E_NS1_11comp_targetILNS1_3genE3ELNS1_11target_archE908ELNS1_3gpuE7ELNS1_3repE0EEENS1_30default_config_static_selectorELNS0_4arch9wavefront6targetE1EEEvT1_
		.amdhsa_group_segment_fixed_size 0
		.amdhsa_private_segment_fixed_size 0
		.amdhsa_kernarg_size 104
		.amdhsa_user_sgpr_count 2
		.amdhsa_user_sgpr_dispatch_ptr 0
		.amdhsa_user_sgpr_queue_ptr 0
		.amdhsa_user_sgpr_kernarg_segment_ptr 1
		.amdhsa_user_sgpr_dispatch_id 0
		.amdhsa_user_sgpr_kernarg_preload_length 0
		.amdhsa_user_sgpr_kernarg_preload_offset 0
		.amdhsa_user_sgpr_private_segment_size 0
		.amdhsa_uses_dynamic_stack 0
		.amdhsa_enable_private_segment 0
		.amdhsa_system_sgpr_workgroup_id_x 1
		.amdhsa_system_sgpr_workgroup_id_y 0
		.amdhsa_system_sgpr_workgroup_id_z 0
		.amdhsa_system_sgpr_workgroup_info 0
		.amdhsa_system_vgpr_workitem_id 0
		.amdhsa_next_free_vgpr 1
		.amdhsa_next_free_sgpr 0
		.amdhsa_accum_offset 4
		.amdhsa_reserve_vcc 0
		.amdhsa_float_round_mode_32 0
		.amdhsa_float_round_mode_16_64 0
		.amdhsa_float_denorm_mode_32 3
		.amdhsa_float_denorm_mode_16_64 3
		.amdhsa_dx10_clamp 1
		.amdhsa_ieee_mode 1
		.amdhsa_fp16_overflow 0
		.amdhsa_tg_split 0
		.amdhsa_exception_fp_ieee_invalid_op 0
		.amdhsa_exception_fp_denorm_src 0
		.amdhsa_exception_fp_ieee_div_zero 0
		.amdhsa_exception_fp_ieee_overflow 0
		.amdhsa_exception_fp_ieee_underflow 0
		.amdhsa_exception_fp_ieee_inexact 0
		.amdhsa_exception_int_div_zero 0
	.end_amdhsa_kernel
	.section	.text._ZN7rocprim17ROCPRIM_400000_NS6detail17trampoline_kernelINS0_14default_configENS1_20scan_config_selectorIN3c107complexIfEEEEZZNS1_9scan_implILNS1_25lookback_scan_determinismE0ELb0ELb0ES3_PKS7_PS7_S7_ZZZN2at6native31launch_logcumsumexp_cuda_kernelERKNSE_10TensorBaseESI_lENKUlvE_clEvENKUlvE2_clEvEUlS7_S7_E_S7_EEDaPvRmT3_T4_T5_mT6_P12ihipStream_tbENKUlT_T0_E_clISt17integral_constantIbLb0EESY_IbLb1EEEEDaSU_SV_EUlSU_E_NS1_11comp_targetILNS1_3genE3ELNS1_11target_archE908ELNS1_3gpuE7ELNS1_3repE0EEENS1_30default_config_static_selectorELNS0_4arch9wavefront6targetE1EEEvT1_,"axG",@progbits,_ZN7rocprim17ROCPRIM_400000_NS6detail17trampoline_kernelINS0_14default_configENS1_20scan_config_selectorIN3c107complexIfEEEEZZNS1_9scan_implILNS1_25lookback_scan_determinismE0ELb0ELb0ES3_PKS7_PS7_S7_ZZZN2at6native31launch_logcumsumexp_cuda_kernelERKNSE_10TensorBaseESI_lENKUlvE_clEvENKUlvE2_clEvEUlS7_S7_E_S7_EEDaPvRmT3_T4_T5_mT6_P12ihipStream_tbENKUlT_T0_E_clISt17integral_constantIbLb0EESY_IbLb1EEEEDaSU_SV_EUlSU_E_NS1_11comp_targetILNS1_3genE3ELNS1_11target_archE908ELNS1_3gpuE7ELNS1_3repE0EEENS1_30default_config_static_selectorELNS0_4arch9wavefront6targetE1EEEvT1_,comdat
.Lfunc_end340:
	.size	_ZN7rocprim17ROCPRIM_400000_NS6detail17trampoline_kernelINS0_14default_configENS1_20scan_config_selectorIN3c107complexIfEEEEZZNS1_9scan_implILNS1_25lookback_scan_determinismE0ELb0ELb0ES3_PKS7_PS7_S7_ZZZN2at6native31launch_logcumsumexp_cuda_kernelERKNSE_10TensorBaseESI_lENKUlvE_clEvENKUlvE2_clEvEUlS7_S7_E_S7_EEDaPvRmT3_T4_T5_mT6_P12ihipStream_tbENKUlT_T0_E_clISt17integral_constantIbLb0EESY_IbLb1EEEEDaSU_SV_EUlSU_E_NS1_11comp_targetILNS1_3genE3ELNS1_11target_archE908ELNS1_3gpuE7ELNS1_3repE0EEENS1_30default_config_static_selectorELNS0_4arch9wavefront6targetE1EEEvT1_, .Lfunc_end340-_ZN7rocprim17ROCPRIM_400000_NS6detail17trampoline_kernelINS0_14default_configENS1_20scan_config_selectorIN3c107complexIfEEEEZZNS1_9scan_implILNS1_25lookback_scan_determinismE0ELb0ELb0ES3_PKS7_PS7_S7_ZZZN2at6native31launch_logcumsumexp_cuda_kernelERKNSE_10TensorBaseESI_lENKUlvE_clEvENKUlvE2_clEvEUlS7_S7_E_S7_EEDaPvRmT3_T4_T5_mT6_P12ihipStream_tbENKUlT_T0_E_clISt17integral_constantIbLb0EESY_IbLb1EEEEDaSU_SV_EUlSU_E_NS1_11comp_targetILNS1_3genE3ELNS1_11target_archE908ELNS1_3gpuE7ELNS1_3repE0EEENS1_30default_config_static_selectorELNS0_4arch9wavefront6targetE1EEEvT1_
                                        ; -- End function
	.section	.AMDGPU.csdata,"",@progbits
; Kernel info:
; codeLenInByte = 0
; NumSgprs: 6
; NumVgprs: 0
; NumAgprs: 0
; TotalNumVgprs: 0
; ScratchSize: 0
; MemoryBound: 0
; FloatMode: 240
; IeeeMode: 1
; LDSByteSize: 0 bytes/workgroup (compile time only)
; SGPRBlocks: 0
; VGPRBlocks: 0
; NumSGPRsForWavesPerEU: 6
; NumVGPRsForWavesPerEU: 1
; AccumOffset: 4
; Occupancy: 8
; WaveLimiterHint : 0
; COMPUTE_PGM_RSRC2:SCRATCH_EN: 0
; COMPUTE_PGM_RSRC2:USER_SGPR: 2
; COMPUTE_PGM_RSRC2:TRAP_HANDLER: 0
; COMPUTE_PGM_RSRC2:TGID_X_EN: 1
; COMPUTE_PGM_RSRC2:TGID_Y_EN: 0
; COMPUTE_PGM_RSRC2:TGID_Z_EN: 0
; COMPUTE_PGM_RSRC2:TIDIG_COMP_CNT: 0
; COMPUTE_PGM_RSRC3_GFX90A:ACCUM_OFFSET: 0
; COMPUTE_PGM_RSRC3_GFX90A:TG_SPLIT: 0
	.section	.text._ZN7rocprim17ROCPRIM_400000_NS6detail17trampoline_kernelINS0_14default_configENS1_20scan_config_selectorIN3c107complexIfEEEEZZNS1_9scan_implILNS1_25lookback_scan_determinismE0ELb0ELb0ES3_PKS7_PS7_S7_ZZZN2at6native31launch_logcumsumexp_cuda_kernelERKNSE_10TensorBaseESI_lENKUlvE_clEvENKUlvE2_clEvEUlS7_S7_E_S7_EEDaPvRmT3_T4_T5_mT6_P12ihipStream_tbENKUlT_T0_E_clISt17integral_constantIbLb0EESY_IbLb1EEEEDaSU_SV_EUlSU_E_NS1_11comp_targetILNS1_3genE2ELNS1_11target_archE906ELNS1_3gpuE6ELNS1_3repE0EEENS1_30default_config_static_selectorELNS0_4arch9wavefront6targetE1EEEvT1_,"axG",@progbits,_ZN7rocprim17ROCPRIM_400000_NS6detail17trampoline_kernelINS0_14default_configENS1_20scan_config_selectorIN3c107complexIfEEEEZZNS1_9scan_implILNS1_25lookback_scan_determinismE0ELb0ELb0ES3_PKS7_PS7_S7_ZZZN2at6native31launch_logcumsumexp_cuda_kernelERKNSE_10TensorBaseESI_lENKUlvE_clEvENKUlvE2_clEvEUlS7_S7_E_S7_EEDaPvRmT3_T4_T5_mT6_P12ihipStream_tbENKUlT_T0_E_clISt17integral_constantIbLb0EESY_IbLb1EEEEDaSU_SV_EUlSU_E_NS1_11comp_targetILNS1_3genE2ELNS1_11target_archE906ELNS1_3gpuE6ELNS1_3repE0EEENS1_30default_config_static_selectorELNS0_4arch9wavefront6targetE1EEEvT1_,comdat
	.globl	_ZN7rocprim17ROCPRIM_400000_NS6detail17trampoline_kernelINS0_14default_configENS1_20scan_config_selectorIN3c107complexIfEEEEZZNS1_9scan_implILNS1_25lookback_scan_determinismE0ELb0ELb0ES3_PKS7_PS7_S7_ZZZN2at6native31launch_logcumsumexp_cuda_kernelERKNSE_10TensorBaseESI_lENKUlvE_clEvENKUlvE2_clEvEUlS7_S7_E_S7_EEDaPvRmT3_T4_T5_mT6_P12ihipStream_tbENKUlT_T0_E_clISt17integral_constantIbLb0EESY_IbLb1EEEEDaSU_SV_EUlSU_E_NS1_11comp_targetILNS1_3genE2ELNS1_11target_archE906ELNS1_3gpuE6ELNS1_3repE0EEENS1_30default_config_static_selectorELNS0_4arch9wavefront6targetE1EEEvT1_ ; -- Begin function _ZN7rocprim17ROCPRIM_400000_NS6detail17trampoline_kernelINS0_14default_configENS1_20scan_config_selectorIN3c107complexIfEEEEZZNS1_9scan_implILNS1_25lookback_scan_determinismE0ELb0ELb0ES3_PKS7_PS7_S7_ZZZN2at6native31launch_logcumsumexp_cuda_kernelERKNSE_10TensorBaseESI_lENKUlvE_clEvENKUlvE2_clEvEUlS7_S7_E_S7_EEDaPvRmT3_T4_T5_mT6_P12ihipStream_tbENKUlT_T0_E_clISt17integral_constantIbLb0EESY_IbLb1EEEEDaSU_SV_EUlSU_E_NS1_11comp_targetILNS1_3genE2ELNS1_11target_archE906ELNS1_3gpuE6ELNS1_3repE0EEENS1_30default_config_static_selectorELNS0_4arch9wavefront6targetE1EEEvT1_
	.p2align	8
	.type	_ZN7rocprim17ROCPRIM_400000_NS6detail17trampoline_kernelINS0_14default_configENS1_20scan_config_selectorIN3c107complexIfEEEEZZNS1_9scan_implILNS1_25lookback_scan_determinismE0ELb0ELb0ES3_PKS7_PS7_S7_ZZZN2at6native31launch_logcumsumexp_cuda_kernelERKNSE_10TensorBaseESI_lENKUlvE_clEvENKUlvE2_clEvEUlS7_S7_E_S7_EEDaPvRmT3_T4_T5_mT6_P12ihipStream_tbENKUlT_T0_E_clISt17integral_constantIbLb0EESY_IbLb1EEEEDaSU_SV_EUlSU_E_NS1_11comp_targetILNS1_3genE2ELNS1_11target_archE906ELNS1_3gpuE6ELNS1_3repE0EEENS1_30default_config_static_selectorELNS0_4arch9wavefront6targetE1EEEvT1_,@function
_ZN7rocprim17ROCPRIM_400000_NS6detail17trampoline_kernelINS0_14default_configENS1_20scan_config_selectorIN3c107complexIfEEEEZZNS1_9scan_implILNS1_25lookback_scan_determinismE0ELb0ELb0ES3_PKS7_PS7_S7_ZZZN2at6native31launch_logcumsumexp_cuda_kernelERKNSE_10TensorBaseESI_lENKUlvE_clEvENKUlvE2_clEvEUlS7_S7_E_S7_EEDaPvRmT3_T4_T5_mT6_P12ihipStream_tbENKUlT_T0_E_clISt17integral_constantIbLb0EESY_IbLb1EEEEDaSU_SV_EUlSU_E_NS1_11comp_targetILNS1_3genE2ELNS1_11target_archE906ELNS1_3gpuE6ELNS1_3repE0EEENS1_30default_config_static_selectorELNS0_4arch9wavefront6targetE1EEEvT1_: ; @_ZN7rocprim17ROCPRIM_400000_NS6detail17trampoline_kernelINS0_14default_configENS1_20scan_config_selectorIN3c107complexIfEEEEZZNS1_9scan_implILNS1_25lookback_scan_determinismE0ELb0ELb0ES3_PKS7_PS7_S7_ZZZN2at6native31launch_logcumsumexp_cuda_kernelERKNSE_10TensorBaseESI_lENKUlvE_clEvENKUlvE2_clEvEUlS7_S7_E_S7_EEDaPvRmT3_T4_T5_mT6_P12ihipStream_tbENKUlT_T0_E_clISt17integral_constantIbLb0EESY_IbLb1EEEEDaSU_SV_EUlSU_E_NS1_11comp_targetILNS1_3genE2ELNS1_11target_archE906ELNS1_3gpuE6ELNS1_3repE0EEENS1_30default_config_static_selectorELNS0_4arch9wavefront6targetE1EEEvT1_
; %bb.0:
	.section	.rodata,"a",@progbits
	.p2align	6, 0x0
	.amdhsa_kernel _ZN7rocprim17ROCPRIM_400000_NS6detail17trampoline_kernelINS0_14default_configENS1_20scan_config_selectorIN3c107complexIfEEEEZZNS1_9scan_implILNS1_25lookback_scan_determinismE0ELb0ELb0ES3_PKS7_PS7_S7_ZZZN2at6native31launch_logcumsumexp_cuda_kernelERKNSE_10TensorBaseESI_lENKUlvE_clEvENKUlvE2_clEvEUlS7_S7_E_S7_EEDaPvRmT3_T4_T5_mT6_P12ihipStream_tbENKUlT_T0_E_clISt17integral_constantIbLb0EESY_IbLb1EEEEDaSU_SV_EUlSU_E_NS1_11comp_targetILNS1_3genE2ELNS1_11target_archE906ELNS1_3gpuE6ELNS1_3repE0EEENS1_30default_config_static_selectorELNS0_4arch9wavefront6targetE1EEEvT1_
		.amdhsa_group_segment_fixed_size 0
		.amdhsa_private_segment_fixed_size 0
		.amdhsa_kernarg_size 104
		.amdhsa_user_sgpr_count 2
		.amdhsa_user_sgpr_dispatch_ptr 0
		.amdhsa_user_sgpr_queue_ptr 0
		.amdhsa_user_sgpr_kernarg_segment_ptr 1
		.amdhsa_user_sgpr_dispatch_id 0
		.amdhsa_user_sgpr_kernarg_preload_length 0
		.amdhsa_user_sgpr_kernarg_preload_offset 0
		.amdhsa_user_sgpr_private_segment_size 0
		.amdhsa_uses_dynamic_stack 0
		.amdhsa_enable_private_segment 0
		.amdhsa_system_sgpr_workgroup_id_x 1
		.amdhsa_system_sgpr_workgroup_id_y 0
		.amdhsa_system_sgpr_workgroup_id_z 0
		.amdhsa_system_sgpr_workgroup_info 0
		.amdhsa_system_vgpr_workitem_id 0
		.amdhsa_next_free_vgpr 1
		.amdhsa_next_free_sgpr 0
		.amdhsa_accum_offset 4
		.amdhsa_reserve_vcc 0
		.amdhsa_float_round_mode_32 0
		.amdhsa_float_round_mode_16_64 0
		.amdhsa_float_denorm_mode_32 3
		.amdhsa_float_denorm_mode_16_64 3
		.amdhsa_dx10_clamp 1
		.amdhsa_ieee_mode 1
		.amdhsa_fp16_overflow 0
		.amdhsa_tg_split 0
		.amdhsa_exception_fp_ieee_invalid_op 0
		.amdhsa_exception_fp_denorm_src 0
		.amdhsa_exception_fp_ieee_div_zero 0
		.amdhsa_exception_fp_ieee_overflow 0
		.amdhsa_exception_fp_ieee_underflow 0
		.amdhsa_exception_fp_ieee_inexact 0
		.amdhsa_exception_int_div_zero 0
	.end_amdhsa_kernel
	.section	.text._ZN7rocprim17ROCPRIM_400000_NS6detail17trampoline_kernelINS0_14default_configENS1_20scan_config_selectorIN3c107complexIfEEEEZZNS1_9scan_implILNS1_25lookback_scan_determinismE0ELb0ELb0ES3_PKS7_PS7_S7_ZZZN2at6native31launch_logcumsumexp_cuda_kernelERKNSE_10TensorBaseESI_lENKUlvE_clEvENKUlvE2_clEvEUlS7_S7_E_S7_EEDaPvRmT3_T4_T5_mT6_P12ihipStream_tbENKUlT_T0_E_clISt17integral_constantIbLb0EESY_IbLb1EEEEDaSU_SV_EUlSU_E_NS1_11comp_targetILNS1_3genE2ELNS1_11target_archE906ELNS1_3gpuE6ELNS1_3repE0EEENS1_30default_config_static_selectorELNS0_4arch9wavefront6targetE1EEEvT1_,"axG",@progbits,_ZN7rocprim17ROCPRIM_400000_NS6detail17trampoline_kernelINS0_14default_configENS1_20scan_config_selectorIN3c107complexIfEEEEZZNS1_9scan_implILNS1_25lookback_scan_determinismE0ELb0ELb0ES3_PKS7_PS7_S7_ZZZN2at6native31launch_logcumsumexp_cuda_kernelERKNSE_10TensorBaseESI_lENKUlvE_clEvENKUlvE2_clEvEUlS7_S7_E_S7_EEDaPvRmT3_T4_T5_mT6_P12ihipStream_tbENKUlT_T0_E_clISt17integral_constantIbLb0EESY_IbLb1EEEEDaSU_SV_EUlSU_E_NS1_11comp_targetILNS1_3genE2ELNS1_11target_archE906ELNS1_3gpuE6ELNS1_3repE0EEENS1_30default_config_static_selectorELNS0_4arch9wavefront6targetE1EEEvT1_,comdat
.Lfunc_end341:
	.size	_ZN7rocprim17ROCPRIM_400000_NS6detail17trampoline_kernelINS0_14default_configENS1_20scan_config_selectorIN3c107complexIfEEEEZZNS1_9scan_implILNS1_25lookback_scan_determinismE0ELb0ELb0ES3_PKS7_PS7_S7_ZZZN2at6native31launch_logcumsumexp_cuda_kernelERKNSE_10TensorBaseESI_lENKUlvE_clEvENKUlvE2_clEvEUlS7_S7_E_S7_EEDaPvRmT3_T4_T5_mT6_P12ihipStream_tbENKUlT_T0_E_clISt17integral_constantIbLb0EESY_IbLb1EEEEDaSU_SV_EUlSU_E_NS1_11comp_targetILNS1_3genE2ELNS1_11target_archE906ELNS1_3gpuE6ELNS1_3repE0EEENS1_30default_config_static_selectorELNS0_4arch9wavefront6targetE1EEEvT1_, .Lfunc_end341-_ZN7rocprim17ROCPRIM_400000_NS6detail17trampoline_kernelINS0_14default_configENS1_20scan_config_selectorIN3c107complexIfEEEEZZNS1_9scan_implILNS1_25lookback_scan_determinismE0ELb0ELb0ES3_PKS7_PS7_S7_ZZZN2at6native31launch_logcumsumexp_cuda_kernelERKNSE_10TensorBaseESI_lENKUlvE_clEvENKUlvE2_clEvEUlS7_S7_E_S7_EEDaPvRmT3_T4_T5_mT6_P12ihipStream_tbENKUlT_T0_E_clISt17integral_constantIbLb0EESY_IbLb1EEEEDaSU_SV_EUlSU_E_NS1_11comp_targetILNS1_3genE2ELNS1_11target_archE906ELNS1_3gpuE6ELNS1_3repE0EEENS1_30default_config_static_selectorELNS0_4arch9wavefront6targetE1EEEvT1_
                                        ; -- End function
	.section	.AMDGPU.csdata,"",@progbits
; Kernel info:
; codeLenInByte = 0
; NumSgprs: 6
; NumVgprs: 0
; NumAgprs: 0
; TotalNumVgprs: 0
; ScratchSize: 0
; MemoryBound: 0
; FloatMode: 240
; IeeeMode: 1
; LDSByteSize: 0 bytes/workgroup (compile time only)
; SGPRBlocks: 0
; VGPRBlocks: 0
; NumSGPRsForWavesPerEU: 6
; NumVGPRsForWavesPerEU: 1
; AccumOffset: 4
; Occupancy: 8
; WaveLimiterHint : 0
; COMPUTE_PGM_RSRC2:SCRATCH_EN: 0
; COMPUTE_PGM_RSRC2:USER_SGPR: 2
; COMPUTE_PGM_RSRC2:TRAP_HANDLER: 0
; COMPUTE_PGM_RSRC2:TGID_X_EN: 1
; COMPUTE_PGM_RSRC2:TGID_Y_EN: 0
; COMPUTE_PGM_RSRC2:TGID_Z_EN: 0
; COMPUTE_PGM_RSRC2:TIDIG_COMP_CNT: 0
; COMPUTE_PGM_RSRC3_GFX90A:ACCUM_OFFSET: 0
; COMPUTE_PGM_RSRC3_GFX90A:TG_SPLIT: 0
	.section	.text._ZN7rocprim17ROCPRIM_400000_NS6detail17trampoline_kernelINS0_14default_configENS1_20scan_config_selectorIN3c107complexIfEEEEZZNS1_9scan_implILNS1_25lookback_scan_determinismE0ELb0ELb0ES3_PKS7_PS7_S7_ZZZN2at6native31launch_logcumsumexp_cuda_kernelERKNSE_10TensorBaseESI_lENKUlvE_clEvENKUlvE2_clEvEUlS7_S7_E_S7_EEDaPvRmT3_T4_T5_mT6_P12ihipStream_tbENKUlT_T0_E_clISt17integral_constantIbLb0EESY_IbLb1EEEEDaSU_SV_EUlSU_E_NS1_11comp_targetILNS1_3genE10ELNS1_11target_archE1201ELNS1_3gpuE5ELNS1_3repE0EEENS1_30default_config_static_selectorELNS0_4arch9wavefront6targetE1EEEvT1_,"axG",@progbits,_ZN7rocprim17ROCPRIM_400000_NS6detail17trampoline_kernelINS0_14default_configENS1_20scan_config_selectorIN3c107complexIfEEEEZZNS1_9scan_implILNS1_25lookback_scan_determinismE0ELb0ELb0ES3_PKS7_PS7_S7_ZZZN2at6native31launch_logcumsumexp_cuda_kernelERKNSE_10TensorBaseESI_lENKUlvE_clEvENKUlvE2_clEvEUlS7_S7_E_S7_EEDaPvRmT3_T4_T5_mT6_P12ihipStream_tbENKUlT_T0_E_clISt17integral_constantIbLb0EESY_IbLb1EEEEDaSU_SV_EUlSU_E_NS1_11comp_targetILNS1_3genE10ELNS1_11target_archE1201ELNS1_3gpuE5ELNS1_3repE0EEENS1_30default_config_static_selectorELNS0_4arch9wavefront6targetE1EEEvT1_,comdat
	.globl	_ZN7rocprim17ROCPRIM_400000_NS6detail17trampoline_kernelINS0_14default_configENS1_20scan_config_selectorIN3c107complexIfEEEEZZNS1_9scan_implILNS1_25lookback_scan_determinismE0ELb0ELb0ES3_PKS7_PS7_S7_ZZZN2at6native31launch_logcumsumexp_cuda_kernelERKNSE_10TensorBaseESI_lENKUlvE_clEvENKUlvE2_clEvEUlS7_S7_E_S7_EEDaPvRmT3_T4_T5_mT6_P12ihipStream_tbENKUlT_T0_E_clISt17integral_constantIbLb0EESY_IbLb1EEEEDaSU_SV_EUlSU_E_NS1_11comp_targetILNS1_3genE10ELNS1_11target_archE1201ELNS1_3gpuE5ELNS1_3repE0EEENS1_30default_config_static_selectorELNS0_4arch9wavefront6targetE1EEEvT1_ ; -- Begin function _ZN7rocprim17ROCPRIM_400000_NS6detail17trampoline_kernelINS0_14default_configENS1_20scan_config_selectorIN3c107complexIfEEEEZZNS1_9scan_implILNS1_25lookback_scan_determinismE0ELb0ELb0ES3_PKS7_PS7_S7_ZZZN2at6native31launch_logcumsumexp_cuda_kernelERKNSE_10TensorBaseESI_lENKUlvE_clEvENKUlvE2_clEvEUlS7_S7_E_S7_EEDaPvRmT3_T4_T5_mT6_P12ihipStream_tbENKUlT_T0_E_clISt17integral_constantIbLb0EESY_IbLb1EEEEDaSU_SV_EUlSU_E_NS1_11comp_targetILNS1_3genE10ELNS1_11target_archE1201ELNS1_3gpuE5ELNS1_3repE0EEENS1_30default_config_static_selectorELNS0_4arch9wavefront6targetE1EEEvT1_
	.p2align	8
	.type	_ZN7rocprim17ROCPRIM_400000_NS6detail17trampoline_kernelINS0_14default_configENS1_20scan_config_selectorIN3c107complexIfEEEEZZNS1_9scan_implILNS1_25lookback_scan_determinismE0ELb0ELb0ES3_PKS7_PS7_S7_ZZZN2at6native31launch_logcumsumexp_cuda_kernelERKNSE_10TensorBaseESI_lENKUlvE_clEvENKUlvE2_clEvEUlS7_S7_E_S7_EEDaPvRmT3_T4_T5_mT6_P12ihipStream_tbENKUlT_T0_E_clISt17integral_constantIbLb0EESY_IbLb1EEEEDaSU_SV_EUlSU_E_NS1_11comp_targetILNS1_3genE10ELNS1_11target_archE1201ELNS1_3gpuE5ELNS1_3repE0EEENS1_30default_config_static_selectorELNS0_4arch9wavefront6targetE1EEEvT1_,@function
_ZN7rocprim17ROCPRIM_400000_NS6detail17trampoline_kernelINS0_14default_configENS1_20scan_config_selectorIN3c107complexIfEEEEZZNS1_9scan_implILNS1_25lookback_scan_determinismE0ELb0ELb0ES3_PKS7_PS7_S7_ZZZN2at6native31launch_logcumsumexp_cuda_kernelERKNSE_10TensorBaseESI_lENKUlvE_clEvENKUlvE2_clEvEUlS7_S7_E_S7_EEDaPvRmT3_T4_T5_mT6_P12ihipStream_tbENKUlT_T0_E_clISt17integral_constantIbLb0EESY_IbLb1EEEEDaSU_SV_EUlSU_E_NS1_11comp_targetILNS1_3genE10ELNS1_11target_archE1201ELNS1_3gpuE5ELNS1_3repE0EEENS1_30default_config_static_selectorELNS0_4arch9wavefront6targetE1EEEvT1_: ; @_ZN7rocprim17ROCPRIM_400000_NS6detail17trampoline_kernelINS0_14default_configENS1_20scan_config_selectorIN3c107complexIfEEEEZZNS1_9scan_implILNS1_25lookback_scan_determinismE0ELb0ELb0ES3_PKS7_PS7_S7_ZZZN2at6native31launch_logcumsumexp_cuda_kernelERKNSE_10TensorBaseESI_lENKUlvE_clEvENKUlvE2_clEvEUlS7_S7_E_S7_EEDaPvRmT3_T4_T5_mT6_P12ihipStream_tbENKUlT_T0_E_clISt17integral_constantIbLb0EESY_IbLb1EEEEDaSU_SV_EUlSU_E_NS1_11comp_targetILNS1_3genE10ELNS1_11target_archE1201ELNS1_3gpuE5ELNS1_3repE0EEENS1_30default_config_static_selectorELNS0_4arch9wavefront6targetE1EEEvT1_
; %bb.0:
	.section	.rodata,"a",@progbits
	.p2align	6, 0x0
	.amdhsa_kernel _ZN7rocprim17ROCPRIM_400000_NS6detail17trampoline_kernelINS0_14default_configENS1_20scan_config_selectorIN3c107complexIfEEEEZZNS1_9scan_implILNS1_25lookback_scan_determinismE0ELb0ELb0ES3_PKS7_PS7_S7_ZZZN2at6native31launch_logcumsumexp_cuda_kernelERKNSE_10TensorBaseESI_lENKUlvE_clEvENKUlvE2_clEvEUlS7_S7_E_S7_EEDaPvRmT3_T4_T5_mT6_P12ihipStream_tbENKUlT_T0_E_clISt17integral_constantIbLb0EESY_IbLb1EEEEDaSU_SV_EUlSU_E_NS1_11comp_targetILNS1_3genE10ELNS1_11target_archE1201ELNS1_3gpuE5ELNS1_3repE0EEENS1_30default_config_static_selectorELNS0_4arch9wavefront6targetE1EEEvT1_
		.amdhsa_group_segment_fixed_size 0
		.amdhsa_private_segment_fixed_size 0
		.amdhsa_kernarg_size 104
		.amdhsa_user_sgpr_count 2
		.amdhsa_user_sgpr_dispatch_ptr 0
		.amdhsa_user_sgpr_queue_ptr 0
		.amdhsa_user_sgpr_kernarg_segment_ptr 1
		.amdhsa_user_sgpr_dispatch_id 0
		.amdhsa_user_sgpr_kernarg_preload_length 0
		.amdhsa_user_sgpr_kernarg_preload_offset 0
		.amdhsa_user_sgpr_private_segment_size 0
		.amdhsa_uses_dynamic_stack 0
		.amdhsa_enable_private_segment 0
		.amdhsa_system_sgpr_workgroup_id_x 1
		.amdhsa_system_sgpr_workgroup_id_y 0
		.amdhsa_system_sgpr_workgroup_id_z 0
		.amdhsa_system_sgpr_workgroup_info 0
		.amdhsa_system_vgpr_workitem_id 0
		.amdhsa_next_free_vgpr 1
		.amdhsa_next_free_sgpr 0
		.amdhsa_accum_offset 4
		.amdhsa_reserve_vcc 0
		.amdhsa_float_round_mode_32 0
		.amdhsa_float_round_mode_16_64 0
		.amdhsa_float_denorm_mode_32 3
		.amdhsa_float_denorm_mode_16_64 3
		.amdhsa_dx10_clamp 1
		.amdhsa_ieee_mode 1
		.amdhsa_fp16_overflow 0
		.amdhsa_tg_split 0
		.amdhsa_exception_fp_ieee_invalid_op 0
		.amdhsa_exception_fp_denorm_src 0
		.amdhsa_exception_fp_ieee_div_zero 0
		.amdhsa_exception_fp_ieee_overflow 0
		.amdhsa_exception_fp_ieee_underflow 0
		.amdhsa_exception_fp_ieee_inexact 0
		.amdhsa_exception_int_div_zero 0
	.end_amdhsa_kernel
	.section	.text._ZN7rocprim17ROCPRIM_400000_NS6detail17trampoline_kernelINS0_14default_configENS1_20scan_config_selectorIN3c107complexIfEEEEZZNS1_9scan_implILNS1_25lookback_scan_determinismE0ELb0ELb0ES3_PKS7_PS7_S7_ZZZN2at6native31launch_logcumsumexp_cuda_kernelERKNSE_10TensorBaseESI_lENKUlvE_clEvENKUlvE2_clEvEUlS7_S7_E_S7_EEDaPvRmT3_T4_T5_mT6_P12ihipStream_tbENKUlT_T0_E_clISt17integral_constantIbLb0EESY_IbLb1EEEEDaSU_SV_EUlSU_E_NS1_11comp_targetILNS1_3genE10ELNS1_11target_archE1201ELNS1_3gpuE5ELNS1_3repE0EEENS1_30default_config_static_selectorELNS0_4arch9wavefront6targetE1EEEvT1_,"axG",@progbits,_ZN7rocprim17ROCPRIM_400000_NS6detail17trampoline_kernelINS0_14default_configENS1_20scan_config_selectorIN3c107complexIfEEEEZZNS1_9scan_implILNS1_25lookback_scan_determinismE0ELb0ELb0ES3_PKS7_PS7_S7_ZZZN2at6native31launch_logcumsumexp_cuda_kernelERKNSE_10TensorBaseESI_lENKUlvE_clEvENKUlvE2_clEvEUlS7_S7_E_S7_EEDaPvRmT3_T4_T5_mT6_P12ihipStream_tbENKUlT_T0_E_clISt17integral_constantIbLb0EESY_IbLb1EEEEDaSU_SV_EUlSU_E_NS1_11comp_targetILNS1_3genE10ELNS1_11target_archE1201ELNS1_3gpuE5ELNS1_3repE0EEENS1_30default_config_static_selectorELNS0_4arch9wavefront6targetE1EEEvT1_,comdat
.Lfunc_end342:
	.size	_ZN7rocprim17ROCPRIM_400000_NS6detail17trampoline_kernelINS0_14default_configENS1_20scan_config_selectorIN3c107complexIfEEEEZZNS1_9scan_implILNS1_25lookback_scan_determinismE0ELb0ELb0ES3_PKS7_PS7_S7_ZZZN2at6native31launch_logcumsumexp_cuda_kernelERKNSE_10TensorBaseESI_lENKUlvE_clEvENKUlvE2_clEvEUlS7_S7_E_S7_EEDaPvRmT3_T4_T5_mT6_P12ihipStream_tbENKUlT_T0_E_clISt17integral_constantIbLb0EESY_IbLb1EEEEDaSU_SV_EUlSU_E_NS1_11comp_targetILNS1_3genE10ELNS1_11target_archE1201ELNS1_3gpuE5ELNS1_3repE0EEENS1_30default_config_static_selectorELNS0_4arch9wavefront6targetE1EEEvT1_, .Lfunc_end342-_ZN7rocprim17ROCPRIM_400000_NS6detail17trampoline_kernelINS0_14default_configENS1_20scan_config_selectorIN3c107complexIfEEEEZZNS1_9scan_implILNS1_25lookback_scan_determinismE0ELb0ELb0ES3_PKS7_PS7_S7_ZZZN2at6native31launch_logcumsumexp_cuda_kernelERKNSE_10TensorBaseESI_lENKUlvE_clEvENKUlvE2_clEvEUlS7_S7_E_S7_EEDaPvRmT3_T4_T5_mT6_P12ihipStream_tbENKUlT_T0_E_clISt17integral_constantIbLb0EESY_IbLb1EEEEDaSU_SV_EUlSU_E_NS1_11comp_targetILNS1_3genE10ELNS1_11target_archE1201ELNS1_3gpuE5ELNS1_3repE0EEENS1_30default_config_static_selectorELNS0_4arch9wavefront6targetE1EEEvT1_
                                        ; -- End function
	.section	.AMDGPU.csdata,"",@progbits
; Kernel info:
; codeLenInByte = 0
; NumSgprs: 6
; NumVgprs: 0
; NumAgprs: 0
; TotalNumVgprs: 0
; ScratchSize: 0
; MemoryBound: 0
; FloatMode: 240
; IeeeMode: 1
; LDSByteSize: 0 bytes/workgroup (compile time only)
; SGPRBlocks: 0
; VGPRBlocks: 0
; NumSGPRsForWavesPerEU: 6
; NumVGPRsForWavesPerEU: 1
; AccumOffset: 4
; Occupancy: 8
; WaveLimiterHint : 0
; COMPUTE_PGM_RSRC2:SCRATCH_EN: 0
; COMPUTE_PGM_RSRC2:USER_SGPR: 2
; COMPUTE_PGM_RSRC2:TRAP_HANDLER: 0
; COMPUTE_PGM_RSRC2:TGID_X_EN: 1
; COMPUTE_PGM_RSRC2:TGID_Y_EN: 0
; COMPUTE_PGM_RSRC2:TGID_Z_EN: 0
; COMPUTE_PGM_RSRC2:TIDIG_COMP_CNT: 0
; COMPUTE_PGM_RSRC3_GFX90A:ACCUM_OFFSET: 0
; COMPUTE_PGM_RSRC3_GFX90A:TG_SPLIT: 0
	.section	.text._ZN7rocprim17ROCPRIM_400000_NS6detail17trampoline_kernelINS0_14default_configENS1_20scan_config_selectorIN3c107complexIfEEEEZZNS1_9scan_implILNS1_25lookback_scan_determinismE0ELb0ELb0ES3_PKS7_PS7_S7_ZZZN2at6native31launch_logcumsumexp_cuda_kernelERKNSE_10TensorBaseESI_lENKUlvE_clEvENKUlvE2_clEvEUlS7_S7_E_S7_EEDaPvRmT3_T4_T5_mT6_P12ihipStream_tbENKUlT_T0_E_clISt17integral_constantIbLb0EESY_IbLb1EEEEDaSU_SV_EUlSU_E_NS1_11comp_targetILNS1_3genE10ELNS1_11target_archE1200ELNS1_3gpuE4ELNS1_3repE0EEENS1_30default_config_static_selectorELNS0_4arch9wavefront6targetE1EEEvT1_,"axG",@progbits,_ZN7rocprim17ROCPRIM_400000_NS6detail17trampoline_kernelINS0_14default_configENS1_20scan_config_selectorIN3c107complexIfEEEEZZNS1_9scan_implILNS1_25lookback_scan_determinismE0ELb0ELb0ES3_PKS7_PS7_S7_ZZZN2at6native31launch_logcumsumexp_cuda_kernelERKNSE_10TensorBaseESI_lENKUlvE_clEvENKUlvE2_clEvEUlS7_S7_E_S7_EEDaPvRmT3_T4_T5_mT6_P12ihipStream_tbENKUlT_T0_E_clISt17integral_constantIbLb0EESY_IbLb1EEEEDaSU_SV_EUlSU_E_NS1_11comp_targetILNS1_3genE10ELNS1_11target_archE1200ELNS1_3gpuE4ELNS1_3repE0EEENS1_30default_config_static_selectorELNS0_4arch9wavefront6targetE1EEEvT1_,comdat
	.globl	_ZN7rocprim17ROCPRIM_400000_NS6detail17trampoline_kernelINS0_14default_configENS1_20scan_config_selectorIN3c107complexIfEEEEZZNS1_9scan_implILNS1_25lookback_scan_determinismE0ELb0ELb0ES3_PKS7_PS7_S7_ZZZN2at6native31launch_logcumsumexp_cuda_kernelERKNSE_10TensorBaseESI_lENKUlvE_clEvENKUlvE2_clEvEUlS7_S7_E_S7_EEDaPvRmT3_T4_T5_mT6_P12ihipStream_tbENKUlT_T0_E_clISt17integral_constantIbLb0EESY_IbLb1EEEEDaSU_SV_EUlSU_E_NS1_11comp_targetILNS1_3genE10ELNS1_11target_archE1200ELNS1_3gpuE4ELNS1_3repE0EEENS1_30default_config_static_selectorELNS0_4arch9wavefront6targetE1EEEvT1_ ; -- Begin function _ZN7rocprim17ROCPRIM_400000_NS6detail17trampoline_kernelINS0_14default_configENS1_20scan_config_selectorIN3c107complexIfEEEEZZNS1_9scan_implILNS1_25lookback_scan_determinismE0ELb0ELb0ES3_PKS7_PS7_S7_ZZZN2at6native31launch_logcumsumexp_cuda_kernelERKNSE_10TensorBaseESI_lENKUlvE_clEvENKUlvE2_clEvEUlS7_S7_E_S7_EEDaPvRmT3_T4_T5_mT6_P12ihipStream_tbENKUlT_T0_E_clISt17integral_constantIbLb0EESY_IbLb1EEEEDaSU_SV_EUlSU_E_NS1_11comp_targetILNS1_3genE10ELNS1_11target_archE1200ELNS1_3gpuE4ELNS1_3repE0EEENS1_30default_config_static_selectorELNS0_4arch9wavefront6targetE1EEEvT1_
	.p2align	8
	.type	_ZN7rocprim17ROCPRIM_400000_NS6detail17trampoline_kernelINS0_14default_configENS1_20scan_config_selectorIN3c107complexIfEEEEZZNS1_9scan_implILNS1_25lookback_scan_determinismE0ELb0ELb0ES3_PKS7_PS7_S7_ZZZN2at6native31launch_logcumsumexp_cuda_kernelERKNSE_10TensorBaseESI_lENKUlvE_clEvENKUlvE2_clEvEUlS7_S7_E_S7_EEDaPvRmT3_T4_T5_mT6_P12ihipStream_tbENKUlT_T0_E_clISt17integral_constantIbLb0EESY_IbLb1EEEEDaSU_SV_EUlSU_E_NS1_11comp_targetILNS1_3genE10ELNS1_11target_archE1200ELNS1_3gpuE4ELNS1_3repE0EEENS1_30default_config_static_selectorELNS0_4arch9wavefront6targetE1EEEvT1_,@function
_ZN7rocprim17ROCPRIM_400000_NS6detail17trampoline_kernelINS0_14default_configENS1_20scan_config_selectorIN3c107complexIfEEEEZZNS1_9scan_implILNS1_25lookback_scan_determinismE0ELb0ELb0ES3_PKS7_PS7_S7_ZZZN2at6native31launch_logcumsumexp_cuda_kernelERKNSE_10TensorBaseESI_lENKUlvE_clEvENKUlvE2_clEvEUlS7_S7_E_S7_EEDaPvRmT3_T4_T5_mT6_P12ihipStream_tbENKUlT_T0_E_clISt17integral_constantIbLb0EESY_IbLb1EEEEDaSU_SV_EUlSU_E_NS1_11comp_targetILNS1_3genE10ELNS1_11target_archE1200ELNS1_3gpuE4ELNS1_3repE0EEENS1_30default_config_static_selectorELNS0_4arch9wavefront6targetE1EEEvT1_: ; @_ZN7rocprim17ROCPRIM_400000_NS6detail17trampoline_kernelINS0_14default_configENS1_20scan_config_selectorIN3c107complexIfEEEEZZNS1_9scan_implILNS1_25lookback_scan_determinismE0ELb0ELb0ES3_PKS7_PS7_S7_ZZZN2at6native31launch_logcumsumexp_cuda_kernelERKNSE_10TensorBaseESI_lENKUlvE_clEvENKUlvE2_clEvEUlS7_S7_E_S7_EEDaPvRmT3_T4_T5_mT6_P12ihipStream_tbENKUlT_T0_E_clISt17integral_constantIbLb0EESY_IbLb1EEEEDaSU_SV_EUlSU_E_NS1_11comp_targetILNS1_3genE10ELNS1_11target_archE1200ELNS1_3gpuE4ELNS1_3repE0EEENS1_30default_config_static_selectorELNS0_4arch9wavefront6targetE1EEEvT1_
; %bb.0:
	.section	.rodata,"a",@progbits
	.p2align	6, 0x0
	.amdhsa_kernel _ZN7rocprim17ROCPRIM_400000_NS6detail17trampoline_kernelINS0_14default_configENS1_20scan_config_selectorIN3c107complexIfEEEEZZNS1_9scan_implILNS1_25lookback_scan_determinismE0ELb0ELb0ES3_PKS7_PS7_S7_ZZZN2at6native31launch_logcumsumexp_cuda_kernelERKNSE_10TensorBaseESI_lENKUlvE_clEvENKUlvE2_clEvEUlS7_S7_E_S7_EEDaPvRmT3_T4_T5_mT6_P12ihipStream_tbENKUlT_T0_E_clISt17integral_constantIbLb0EESY_IbLb1EEEEDaSU_SV_EUlSU_E_NS1_11comp_targetILNS1_3genE10ELNS1_11target_archE1200ELNS1_3gpuE4ELNS1_3repE0EEENS1_30default_config_static_selectorELNS0_4arch9wavefront6targetE1EEEvT1_
		.amdhsa_group_segment_fixed_size 0
		.amdhsa_private_segment_fixed_size 0
		.amdhsa_kernarg_size 104
		.amdhsa_user_sgpr_count 2
		.amdhsa_user_sgpr_dispatch_ptr 0
		.amdhsa_user_sgpr_queue_ptr 0
		.amdhsa_user_sgpr_kernarg_segment_ptr 1
		.amdhsa_user_sgpr_dispatch_id 0
		.amdhsa_user_sgpr_kernarg_preload_length 0
		.amdhsa_user_sgpr_kernarg_preload_offset 0
		.amdhsa_user_sgpr_private_segment_size 0
		.amdhsa_uses_dynamic_stack 0
		.amdhsa_enable_private_segment 0
		.amdhsa_system_sgpr_workgroup_id_x 1
		.amdhsa_system_sgpr_workgroup_id_y 0
		.amdhsa_system_sgpr_workgroup_id_z 0
		.amdhsa_system_sgpr_workgroup_info 0
		.amdhsa_system_vgpr_workitem_id 0
		.amdhsa_next_free_vgpr 1
		.amdhsa_next_free_sgpr 0
		.amdhsa_accum_offset 4
		.amdhsa_reserve_vcc 0
		.amdhsa_float_round_mode_32 0
		.amdhsa_float_round_mode_16_64 0
		.amdhsa_float_denorm_mode_32 3
		.amdhsa_float_denorm_mode_16_64 3
		.amdhsa_dx10_clamp 1
		.amdhsa_ieee_mode 1
		.amdhsa_fp16_overflow 0
		.amdhsa_tg_split 0
		.amdhsa_exception_fp_ieee_invalid_op 0
		.amdhsa_exception_fp_denorm_src 0
		.amdhsa_exception_fp_ieee_div_zero 0
		.amdhsa_exception_fp_ieee_overflow 0
		.amdhsa_exception_fp_ieee_underflow 0
		.amdhsa_exception_fp_ieee_inexact 0
		.amdhsa_exception_int_div_zero 0
	.end_amdhsa_kernel
	.section	.text._ZN7rocprim17ROCPRIM_400000_NS6detail17trampoline_kernelINS0_14default_configENS1_20scan_config_selectorIN3c107complexIfEEEEZZNS1_9scan_implILNS1_25lookback_scan_determinismE0ELb0ELb0ES3_PKS7_PS7_S7_ZZZN2at6native31launch_logcumsumexp_cuda_kernelERKNSE_10TensorBaseESI_lENKUlvE_clEvENKUlvE2_clEvEUlS7_S7_E_S7_EEDaPvRmT3_T4_T5_mT6_P12ihipStream_tbENKUlT_T0_E_clISt17integral_constantIbLb0EESY_IbLb1EEEEDaSU_SV_EUlSU_E_NS1_11comp_targetILNS1_3genE10ELNS1_11target_archE1200ELNS1_3gpuE4ELNS1_3repE0EEENS1_30default_config_static_selectorELNS0_4arch9wavefront6targetE1EEEvT1_,"axG",@progbits,_ZN7rocprim17ROCPRIM_400000_NS6detail17trampoline_kernelINS0_14default_configENS1_20scan_config_selectorIN3c107complexIfEEEEZZNS1_9scan_implILNS1_25lookback_scan_determinismE0ELb0ELb0ES3_PKS7_PS7_S7_ZZZN2at6native31launch_logcumsumexp_cuda_kernelERKNSE_10TensorBaseESI_lENKUlvE_clEvENKUlvE2_clEvEUlS7_S7_E_S7_EEDaPvRmT3_T4_T5_mT6_P12ihipStream_tbENKUlT_T0_E_clISt17integral_constantIbLb0EESY_IbLb1EEEEDaSU_SV_EUlSU_E_NS1_11comp_targetILNS1_3genE10ELNS1_11target_archE1200ELNS1_3gpuE4ELNS1_3repE0EEENS1_30default_config_static_selectorELNS0_4arch9wavefront6targetE1EEEvT1_,comdat
.Lfunc_end343:
	.size	_ZN7rocprim17ROCPRIM_400000_NS6detail17trampoline_kernelINS0_14default_configENS1_20scan_config_selectorIN3c107complexIfEEEEZZNS1_9scan_implILNS1_25lookback_scan_determinismE0ELb0ELb0ES3_PKS7_PS7_S7_ZZZN2at6native31launch_logcumsumexp_cuda_kernelERKNSE_10TensorBaseESI_lENKUlvE_clEvENKUlvE2_clEvEUlS7_S7_E_S7_EEDaPvRmT3_T4_T5_mT6_P12ihipStream_tbENKUlT_T0_E_clISt17integral_constantIbLb0EESY_IbLb1EEEEDaSU_SV_EUlSU_E_NS1_11comp_targetILNS1_3genE10ELNS1_11target_archE1200ELNS1_3gpuE4ELNS1_3repE0EEENS1_30default_config_static_selectorELNS0_4arch9wavefront6targetE1EEEvT1_, .Lfunc_end343-_ZN7rocprim17ROCPRIM_400000_NS6detail17trampoline_kernelINS0_14default_configENS1_20scan_config_selectorIN3c107complexIfEEEEZZNS1_9scan_implILNS1_25lookback_scan_determinismE0ELb0ELb0ES3_PKS7_PS7_S7_ZZZN2at6native31launch_logcumsumexp_cuda_kernelERKNSE_10TensorBaseESI_lENKUlvE_clEvENKUlvE2_clEvEUlS7_S7_E_S7_EEDaPvRmT3_T4_T5_mT6_P12ihipStream_tbENKUlT_T0_E_clISt17integral_constantIbLb0EESY_IbLb1EEEEDaSU_SV_EUlSU_E_NS1_11comp_targetILNS1_3genE10ELNS1_11target_archE1200ELNS1_3gpuE4ELNS1_3repE0EEENS1_30default_config_static_selectorELNS0_4arch9wavefront6targetE1EEEvT1_
                                        ; -- End function
	.section	.AMDGPU.csdata,"",@progbits
; Kernel info:
; codeLenInByte = 0
; NumSgprs: 6
; NumVgprs: 0
; NumAgprs: 0
; TotalNumVgprs: 0
; ScratchSize: 0
; MemoryBound: 0
; FloatMode: 240
; IeeeMode: 1
; LDSByteSize: 0 bytes/workgroup (compile time only)
; SGPRBlocks: 0
; VGPRBlocks: 0
; NumSGPRsForWavesPerEU: 6
; NumVGPRsForWavesPerEU: 1
; AccumOffset: 4
; Occupancy: 8
; WaveLimiterHint : 0
; COMPUTE_PGM_RSRC2:SCRATCH_EN: 0
; COMPUTE_PGM_RSRC2:USER_SGPR: 2
; COMPUTE_PGM_RSRC2:TRAP_HANDLER: 0
; COMPUTE_PGM_RSRC2:TGID_X_EN: 1
; COMPUTE_PGM_RSRC2:TGID_Y_EN: 0
; COMPUTE_PGM_RSRC2:TGID_Z_EN: 0
; COMPUTE_PGM_RSRC2:TIDIG_COMP_CNT: 0
; COMPUTE_PGM_RSRC3_GFX90A:ACCUM_OFFSET: 0
; COMPUTE_PGM_RSRC3_GFX90A:TG_SPLIT: 0
	.section	.text._ZN7rocprim17ROCPRIM_400000_NS6detail17trampoline_kernelINS0_14default_configENS1_20scan_config_selectorIN3c107complexIfEEEEZZNS1_9scan_implILNS1_25lookback_scan_determinismE0ELb0ELb0ES3_PKS7_PS7_S7_ZZZN2at6native31launch_logcumsumexp_cuda_kernelERKNSE_10TensorBaseESI_lENKUlvE_clEvENKUlvE2_clEvEUlS7_S7_E_S7_EEDaPvRmT3_T4_T5_mT6_P12ihipStream_tbENKUlT_T0_E_clISt17integral_constantIbLb0EESY_IbLb1EEEEDaSU_SV_EUlSU_E_NS1_11comp_targetILNS1_3genE9ELNS1_11target_archE1100ELNS1_3gpuE3ELNS1_3repE0EEENS1_30default_config_static_selectorELNS0_4arch9wavefront6targetE1EEEvT1_,"axG",@progbits,_ZN7rocprim17ROCPRIM_400000_NS6detail17trampoline_kernelINS0_14default_configENS1_20scan_config_selectorIN3c107complexIfEEEEZZNS1_9scan_implILNS1_25lookback_scan_determinismE0ELb0ELb0ES3_PKS7_PS7_S7_ZZZN2at6native31launch_logcumsumexp_cuda_kernelERKNSE_10TensorBaseESI_lENKUlvE_clEvENKUlvE2_clEvEUlS7_S7_E_S7_EEDaPvRmT3_T4_T5_mT6_P12ihipStream_tbENKUlT_T0_E_clISt17integral_constantIbLb0EESY_IbLb1EEEEDaSU_SV_EUlSU_E_NS1_11comp_targetILNS1_3genE9ELNS1_11target_archE1100ELNS1_3gpuE3ELNS1_3repE0EEENS1_30default_config_static_selectorELNS0_4arch9wavefront6targetE1EEEvT1_,comdat
	.globl	_ZN7rocprim17ROCPRIM_400000_NS6detail17trampoline_kernelINS0_14default_configENS1_20scan_config_selectorIN3c107complexIfEEEEZZNS1_9scan_implILNS1_25lookback_scan_determinismE0ELb0ELb0ES3_PKS7_PS7_S7_ZZZN2at6native31launch_logcumsumexp_cuda_kernelERKNSE_10TensorBaseESI_lENKUlvE_clEvENKUlvE2_clEvEUlS7_S7_E_S7_EEDaPvRmT3_T4_T5_mT6_P12ihipStream_tbENKUlT_T0_E_clISt17integral_constantIbLb0EESY_IbLb1EEEEDaSU_SV_EUlSU_E_NS1_11comp_targetILNS1_3genE9ELNS1_11target_archE1100ELNS1_3gpuE3ELNS1_3repE0EEENS1_30default_config_static_selectorELNS0_4arch9wavefront6targetE1EEEvT1_ ; -- Begin function _ZN7rocprim17ROCPRIM_400000_NS6detail17trampoline_kernelINS0_14default_configENS1_20scan_config_selectorIN3c107complexIfEEEEZZNS1_9scan_implILNS1_25lookback_scan_determinismE0ELb0ELb0ES3_PKS7_PS7_S7_ZZZN2at6native31launch_logcumsumexp_cuda_kernelERKNSE_10TensorBaseESI_lENKUlvE_clEvENKUlvE2_clEvEUlS7_S7_E_S7_EEDaPvRmT3_T4_T5_mT6_P12ihipStream_tbENKUlT_T0_E_clISt17integral_constantIbLb0EESY_IbLb1EEEEDaSU_SV_EUlSU_E_NS1_11comp_targetILNS1_3genE9ELNS1_11target_archE1100ELNS1_3gpuE3ELNS1_3repE0EEENS1_30default_config_static_selectorELNS0_4arch9wavefront6targetE1EEEvT1_
	.p2align	8
	.type	_ZN7rocprim17ROCPRIM_400000_NS6detail17trampoline_kernelINS0_14default_configENS1_20scan_config_selectorIN3c107complexIfEEEEZZNS1_9scan_implILNS1_25lookback_scan_determinismE0ELb0ELb0ES3_PKS7_PS7_S7_ZZZN2at6native31launch_logcumsumexp_cuda_kernelERKNSE_10TensorBaseESI_lENKUlvE_clEvENKUlvE2_clEvEUlS7_S7_E_S7_EEDaPvRmT3_T4_T5_mT6_P12ihipStream_tbENKUlT_T0_E_clISt17integral_constantIbLb0EESY_IbLb1EEEEDaSU_SV_EUlSU_E_NS1_11comp_targetILNS1_3genE9ELNS1_11target_archE1100ELNS1_3gpuE3ELNS1_3repE0EEENS1_30default_config_static_selectorELNS0_4arch9wavefront6targetE1EEEvT1_,@function
_ZN7rocprim17ROCPRIM_400000_NS6detail17trampoline_kernelINS0_14default_configENS1_20scan_config_selectorIN3c107complexIfEEEEZZNS1_9scan_implILNS1_25lookback_scan_determinismE0ELb0ELb0ES3_PKS7_PS7_S7_ZZZN2at6native31launch_logcumsumexp_cuda_kernelERKNSE_10TensorBaseESI_lENKUlvE_clEvENKUlvE2_clEvEUlS7_S7_E_S7_EEDaPvRmT3_T4_T5_mT6_P12ihipStream_tbENKUlT_T0_E_clISt17integral_constantIbLb0EESY_IbLb1EEEEDaSU_SV_EUlSU_E_NS1_11comp_targetILNS1_3genE9ELNS1_11target_archE1100ELNS1_3gpuE3ELNS1_3repE0EEENS1_30default_config_static_selectorELNS0_4arch9wavefront6targetE1EEEvT1_: ; @_ZN7rocprim17ROCPRIM_400000_NS6detail17trampoline_kernelINS0_14default_configENS1_20scan_config_selectorIN3c107complexIfEEEEZZNS1_9scan_implILNS1_25lookback_scan_determinismE0ELb0ELb0ES3_PKS7_PS7_S7_ZZZN2at6native31launch_logcumsumexp_cuda_kernelERKNSE_10TensorBaseESI_lENKUlvE_clEvENKUlvE2_clEvEUlS7_S7_E_S7_EEDaPvRmT3_T4_T5_mT6_P12ihipStream_tbENKUlT_T0_E_clISt17integral_constantIbLb0EESY_IbLb1EEEEDaSU_SV_EUlSU_E_NS1_11comp_targetILNS1_3genE9ELNS1_11target_archE1100ELNS1_3gpuE3ELNS1_3repE0EEENS1_30default_config_static_selectorELNS0_4arch9wavefront6targetE1EEEvT1_
; %bb.0:
	.section	.rodata,"a",@progbits
	.p2align	6, 0x0
	.amdhsa_kernel _ZN7rocprim17ROCPRIM_400000_NS6detail17trampoline_kernelINS0_14default_configENS1_20scan_config_selectorIN3c107complexIfEEEEZZNS1_9scan_implILNS1_25lookback_scan_determinismE0ELb0ELb0ES3_PKS7_PS7_S7_ZZZN2at6native31launch_logcumsumexp_cuda_kernelERKNSE_10TensorBaseESI_lENKUlvE_clEvENKUlvE2_clEvEUlS7_S7_E_S7_EEDaPvRmT3_T4_T5_mT6_P12ihipStream_tbENKUlT_T0_E_clISt17integral_constantIbLb0EESY_IbLb1EEEEDaSU_SV_EUlSU_E_NS1_11comp_targetILNS1_3genE9ELNS1_11target_archE1100ELNS1_3gpuE3ELNS1_3repE0EEENS1_30default_config_static_selectorELNS0_4arch9wavefront6targetE1EEEvT1_
		.amdhsa_group_segment_fixed_size 0
		.amdhsa_private_segment_fixed_size 0
		.amdhsa_kernarg_size 104
		.amdhsa_user_sgpr_count 2
		.amdhsa_user_sgpr_dispatch_ptr 0
		.amdhsa_user_sgpr_queue_ptr 0
		.amdhsa_user_sgpr_kernarg_segment_ptr 1
		.amdhsa_user_sgpr_dispatch_id 0
		.amdhsa_user_sgpr_kernarg_preload_length 0
		.amdhsa_user_sgpr_kernarg_preload_offset 0
		.amdhsa_user_sgpr_private_segment_size 0
		.amdhsa_uses_dynamic_stack 0
		.amdhsa_enable_private_segment 0
		.amdhsa_system_sgpr_workgroup_id_x 1
		.amdhsa_system_sgpr_workgroup_id_y 0
		.amdhsa_system_sgpr_workgroup_id_z 0
		.amdhsa_system_sgpr_workgroup_info 0
		.amdhsa_system_vgpr_workitem_id 0
		.amdhsa_next_free_vgpr 1
		.amdhsa_next_free_sgpr 0
		.amdhsa_accum_offset 4
		.amdhsa_reserve_vcc 0
		.amdhsa_float_round_mode_32 0
		.amdhsa_float_round_mode_16_64 0
		.amdhsa_float_denorm_mode_32 3
		.amdhsa_float_denorm_mode_16_64 3
		.amdhsa_dx10_clamp 1
		.amdhsa_ieee_mode 1
		.amdhsa_fp16_overflow 0
		.amdhsa_tg_split 0
		.amdhsa_exception_fp_ieee_invalid_op 0
		.amdhsa_exception_fp_denorm_src 0
		.amdhsa_exception_fp_ieee_div_zero 0
		.amdhsa_exception_fp_ieee_overflow 0
		.amdhsa_exception_fp_ieee_underflow 0
		.amdhsa_exception_fp_ieee_inexact 0
		.amdhsa_exception_int_div_zero 0
	.end_amdhsa_kernel
	.section	.text._ZN7rocprim17ROCPRIM_400000_NS6detail17trampoline_kernelINS0_14default_configENS1_20scan_config_selectorIN3c107complexIfEEEEZZNS1_9scan_implILNS1_25lookback_scan_determinismE0ELb0ELb0ES3_PKS7_PS7_S7_ZZZN2at6native31launch_logcumsumexp_cuda_kernelERKNSE_10TensorBaseESI_lENKUlvE_clEvENKUlvE2_clEvEUlS7_S7_E_S7_EEDaPvRmT3_T4_T5_mT6_P12ihipStream_tbENKUlT_T0_E_clISt17integral_constantIbLb0EESY_IbLb1EEEEDaSU_SV_EUlSU_E_NS1_11comp_targetILNS1_3genE9ELNS1_11target_archE1100ELNS1_3gpuE3ELNS1_3repE0EEENS1_30default_config_static_selectorELNS0_4arch9wavefront6targetE1EEEvT1_,"axG",@progbits,_ZN7rocprim17ROCPRIM_400000_NS6detail17trampoline_kernelINS0_14default_configENS1_20scan_config_selectorIN3c107complexIfEEEEZZNS1_9scan_implILNS1_25lookback_scan_determinismE0ELb0ELb0ES3_PKS7_PS7_S7_ZZZN2at6native31launch_logcumsumexp_cuda_kernelERKNSE_10TensorBaseESI_lENKUlvE_clEvENKUlvE2_clEvEUlS7_S7_E_S7_EEDaPvRmT3_T4_T5_mT6_P12ihipStream_tbENKUlT_T0_E_clISt17integral_constantIbLb0EESY_IbLb1EEEEDaSU_SV_EUlSU_E_NS1_11comp_targetILNS1_3genE9ELNS1_11target_archE1100ELNS1_3gpuE3ELNS1_3repE0EEENS1_30default_config_static_selectorELNS0_4arch9wavefront6targetE1EEEvT1_,comdat
.Lfunc_end344:
	.size	_ZN7rocprim17ROCPRIM_400000_NS6detail17trampoline_kernelINS0_14default_configENS1_20scan_config_selectorIN3c107complexIfEEEEZZNS1_9scan_implILNS1_25lookback_scan_determinismE0ELb0ELb0ES3_PKS7_PS7_S7_ZZZN2at6native31launch_logcumsumexp_cuda_kernelERKNSE_10TensorBaseESI_lENKUlvE_clEvENKUlvE2_clEvEUlS7_S7_E_S7_EEDaPvRmT3_T4_T5_mT6_P12ihipStream_tbENKUlT_T0_E_clISt17integral_constantIbLb0EESY_IbLb1EEEEDaSU_SV_EUlSU_E_NS1_11comp_targetILNS1_3genE9ELNS1_11target_archE1100ELNS1_3gpuE3ELNS1_3repE0EEENS1_30default_config_static_selectorELNS0_4arch9wavefront6targetE1EEEvT1_, .Lfunc_end344-_ZN7rocprim17ROCPRIM_400000_NS6detail17trampoline_kernelINS0_14default_configENS1_20scan_config_selectorIN3c107complexIfEEEEZZNS1_9scan_implILNS1_25lookback_scan_determinismE0ELb0ELb0ES3_PKS7_PS7_S7_ZZZN2at6native31launch_logcumsumexp_cuda_kernelERKNSE_10TensorBaseESI_lENKUlvE_clEvENKUlvE2_clEvEUlS7_S7_E_S7_EEDaPvRmT3_T4_T5_mT6_P12ihipStream_tbENKUlT_T0_E_clISt17integral_constantIbLb0EESY_IbLb1EEEEDaSU_SV_EUlSU_E_NS1_11comp_targetILNS1_3genE9ELNS1_11target_archE1100ELNS1_3gpuE3ELNS1_3repE0EEENS1_30default_config_static_selectorELNS0_4arch9wavefront6targetE1EEEvT1_
                                        ; -- End function
	.section	.AMDGPU.csdata,"",@progbits
; Kernel info:
; codeLenInByte = 0
; NumSgprs: 6
; NumVgprs: 0
; NumAgprs: 0
; TotalNumVgprs: 0
; ScratchSize: 0
; MemoryBound: 0
; FloatMode: 240
; IeeeMode: 1
; LDSByteSize: 0 bytes/workgroup (compile time only)
; SGPRBlocks: 0
; VGPRBlocks: 0
; NumSGPRsForWavesPerEU: 6
; NumVGPRsForWavesPerEU: 1
; AccumOffset: 4
; Occupancy: 8
; WaveLimiterHint : 0
; COMPUTE_PGM_RSRC2:SCRATCH_EN: 0
; COMPUTE_PGM_RSRC2:USER_SGPR: 2
; COMPUTE_PGM_RSRC2:TRAP_HANDLER: 0
; COMPUTE_PGM_RSRC2:TGID_X_EN: 1
; COMPUTE_PGM_RSRC2:TGID_Y_EN: 0
; COMPUTE_PGM_RSRC2:TGID_Z_EN: 0
; COMPUTE_PGM_RSRC2:TIDIG_COMP_CNT: 0
; COMPUTE_PGM_RSRC3_GFX90A:ACCUM_OFFSET: 0
; COMPUTE_PGM_RSRC3_GFX90A:TG_SPLIT: 0
	.section	.text._ZN7rocprim17ROCPRIM_400000_NS6detail17trampoline_kernelINS0_14default_configENS1_20scan_config_selectorIN3c107complexIfEEEEZZNS1_9scan_implILNS1_25lookback_scan_determinismE0ELb0ELb0ES3_PKS7_PS7_S7_ZZZN2at6native31launch_logcumsumexp_cuda_kernelERKNSE_10TensorBaseESI_lENKUlvE_clEvENKUlvE2_clEvEUlS7_S7_E_S7_EEDaPvRmT3_T4_T5_mT6_P12ihipStream_tbENKUlT_T0_E_clISt17integral_constantIbLb0EESY_IbLb1EEEEDaSU_SV_EUlSU_E_NS1_11comp_targetILNS1_3genE8ELNS1_11target_archE1030ELNS1_3gpuE2ELNS1_3repE0EEENS1_30default_config_static_selectorELNS0_4arch9wavefront6targetE1EEEvT1_,"axG",@progbits,_ZN7rocprim17ROCPRIM_400000_NS6detail17trampoline_kernelINS0_14default_configENS1_20scan_config_selectorIN3c107complexIfEEEEZZNS1_9scan_implILNS1_25lookback_scan_determinismE0ELb0ELb0ES3_PKS7_PS7_S7_ZZZN2at6native31launch_logcumsumexp_cuda_kernelERKNSE_10TensorBaseESI_lENKUlvE_clEvENKUlvE2_clEvEUlS7_S7_E_S7_EEDaPvRmT3_T4_T5_mT6_P12ihipStream_tbENKUlT_T0_E_clISt17integral_constantIbLb0EESY_IbLb1EEEEDaSU_SV_EUlSU_E_NS1_11comp_targetILNS1_3genE8ELNS1_11target_archE1030ELNS1_3gpuE2ELNS1_3repE0EEENS1_30default_config_static_selectorELNS0_4arch9wavefront6targetE1EEEvT1_,comdat
	.globl	_ZN7rocprim17ROCPRIM_400000_NS6detail17trampoline_kernelINS0_14default_configENS1_20scan_config_selectorIN3c107complexIfEEEEZZNS1_9scan_implILNS1_25lookback_scan_determinismE0ELb0ELb0ES3_PKS7_PS7_S7_ZZZN2at6native31launch_logcumsumexp_cuda_kernelERKNSE_10TensorBaseESI_lENKUlvE_clEvENKUlvE2_clEvEUlS7_S7_E_S7_EEDaPvRmT3_T4_T5_mT6_P12ihipStream_tbENKUlT_T0_E_clISt17integral_constantIbLb0EESY_IbLb1EEEEDaSU_SV_EUlSU_E_NS1_11comp_targetILNS1_3genE8ELNS1_11target_archE1030ELNS1_3gpuE2ELNS1_3repE0EEENS1_30default_config_static_selectorELNS0_4arch9wavefront6targetE1EEEvT1_ ; -- Begin function _ZN7rocprim17ROCPRIM_400000_NS6detail17trampoline_kernelINS0_14default_configENS1_20scan_config_selectorIN3c107complexIfEEEEZZNS1_9scan_implILNS1_25lookback_scan_determinismE0ELb0ELb0ES3_PKS7_PS7_S7_ZZZN2at6native31launch_logcumsumexp_cuda_kernelERKNSE_10TensorBaseESI_lENKUlvE_clEvENKUlvE2_clEvEUlS7_S7_E_S7_EEDaPvRmT3_T4_T5_mT6_P12ihipStream_tbENKUlT_T0_E_clISt17integral_constantIbLb0EESY_IbLb1EEEEDaSU_SV_EUlSU_E_NS1_11comp_targetILNS1_3genE8ELNS1_11target_archE1030ELNS1_3gpuE2ELNS1_3repE0EEENS1_30default_config_static_selectorELNS0_4arch9wavefront6targetE1EEEvT1_
	.p2align	8
	.type	_ZN7rocprim17ROCPRIM_400000_NS6detail17trampoline_kernelINS0_14default_configENS1_20scan_config_selectorIN3c107complexIfEEEEZZNS1_9scan_implILNS1_25lookback_scan_determinismE0ELb0ELb0ES3_PKS7_PS7_S7_ZZZN2at6native31launch_logcumsumexp_cuda_kernelERKNSE_10TensorBaseESI_lENKUlvE_clEvENKUlvE2_clEvEUlS7_S7_E_S7_EEDaPvRmT3_T4_T5_mT6_P12ihipStream_tbENKUlT_T0_E_clISt17integral_constantIbLb0EESY_IbLb1EEEEDaSU_SV_EUlSU_E_NS1_11comp_targetILNS1_3genE8ELNS1_11target_archE1030ELNS1_3gpuE2ELNS1_3repE0EEENS1_30default_config_static_selectorELNS0_4arch9wavefront6targetE1EEEvT1_,@function
_ZN7rocprim17ROCPRIM_400000_NS6detail17trampoline_kernelINS0_14default_configENS1_20scan_config_selectorIN3c107complexIfEEEEZZNS1_9scan_implILNS1_25lookback_scan_determinismE0ELb0ELb0ES3_PKS7_PS7_S7_ZZZN2at6native31launch_logcumsumexp_cuda_kernelERKNSE_10TensorBaseESI_lENKUlvE_clEvENKUlvE2_clEvEUlS7_S7_E_S7_EEDaPvRmT3_T4_T5_mT6_P12ihipStream_tbENKUlT_T0_E_clISt17integral_constantIbLb0EESY_IbLb1EEEEDaSU_SV_EUlSU_E_NS1_11comp_targetILNS1_3genE8ELNS1_11target_archE1030ELNS1_3gpuE2ELNS1_3repE0EEENS1_30default_config_static_selectorELNS0_4arch9wavefront6targetE1EEEvT1_: ; @_ZN7rocprim17ROCPRIM_400000_NS6detail17trampoline_kernelINS0_14default_configENS1_20scan_config_selectorIN3c107complexIfEEEEZZNS1_9scan_implILNS1_25lookback_scan_determinismE0ELb0ELb0ES3_PKS7_PS7_S7_ZZZN2at6native31launch_logcumsumexp_cuda_kernelERKNSE_10TensorBaseESI_lENKUlvE_clEvENKUlvE2_clEvEUlS7_S7_E_S7_EEDaPvRmT3_T4_T5_mT6_P12ihipStream_tbENKUlT_T0_E_clISt17integral_constantIbLb0EESY_IbLb1EEEEDaSU_SV_EUlSU_E_NS1_11comp_targetILNS1_3genE8ELNS1_11target_archE1030ELNS1_3gpuE2ELNS1_3repE0EEENS1_30default_config_static_selectorELNS0_4arch9wavefront6targetE1EEEvT1_
; %bb.0:
	.section	.rodata,"a",@progbits
	.p2align	6, 0x0
	.amdhsa_kernel _ZN7rocprim17ROCPRIM_400000_NS6detail17trampoline_kernelINS0_14default_configENS1_20scan_config_selectorIN3c107complexIfEEEEZZNS1_9scan_implILNS1_25lookback_scan_determinismE0ELb0ELb0ES3_PKS7_PS7_S7_ZZZN2at6native31launch_logcumsumexp_cuda_kernelERKNSE_10TensorBaseESI_lENKUlvE_clEvENKUlvE2_clEvEUlS7_S7_E_S7_EEDaPvRmT3_T4_T5_mT6_P12ihipStream_tbENKUlT_T0_E_clISt17integral_constantIbLb0EESY_IbLb1EEEEDaSU_SV_EUlSU_E_NS1_11comp_targetILNS1_3genE8ELNS1_11target_archE1030ELNS1_3gpuE2ELNS1_3repE0EEENS1_30default_config_static_selectorELNS0_4arch9wavefront6targetE1EEEvT1_
		.amdhsa_group_segment_fixed_size 0
		.amdhsa_private_segment_fixed_size 0
		.amdhsa_kernarg_size 104
		.amdhsa_user_sgpr_count 2
		.amdhsa_user_sgpr_dispatch_ptr 0
		.amdhsa_user_sgpr_queue_ptr 0
		.amdhsa_user_sgpr_kernarg_segment_ptr 1
		.amdhsa_user_sgpr_dispatch_id 0
		.amdhsa_user_sgpr_kernarg_preload_length 0
		.amdhsa_user_sgpr_kernarg_preload_offset 0
		.amdhsa_user_sgpr_private_segment_size 0
		.amdhsa_uses_dynamic_stack 0
		.amdhsa_enable_private_segment 0
		.amdhsa_system_sgpr_workgroup_id_x 1
		.amdhsa_system_sgpr_workgroup_id_y 0
		.amdhsa_system_sgpr_workgroup_id_z 0
		.amdhsa_system_sgpr_workgroup_info 0
		.amdhsa_system_vgpr_workitem_id 0
		.amdhsa_next_free_vgpr 1
		.amdhsa_next_free_sgpr 0
		.amdhsa_accum_offset 4
		.amdhsa_reserve_vcc 0
		.amdhsa_float_round_mode_32 0
		.amdhsa_float_round_mode_16_64 0
		.amdhsa_float_denorm_mode_32 3
		.amdhsa_float_denorm_mode_16_64 3
		.amdhsa_dx10_clamp 1
		.amdhsa_ieee_mode 1
		.amdhsa_fp16_overflow 0
		.amdhsa_tg_split 0
		.amdhsa_exception_fp_ieee_invalid_op 0
		.amdhsa_exception_fp_denorm_src 0
		.amdhsa_exception_fp_ieee_div_zero 0
		.amdhsa_exception_fp_ieee_overflow 0
		.amdhsa_exception_fp_ieee_underflow 0
		.amdhsa_exception_fp_ieee_inexact 0
		.amdhsa_exception_int_div_zero 0
	.end_amdhsa_kernel
	.section	.text._ZN7rocprim17ROCPRIM_400000_NS6detail17trampoline_kernelINS0_14default_configENS1_20scan_config_selectorIN3c107complexIfEEEEZZNS1_9scan_implILNS1_25lookback_scan_determinismE0ELb0ELb0ES3_PKS7_PS7_S7_ZZZN2at6native31launch_logcumsumexp_cuda_kernelERKNSE_10TensorBaseESI_lENKUlvE_clEvENKUlvE2_clEvEUlS7_S7_E_S7_EEDaPvRmT3_T4_T5_mT6_P12ihipStream_tbENKUlT_T0_E_clISt17integral_constantIbLb0EESY_IbLb1EEEEDaSU_SV_EUlSU_E_NS1_11comp_targetILNS1_3genE8ELNS1_11target_archE1030ELNS1_3gpuE2ELNS1_3repE0EEENS1_30default_config_static_selectorELNS0_4arch9wavefront6targetE1EEEvT1_,"axG",@progbits,_ZN7rocprim17ROCPRIM_400000_NS6detail17trampoline_kernelINS0_14default_configENS1_20scan_config_selectorIN3c107complexIfEEEEZZNS1_9scan_implILNS1_25lookback_scan_determinismE0ELb0ELb0ES3_PKS7_PS7_S7_ZZZN2at6native31launch_logcumsumexp_cuda_kernelERKNSE_10TensorBaseESI_lENKUlvE_clEvENKUlvE2_clEvEUlS7_S7_E_S7_EEDaPvRmT3_T4_T5_mT6_P12ihipStream_tbENKUlT_T0_E_clISt17integral_constantIbLb0EESY_IbLb1EEEEDaSU_SV_EUlSU_E_NS1_11comp_targetILNS1_3genE8ELNS1_11target_archE1030ELNS1_3gpuE2ELNS1_3repE0EEENS1_30default_config_static_selectorELNS0_4arch9wavefront6targetE1EEEvT1_,comdat
.Lfunc_end345:
	.size	_ZN7rocprim17ROCPRIM_400000_NS6detail17trampoline_kernelINS0_14default_configENS1_20scan_config_selectorIN3c107complexIfEEEEZZNS1_9scan_implILNS1_25lookback_scan_determinismE0ELb0ELb0ES3_PKS7_PS7_S7_ZZZN2at6native31launch_logcumsumexp_cuda_kernelERKNSE_10TensorBaseESI_lENKUlvE_clEvENKUlvE2_clEvEUlS7_S7_E_S7_EEDaPvRmT3_T4_T5_mT6_P12ihipStream_tbENKUlT_T0_E_clISt17integral_constantIbLb0EESY_IbLb1EEEEDaSU_SV_EUlSU_E_NS1_11comp_targetILNS1_3genE8ELNS1_11target_archE1030ELNS1_3gpuE2ELNS1_3repE0EEENS1_30default_config_static_selectorELNS0_4arch9wavefront6targetE1EEEvT1_, .Lfunc_end345-_ZN7rocprim17ROCPRIM_400000_NS6detail17trampoline_kernelINS0_14default_configENS1_20scan_config_selectorIN3c107complexIfEEEEZZNS1_9scan_implILNS1_25lookback_scan_determinismE0ELb0ELb0ES3_PKS7_PS7_S7_ZZZN2at6native31launch_logcumsumexp_cuda_kernelERKNSE_10TensorBaseESI_lENKUlvE_clEvENKUlvE2_clEvEUlS7_S7_E_S7_EEDaPvRmT3_T4_T5_mT6_P12ihipStream_tbENKUlT_T0_E_clISt17integral_constantIbLb0EESY_IbLb1EEEEDaSU_SV_EUlSU_E_NS1_11comp_targetILNS1_3genE8ELNS1_11target_archE1030ELNS1_3gpuE2ELNS1_3repE0EEENS1_30default_config_static_selectorELNS0_4arch9wavefront6targetE1EEEvT1_
                                        ; -- End function
	.section	.AMDGPU.csdata,"",@progbits
; Kernel info:
; codeLenInByte = 0
; NumSgprs: 6
; NumVgprs: 0
; NumAgprs: 0
; TotalNumVgprs: 0
; ScratchSize: 0
; MemoryBound: 0
; FloatMode: 240
; IeeeMode: 1
; LDSByteSize: 0 bytes/workgroup (compile time only)
; SGPRBlocks: 0
; VGPRBlocks: 0
; NumSGPRsForWavesPerEU: 6
; NumVGPRsForWavesPerEU: 1
; AccumOffset: 4
; Occupancy: 8
; WaveLimiterHint : 0
; COMPUTE_PGM_RSRC2:SCRATCH_EN: 0
; COMPUTE_PGM_RSRC2:USER_SGPR: 2
; COMPUTE_PGM_RSRC2:TRAP_HANDLER: 0
; COMPUTE_PGM_RSRC2:TGID_X_EN: 1
; COMPUTE_PGM_RSRC2:TGID_Y_EN: 0
; COMPUTE_PGM_RSRC2:TGID_Z_EN: 0
; COMPUTE_PGM_RSRC2:TIDIG_COMP_CNT: 0
; COMPUTE_PGM_RSRC3_GFX90A:ACCUM_OFFSET: 0
; COMPUTE_PGM_RSRC3_GFX90A:TG_SPLIT: 0
	.section	.text._ZN7rocprim17ROCPRIM_400000_NS6detail17trampoline_kernelINS0_14default_configENS1_20scan_config_selectorIN3c107complexIfEEEEZZNS1_9scan_implILNS1_25lookback_scan_determinismE0ELb0ELb0ES3_PKS7_PS7_S7_ZZZN2at6native31launch_logcumsumexp_cuda_kernelERKNSE_10TensorBaseESI_lENKUlvE_clEvENKUlvE2_clEvEUlS7_S7_E_S7_EEDaPvRmT3_T4_T5_mT6_P12ihipStream_tbENKUlT_T0_E_clISt17integral_constantIbLb0EESY_IbLb1EEEEDaSU_SV_EUlSU_E0_NS1_11comp_targetILNS1_3genE0ELNS1_11target_archE4294967295ELNS1_3gpuE0ELNS1_3repE0EEENS1_30default_config_static_selectorELNS0_4arch9wavefront6targetE1EEEvT1_,"axG",@progbits,_ZN7rocprim17ROCPRIM_400000_NS6detail17trampoline_kernelINS0_14default_configENS1_20scan_config_selectorIN3c107complexIfEEEEZZNS1_9scan_implILNS1_25lookback_scan_determinismE0ELb0ELb0ES3_PKS7_PS7_S7_ZZZN2at6native31launch_logcumsumexp_cuda_kernelERKNSE_10TensorBaseESI_lENKUlvE_clEvENKUlvE2_clEvEUlS7_S7_E_S7_EEDaPvRmT3_T4_T5_mT6_P12ihipStream_tbENKUlT_T0_E_clISt17integral_constantIbLb0EESY_IbLb1EEEEDaSU_SV_EUlSU_E0_NS1_11comp_targetILNS1_3genE0ELNS1_11target_archE4294967295ELNS1_3gpuE0ELNS1_3repE0EEENS1_30default_config_static_selectorELNS0_4arch9wavefront6targetE1EEEvT1_,comdat
	.globl	_ZN7rocprim17ROCPRIM_400000_NS6detail17trampoline_kernelINS0_14default_configENS1_20scan_config_selectorIN3c107complexIfEEEEZZNS1_9scan_implILNS1_25lookback_scan_determinismE0ELb0ELb0ES3_PKS7_PS7_S7_ZZZN2at6native31launch_logcumsumexp_cuda_kernelERKNSE_10TensorBaseESI_lENKUlvE_clEvENKUlvE2_clEvEUlS7_S7_E_S7_EEDaPvRmT3_T4_T5_mT6_P12ihipStream_tbENKUlT_T0_E_clISt17integral_constantIbLb0EESY_IbLb1EEEEDaSU_SV_EUlSU_E0_NS1_11comp_targetILNS1_3genE0ELNS1_11target_archE4294967295ELNS1_3gpuE0ELNS1_3repE0EEENS1_30default_config_static_selectorELNS0_4arch9wavefront6targetE1EEEvT1_ ; -- Begin function _ZN7rocprim17ROCPRIM_400000_NS6detail17trampoline_kernelINS0_14default_configENS1_20scan_config_selectorIN3c107complexIfEEEEZZNS1_9scan_implILNS1_25lookback_scan_determinismE0ELb0ELb0ES3_PKS7_PS7_S7_ZZZN2at6native31launch_logcumsumexp_cuda_kernelERKNSE_10TensorBaseESI_lENKUlvE_clEvENKUlvE2_clEvEUlS7_S7_E_S7_EEDaPvRmT3_T4_T5_mT6_P12ihipStream_tbENKUlT_T0_E_clISt17integral_constantIbLb0EESY_IbLb1EEEEDaSU_SV_EUlSU_E0_NS1_11comp_targetILNS1_3genE0ELNS1_11target_archE4294967295ELNS1_3gpuE0ELNS1_3repE0EEENS1_30default_config_static_selectorELNS0_4arch9wavefront6targetE1EEEvT1_
	.p2align	8
	.type	_ZN7rocprim17ROCPRIM_400000_NS6detail17trampoline_kernelINS0_14default_configENS1_20scan_config_selectorIN3c107complexIfEEEEZZNS1_9scan_implILNS1_25lookback_scan_determinismE0ELb0ELb0ES3_PKS7_PS7_S7_ZZZN2at6native31launch_logcumsumexp_cuda_kernelERKNSE_10TensorBaseESI_lENKUlvE_clEvENKUlvE2_clEvEUlS7_S7_E_S7_EEDaPvRmT3_T4_T5_mT6_P12ihipStream_tbENKUlT_T0_E_clISt17integral_constantIbLb0EESY_IbLb1EEEEDaSU_SV_EUlSU_E0_NS1_11comp_targetILNS1_3genE0ELNS1_11target_archE4294967295ELNS1_3gpuE0ELNS1_3repE0EEENS1_30default_config_static_selectorELNS0_4arch9wavefront6targetE1EEEvT1_,@function
_ZN7rocprim17ROCPRIM_400000_NS6detail17trampoline_kernelINS0_14default_configENS1_20scan_config_selectorIN3c107complexIfEEEEZZNS1_9scan_implILNS1_25lookback_scan_determinismE0ELb0ELb0ES3_PKS7_PS7_S7_ZZZN2at6native31launch_logcumsumexp_cuda_kernelERKNSE_10TensorBaseESI_lENKUlvE_clEvENKUlvE2_clEvEUlS7_S7_E_S7_EEDaPvRmT3_T4_T5_mT6_P12ihipStream_tbENKUlT_T0_E_clISt17integral_constantIbLb0EESY_IbLb1EEEEDaSU_SV_EUlSU_E0_NS1_11comp_targetILNS1_3genE0ELNS1_11target_archE4294967295ELNS1_3gpuE0ELNS1_3repE0EEENS1_30default_config_static_selectorELNS0_4arch9wavefront6targetE1EEEvT1_: ; @_ZN7rocprim17ROCPRIM_400000_NS6detail17trampoline_kernelINS0_14default_configENS1_20scan_config_selectorIN3c107complexIfEEEEZZNS1_9scan_implILNS1_25lookback_scan_determinismE0ELb0ELb0ES3_PKS7_PS7_S7_ZZZN2at6native31launch_logcumsumexp_cuda_kernelERKNSE_10TensorBaseESI_lENKUlvE_clEvENKUlvE2_clEvEUlS7_S7_E_S7_EEDaPvRmT3_T4_T5_mT6_P12ihipStream_tbENKUlT_T0_E_clISt17integral_constantIbLb0EESY_IbLb1EEEEDaSU_SV_EUlSU_E0_NS1_11comp_targetILNS1_3genE0ELNS1_11target_archE4294967295ELNS1_3gpuE0ELNS1_3repE0EEENS1_30default_config_static_selectorELNS0_4arch9wavefront6targetE1EEEvT1_
; %bb.0:
	.section	.rodata,"a",@progbits
	.p2align	6, 0x0
	.amdhsa_kernel _ZN7rocprim17ROCPRIM_400000_NS6detail17trampoline_kernelINS0_14default_configENS1_20scan_config_selectorIN3c107complexIfEEEEZZNS1_9scan_implILNS1_25lookback_scan_determinismE0ELb0ELb0ES3_PKS7_PS7_S7_ZZZN2at6native31launch_logcumsumexp_cuda_kernelERKNSE_10TensorBaseESI_lENKUlvE_clEvENKUlvE2_clEvEUlS7_S7_E_S7_EEDaPvRmT3_T4_T5_mT6_P12ihipStream_tbENKUlT_T0_E_clISt17integral_constantIbLb0EESY_IbLb1EEEEDaSU_SV_EUlSU_E0_NS1_11comp_targetILNS1_3genE0ELNS1_11target_archE4294967295ELNS1_3gpuE0ELNS1_3repE0EEENS1_30default_config_static_selectorELNS0_4arch9wavefront6targetE1EEEvT1_
		.amdhsa_group_segment_fixed_size 0
		.amdhsa_private_segment_fixed_size 0
		.amdhsa_kernarg_size 40
		.amdhsa_user_sgpr_count 2
		.amdhsa_user_sgpr_dispatch_ptr 0
		.amdhsa_user_sgpr_queue_ptr 0
		.amdhsa_user_sgpr_kernarg_segment_ptr 1
		.amdhsa_user_sgpr_dispatch_id 0
		.amdhsa_user_sgpr_kernarg_preload_length 0
		.amdhsa_user_sgpr_kernarg_preload_offset 0
		.amdhsa_user_sgpr_private_segment_size 0
		.amdhsa_uses_dynamic_stack 0
		.amdhsa_enable_private_segment 0
		.amdhsa_system_sgpr_workgroup_id_x 1
		.amdhsa_system_sgpr_workgroup_id_y 0
		.amdhsa_system_sgpr_workgroup_id_z 0
		.amdhsa_system_sgpr_workgroup_info 0
		.amdhsa_system_vgpr_workitem_id 0
		.amdhsa_next_free_vgpr 1
		.amdhsa_next_free_sgpr 0
		.amdhsa_accum_offset 4
		.amdhsa_reserve_vcc 0
		.amdhsa_float_round_mode_32 0
		.amdhsa_float_round_mode_16_64 0
		.amdhsa_float_denorm_mode_32 3
		.amdhsa_float_denorm_mode_16_64 3
		.amdhsa_dx10_clamp 1
		.amdhsa_ieee_mode 1
		.amdhsa_fp16_overflow 0
		.amdhsa_tg_split 0
		.amdhsa_exception_fp_ieee_invalid_op 0
		.amdhsa_exception_fp_denorm_src 0
		.amdhsa_exception_fp_ieee_div_zero 0
		.amdhsa_exception_fp_ieee_overflow 0
		.amdhsa_exception_fp_ieee_underflow 0
		.amdhsa_exception_fp_ieee_inexact 0
		.amdhsa_exception_int_div_zero 0
	.end_amdhsa_kernel
	.section	.text._ZN7rocprim17ROCPRIM_400000_NS6detail17trampoline_kernelINS0_14default_configENS1_20scan_config_selectorIN3c107complexIfEEEEZZNS1_9scan_implILNS1_25lookback_scan_determinismE0ELb0ELb0ES3_PKS7_PS7_S7_ZZZN2at6native31launch_logcumsumexp_cuda_kernelERKNSE_10TensorBaseESI_lENKUlvE_clEvENKUlvE2_clEvEUlS7_S7_E_S7_EEDaPvRmT3_T4_T5_mT6_P12ihipStream_tbENKUlT_T0_E_clISt17integral_constantIbLb0EESY_IbLb1EEEEDaSU_SV_EUlSU_E0_NS1_11comp_targetILNS1_3genE0ELNS1_11target_archE4294967295ELNS1_3gpuE0ELNS1_3repE0EEENS1_30default_config_static_selectorELNS0_4arch9wavefront6targetE1EEEvT1_,"axG",@progbits,_ZN7rocprim17ROCPRIM_400000_NS6detail17trampoline_kernelINS0_14default_configENS1_20scan_config_selectorIN3c107complexIfEEEEZZNS1_9scan_implILNS1_25lookback_scan_determinismE0ELb0ELb0ES3_PKS7_PS7_S7_ZZZN2at6native31launch_logcumsumexp_cuda_kernelERKNSE_10TensorBaseESI_lENKUlvE_clEvENKUlvE2_clEvEUlS7_S7_E_S7_EEDaPvRmT3_T4_T5_mT6_P12ihipStream_tbENKUlT_T0_E_clISt17integral_constantIbLb0EESY_IbLb1EEEEDaSU_SV_EUlSU_E0_NS1_11comp_targetILNS1_3genE0ELNS1_11target_archE4294967295ELNS1_3gpuE0ELNS1_3repE0EEENS1_30default_config_static_selectorELNS0_4arch9wavefront6targetE1EEEvT1_,comdat
.Lfunc_end346:
	.size	_ZN7rocprim17ROCPRIM_400000_NS6detail17trampoline_kernelINS0_14default_configENS1_20scan_config_selectorIN3c107complexIfEEEEZZNS1_9scan_implILNS1_25lookback_scan_determinismE0ELb0ELb0ES3_PKS7_PS7_S7_ZZZN2at6native31launch_logcumsumexp_cuda_kernelERKNSE_10TensorBaseESI_lENKUlvE_clEvENKUlvE2_clEvEUlS7_S7_E_S7_EEDaPvRmT3_T4_T5_mT6_P12ihipStream_tbENKUlT_T0_E_clISt17integral_constantIbLb0EESY_IbLb1EEEEDaSU_SV_EUlSU_E0_NS1_11comp_targetILNS1_3genE0ELNS1_11target_archE4294967295ELNS1_3gpuE0ELNS1_3repE0EEENS1_30default_config_static_selectorELNS0_4arch9wavefront6targetE1EEEvT1_, .Lfunc_end346-_ZN7rocprim17ROCPRIM_400000_NS6detail17trampoline_kernelINS0_14default_configENS1_20scan_config_selectorIN3c107complexIfEEEEZZNS1_9scan_implILNS1_25lookback_scan_determinismE0ELb0ELb0ES3_PKS7_PS7_S7_ZZZN2at6native31launch_logcumsumexp_cuda_kernelERKNSE_10TensorBaseESI_lENKUlvE_clEvENKUlvE2_clEvEUlS7_S7_E_S7_EEDaPvRmT3_T4_T5_mT6_P12ihipStream_tbENKUlT_T0_E_clISt17integral_constantIbLb0EESY_IbLb1EEEEDaSU_SV_EUlSU_E0_NS1_11comp_targetILNS1_3genE0ELNS1_11target_archE4294967295ELNS1_3gpuE0ELNS1_3repE0EEENS1_30default_config_static_selectorELNS0_4arch9wavefront6targetE1EEEvT1_
                                        ; -- End function
	.section	.AMDGPU.csdata,"",@progbits
; Kernel info:
; codeLenInByte = 0
; NumSgprs: 6
; NumVgprs: 0
; NumAgprs: 0
; TotalNumVgprs: 0
; ScratchSize: 0
; MemoryBound: 0
; FloatMode: 240
; IeeeMode: 1
; LDSByteSize: 0 bytes/workgroup (compile time only)
; SGPRBlocks: 0
; VGPRBlocks: 0
; NumSGPRsForWavesPerEU: 6
; NumVGPRsForWavesPerEU: 1
; AccumOffset: 4
; Occupancy: 8
; WaveLimiterHint : 0
; COMPUTE_PGM_RSRC2:SCRATCH_EN: 0
; COMPUTE_PGM_RSRC2:USER_SGPR: 2
; COMPUTE_PGM_RSRC2:TRAP_HANDLER: 0
; COMPUTE_PGM_RSRC2:TGID_X_EN: 1
; COMPUTE_PGM_RSRC2:TGID_Y_EN: 0
; COMPUTE_PGM_RSRC2:TGID_Z_EN: 0
; COMPUTE_PGM_RSRC2:TIDIG_COMP_CNT: 0
; COMPUTE_PGM_RSRC3_GFX90A:ACCUM_OFFSET: 0
; COMPUTE_PGM_RSRC3_GFX90A:TG_SPLIT: 0
	.section	.text._ZN7rocprim17ROCPRIM_400000_NS6detail17trampoline_kernelINS0_14default_configENS1_20scan_config_selectorIN3c107complexIfEEEEZZNS1_9scan_implILNS1_25lookback_scan_determinismE0ELb0ELb0ES3_PKS7_PS7_S7_ZZZN2at6native31launch_logcumsumexp_cuda_kernelERKNSE_10TensorBaseESI_lENKUlvE_clEvENKUlvE2_clEvEUlS7_S7_E_S7_EEDaPvRmT3_T4_T5_mT6_P12ihipStream_tbENKUlT_T0_E_clISt17integral_constantIbLb0EESY_IbLb1EEEEDaSU_SV_EUlSU_E0_NS1_11comp_targetILNS1_3genE5ELNS1_11target_archE942ELNS1_3gpuE9ELNS1_3repE0EEENS1_30default_config_static_selectorELNS0_4arch9wavefront6targetE1EEEvT1_,"axG",@progbits,_ZN7rocprim17ROCPRIM_400000_NS6detail17trampoline_kernelINS0_14default_configENS1_20scan_config_selectorIN3c107complexIfEEEEZZNS1_9scan_implILNS1_25lookback_scan_determinismE0ELb0ELb0ES3_PKS7_PS7_S7_ZZZN2at6native31launch_logcumsumexp_cuda_kernelERKNSE_10TensorBaseESI_lENKUlvE_clEvENKUlvE2_clEvEUlS7_S7_E_S7_EEDaPvRmT3_T4_T5_mT6_P12ihipStream_tbENKUlT_T0_E_clISt17integral_constantIbLb0EESY_IbLb1EEEEDaSU_SV_EUlSU_E0_NS1_11comp_targetILNS1_3genE5ELNS1_11target_archE942ELNS1_3gpuE9ELNS1_3repE0EEENS1_30default_config_static_selectorELNS0_4arch9wavefront6targetE1EEEvT1_,comdat
	.globl	_ZN7rocprim17ROCPRIM_400000_NS6detail17trampoline_kernelINS0_14default_configENS1_20scan_config_selectorIN3c107complexIfEEEEZZNS1_9scan_implILNS1_25lookback_scan_determinismE0ELb0ELb0ES3_PKS7_PS7_S7_ZZZN2at6native31launch_logcumsumexp_cuda_kernelERKNSE_10TensorBaseESI_lENKUlvE_clEvENKUlvE2_clEvEUlS7_S7_E_S7_EEDaPvRmT3_T4_T5_mT6_P12ihipStream_tbENKUlT_T0_E_clISt17integral_constantIbLb0EESY_IbLb1EEEEDaSU_SV_EUlSU_E0_NS1_11comp_targetILNS1_3genE5ELNS1_11target_archE942ELNS1_3gpuE9ELNS1_3repE0EEENS1_30default_config_static_selectorELNS0_4arch9wavefront6targetE1EEEvT1_ ; -- Begin function _ZN7rocprim17ROCPRIM_400000_NS6detail17trampoline_kernelINS0_14default_configENS1_20scan_config_selectorIN3c107complexIfEEEEZZNS1_9scan_implILNS1_25lookback_scan_determinismE0ELb0ELb0ES3_PKS7_PS7_S7_ZZZN2at6native31launch_logcumsumexp_cuda_kernelERKNSE_10TensorBaseESI_lENKUlvE_clEvENKUlvE2_clEvEUlS7_S7_E_S7_EEDaPvRmT3_T4_T5_mT6_P12ihipStream_tbENKUlT_T0_E_clISt17integral_constantIbLb0EESY_IbLb1EEEEDaSU_SV_EUlSU_E0_NS1_11comp_targetILNS1_3genE5ELNS1_11target_archE942ELNS1_3gpuE9ELNS1_3repE0EEENS1_30default_config_static_selectorELNS0_4arch9wavefront6targetE1EEEvT1_
	.p2align	8
	.type	_ZN7rocprim17ROCPRIM_400000_NS6detail17trampoline_kernelINS0_14default_configENS1_20scan_config_selectorIN3c107complexIfEEEEZZNS1_9scan_implILNS1_25lookback_scan_determinismE0ELb0ELb0ES3_PKS7_PS7_S7_ZZZN2at6native31launch_logcumsumexp_cuda_kernelERKNSE_10TensorBaseESI_lENKUlvE_clEvENKUlvE2_clEvEUlS7_S7_E_S7_EEDaPvRmT3_T4_T5_mT6_P12ihipStream_tbENKUlT_T0_E_clISt17integral_constantIbLb0EESY_IbLb1EEEEDaSU_SV_EUlSU_E0_NS1_11comp_targetILNS1_3genE5ELNS1_11target_archE942ELNS1_3gpuE9ELNS1_3repE0EEENS1_30default_config_static_selectorELNS0_4arch9wavefront6targetE1EEEvT1_,@function
_ZN7rocprim17ROCPRIM_400000_NS6detail17trampoline_kernelINS0_14default_configENS1_20scan_config_selectorIN3c107complexIfEEEEZZNS1_9scan_implILNS1_25lookback_scan_determinismE0ELb0ELb0ES3_PKS7_PS7_S7_ZZZN2at6native31launch_logcumsumexp_cuda_kernelERKNSE_10TensorBaseESI_lENKUlvE_clEvENKUlvE2_clEvEUlS7_S7_E_S7_EEDaPvRmT3_T4_T5_mT6_P12ihipStream_tbENKUlT_T0_E_clISt17integral_constantIbLb0EESY_IbLb1EEEEDaSU_SV_EUlSU_E0_NS1_11comp_targetILNS1_3genE5ELNS1_11target_archE942ELNS1_3gpuE9ELNS1_3repE0EEENS1_30default_config_static_selectorELNS0_4arch9wavefront6targetE1EEEvT1_: ; @_ZN7rocprim17ROCPRIM_400000_NS6detail17trampoline_kernelINS0_14default_configENS1_20scan_config_selectorIN3c107complexIfEEEEZZNS1_9scan_implILNS1_25lookback_scan_determinismE0ELb0ELb0ES3_PKS7_PS7_S7_ZZZN2at6native31launch_logcumsumexp_cuda_kernelERKNSE_10TensorBaseESI_lENKUlvE_clEvENKUlvE2_clEvEUlS7_S7_E_S7_EEDaPvRmT3_T4_T5_mT6_P12ihipStream_tbENKUlT_T0_E_clISt17integral_constantIbLb0EESY_IbLb1EEEEDaSU_SV_EUlSU_E0_NS1_11comp_targetILNS1_3genE5ELNS1_11target_archE942ELNS1_3gpuE9ELNS1_3repE0EEENS1_30default_config_static_selectorELNS0_4arch9wavefront6targetE1EEEvT1_
; %bb.0:
	s_mov_b64 s[50:51], s[0:1]
	s_load_dwordx4 s[0:3], s[0:1], 0x0
	v_mov_b32_e32 v27, v0
	v_lshlrev_b32_e32 v92, 3, v27
	s_mov_b32 s32, 0
	s_waitcnt lgkmcnt(0)
	s_load_dwordx2 s[4:5], s[0:1], 0x0
	v_cmp_gt_u32_e64 s[16:17], s2, v27
	s_waitcnt lgkmcnt(0)
	v_mov_b64_e32 v[0:1], s[4:5]
	s_and_saveexec_b64 s[6:7], s[16:17]
	s_cbranch_execz .LBB347_2
; %bb.1:
	global_load_dwordx2 v[0:1], v92, s[0:1]
.LBB347_2:
	s_or_b64 exec, exec, s[6:7]
	v_or_b32_e32 v2, 0x100, v27
	v_cmp_gt_u32_e64 s[18:19], s2, v2
	v_mov_b64_e32 v[2:3], s[4:5]
	s_and_saveexec_b64 s[6:7], s[18:19]
	s_cbranch_execz .LBB347_4
; %bb.3:
	global_load_dwordx2 v[2:3], v92, s[0:1] offset:2048
.LBB347_4:
	s_or_b64 exec, exec, s[6:7]
	v_or_b32_e32 v6, 0x200, v27
	v_cmp_gt_u32_e64 s[20:21], s2, v6
	v_mov_b64_e32 v[4:5], s[4:5]
	s_and_saveexec_b64 s[6:7], s[20:21]
	s_cbranch_execz .LBB347_6
; %bb.5:
	v_lshlrev_b32_e32 v4, 3, v6
	global_load_dwordx2 v[4:5], v4, s[0:1]
.LBB347_6:
	s_or_b64 exec, exec, s[6:7]
	v_or_b32_e32 v8, 0x300, v27
	v_cmp_gt_u32_e64 s[22:23], s2, v8
	v_mov_b64_e32 v[6:7], s[4:5]
	s_and_saveexec_b64 s[6:7], s[22:23]
	s_cbranch_execz .LBB347_8
; %bb.7:
	v_lshlrev_b32_e32 v6, 3, v8
	global_load_dwordx2 v[6:7], v6, s[0:1]
.LBB347_8:
	s_or_b64 exec, exec, s[6:7]
	v_or_b32_e32 v10, 0x400, v27
	v_cmp_gt_u32_e64 s[24:25], s2, v10
	v_mov_b64_e32 v[8:9], s[4:5]
	s_and_saveexec_b64 s[6:7], s[24:25]
	s_cbranch_execz .LBB347_10
; %bb.9:
	v_lshlrev_b32_e32 v8, 3, v10
	global_load_dwordx2 v[8:9], v8, s[0:1]
.LBB347_10:
	s_or_b64 exec, exec, s[6:7]
	v_or_b32_e32 v12, 0x500, v27
	v_cmp_gt_u32_e64 s[26:27], s2, v12
	v_mov_b64_e32 v[10:11], s[4:5]
	s_and_saveexec_b64 s[6:7], s[26:27]
	s_cbranch_execz .LBB347_12
; %bb.11:
	v_lshlrev_b32_e32 v10, 3, v12
	global_load_dwordx2 v[10:11], v10, s[0:1]
.LBB347_12:
	s_or_b64 exec, exec, s[6:7]
	v_or_b32_e32 v14, 0x600, v27
	v_cmp_gt_u32_e64 s[28:29], s2, v14
	v_mov_b64_e32 v[12:13], s[4:5]
	s_and_saveexec_b64 s[6:7], s[28:29]
	s_cbranch_execz .LBB347_14
; %bb.13:
	v_lshlrev_b32_e32 v12, 3, v14
	global_load_dwordx2 v[12:13], v12, s[0:1]
.LBB347_14:
	s_or_b64 exec, exec, s[6:7]
	v_or_b32_e32 v16, 0x700, v27
	v_cmp_gt_u32_e64 s[34:35], s2, v16
	v_mov_b64_e32 v[14:15], s[4:5]
	s_and_saveexec_b64 s[6:7], s[34:35]
	s_cbranch_execz .LBB347_16
; %bb.15:
	v_lshlrev_b32_e32 v14, 3, v16
	global_load_dwordx2 v[14:15], v14, s[0:1]
.LBB347_16:
	s_or_b64 exec, exec, s[6:7]
	v_or_b32_e32 v18, 0x800, v27
	v_cmp_gt_u32_e64 s[36:37], s2, v18
	v_mov_b64_e32 v[16:17], s[4:5]
	s_and_saveexec_b64 s[6:7], s[36:37]
	s_cbranch_execz .LBB347_18
; %bb.17:
	v_lshlrev_b32_e32 v16, 3, v18
	global_load_dwordx2 v[16:17], v16, s[0:1]
.LBB347_18:
	s_or_b64 exec, exec, s[6:7]
	v_or_b32_e32 v20, 0x900, v27
	v_cmp_gt_u32_e64 s[38:39], s2, v20
	v_mov_b64_e32 v[18:19], s[4:5]
	s_and_saveexec_b64 s[6:7], s[38:39]
	s_cbranch_execz .LBB347_20
; %bb.19:
	v_lshlrev_b32_e32 v18, 3, v20
	global_load_dwordx2 v[18:19], v18, s[0:1]
.LBB347_20:
	s_or_b64 exec, exec, s[6:7]
	v_or_b32_e32 v22, 0xa00, v27
	v_cmp_gt_u32_e64 s[40:41], s2, v22
	v_mov_b64_e32 v[20:21], s[4:5]
	s_and_saveexec_b64 s[6:7], s[40:41]
	s_cbranch_execz .LBB347_22
; %bb.21:
	v_lshlrev_b32_e32 v20, 3, v22
	global_load_dwordx2 v[20:21], v20, s[0:1]
.LBB347_22:
	s_or_b64 exec, exec, s[6:7]
	v_or_b32_e32 v24, 0xb00, v27
	v_cmp_gt_u32_e64 s[42:43], s2, v24
	v_mov_b64_e32 v[22:23], s[4:5]
	s_and_saveexec_b64 s[6:7], s[42:43]
	s_cbranch_execz .LBB347_24
; %bb.23:
	v_lshlrev_b32_e32 v22, 3, v24
	global_load_dwordx2 v[22:23], v22, s[0:1]
.LBB347_24:
	s_or_b64 exec, exec, s[6:7]
	v_or_b32_e32 v26, 0xc00, v27
	v_cmp_gt_u32_e64 s[44:45], s2, v26
	v_mov_b64_e32 v[24:25], s[4:5]
	s_and_saveexec_b64 s[6:7], s[44:45]
	s_cbranch_execz .LBB347_26
; %bb.25:
	v_lshlrev_b32_e32 v24, 3, v26
	global_load_dwordx2 v[24:25], v24, s[0:1]
.LBB347_26:
	s_or_b64 exec, exec, s[6:7]
	v_or_b32_e32 v26, 0xd00, v27
	v_cmp_gt_u32_e64 s[46:47], s2, v26
	v_mov_b64_e32 v[28:29], s[4:5]
	s_and_saveexec_b64 s[6:7], s[46:47]
	s_cbranch_execz .LBB347_28
; %bb.27:
	v_lshlrev_b32_e32 v26, 3, v26
	global_load_dwordx2 v[28:29], v26, s[0:1]
.LBB347_28:
	s_or_b64 exec, exec, s[6:7]
	v_or_b32_e32 v26, 0xe00, v27
	v_cmp_gt_u32_e64 s[48:49], s2, v26
	v_mov_b64_e32 v[30:31], s[4:5]
	s_and_saveexec_b64 s[2:3], s[48:49]
	s_cbranch_execz .LBB347_30
; %bb.29:
	v_lshlrev_b32_e32 v26, 3, v26
	global_load_dwordx2 v[30:31], v26, s[0:1]
.LBB347_30:
	s_or_b64 exec, exec, s[2:3]
	s_movk_i32 s0, 0x70
	v_mad_u32_u24 v93, v27, s0, v92
	s_waitcnt vmcnt(0)
	ds_write2st64_b64 v92, v[0:1], v[2:3] offset1:4
	ds_write2st64_b64 v92, v[4:5], v[6:7] offset0:8 offset1:12
	ds_write2st64_b64 v92, v[8:9], v[10:11] offset0:16 offset1:20
	;; [unrolled: 1-line block ×6, first 2 shown]
	ds_write_b64 v92, v[30:31] offset:28672
	s_waitcnt lgkmcnt(0)
	s_barrier
	ds_read2_b64 v[28:31], v93 offset1:1
	ds_read2_b64 v[52:55], v93 offset0:2 offset1:3
	ds_read2_b64 v[48:51], v93 offset0:4 offset1:5
	;; [unrolled: 1-line block ×6, first 2 shown]
	ds_read_b64 v[74:75], v93 offset:112
	s_waitcnt lgkmcnt(7)
	v_mov_b32_e32 v0, v28
	v_mov_b32_e32 v1, v29
	;; [unrolled: 1-line block ×4, first 2 shown]
	s_waitcnt lgkmcnt(0)
	s_barrier
	s_getpc_b64 s[54:55]
	s_add_u32 s54, s54, _ZZZZN2at6native31launch_logcumsumexp_cuda_kernelERKNS_10TensorBaseES3_lENKUlvE_clEvENKUlvE2_clEvENKUlN3c107complexIfEES8_E_clES8_S8_@rel32@lo+4
	s_addc_u32 s55, s55, _ZZZZN2at6native31launch_logcumsumexp_cuda_kernelERKNS_10TensorBaseES3_lENKUlvE_clEvENKUlvE2_clEvENKUlN3c107complexIfEES8_E_clES8_S8_@rel32@hi+12
	s_swappc_b64 s[30:31], s[54:55]
	v_mov_b32_e32 v2, v52
	v_mov_b32_e32 v3, v53
	v_mov_b32_e32 v86, v0
	v_mov_b32_e32 v87, v1
	s_swappc_b64 s[30:31], s[54:55]
	v_mov_b32_e32 v2, v54
	v_mov_b32_e32 v3, v55
	v_mov_b32_e32 v56, v0
	v_mov_b32_e32 v57, v1
	;; [unrolled: 5-line block ×13, first 2 shown]
	s_swappc_b64 s[30:31], s[54:55]
	v_mov_b32_e32 v82, v0
	v_lshrrev_b32_e32 v0, 2, v27
	v_and_b32_e32 v0, 56, v0
	v_mov_b32_e32 v83, v1
	v_add_u32_e32 v0, v92, v0
	v_cmp_gt_u32_e32 vcc, 64, v27
	ds_write_b64 v0, v[82:83]
	s_waitcnt lgkmcnt(0)
	s_barrier
	s_and_saveexec_b64 s[52:53], vcc
	s_cbranch_execz .LBB347_44
; %bb.31:
	v_lshlrev_b32_e32 v0, 2, v27
	v_lshrrev_b32_e32 v1, 3, v27
	v_add_lshl_u32 v94, v1, v0, 3
	ds_read_b64 v[84:85], v94
	ds_read2_b64 v[88:91], v94 offset0:1 offset1:2
	s_waitcnt lgkmcnt(1)
	v_mov_b32_e32 v0, v84
	v_mov_b32_e32 v1, v85
	s_waitcnt lgkmcnt(0)
	v_mov_b32_e32 v2, v88
	v_mov_b32_e32 v3, v89
	s_swappc_b64 s[30:31], s[54:55]
	v_mov_b32_e32 v2, v90
	v_mov_b32_e32 v3, v91
	s_swappc_b64 s[30:31], s[54:55]
	ds_read_b64 v[2:3], v94 offset:24
	s_swappc_b64 s[30:31], s[54:55]
	v_mov_b32_e32 v2, v0
	v_mbcnt_lo_u32_b32 v0, -1, 0
	v_mbcnt_hi_u32_b32 v88, -1, v0
	v_mov_b32_e32 v3, v1
	v_and_b32_e32 v89, 15, v88
	v_mov_b32_dpp v0, v2 row_shr:1 row_mask:0xf bank_mask:0xf
	v_mov_b32_dpp v1, v3 row_shr:1 row_mask:0xf bank_mask:0xf
	v_cmp_ne_u32_e32 vcc, 0, v89
	s_and_saveexec_b64 s[54:55], vcc
	s_cbranch_execz .LBB347_33
; %bb.32:
	s_getpc_b64 s[0:1]
	s_add_u32 s0, s0, _ZZZZN2at6native31launch_logcumsumexp_cuda_kernelERKNS_10TensorBaseES3_lENKUlvE_clEvENKUlvE2_clEvENKUlN3c107complexIfEES8_E_clES8_S8_@rel32@lo+4
	s_addc_u32 s1, s1, _ZZZZN2at6native31launch_logcumsumexp_cuda_kernelERKNS_10TensorBaseES3_lENKUlvE_clEvENKUlvE2_clEvENKUlN3c107complexIfEES8_E_clES8_S8_@rel32@hi+12
	s_swappc_b64 s[30:31], s[0:1]
	v_mov_b32_e32 v2, v0
	v_mov_b32_e32 v3, v1
.LBB347_33:
	s_or_b64 exec, exec, s[54:55]
	v_mov_b32_dpp v0, v2 row_shr:2 row_mask:0xf bank_mask:0xf
	v_mov_b32_dpp v1, v3 row_shr:2 row_mask:0xf bank_mask:0xf
	v_cmp_lt_u32_e32 vcc, 1, v89
	s_and_saveexec_b64 s[54:55], vcc
	s_cbranch_execz .LBB347_35
; %bb.34:
	s_getpc_b64 s[0:1]
	s_add_u32 s0, s0, _ZZZZN2at6native31launch_logcumsumexp_cuda_kernelERKNS_10TensorBaseES3_lENKUlvE_clEvENKUlvE2_clEvENKUlN3c107complexIfEES8_E_clES8_S8_@rel32@lo+4
	s_addc_u32 s1, s1, _ZZZZN2at6native31launch_logcumsumexp_cuda_kernelERKNS_10TensorBaseES3_lENKUlvE_clEvENKUlvE2_clEvENKUlN3c107complexIfEES8_E_clES8_S8_@rel32@hi+12
	s_swappc_b64 s[30:31], s[0:1]
	v_mov_b32_e32 v2, v0
	v_mov_b32_e32 v3, v1
.LBB347_35:
	s_or_b64 exec, exec, s[54:55]
	v_mov_b32_dpp v0, v2 row_shr:4 row_mask:0xf bank_mask:0xf
	v_mov_b32_dpp v1, v3 row_shr:4 row_mask:0xf bank_mask:0xf
	v_cmp_lt_u32_e32 vcc, 3, v89
	;; [unrolled: 14-line block ×3, first 2 shown]
	s_and_saveexec_b64 s[54:55], vcc
	s_cbranch_execz .LBB347_39
; %bb.38:
	s_getpc_b64 s[0:1]
	s_add_u32 s0, s0, _ZZZZN2at6native31launch_logcumsumexp_cuda_kernelERKNS_10TensorBaseES3_lENKUlvE_clEvENKUlvE2_clEvENKUlN3c107complexIfEES8_E_clES8_S8_@rel32@lo+4
	s_addc_u32 s1, s1, _ZZZZN2at6native31launch_logcumsumexp_cuda_kernelERKNS_10TensorBaseES3_lENKUlvE_clEvENKUlvE2_clEvENKUlN3c107complexIfEES8_E_clES8_S8_@rel32@hi+12
	s_swappc_b64 s[30:31], s[0:1]
	v_mov_b32_e32 v2, v0
	v_mov_b32_e32 v3, v1
.LBB347_39:
	s_or_b64 exec, exec, s[54:55]
	v_and_b32_e32 v4, 16, v88
	v_mov_b32_dpp v0, v2 row_bcast:15 row_mask:0xf bank_mask:0xf
	v_mov_b32_dpp v1, v3 row_bcast:15 row_mask:0xf bank_mask:0xf
	v_cmp_ne_u32_e32 vcc, 0, v4
	s_and_saveexec_b64 s[54:55], vcc
	s_cbranch_execz .LBB347_41
; %bb.40:
	s_getpc_b64 s[0:1]
	s_add_u32 s0, s0, _ZZZZN2at6native31launch_logcumsumexp_cuda_kernelERKNS_10TensorBaseES3_lENKUlvE_clEvENKUlvE2_clEvENKUlN3c107complexIfEES8_E_clES8_S8_@rel32@lo+4
	s_addc_u32 s1, s1, _ZZZZN2at6native31launch_logcumsumexp_cuda_kernelERKNS_10TensorBaseES3_lENKUlvE_clEvENKUlvE2_clEvENKUlN3c107complexIfEES8_E_clES8_S8_@rel32@hi+12
	s_swappc_b64 s[30:31], s[0:1]
	v_mov_b32_e32 v2, v0
	v_mov_b32_e32 v3, v1
.LBB347_41:
	s_or_b64 exec, exec, s[54:55]
	v_mov_b32_dpp v0, v2 row_bcast:31 row_mask:0xf bank_mask:0xf
	v_mov_b32_dpp v1, v3 row_bcast:31 row_mask:0xf bank_mask:0xf
	v_cmp_lt_u32_e32 vcc, 31, v88
	s_and_saveexec_b64 s[54:55], vcc
	s_cbranch_execz .LBB347_43
; %bb.42:
	s_getpc_b64 s[0:1]
	s_add_u32 s0, s0, _ZZZZN2at6native31launch_logcumsumexp_cuda_kernelERKNS_10TensorBaseES3_lENKUlvE_clEvENKUlvE2_clEvENKUlN3c107complexIfEES8_E_clES8_S8_@rel32@lo+4
	s_addc_u32 s1, s1, _ZZZZN2at6native31launch_logcumsumexp_cuda_kernelERKNS_10TensorBaseES3_lENKUlvE_clEvENKUlvE2_clEvENKUlN3c107complexIfEES8_E_clES8_S8_@rel32@hi+12
	s_swappc_b64 s[30:31], s[0:1]
	v_mov_b32_e32 v2, v0
	v_mov_b32_e32 v3, v1
.LBB347_43:
	s_or_b64 exec, exec, s[54:55]
	v_add_u32_e32 v0, -1, v88
	v_and_b32_e32 v1, 64, v88
	v_cmp_lt_i32_e32 vcc, v0, v1
	s_getpc_b64 s[54:55]
	s_add_u32 s54, s54, _ZZZZN2at6native31launch_logcumsumexp_cuda_kernelERKNS_10TensorBaseES3_lENKUlvE_clEvENKUlvE2_clEvENKUlN3c107complexIfEES8_E_clES8_S8_@rel32@lo+4
	s_addc_u32 s55, s55, _ZZZZN2at6native31launch_logcumsumexp_cuda_kernelERKNS_10TensorBaseES3_lENKUlvE_clEvENKUlvE2_clEvENKUlN3c107complexIfEES8_E_clES8_S8_@rel32@hi+12
	v_cndmask_b32_e32 v0, v0, v88, vcc
	v_lshlrev_b32_e32 v1, 2, v0
	ds_bpermute_b32 v0, v1, v2
	ds_bpermute_b32 v1, v1, v3
	v_mov_b32_e32 v2, v84
	v_mov_b32_e32 v3, v85
	s_swappc_b64 s[30:31], s[54:55]
	v_cmp_eq_u32_e32 vcc, 0, v27
	; wave barrier
	s_nop 1
	v_cndmask_b32_e32 v0, v0, v82, vcc
	v_cndmask_b32_e32 v1, v1, v83, vcc
	ds_write_b64 v94, v[0:1]
	; wave barrier
	ds_read2_b64 v[88:91], v94 offset0:1 offset1:2
	s_waitcnt lgkmcnt(0)
	v_mov_b32_e32 v2, v88
	v_mov_b32_e32 v3, v89
	s_swappc_b64 s[30:31], s[54:55]
	v_mov_b32_e32 v2, v90
	v_mov_b32_e32 v3, v91
	;; [unrolled: 1-line block ×4, first 2 shown]
	s_swappc_b64 s[30:31], s[54:55]
	ds_read_b64 v[2:3], v94 offset:24
	ds_write2_b64 v94, v[84:85], v[0:1] offset0:1 offset1:2
	s_swappc_b64 s[30:31], s[54:55]
	ds_write_b64 v94, v[0:1] offset:24
.LBB347_44:
	s_or_b64 exec, exec, s[52:53]
	s_load_dwordx2 s[50:51], s[50:51], 0x20
	v_cmp_ne_u32_e32 vcc, 0, v27
	v_mov_b32_e32 v1, v83
	v_mov_b32_e32 v0, v82
	s_waitcnt lgkmcnt(0)
	s_barrier
	s_and_saveexec_b64 s[0:1], vcc
	s_cbranch_execnz .LBB347_64
; %bb.45:
	s_or_b64 exec, exec, s[0:1]
	s_and_saveexec_b64 s[0:1], vcc
	s_xor_b64 s[52:53], exec, s[0:1]
	s_cbranch_execnz .LBB347_65
.LBB347_46:
	s_andn2_saveexec_b64 s[0:1], s[52:53]
.LBB347_47:
	v_mov_b32_e32 v30, v86
	v_mov_b32_e32 v31, v87
.LBB347_48:
	s_or_b64 exec, exec, s[0:1]
	s_movk_i32 s0, 0xff90
	v_mad_i32_i24 v24, v27, s0, v93
	s_waitcnt lgkmcnt(0)
	s_barrier
	ds_write2_b64 v93, v[28:29], v[30:31] offset1:1
	ds_write2_b64 v93, v[56:57], v[58:59] offset0:2 offset1:3
	ds_write2_b64 v93, v[60:61], v[62:63] offset0:4 offset1:5
	ds_write2_b64 v93, v[64:65], v[66:67] offset0:6 offset1:7
	ds_write2_b64 v93, v[68:69], v[70:71] offset0:8 offset1:9
	ds_write2_b64 v93, v[72:73], v[76:77] offset0:10 offset1:11
	ds_write2_b64 v93, v[78:79], v[80:81] offset0:12 offset1:13
	ds_write_b64 v93, v[82:83] offset:112
	s_waitcnt lgkmcnt(0)
	s_barrier
	ds_read2st64_b64 v[20:23], v24 offset0:4 offset1:8
	ds_read2st64_b64 v[16:19], v24 offset0:12 offset1:20
	;; [unrolled: 1-line block ×6, first 2 shown]
	ds_read_b64 v[28:29], v92 offset:24576
	ds_read_b64 v[24:25], v24 offset:28672
	v_mov_b32_e32 v93, 0
	v_lshl_add_u64 v[26:27], s[50:51], 0, v[92:93]
	s_and_saveexec_b64 s[0:1], s[16:17]
	s_cbranch_execnz .LBB347_66
; %bb.49:
	s_or_b64 exec, exec, s[0:1]
	s_and_saveexec_b64 s[0:1], s[18:19]
	s_cbranch_execnz .LBB347_67
.LBB347_50:
	s_or_b64 exec, exec, s[0:1]
	s_and_saveexec_b64 s[0:1], s[20:21]
	s_cbranch_execnz .LBB347_68
.LBB347_51:
	s_or_b64 exec, exec, s[0:1]
	s_and_saveexec_b64 s[0:1], s[22:23]
	s_cbranch_execnz .LBB347_69
.LBB347_52:
	s_or_b64 exec, exec, s[0:1]
	s_and_saveexec_b64 s[0:1], s[24:25]
	s_cbranch_execnz .LBB347_70
.LBB347_53:
	s_or_b64 exec, exec, s[0:1]
	s_and_saveexec_b64 s[0:1], s[26:27]
	s_cbranch_execnz .LBB347_71
.LBB347_54:
	s_or_b64 exec, exec, s[0:1]
	s_and_saveexec_b64 s[0:1], s[28:29]
	s_cbranch_execnz .LBB347_72
.LBB347_55:
	s_or_b64 exec, exec, s[0:1]
	s_and_saveexec_b64 s[0:1], s[34:35]
	s_cbranch_execnz .LBB347_73
.LBB347_56:
	s_or_b64 exec, exec, s[0:1]
	s_and_saveexec_b64 s[0:1], s[36:37]
	s_cbranch_execnz .LBB347_74
.LBB347_57:
	s_or_b64 exec, exec, s[0:1]
	s_and_saveexec_b64 s[0:1], s[38:39]
	s_cbranch_execnz .LBB347_75
.LBB347_58:
	s_or_b64 exec, exec, s[0:1]
	s_and_saveexec_b64 s[0:1], s[40:41]
	s_cbranch_execnz .LBB347_76
.LBB347_59:
	s_or_b64 exec, exec, s[0:1]
	s_and_saveexec_b64 s[0:1], s[42:43]
	s_cbranch_execnz .LBB347_77
.LBB347_60:
	s_or_b64 exec, exec, s[0:1]
	s_and_saveexec_b64 s[0:1], s[44:45]
	s_cbranch_execnz .LBB347_78
.LBB347_61:
	s_or_b64 exec, exec, s[0:1]
	s_and_saveexec_b64 s[0:1], s[46:47]
	s_cbranch_execnz .LBB347_79
.LBB347_62:
	s_or_b64 exec, exec, s[0:1]
	s_and_saveexec_b64 s[0:1], s[48:49]
	s_cbranch_execnz .LBB347_80
.LBB347_63:
	s_endpgm
.LBB347_64:
	v_add_u32_e32 v0, -1, v27
	v_lshrrev_b32_e32 v1, 5, v0
	v_add_lshl_u32 v0, v1, v0, 3
	ds_read_b64 v[0:1], v0
	s_or_b64 exec, exec, s[0:1]
	s_and_saveexec_b64 s[0:1], vcc
	s_xor_b64 s[52:53], exec, s[0:1]
	s_cbranch_execz .LBB347_46
.LBB347_65:
	v_mov_b32_e32 v2, v28
	v_mov_b32_e32 v3, v29
	s_getpc_b64 s[54:55]
	s_add_u32 s54, s54, _ZZZZN2at6native31launch_logcumsumexp_cuda_kernelERKNS_10TensorBaseES3_lENKUlvE_clEvENKUlvE2_clEvENKUlN3c107complexIfEES8_E_clES8_S8_@rel32@lo+4
	s_addc_u32 s55, s55, _ZZZZN2at6native31launch_logcumsumexp_cuda_kernelERKNS_10TensorBaseES3_lENKUlvE_clEvENKUlvE2_clEvENKUlN3c107complexIfEES8_E_clES8_S8_@rel32@hi+12
	s_swappc_b64 s[30:31], s[54:55]
	v_mov_b32_e32 v2, v30
	v_mov_b32_e32 v3, v31
	v_mov_b32_e32 v28, v0
	v_mov_b32_e32 v29, v1
	;;#ASMSTART
	;;#ASMEND
	s_swappc_b64 s[30:31], s[54:55]
	v_mov_b32_e32 v2, v52
	v_mov_b32_e32 v3, v53
	v_mov_b32_e32 v30, v0
	v_mov_b32_e32 v31, v1
	s_swappc_b64 s[30:31], s[54:55]
	v_mov_b32_e32 v2, v54
	v_mov_b32_e32 v3, v55
	v_mov_b32_e32 v56, v0
	v_mov_b32_e32 v57, v1
	;; [unrolled: 5-line block ×13, first 2 shown]
	s_swappc_b64 s[30:31], s[54:55]
	v_mov_b32_e32 v82, v0
	v_mov_b32_e32 v83, v1
                                        ; implicit-def: $vgpr86
                                        ; implicit-def: $vgpr87
	s_andn2_saveexec_b64 s[0:1], s[52:53]
	s_cbranch_execnz .LBB347_47
	s_branch .LBB347_48
.LBB347_66:
	ds_read_b64 v[30:31], v92
	s_waitcnt lgkmcnt(0)
	global_store_dwordx2 v[26:27], v[30:31], off
	s_or_b64 exec, exec, s[0:1]
	s_and_saveexec_b64 s[0:1], s[18:19]
	s_cbranch_execz .LBB347_50
.LBB347_67:
	s_waitcnt lgkmcnt(7)
	global_store_dwordx2 v[26:27], v[20:21], off offset:2048
	s_or_b64 exec, exec, s[0:1]
	s_and_saveexec_b64 s[0:1], s[20:21]
	s_cbranch_execz .LBB347_51
.LBB347_68:
	s_waitcnt lgkmcnt(7)
	v_add_co_u32_e32 v20, vcc, 0x1000, v26
	s_nop 1
	v_addc_co_u32_e32 v21, vcc, 0, v27, vcc
	global_store_dwordx2 v[20:21], v[22:23], off
	s_or_b64 exec, exec, s[0:1]
	s_and_saveexec_b64 s[0:1], s[22:23]
	s_cbranch_execz .LBB347_52
.LBB347_69:
	s_waitcnt lgkmcnt(7)
	v_add_co_u32_e32 v20, vcc, 0x1000, v26
	s_nop 1
	v_addc_co_u32_e32 v21, vcc, 0, v27, vcc
	s_waitcnt lgkmcnt(6)
	global_store_dwordx2 v[20:21], v[16:17], off offset:2048
	s_or_b64 exec, exec, s[0:1]
	s_and_saveexec_b64 s[0:1], s[24:25]
	s_cbranch_execz .LBB347_53
.LBB347_70:
	s_waitcnt lgkmcnt(6)
	v_add_co_u32_e32 v16, vcc, 0x2000, v26
	s_nop 1
	v_addc_co_u32_e32 v17, vcc, 0, v27, vcc
	s_waitcnt lgkmcnt(5)
	global_store_dwordx2 v[16:17], v[8:9], off
	s_or_b64 exec, exec, s[0:1]
	s_and_saveexec_b64 s[0:1], s[26:27]
	s_cbranch_execz .LBB347_54
.LBB347_71:
	s_waitcnt lgkmcnt(5)
	v_add_co_u32_e32 v8, vcc, 0x2000, v26
	s_nop 1
	v_addc_co_u32_e32 v9, vcc, 0, v27, vcc
	global_store_dwordx2 v[8:9], v[18:19], off offset:2048
	s_or_b64 exec, exec, s[0:1]
	s_and_saveexec_b64 s[0:1], s[28:29]
	s_cbranch_execz .LBB347_55
.LBB347_72:
	s_waitcnt lgkmcnt(5)
	v_add_co_u32_e32 v8, vcc, 0x3000, v26
	s_nop 1
	v_addc_co_u32_e32 v9, vcc, 0, v27, vcc
	s_waitcnt lgkmcnt(4)
	global_store_dwordx2 v[8:9], v[12:13], off
	s_or_b64 exec, exec, s[0:1]
	s_and_saveexec_b64 s[0:1], s[34:35]
	s_cbranch_execz .LBB347_56
.LBB347_73:
	s_waitcnt lgkmcnt(5)
	v_add_co_u32_e32 v8, vcc, 0x3000, v26
	s_nop 1
	v_addc_co_u32_e32 v9, vcc, 0, v27, vcc
	s_waitcnt lgkmcnt(4)
	global_store_dwordx2 v[8:9], v[14:15], off offset:2048
	s_or_b64 exec, exec, s[0:1]
	s_and_saveexec_b64 s[0:1], s[36:37]
	s_cbranch_execz .LBB347_57
.LBB347_74:
	s_waitcnt lgkmcnt(5)
	v_add_co_u32_e32 v8, vcc, 0x4000, v26
	s_nop 1
	v_addc_co_u32_e32 v9, vcc, 0, v27, vcc
	global_store_dwordx2 v[8:9], v[10:11], off
	s_or_b64 exec, exec, s[0:1]
	s_and_saveexec_b64 s[0:1], s[38:39]
	s_cbranch_execz .LBB347_58
.LBB347_75:
	s_waitcnt lgkmcnt(5)
	v_add_co_u32_e32 v8, vcc, 0x4000, v26
	s_nop 1
	v_addc_co_u32_e32 v9, vcc, 0, v27, vcc
	s_waitcnt lgkmcnt(3)
	global_store_dwordx2 v[8:9], v[4:5], off offset:2048
	s_or_b64 exec, exec, s[0:1]
	s_and_saveexec_b64 s[0:1], s[40:41]
	s_cbranch_execz .LBB347_59
.LBB347_76:
	s_waitcnt lgkmcnt(3)
	v_add_co_u32_e32 v4, vcc, 0x5000, v26
	s_nop 1
	v_addc_co_u32_e32 v5, vcc, 0, v27, vcc
	global_store_dwordx2 v[4:5], v[6:7], off
	s_or_b64 exec, exec, s[0:1]
	s_and_saveexec_b64 s[0:1], s[42:43]
	s_cbranch_execz .LBB347_60
.LBB347_77:
	s_waitcnt lgkmcnt(3)
	v_add_co_u32_e32 v4, vcc, 0x5000, v26
	s_nop 1
	v_addc_co_u32_e32 v5, vcc, 0, v27, vcc
	s_waitcnt lgkmcnt(2)
	global_store_dwordx2 v[4:5], v[0:1], off offset:2048
	s_or_b64 exec, exec, s[0:1]
	s_and_saveexec_b64 s[0:1], s[44:45]
	s_cbranch_execz .LBB347_61
.LBB347_78:
	s_waitcnt lgkmcnt(2)
	v_add_co_u32_e32 v0, vcc, 0x6000, v26
	s_nop 1
	v_addc_co_u32_e32 v1, vcc, 0, v27, vcc
	s_waitcnt lgkmcnt(1)
	global_store_dwordx2 v[0:1], v[28:29], off
	s_or_b64 exec, exec, s[0:1]
	s_and_saveexec_b64 s[0:1], s[46:47]
	s_cbranch_execz .LBB347_62
.LBB347_79:
	s_waitcnt lgkmcnt(2)
	v_add_co_u32_e32 v0, vcc, 0x6000, v26
	s_nop 1
	v_addc_co_u32_e32 v1, vcc, 0, v27, vcc
	global_store_dwordx2 v[0:1], v[2:3], off offset:2048
	s_or_b64 exec, exec, s[0:1]
	s_and_saveexec_b64 s[0:1], s[48:49]
	s_cbranch_execz .LBB347_63
.LBB347_80:
	s_waitcnt lgkmcnt(2)
	v_add_co_u32_e32 v0, vcc, 0x7000, v26
	s_nop 1
	v_addc_co_u32_e32 v1, vcc, 0, v27, vcc
	s_waitcnt lgkmcnt(0)
	global_store_dwordx2 v[0:1], v[24:25], off
	s_endpgm
	.section	.rodata,"a",@progbits
	.p2align	6, 0x0
	.amdhsa_kernel _ZN7rocprim17ROCPRIM_400000_NS6detail17trampoline_kernelINS0_14default_configENS1_20scan_config_selectorIN3c107complexIfEEEEZZNS1_9scan_implILNS1_25lookback_scan_determinismE0ELb0ELb0ES3_PKS7_PS7_S7_ZZZN2at6native31launch_logcumsumexp_cuda_kernelERKNSE_10TensorBaseESI_lENKUlvE_clEvENKUlvE2_clEvEUlS7_S7_E_S7_EEDaPvRmT3_T4_T5_mT6_P12ihipStream_tbENKUlT_T0_E_clISt17integral_constantIbLb0EESY_IbLb1EEEEDaSU_SV_EUlSU_E0_NS1_11comp_targetILNS1_3genE5ELNS1_11target_archE942ELNS1_3gpuE9ELNS1_3repE0EEENS1_30default_config_static_selectorELNS0_4arch9wavefront6targetE1EEEvT1_
		.amdhsa_group_segment_fixed_size 30720
		.amdhsa_private_segment_fixed_size 0
		.amdhsa_kernarg_size 40
		.amdhsa_user_sgpr_count 2
		.amdhsa_user_sgpr_dispatch_ptr 0
		.amdhsa_user_sgpr_queue_ptr 0
		.amdhsa_user_sgpr_kernarg_segment_ptr 1
		.amdhsa_user_sgpr_dispatch_id 0
		.amdhsa_user_sgpr_kernarg_preload_length 0
		.amdhsa_user_sgpr_kernarg_preload_offset 0
		.amdhsa_user_sgpr_private_segment_size 0
		.amdhsa_uses_dynamic_stack 0
		.amdhsa_enable_private_segment 0
		.amdhsa_system_sgpr_workgroup_id_x 1
		.amdhsa_system_sgpr_workgroup_id_y 0
		.amdhsa_system_sgpr_workgroup_id_z 0
		.amdhsa_system_sgpr_workgroup_info 0
		.amdhsa_system_vgpr_workitem_id 0
		.amdhsa_next_free_vgpr 95
		.amdhsa_next_free_sgpr 56
		.amdhsa_accum_offset 96
		.amdhsa_reserve_vcc 1
		.amdhsa_float_round_mode_32 0
		.amdhsa_float_round_mode_16_64 0
		.amdhsa_float_denorm_mode_32 3
		.amdhsa_float_denorm_mode_16_64 3
		.amdhsa_dx10_clamp 1
		.amdhsa_ieee_mode 1
		.amdhsa_fp16_overflow 0
		.amdhsa_tg_split 0
		.amdhsa_exception_fp_ieee_invalid_op 0
		.amdhsa_exception_fp_denorm_src 0
		.amdhsa_exception_fp_ieee_div_zero 0
		.amdhsa_exception_fp_ieee_overflow 0
		.amdhsa_exception_fp_ieee_underflow 0
		.amdhsa_exception_fp_ieee_inexact 0
		.amdhsa_exception_int_div_zero 0
	.end_amdhsa_kernel
	.section	.text._ZN7rocprim17ROCPRIM_400000_NS6detail17trampoline_kernelINS0_14default_configENS1_20scan_config_selectorIN3c107complexIfEEEEZZNS1_9scan_implILNS1_25lookback_scan_determinismE0ELb0ELb0ES3_PKS7_PS7_S7_ZZZN2at6native31launch_logcumsumexp_cuda_kernelERKNSE_10TensorBaseESI_lENKUlvE_clEvENKUlvE2_clEvEUlS7_S7_E_S7_EEDaPvRmT3_T4_T5_mT6_P12ihipStream_tbENKUlT_T0_E_clISt17integral_constantIbLb0EESY_IbLb1EEEEDaSU_SV_EUlSU_E0_NS1_11comp_targetILNS1_3genE5ELNS1_11target_archE942ELNS1_3gpuE9ELNS1_3repE0EEENS1_30default_config_static_selectorELNS0_4arch9wavefront6targetE1EEEvT1_,"axG",@progbits,_ZN7rocprim17ROCPRIM_400000_NS6detail17trampoline_kernelINS0_14default_configENS1_20scan_config_selectorIN3c107complexIfEEEEZZNS1_9scan_implILNS1_25lookback_scan_determinismE0ELb0ELb0ES3_PKS7_PS7_S7_ZZZN2at6native31launch_logcumsumexp_cuda_kernelERKNSE_10TensorBaseESI_lENKUlvE_clEvENKUlvE2_clEvEUlS7_S7_E_S7_EEDaPvRmT3_T4_T5_mT6_P12ihipStream_tbENKUlT_T0_E_clISt17integral_constantIbLb0EESY_IbLb1EEEEDaSU_SV_EUlSU_E0_NS1_11comp_targetILNS1_3genE5ELNS1_11target_archE942ELNS1_3gpuE9ELNS1_3repE0EEENS1_30default_config_static_selectorELNS0_4arch9wavefront6targetE1EEEvT1_,comdat
.Lfunc_end347:
	.size	_ZN7rocprim17ROCPRIM_400000_NS6detail17trampoline_kernelINS0_14default_configENS1_20scan_config_selectorIN3c107complexIfEEEEZZNS1_9scan_implILNS1_25lookback_scan_determinismE0ELb0ELb0ES3_PKS7_PS7_S7_ZZZN2at6native31launch_logcumsumexp_cuda_kernelERKNSE_10TensorBaseESI_lENKUlvE_clEvENKUlvE2_clEvEUlS7_S7_E_S7_EEDaPvRmT3_T4_T5_mT6_P12ihipStream_tbENKUlT_T0_E_clISt17integral_constantIbLb0EESY_IbLb1EEEEDaSU_SV_EUlSU_E0_NS1_11comp_targetILNS1_3genE5ELNS1_11target_archE942ELNS1_3gpuE9ELNS1_3repE0EEENS1_30default_config_static_selectorELNS0_4arch9wavefront6targetE1EEEvT1_, .Lfunc_end347-_ZN7rocprim17ROCPRIM_400000_NS6detail17trampoline_kernelINS0_14default_configENS1_20scan_config_selectorIN3c107complexIfEEEEZZNS1_9scan_implILNS1_25lookback_scan_determinismE0ELb0ELb0ES3_PKS7_PS7_S7_ZZZN2at6native31launch_logcumsumexp_cuda_kernelERKNSE_10TensorBaseESI_lENKUlvE_clEvENKUlvE2_clEvEUlS7_S7_E_S7_EEDaPvRmT3_T4_T5_mT6_P12ihipStream_tbENKUlT_T0_E_clISt17integral_constantIbLb0EESY_IbLb1EEEEDaSU_SV_EUlSU_E0_NS1_11comp_targetILNS1_3genE5ELNS1_11target_archE942ELNS1_3gpuE9ELNS1_3repE0EEENS1_30default_config_static_selectorELNS0_4arch9wavefront6targetE1EEEvT1_
                                        ; -- End function
	.section	.AMDGPU.csdata,"",@progbits
; Kernel info:
; codeLenInByte = 3252
; NumSgprs: 62
; NumVgprs: 95
; NumAgprs: 0
; TotalNumVgprs: 95
; ScratchSize: 0
; MemoryBound: 0
; FloatMode: 240
; IeeeMode: 1
; LDSByteSize: 30720 bytes/workgroup (compile time only)
; SGPRBlocks: 7
; VGPRBlocks: 11
; NumSGPRsForWavesPerEU: 62
; NumVGPRsForWavesPerEU: 95
; AccumOffset: 96
; Occupancy: 2
; WaveLimiterHint : 0
; COMPUTE_PGM_RSRC2:SCRATCH_EN: 0
; COMPUTE_PGM_RSRC2:USER_SGPR: 2
; COMPUTE_PGM_RSRC2:TRAP_HANDLER: 0
; COMPUTE_PGM_RSRC2:TGID_X_EN: 1
; COMPUTE_PGM_RSRC2:TGID_Y_EN: 0
; COMPUTE_PGM_RSRC2:TGID_Z_EN: 0
; COMPUTE_PGM_RSRC2:TIDIG_COMP_CNT: 0
; COMPUTE_PGM_RSRC3_GFX90A:ACCUM_OFFSET: 23
; COMPUTE_PGM_RSRC3_GFX90A:TG_SPLIT: 0
	.section	.text._ZN7rocprim17ROCPRIM_400000_NS6detail17trampoline_kernelINS0_14default_configENS1_20scan_config_selectorIN3c107complexIfEEEEZZNS1_9scan_implILNS1_25lookback_scan_determinismE0ELb0ELb0ES3_PKS7_PS7_S7_ZZZN2at6native31launch_logcumsumexp_cuda_kernelERKNSE_10TensorBaseESI_lENKUlvE_clEvENKUlvE2_clEvEUlS7_S7_E_S7_EEDaPvRmT3_T4_T5_mT6_P12ihipStream_tbENKUlT_T0_E_clISt17integral_constantIbLb0EESY_IbLb1EEEEDaSU_SV_EUlSU_E0_NS1_11comp_targetILNS1_3genE4ELNS1_11target_archE910ELNS1_3gpuE8ELNS1_3repE0EEENS1_30default_config_static_selectorELNS0_4arch9wavefront6targetE1EEEvT1_,"axG",@progbits,_ZN7rocprim17ROCPRIM_400000_NS6detail17trampoline_kernelINS0_14default_configENS1_20scan_config_selectorIN3c107complexIfEEEEZZNS1_9scan_implILNS1_25lookback_scan_determinismE0ELb0ELb0ES3_PKS7_PS7_S7_ZZZN2at6native31launch_logcumsumexp_cuda_kernelERKNSE_10TensorBaseESI_lENKUlvE_clEvENKUlvE2_clEvEUlS7_S7_E_S7_EEDaPvRmT3_T4_T5_mT6_P12ihipStream_tbENKUlT_T0_E_clISt17integral_constantIbLb0EESY_IbLb1EEEEDaSU_SV_EUlSU_E0_NS1_11comp_targetILNS1_3genE4ELNS1_11target_archE910ELNS1_3gpuE8ELNS1_3repE0EEENS1_30default_config_static_selectorELNS0_4arch9wavefront6targetE1EEEvT1_,comdat
	.globl	_ZN7rocprim17ROCPRIM_400000_NS6detail17trampoline_kernelINS0_14default_configENS1_20scan_config_selectorIN3c107complexIfEEEEZZNS1_9scan_implILNS1_25lookback_scan_determinismE0ELb0ELb0ES3_PKS7_PS7_S7_ZZZN2at6native31launch_logcumsumexp_cuda_kernelERKNSE_10TensorBaseESI_lENKUlvE_clEvENKUlvE2_clEvEUlS7_S7_E_S7_EEDaPvRmT3_T4_T5_mT6_P12ihipStream_tbENKUlT_T0_E_clISt17integral_constantIbLb0EESY_IbLb1EEEEDaSU_SV_EUlSU_E0_NS1_11comp_targetILNS1_3genE4ELNS1_11target_archE910ELNS1_3gpuE8ELNS1_3repE0EEENS1_30default_config_static_selectorELNS0_4arch9wavefront6targetE1EEEvT1_ ; -- Begin function _ZN7rocprim17ROCPRIM_400000_NS6detail17trampoline_kernelINS0_14default_configENS1_20scan_config_selectorIN3c107complexIfEEEEZZNS1_9scan_implILNS1_25lookback_scan_determinismE0ELb0ELb0ES3_PKS7_PS7_S7_ZZZN2at6native31launch_logcumsumexp_cuda_kernelERKNSE_10TensorBaseESI_lENKUlvE_clEvENKUlvE2_clEvEUlS7_S7_E_S7_EEDaPvRmT3_T4_T5_mT6_P12ihipStream_tbENKUlT_T0_E_clISt17integral_constantIbLb0EESY_IbLb1EEEEDaSU_SV_EUlSU_E0_NS1_11comp_targetILNS1_3genE4ELNS1_11target_archE910ELNS1_3gpuE8ELNS1_3repE0EEENS1_30default_config_static_selectorELNS0_4arch9wavefront6targetE1EEEvT1_
	.p2align	8
	.type	_ZN7rocprim17ROCPRIM_400000_NS6detail17trampoline_kernelINS0_14default_configENS1_20scan_config_selectorIN3c107complexIfEEEEZZNS1_9scan_implILNS1_25lookback_scan_determinismE0ELb0ELb0ES3_PKS7_PS7_S7_ZZZN2at6native31launch_logcumsumexp_cuda_kernelERKNSE_10TensorBaseESI_lENKUlvE_clEvENKUlvE2_clEvEUlS7_S7_E_S7_EEDaPvRmT3_T4_T5_mT6_P12ihipStream_tbENKUlT_T0_E_clISt17integral_constantIbLb0EESY_IbLb1EEEEDaSU_SV_EUlSU_E0_NS1_11comp_targetILNS1_3genE4ELNS1_11target_archE910ELNS1_3gpuE8ELNS1_3repE0EEENS1_30default_config_static_selectorELNS0_4arch9wavefront6targetE1EEEvT1_,@function
_ZN7rocprim17ROCPRIM_400000_NS6detail17trampoline_kernelINS0_14default_configENS1_20scan_config_selectorIN3c107complexIfEEEEZZNS1_9scan_implILNS1_25lookback_scan_determinismE0ELb0ELb0ES3_PKS7_PS7_S7_ZZZN2at6native31launch_logcumsumexp_cuda_kernelERKNSE_10TensorBaseESI_lENKUlvE_clEvENKUlvE2_clEvEUlS7_S7_E_S7_EEDaPvRmT3_T4_T5_mT6_P12ihipStream_tbENKUlT_T0_E_clISt17integral_constantIbLb0EESY_IbLb1EEEEDaSU_SV_EUlSU_E0_NS1_11comp_targetILNS1_3genE4ELNS1_11target_archE910ELNS1_3gpuE8ELNS1_3repE0EEENS1_30default_config_static_selectorELNS0_4arch9wavefront6targetE1EEEvT1_: ; @_ZN7rocprim17ROCPRIM_400000_NS6detail17trampoline_kernelINS0_14default_configENS1_20scan_config_selectorIN3c107complexIfEEEEZZNS1_9scan_implILNS1_25lookback_scan_determinismE0ELb0ELb0ES3_PKS7_PS7_S7_ZZZN2at6native31launch_logcumsumexp_cuda_kernelERKNSE_10TensorBaseESI_lENKUlvE_clEvENKUlvE2_clEvEUlS7_S7_E_S7_EEDaPvRmT3_T4_T5_mT6_P12ihipStream_tbENKUlT_T0_E_clISt17integral_constantIbLb0EESY_IbLb1EEEEDaSU_SV_EUlSU_E0_NS1_11comp_targetILNS1_3genE4ELNS1_11target_archE910ELNS1_3gpuE8ELNS1_3repE0EEENS1_30default_config_static_selectorELNS0_4arch9wavefront6targetE1EEEvT1_
; %bb.0:
	.section	.rodata,"a",@progbits
	.p2align	6, 0x0
	.amdhsa_kernel _ZN7rocprim17ROCPRIM_400000_NS6detail17trampoline_kernelINS0_14default_configENS1_20scan_config_selectorIN3c107complexIfEEEEZZNS1_9scan_implILNS1_25lookback_scan_determinismE0ELb0ELb0ES3_PKS7_PS7_S7_ZZZN2at6native31launch_logcumsumexp_cuda_kernelERKNSE_10TensorBaseESI_lENKUlvE_clEvENKUlvE2_clEvEUlS7_S7_E_S7_EEDaPvRmT3_T4_T5_mT6_P12ihipStream_tbENKUlT_T0_E_clISt17integral_constantIbLb0EESY_IbLb1EEEEDaSU_SV_EUlSU_E0_NS1_11comp_targetILNS1_3genE4ELNS1_11target_archE910ELNS1_3gpuE8ELNS1_3repE0EEENS1_30default_config_static_selectorELNS0_4arch9wavefront6targetE1EEEvT1_
		.amdhsa_group_segment_fixed_size 0
		.amdhsa_private_segment_fixed_size 0
		.amdhsa_kernarg_size 40
		.amdhsa_user_sgpr_count 2
		.amdhsa_user_sgpr_dispatch_ptr 0
		.amdhsa_user_sgpr_queue_ptr 0
		.amdhsa_user_sgpr_kernarg_segment_ptr 1
		.amdhsa_user_sgpr_dispatch_id 0
		.amdhsa_user_sgpr_kernarg_preload_length 0
		.amdhsa_user_sgpr_kernarg_preload_offset 0
		.amdhsa_user_sgpr_private_segment_size 0
		.amdhsa_uses_dynamic_stack 0
		.amdhsa_enable_private_segment 0
		.amdhsa_system_sgpr_workgroup_id_x 1
		.amdhsa_system_sgpr_workgroup_id_y 0
		.amdhsa_system_sgpr_workgroup_id_z 0
		.amdhsa_system_sgpr_workgroup_info 0
		.amdhsa_system_vgpr_workitem_id 0
		.amdhsa_next_free_vgpr 1
		.amdhsa_next_free_sgpr 0
		.amdhsa_accum_offset 4
		.amdhsa_reserve_vcc 0
		.amdhsa_float_round_mode_32 0
		.amdhsa_float_round_mode_16_64 0
		.amdhsa_float_denorm_mode_32 3
		.amdhsa_float_denorm_mode_16_64 3
		.amdhsa_dx10_clamp 1
		.amdhsa_ieee_mode 1
		.amdhsa_fp16_overflow 0
		.amdhsa_tg_split 0
		.amdhsa_exception_fp_ieee_invalid_op 0
		.amdhsa_exception_fp_denorm_src 0
		.amdhsa_exception_fp_ieee_div_zero 0
		.amdhsa_exception_fp_ieee_overflow 0
		.amdhsa_exception_fp_ieee_underflow 0
		.amdhsa_exception_fp_ieee_inexact 0
		.amdhsa_exception_int_div_zero 0
	.end_amdhsa_kernel
	.section	.text._ZN7rocprim17ROCPRIM_400000_NS6detail17trampoline_kernelINS0_14default_configENS1_20scan_config_selectorIN3c107complexIfEEEEZZNS1_9scan_implILNS1_25lookback_scan_determinismE0ELb0ELb0ES3_PKS7_PS7_S7_ZZZN2at6native31launch_logcumsumexp_cuda_kernelERKNSE_10TensorBaseESI_lENKUlvE_clEvENKUlvE2_clEvEUlS7_S7_E_S7_EEDaPvRmT3_T4_T5_mT6_P12ihipStream_tbENKUlT_T0_E_clISt17integral_constantIbLb0EESY_IbLb1EEEEDaSU_SV_EUlSU_E0_NS1_11comp_targetILNS1_3genE4ELNS1_11target_archE910ELNS1_3gpuE8ELNS1_3repE0EEENS1_30default_config_static_selectorELNS0_4arch9wavefront6targetE1EEEvT1_,"axG",@progbits,_ZN7rocprim17ROCPRIM_400000_NS6detail17trampoline_kernelINS0_14default_configENS1_20scan_config_selectorIN3c107complexIfEEEEZZNS1_9scan_implILNS1_25lookback_scan_determinismE0ELb0ELb0ES3_PKS7_PS7_S7_ZZZN2at6native31launch_logcumsumexp_cuda_kernelERKNSE_10TensorBaseESI_lENKUlvE_clEvENKUlvE2_clEvEUlS7_S7_E_S7_EEDaPvRmT3_T4_T5_mT6_P12ihipStream_tbENKUlT_T0_E_clISt17integral_constantIbLb0EESY_IbLb1EEEEDaSU_SV_EUlSU_E0_NS1_11comp_targetILNS1_3genE4ELNS1_11target_archE910ELNS1_3gpuE8ELNS1_3repE0EEENS1_30default_config_static_selectorELNS0_4arch9wavefront6targetE1EEEvT1_,comdat
.Lfunc_end348:
	.size	_ZN7rocprim17ROCPRIM_400000_NS6detail17trampoline_kernelINS0_14default_configENS1_20scan_config_selectorIN3c107complexIfEEEEZZNS1_9scan_implILNS1_25lookback_scan_determinismE0ELb0ELb0ES3_PKS7_PS7_S7_ZZZN2at6native31launch_logcumsumexp_cuda_kernelERKNSE_10TensorBaseESI_lENKUlvE_clEvENKUlvE2_clEvEUlS7_S7_E_S7_EEDaPvRmT3_T4_T5_mT6_P12ihipStream_tbENKUlT_T0_E_clISt17integral_constantIbLb0EESY_IbLb1EEEEDaSU_SV_EUlSU_E0_NS1_11comp_targetILNS1_3genE4ELNS1_11target_archE910ELNS1_3gpuE8ELNS1_3repE0EEENS1_30default_config_static_selectorELNS0_4arch9wavefront6targetE1EEEvT1_, .Lfunc_end348-_ZN7rocprim17ROCPRIM_400000_NS6detail17trampoline_kernelINS0_14default_configENS1_20scan_config_selectorIN3c107complexIfEEEEZZNS1_9scan_implILNS1_25lookback_scan_determinismE0ELb0ELb0ES3_PKS7_PS7_S7_ZZZN2at6native31launch_logcumsumexp_cuda_kernelERKNSE_10TensorBaseESI_lENKUlvE_clEvENKUlvE2_clEvEUlS7_S7_E_S7_EEDaPvRmT3_T4_T5_mT6_P12ihipStream_tbENKUlT_T0_E_clISt17integral_constantIbLb0EESY_IbLb1EEEEDaSU_SV_EUlSU_E0_NS1_11comp_targetILNS1_3genE4ELNS1_11target_archE910ELNS1_3gpuE8ELNS1_3repE0EEENS1_30default_config_static_selectorELNS0_4arch9wavefront6targetE1EEEvT1_
                                        ; -- End function
	.section	.AMDGPU.csdata,"",@progbits
; Kernel info:
; codeLenInByte = 0
; NumSgprs: 6
; NumVgprs: 0
; NumAgprs: 0
; TotalNumVgprs: 0
; ScratchSize: 0
; MemoryBound: 0
; FloatMode: 240
; IeeeMode: 1
; LDSByteSize: 0 bytes/workgroup (compile time only)
; SGPRBlocks: 0
; VGPRBlocks: 0
; NumSGPRsForWavesPerEU: 6
; NumVGPRsForWavesPerEU: 1
; AccumOffset: 4
; Occupancy: 8
; WaveLimiterHint : 0
; COMPUTE_PGM_RSRC2:SCRATCH_EN: 0
; COMPUTE_PGM_RSRC2:USER_SGPR: 2
; COMPUTE_PGM_RSRC2:TRAP_HANDLER: 0
; COMPUTE_PGM_RSRC2:TGID_X_EN: 1
; COMPUTE_PGM_RSRC2:TGID_Y_EN: 0
; COMPUTE_PGM_RSRC2:TGID_Z_EN: 0
; COMPUTE_PGM_RSRC2:TIDIG_COMP_CNT: 0
; COMPUTE_PGM_RSRC3_GFX90A:ACCUM_OFFSET: 0
; COMPUTE_PGM_RSRC3_GFX90A:TG_SPLIT: 0
	.section	.text._ZN7rocprim17ROCPRIM_400000_NS6detail17trampoline_kernelINS0_14default_configENS1_20scan_config_selectorIN3c107complexIfEEEEZZNS1_9scan_implILNS1_25lookback_scan_determinismE0ELb0ELb0ES3_PKS7_PS7_S7_ZZZN2at6native31launch_logcumsumexp_cuda_kernelERKNSE_10TensorBaseESI_lENKUlvE_clEvENKUlvE2_clEvEUlS7_S7_E_S7_EEDaPvRmT3_T4_T5_mT6_P12ihipStream_tbENKUlT_T0_E_clISt17integral_constantIbLb0EESY_IbLb1EEEEDaSU_SV_EUlSU_E0_NS1_11comp_targetILNS1_3genE3ELNS1_11target_archE908ELNS1_3gpuE7ELNS1_3repE0EEENS1_30default_config_static_selectorELNS0_4arch9wavefront6targetE1EEEvT1_,"axG",@progbits,_ZN7rocprim17ROCPRIM_400000_NS6detail17trampoline_kernelINS0_14default_configENS1_20scan_config_selectorIN3c107complexIfEEEEZZNS1_9scan_implILNS1_25lookback_scan_determinismE0ELb0ELb0ES3_PKS7_PS7_S7_ZZZN2at6native31launch_logcumsumexp_cuda_kernelERKNSE_10TensorBaseESI_lENKUlvE_clEvENKUlvE2_clEvEUlS7_S7_E_S7_EEDaPvRmT3_T4_T5_mT6_P12ihipStream_tbENKUlT_T0_E_clISt17integral_constantIbLb0EESY_IbLb1EEEEDaSU_SV_EUlSU_E0_NS1_11comp_targetILNS1_3genE3ELNS1_11target_archE908ELNS1_3gpuE7ELNS1_3repE0EEENS1_30default_config_static_selectorELNS0_4arch9wavefront6targetE1EEEvT1_,comdat
	.globl	_ZN7rocprim17ROCPRIM_400000_NS6detail17trampoline_kernelINS0_14default_configENS1_20scan_config_selectorIN3c107complexIfEEEEZZNS1_9scan_implILNS1_25lookback_scan_determinismE0ELb0ELb0ES3_PKS7_PS7_S7_ZZZN2at6native31launch_logcumsumexp_cuda_kernelERKNSE_10TensorBaseESI_lENKUlvE_clEvENKUlvE2_clEvEUlS7_S7_E_S7_EEDaPvRmT3_T4_T5_mT6_P12ihipStream_tbENKUlT_T0_E_clISt17integral_constantIbLb0EESY_IbLb1EEEEDaSU_SV_EUlSU_E0_NS1_11comp_targetILNS1_3genE3ELNS1_11target_archE908ELNS1_3gpuE7ELNS1_3repE0EEENS1_30default_config_static_selectorELNS0_4arch9wavefront6targetE1EEEvT1_ ; -- Begin function _ZN7rocprim17ROCPRIM_400000_NS6detail17trampoline_kernelINS0_14default_configENS1_20scan_config_selectorIN3c107complexIfEEEEZZNS1_9scan_implILNS1_25lookback_scan_determinismE0ELb0ELb0ES3_PKS7_PS7_S7_ZZZN2at6native31launch_logcumsumexp_cuda_kernelERKNSE_10TensorBaseESI_lENKUlvE_clEvENKUlvE2_clEvEUlS7_S7_E_S7_EEDaPvRmT3_T4_T5_mT6_P12ihipStream_tbENKUlT_T0_E_clISt17integral_constantIbLb0EESY_IbLb1EEEEDaSU_SV_EUlSU_E0_NS1_11comp_targetILNS1_3genE3ELNS1_11target_archE908ELNS1_3gpuE7ELNS1_3repE0EEENS1_30default_config_static_selectorELNS0_4arch9wavefront6targetE1EEEvT1_
	.p2align	8
	.type	_ZN7rocprim17ROCPRIM_400000_NS6detail17trampoline_kernelINS0_14default_configENS1_20scan_config_selectorIN3c107complexIfEEEEZZNS1_9scan_implILNS1_25lookback_scan_determinismE0ELb0ELb0ES3_PKS7_PS7_S7_ZZZN2at6native31launch_logcumsumexp_cuda_kernelERKNSE_10TensorBaseESI_lENKUlvE_clEvENKUlvE2_clEvEUlS7_S7_E_S7_EEDaPvRmT3_T4_T5_mT6_P12ihipStream_tbENKUlT_T0_E_clISt17integral_constantIbLb0EESY_IbLb1EEEEDaSU_SV_EUlSU_E0_NS1_11comp_targetILNS1_3genE3ELNS1_11target_archE908ELNS1_3gpuE7ELNS1_3repE0EEENS1_30default_config_static_selectorELNS0_4arch9wavefront6targetE1EEEvT1_,@function
_ZN7rocprim17ROCPRIM_400000_NS6detail17trampoline_kernelINS0_14default_configENS1_20scan_config_selectorIN3c107complexIfEEEEZZNS1_9scan_implILNS1_25lookback_scan_determinismE0ELb0ELb0ES3_PKS7_PS7_S7_ZZZN2at6native31launch_logcumsumexp_cuda_kernelERKNSE_10TensorBaseESI_lENKUlvE_clEvENKUlvE2_clEvEUlS7_S7_E_S7_EEDaPvRmT3_T4_T5_mT6_P12ihipStream_tbENKUlT_T0_E_clISt17integral_constantIbLb0EESY_IbLb1EEEEDaSU_SV_EUlSU_E0_NS1_11comp_targetILNS1_3genE3ELNS1_11target_archE908ELNS1_3gpuE7ELNS1_3repE0EEENS1_30default_config_static_selectorELNS0_4arch9wavefront6targetE1EEEvT1_: ; @_ZN7rocprim17ROCPRIM_400000_NS6detail17trampoline_kernelINS0_14default_configENS1_20scan_config_selectorIN3c107complexIfEEEEZZNS1_9scan_implILNS1_25lookback_scan_determinismE0ELb0ELb0ES3_PKS7_PS7_S7_ZZZN2at6native31launch_logcumsumexp_cuda_kernelERKNSE_10TensorBaseESI_lENKUlvE_clEvENKUlvE2_clEvEUlS7_S7_E_S7_EEDaPvRmT3_T4_T5_mT6_P12ihipStream_tbENKUlT_T0_E_clISt17integral_constantIbLb0EESY_IbLb1EEEEDaSU_SV_EUlSU_E0_NS1_11comp_targetILNS1_3genE3ELNS1_11target_archE908ELNS1_3gpuE7ELNS1_3repE0EEENS1_30default_config_static_selectorELNS0_4arch9wavefront6targetE1EEEvT1_
; %bb.0:
	.section	.rodata,"a",@progbits
	.p2align	6, 0x0
	.amdhsa_kernel _ZN7rocprim17ROCPRIM_400000_NS6detail17trampoline_kernelINS0_14default_configENS1_20scan_config_selectorIN3c107complexIfEEEEZZNS1_9scan_implILNS1_25lookback_scan_determinismE0ELb0ELb0ES3_PKS7_PS7_S7_ZZZN2at6native31launch_logcumsumexp_cuda_kernelERKNSE_10TensorBaseESI_lENKUlvE_clEvENKUlvE2_clEvEUlS7_S7_E_S7_EEDaPvRmT3_T4_T5_mT6_P12ihipStream_tbENKUlT_T0_E_clISt17integral_constantIbLb0EESY_IbLb1EEEEDaSU_SV_EUlSU_E0_NS1_11comp_targetILNS1_3genE3ELNS1_11target_archE908ELNS1_3gpuE7ELNS1_3repE0EEENS1_30default_config_static_selectorELNS0_4arch9wavefront6targetE1EEEvT1_
		.amdhsa_group_segment_fixed_size 0
		.amdhsa_private_segment_fixed_size 0
		.amdhsa_kernarg_size 40
		.amdhsa_user_sgpr_count 2
		.amdhsa_user_sgpr_dispatch_ptr 0
		.amdhsa_user_sgpr_queue_ptr 0
		.amdhsa_user_sgpr_kernarg_segment_ptr 1
		.amdhsa_user_sgpr_dispatch_id 0
		.amdhsa_user_sgpr_kernarg_preload_length 0
		.amdhsa_user_sgpr_kernarg_preload_offset 0
		.amdhsa_user_sgpr_private_segment_size 0
		.amdhsa_uses_dynamic_stack 0
		.amdhsa_enable_private_segment 0
		.amdhsa_system_sgpr_workgroup_id_x 1
		.amdhsa_system_sgpr_workgroup_id_y 0
		.amdhsa_system_sgpr_workgroup_id_z 0
		.amdhsa_system_sgpr_workgroup_info 0
		.amdhsa_system_vgpr_workitem_id 0
		.amdhsa_next_free_vgpr 1
		.amdhsa_next_free_sgpr 0
		.amdhsa_accum_offset 4
		.amdhsa_reserve_vcc 0
		.amdhsa_float_round_mode_32 0
		.amdhsa_float_round_mode_16_64 0
		.amdhsa_float_denorm_mode_32 3
		.amdhsa_float_denorm_mode_16_64 3
		.amdhsa_dx10_clamp 1
		.amdhsa_ieee_mode 1
		.amdhsa_fp16_overflow 0
		.amdhsa_tg_split 0
		.amdhsa_exception_fp_ieee_invalid_op 0
		.amdhsa_exception_fp_denorm_src 0
		.amdhsa_exception_fp_ieee_div_zero 0
		.amdhsa_exception_fp_ieee_overflow 0
		.amdhsa_exception_fp_ieee_underflow 0
		.amdhsa_exception_fp_ieee_inexact 0
		.amdhsa_exception_int_div_zero 0
	.end_amdhsa_kernel
	.section	.text._ZN7rocprim17ROCPRIM_400000_NS6detail17trampoline_kernelINS0_14default_configENS1_20scan_config_selectorIN3c107complexIfEEEEZZNS1_9scan_implILNS1_25lookback_scan_determinismE0ELb0ELb0ES3_PKS7_PS7_S7_ZZZN2at6native31launch_logcumsumexp_cuda_kernelERKNSE_10TensorBaseESI_lENKUlvE_clEvENKUlvE2_clEvEUlS7_S7_E_S7_EEDaPvRmT3_T4_T5_mT6_P12ihipStream_tbENKUlT_T0_E_clISt17integral_constantIbLb0EESY_IbLb1EEEEDaSU_SV_EUlSU_E0_NS1_11comp_targetILNS1_3genE3ELNS1_11target_archE908ELNS1_3gpuE7ELNS1_3repE0EEENS1_30default_config_static_selectorELNS0_4arch9wavefront6targetE1EEEvT1_,"axG",@progbits,_ZN7rocprim17ROCPRIM_400000_NS6detail17trampoline_kernelINS0_14default_configENS1_20scan_config_selectorIN3c107complexIfEEEEZZNS1_9scan_implILNS1_25lookback_scan_determinismE0ELb0ELb0ES3_PKS7_PS7_S7_ZZZN2at6native31launch_logcumsumexp_cuda_kernelERKNSE_10TensorBaseESI_lENKUlvE_clEvENKUlvE2_clEvEUlS7_S7_E_S7_EEDaPvRmT3_T4_T5_mT6_P12ihipStream_tbENKUlT_T0_E_clISt17integral_constantIbLb0EESY_IbLb1EEEEDaSU_SV_EUlSU_E0_NS1_11comp_targetILNS1_3genE3ELNS1_11target_archE908ELNS1_3gpuE7ELNS1_3repE0EEENS1_30default_config_static_selectorELNS0_4arch9wavefront6targetE1EEEvT1_,comdat
.Lfunc_end349:
	.size	_ZN7rocprim17ROCPRIM_400000_NS6detail17trampoline_kernelINS0_14default_configENS1_20scan_config_selectorIN3c107complexIfEEEEZZNS1_9scan_implILNS1_25lookback_scan_determinismE0ELb0ELb0ES3_PKS7_PS7_S7_ZZZN2at6native31launch_logcumsumexp_cuda_kernelERKNSE_10TensorBaseESI_lENKUlvE_clEvENKUlvE2_clEvEUlS7_S7_E_S7_EEDaPvRmT3_T4_T5_mT6_P12ihipStream_tbENKUlT_T0_E_clISt17integral_constantIbLb0EESY_IbLb1EEEEDaSU_SV_EUlSU_E0_NS1_11comp_targetILNS1_3genE3ELNS1_11target_archE908ELNS1_3gpuE7ELNS1_3repE0EEENS1_30default_config_static_selectorELNS0_4arch9wavefront6targetE1EEEvT1_, .Lfunc_end349-_ZN7rocprim17ROCPRIM_400000_NS6detail17trampoline_kernelINS0_14default_configENS1_20scan_config_selectorIN3c107complexIfEEEEZZNS1_9scan_implILNS1_25lookback_scan_determinismE0ELb0ELb0ES3_PKS7_PS7_S7_ZZZN2at6native31launch_logcumsumexp_cuda_kernelERKNSE_10TensorBaseESI_lENKUlvE_clEvENKUlvE2_clEvEUlS7_S7_E_S7_EEDaPvRmT3_T4_T5_mT6_P12ihipStream_tbENKUlT_T0_E_clISt17integral_constantIbLb0EESY_IbLb1EEEEDaSU_SV_EUlSU_E0_NS1_11comp_targetILNS1_3genE3ELNS1_11target_archE908ELNS1_3gpuE7ELNS1_3repE0EEENS1_30default_config_static_selectorELNS0_4arch9wavefront6targetE1EEEvT1_
                                        ; -- End function
	.section	.AMDGPU.csdata,"",@progbits
; Kernel info:
; codeLenInByte = 0
; NumSgprs: 6
; NumVgprs: 0
; NumAgprs: 0
; TotalNumVgprs: 0
; ScratchSize: 0
; MemoryBound: 0
; FloatMode: 240
; IeeeMode: 1
; LDSByteSize: 0 bytes/workgroup (compile time only)
; SGPRBlocks: 0
; VGPRBlocks: 0
; NumSGPRsForWavesPerEU: 6
; NumVGPRsForWavesPerEU: 1
; AccumOffset: 4
; Occupancy: 8
; WaveLimiterHint : 0
; COMPUTE_PGM_RSRC2:SCRATCH_EN: 0
; COMPUTE_PGM_RSRC2:USER_SGPR: 2
; COMPUTE_PGM_RSRC2:TRAP_HANDLER: 0
; COMPUTE_PGM_RSRC2:TGID_X_EN: 1
; COMPUTE_PGM_RSRC2:TGID_Y_EN: 0
; COMPUTE_PGM_RSRC2:TGID_Z_EN: 0
; COMPUTE_PGM_RSRC2:TIDIG_COMP_CNT: 0
; COMPUTE_PGM_RSRC3_GFX90A:ACCUM_OFFSET: 0
; COMPUTE_PGM_RSRC3_GFX90A:TG_SPLIT: 0
	.section	.text._ZN7rocprim17ROCPRIM_400000_NS6detail17trampoline_kernelINS0_14default_configENS1_20scan_config_selectorIN3c107complexIfEEEEZZNS1_9scan_implILNS1_25lookback_scan_determinismE0ELb0ELb0ES3_PKS7_PS7_S7_ZZZN2at6native31launch_logcumsumexp_cuda_kernelERKNSE_10TensorBaseESI_lENKUlvE_clEvENKUlvE2_clEvEUlS7_S7_E_S7_EEDaPvRmT3_T4_T5_mT6_P12ihipStream_tbENKUlT_T0_E_clISt17integral_constantIbLb0EESY_IbLb1EEEEDaSU_SV_EUlSU_E0_NS1_11comp_targetILNS1_3genE2ELNS1_11target_archE906ELNS1_3gpuE6ELNS1_3repE0EEENS1_30default_config_static_selectorELNS0_4arch9wavefront6targetE1EEEvT1_,"axG",@progbits,_ZN7rocprim17ROCPRIM_400000_NS6detail17trampoline_kernelINS0_14default_configENS1_20scan_config_selectorIN3c107complexIfEEEEZZNS1_9scan_implILNS1_25lookback_scan_determinismE0ELb0ELb0ES3_PKS7_PS7_S7_ZZZN2at6native31launch_logcumsumexp_cuda_kernelERKNSE_10TensorBaseESI_lENKUlvE_clEvENKUlvE2_clEvEUlS7_S7_E_S7_EEDaPvRmT3_T4_T5_mT6_P12ihipStream_tbENKUlT_T0_E_clISt17integral_constantIbLb0EESY_IbLb1EEEEDaSU_SV_EUlSU_E0_NS1_11comp_targetILNS1_3genE2ELNS1_11target_archE906ELNS1_3gpuE6ELNS1_3repE0EEENS1_30default_config_static_selectorELNS0_4arch9wavefront6targetE1EEEvT1_,comdat
	.globl	_ZN7rocprim17ROCPRIM_400000_NS6detail17trampoline_kernelINS0_14default_configENS1_20scan_config_selectorIN3c107complexIfEEEEZZNS1_9scan_implILNS1_25lookback_scan_determinismE0ELb0ELb0ES3_PKS7_PS7_S7_ZZZN2at6native31launch_logcumsumexp_cuda_kernelERKNSE_10TensorBaseESI_lENKUlvE_clEvENKUlvE2_clEvEUlS7_S7_E_S7_EEDaPvRmT3_T4_T5_mT6_P12ihipStream_tbENKUlT_T0_E_clISt17integral_constantIbLb0EESY_IbLb1EEEEDaSU_SV_EUlSU_E0_NS1_11comp_targetILNS1_3genE2ELNS1_11target_archE906ELNS1_3gpuE6ELNS1_3repE0EEENS1_30default_config_static_selectorELNS0_4arch9wavefront6targetE1EEEvT1_ ; -- Begin function _ZN7rocprim17ROCPRIM_400000_NS6detail17trampoline_kernelINS0_14default_configENS1_20scan_config_selectorIN3c107complexIfEEEEZZNS1_9scan_implILNS1_25lookback_scan_determinismE0ELb0ELb0ES3_PKS7_PS7_S7_ZZZN2at6native31launch_logcumsumexp_cuda_kernelERKNSE_10TensorBaseESI_lENKUlvE_clEvENKUlvE2_clEvEUlS7_S7_E_S7_EEDaPvRmT3_T4_T5_mT6_P12ihipStream_tbENKUlT_T0_E_clISt17integral_constantIbLb0EESY_IbLb1EEEEDaSU_SV_EUlSU_E0_NS1_11comp_targetILNS1_3genE2ELNS1_11target_archE906ELNS1_3gpuE6ELNS1_3repE0EEENS1_30default_config_static_selectorELNS0_4arch9wavefront6targetE1EEEvT1_
	.p2align	8
	.type	_ZN7rocprim17ROCPRIM_400000_NS6detail17trampoline_kernelINS0_14default_configENS1_20scan_config_selectorIN3c107complexIfEEEEZZNS1_9scan_implILNS1_25lookback_scan_determinismE0ELb0ELb0ES3_PKS7_PS7_S7_ZZZN2at6native31launch_logcumsumexp_cuda_kernelERKNSE_10TensorBaseESI_lENKUlvE_clEvENKUlvE2_clEvEUlS7_S7_E_S7_EEDaPvRmT3_T4_T5_mT6_P12ihipStream_tbENKUlT_T0_E_clISt17integral_constantIbLb0EESY_IbLb1EEEEDaSU_SV_EUlSU_E0_NS1_11comp_targetILNS1_3genE2ELNS1_11target_archE906ELNS1_3gpuE6ELNS1_3repE0EEENS1_30default_config_static_selectorELNS0_4arch9wavefront6targetE1EEEvT1_,@function
_ZN7rocprim17ROCPRIM_400000_NS6detail17trampoline_kernelINS0_14default_configENS1_20scan_config_selectorIN3c107complexIfEEEEZZNS1_9scan_implILNS1_25lookback_scan_determinismE0ELb0ELb0ES3_PKS7_PS7_S7_ZZZN2at6native31launch_logcumsumexp_cuda_kernelERKNSE_10TensorBaseESI_lENKUlvE_clEvENKUlvE2_clEvEUlS7_S7_E_S7_EEDaPvRmT3_T4_T5_mT6_P12ihipStream_tbENKUlT_T0_E_clISt17integral_constantIbLb0EESY_IbLb1EEEEDaSU_SV_EUlSU_E0_NS1_11comp_targetILNS1_3genE2ELNS1_11target_archE906ELNS1_3gpuE6ELNS1_3repE0EEENS1_30default_config_static_selectorELNS0_4arch9wavefront6targetE1EEEvT1_: ; @_ZN7rocprim17ROCPRIM_400000_NS6detail17trampoline_kernelINS0_14default_configENS1_20scan_config_selectorIN3c107complexIfEEEEZZNS1_9scan_implILNS1_25lookback_scan_determinismE0ELb0ELb0ES3_PKS7_PS7_S7_ZZZN2at6native31launch_logcumsumexp_cuda_kernelERKNSE_10TensorBaseESI_lENKUlvE_clEvENKUlvE2_clEvEUlS7_S7_E_S7_EEDaPvRmT3_T4_T5_mT6_P12ihipStream_tbENKUlT_T0_E_clISt17integral_constantIbLb0EESY_IbLb1EEEEDaSU_SV_EUlSU_E0_NS1_11comp_targetILNS1_3genE2ELNS1_11target_archE906ELNS1_3gpuE6ELNS1_3repE0EEENS1_30default_config_static_selectorELNS0_4arch9wavefront6targetE1EEEvT1_
; %bb.0:
	.section	.rodata,"a",@progbits
	.p2align	6, 0x0
	.amdhsa_kernel _ZN7rocprim17ROCPRIM_400000_NS6detail17trampoline_kernelINS0_14default_configENS1_20scan_config_selectorIN3c107complexIfEEEEZZNS1_9scan_implILNS1_25lookback_scan_determinismE0ELb0ELb0ES3_PKS7_PS7_S7_ZZZN2at6native31launch_logcumsumexp_cuda_kernelERKNSE_10TensorBaseESI_lENKUlvE_clEvENKUlvE2_clEvEUlS7_S7_E_S7_EEDaPvRmT3_T4_T5_mT6_P12ihipStream_tbENKUlT_T0_E_clISt17integral_constantIbLb0EESY_IbLb1EEEEDaSU_SV_EUlSU_E0_NS1_11comp_targetILNS1_3genE2ELNS1_11target_archE906ELNS1_3gpuE6ELNS1_3repE0EEENS1_30default_config_static_selectorELNS0_4arch9wavefront6targetE1EEEvT1_
		.amdhsa_group_segment_fixed_size 0
		.amdhsa_private_segment_fixed_size 0
		.amdhsa_kernarg_size 40
		.amdhsa_user_sgpr_count 2
		.amdhsa_user_sgpr_dispatch_ptr 0
		.amdhsa_user_sgpr_queue_ptr 0
		.amdhsa_user_sgpr_kernarg_segment_ptr 1
		.amdhsa_user_sgpr_dispatch_id 0
		.amdhsa_user_sgpr_kernarg_preload_length 0
		.amdhsa_user_sgpr_kernarg_preload_offset 0
		.amdhsa_user_sgpr_private_segment_size 0
		.amdhsa_uses_dynamic_stack 0
		.amdhsa_enable_private_segment 0
		.amdhsa_system_sgpr_workgroup_id_x 1
		.amdhsa_system_sgpr_workgroup_id_y 0
		.amdhsa_system_sgpr_workgroup_id_z 0
		.amdhsa_system_sgpr_workgroup_info 0
		.amdhsa_system_vgpr_workitem_id 0
		.amdhsa_next_free_vgpr 1
		.amdhsa_next_free_sgpr 0
		.amdhsa_accum_offset 4
		.amdhsa_reserve_vcc 0
		.amdhsa_float_round_mode_32 0
		.amdhsa_float_round_mode_16_64 0
		.amdhsa_float_denorm_mode_32 3
		.amdhsa_float_denorm_mode_16_64 3
		.amdhsa_dx10_clamp 1
		.amdhsa_ieee_mode 1
		.amdhsa_fp16_overflow 0
		.amdhsa_tg_split 0
		.amdhsa_exception_fp_ieee_invalid_op 0
		.amdhsa_exception_fp_denorm_src 0
		.amdhsa_exception_fp_ieee_div_zero 0
		.amdhsa_exception_fp_ieee_overflow 0
		.amdhsa_exception_fp_ieee_underflow 0
		.amdhsa_exception_fp_ieee_inexact 0
		.amdhsa_exception_int_div_zero 0
	.end_amdhsa_kernel
	.section	.text._ZN7rocprim17ROCPRIM_400000_NS6detail17trampoline_kernelINS0_14default_configENS1_20scan_config_selectorIN3c107complexIfEEEEZZNS1_9scan_implILNS1_25lookback_scan_determinismE0ELb0ELb0ES3_PKS7_PS7_S7_ZZZN2at6native31launch_logcumsumexp_cuda_kernelERKNSE_10TensorBaseESI_lENKUlvE_clEvENKUlvE2_clEvEUlS7_S7_E_S7_EEDaPvRmT3_T4_T5_mT6_P12ihipStream_tbENKUlT_T0_E_clISt17integral_constantIbLb0EESY_IbLb1EEEEDaSU_SV_EUlSU_E0_NS1_11comp_targetILNS1_3genE2ELNS1_11target_archE906ELNS1_3gpuE6ELNS1_3repE0EEENS1_30default_config_static_selectorELNS0_4arch9wavefront6targetE1EEEvT1_,"axG",@progbits,_ZN7rocprim17ROCPRIM_400000_NS6detail17trampoline_kernelINS0_14default_configENS1_20scan_config_selectorIN3c107complexIfEEEEZZNS1_9scan_implILNS1_25lookback_scan_determinismE0ELb0ELb0ES3_PKS7_PS7_S7_ZZZN2at6native31launch_logcumsumexp_cuda_kernelERKNSE_10TensorBaseESI_lENKUlvE_clEvENKUlvE2_clEvEUlS7_S7_E_S7_EEDaPvRmT3_T4_T5_mT6_P12ihipStream_tbENKUlT_T0_E_clISt17integral_constantIbLb0EESY_IbLb1EEEEDaSU_SV_EUlSU_E0_NS1_11comp_targetILNS1_3genE2ELNS1_11target_archE906ELNS1_3gpuE6ELNS1_3repE0EEENS1_30default_config_static_selectorELNS0_4arch9wavefront6targetE1EEEvT1_,comdat
.Lfunc_end350:
	.size	_ZN7rocprim17ROCPRIM_400000_NS6detail17trampoline_kernelINS0_14default_configENS1_20scan_config_selectorIN3c107complexIfEEEEZZNS1_9scan_implILNS1_25lookback_scan_determinismE0ELb0ELb0ES3_PKS7_PS7_S7_ZZZN2at6native31launch_logcumsumexp_cuda_kernelERKNSE_10TensorBaseESI_lENKUlvE_clEvENKUlvE2_clEvEUlS7_S7_E_S7_EEDaPvRmT3_T4_T5_mT6_P12ihipStream_tbENKUlT_T0_E_clISt17integral_constantIbLb0EESY_IbLb1EEEEDaSU_SV_EUlSU_E0_NS1_11comp_targetILNS1_3genE2ELNS1_11target_archE906ELNS1_3gpuE6ELNS1_3repE0EEENS1_30default_config_static_selectorELNS0_4arch9wavefront6targetE1EEEvT1_, .Lfunc_end350-_ZN7rocprim17ROCPRIM_400000_NS6detail17trampoline_kernelINS0_14default_configENS1_20scan_config_selectorIN3c107complexIfEEEEZZNS1_9scan_implILNS1_25lookback_scan_determinismE0ELb0ELb0ES3_PKS7_PS7_S7_ZZZN2at6native31launch_logcumsumexp_cuda_kernelERKNSE_10TensorBaseESI_lENKUlvE_clEvENKUlvE2_clEvEUlS7_S7_E_S7_EEDaPvRmT3_T4_T5_mT6_P12ihipStream_tbENKUlT_T0_E_clISt17integral_constantIbLb0EESY_IbLb1EEEEDaSU_SV_EUlSU_E0_NS1_11comp_targetILNS1_3genE2ELNS1_11target_archE906ELNS1_3gpuE6ELNS1_3repE0EEENS1_30default_config_static_selectorELNS0_4arch9wavefront6targetE1EEEvT1_
                                        ; -- End function
	.section	.AMDGPU.csdata,"",@progbits
; Kernel info:
; codeLenInByte = 0
; NumSgprs: 6
; NumVgprs: 0
; NumAgprs: 0
; TotalNumVgprs: 0
; ScratchSize: 0
; MemoryBound: 0
; FloatMode: 240
; IeeeMode: 1
; LDSByteSize: 0 bytes/workgroup (compile time only)
; SGPRBlocks: 0
; VGPRBlocks: 0
; NumSGPRsForWavesPerEU: 6
; NumVGPRsForWavesPerEU: 1
; AccumOffset: 4
; Occupancy: 8
; WaveLimiterHint : 0
; COMPUTE_PGM_RSRC2:SCRATCH_EN: 0
; COMPUTE_PGM_RSRC2:USER_SGPR: 2
; COMPUTE_PGM_RSRC2:TRAP_HANDLER: 0
; COMPUTE_PGM_RSRC2:TGID_X_EN: 1
; COMPUTE_PGM_RSRC2:TGID_Y_EN: 0
; COMPUTE_PGM_RSRC2:TGID_Z_EN: 0
; COMPUTE_PGM_RSRC2:TIDIG_COMP_CNT: 0
; COMPUTE_PGM_RSRC3_GFX90A:ACCUM_OFFSET: 0
; COMPUTE_PGM_RSRC3_GFX90A:TG_SPLIT: 0
	.section	.text._ZN7rocprim17ROCPRIM_400000_NS6detail17trampoline_kernelINS0_14default_configENS1_20scan_config_selectorIN3c107complexIfEEEEZZNS1_9scan_implILNS1_25lookback_scan_determinismE0ELb0ELb0ES3_PKS7_PS7_S7_ZZZN2at6native31launch_logcumsumexp_cuda_kernelERKNSE_10TensorBaseESI_lENKUlvE_clEvENKUlvE2_clEvEUlS7_S7_E_S7_EEDaPvRmT3_T4_T5_mT6_P12ihipStream_tbENKUlT_T0_E_clISt17integral_constantIbLb0EESY_IbLb1EEEEDaSU_SV_EUlSU_E0_NS1_11comp_targetILNS1_3genE10ELNS1_11target_archE1201ELNS1_3gpuE5ELNS1_3repE0EEENS1_30default_config_static_selectorELNS0_4arch9wavefront6targetE1EEEvT1_,"axG",@progbits,_ZN7rocprim17ROCPRIM_400000_NS6detail17trampoline_kernelINS0_14default_configENS1_20scan_config_selectorIN3c107complexIfEEEEZZNS1_9scan_implILNS1_25lookback_scan_determinismE0ELb0ELb0ES3_PKS7_PS7_S7_ZZZN2at6native31launch_logcumsumexp_cuda_kernelERKNSE_10TensorBaseESI_lENKUlvE_clEvENKUlvE2_clEvEUlS7_S7_E_S7_EEDaPvRmT3_T4_T5_mT6_P12ihipStream_tbENKUlT_T0_E_clISt17integral_constantIbLb0EESY_IbLb1EEEEDaSU_SV_EUlSU_E0_NS1_11comp_targetILNS1_3genE10ELNS1_11target_archE1201ELNS1_3gpuE5ELNS1_3repE0EEENS1_30default_config_static_selectorELNS0_4arch9wavefront6targetE1EEEvT1_,comdat
	.globl	_ZN7rocprim17ROCPRIM_400000_NS6detail17trampoline_kernelINS0_14default_configENS1_20scan_config_selectorIN3c107complexIfEEEEZZNS1_9scan_implILNS1_25lookback_scan_determinismE0ELb0ELb0ES3_PKS7_PS7_S7_ZZZN2at6native31launch_logcumsumexp_cuda_kernelERKNSE_10TensorBaseESI_lENKUlvE_clEvENKUlvE2_clEvEUlS7_S7_E_S7_EEDaPvRmT3_T4_T5_mT6_P12ihipStream_tbENKUlT_T0_E_clISt17integral_constantIbLb0EESY_IbLb1EEEEDaSU_SV_EUlSU_E0_NS1_11comp_targetILNS1_3genE10ELNS1_11target_archE1201ELNS1_3gpuE5ELNS1_3repE0EEENS1_30default_config_static_selectorELNS0_4arch9wavefront6targetE1EEEvT1_ ; -- Begin function _ZN7rocprim17ROCPRIM_400000_NS6detail17trampoline_kernelINS0_14default_configENS1_20scan_config_selectorIN3c107complexIfEEEEZZNS1_9scan_implILNS1_25lookback_scan_determinismE0ELb0ELb0ES3_PKS7_PS7_S7_ZZZN2at6native31launch_logcumsumexp_cuda_kernelERKNSE_10TensorBaseESI_lENKUlvE_clEvENKUlvE2_clEvEUlS7_S7_E_S7_EEDaPvRmT3_T4_T5_mT6_P12ihipStream_tbENKUlT_T0_E_clISt17integral_constantIbLb0EESY_IbLb1EEEEDaSU_SV_EUlSU_E0_NS1_11comp_targetILNS1_3genE10ELNS1_11target_archE1201ELNS1_3gpuE5ELNS1_3repE0EEENS1_30default_config_static_selectorELNS0_4arch9wavefront6targetE1EEEvT1_
	.p2align	8
	.type	_ZN7rocprim17ROCPRIM_400000_NS6detail17trampoline_kernelINS0_14default_configENS1_20scan_config_selectorIN3c107complexIfEEEEZZNS1_9scan_implILNS1_25lookback_scan_determinismE0ELb0ELb0ES3_PKS7_PS7_S7_ZZZN2at6native31launch_logcumsumexp_cuda_kernelERKNSE_10TensorBaseESI_lENKUlvE_clEvENKUlvE2_clEvEUlS7_S7_E_S7_EEDaPvRmT3_T4_T5_mT6_P12ihipStream_tbENKUlT_T0_E_clISt17integral_constantIbLb0EESY_IbLb1EEEEDaSU_SV_EUlSU_E0_NS1_11comp_targetILNS1_3genE10ELNS1_11target_archE1201ELNS1_3gpuE5ELNS1_3repE0EEENS1_30default_config_static_selectorELNS0_4arch9wavefront6targetE1EEEvT1_,@function
_ZN7rocprim17ROCPRIM_400000_NS6detail17trampoline_kernelINS0_14default_configENS1_20scan_config_selectorIN3c107complexIfEEEEZZNS1_9scan_implILNS1_25lookback_scan_determinismE0ELb0ELb0ES3_PKS7_PS7_S7_ZZZN2at6native31launch_logcumsumexp_cuda_kernelERKNSE_10TensorBaseESI_lENKUlvE_clEvENKUlvE2_clEvEUlS7_S7_E_S7_EEDaPvRmT3_T4_T5_mT6_P12ihipStream_tbENKUlT_T0_E_clISt17integral_constantIbLb0EESY_IbLb1EEEEDaSU_SV_EUlSU_E0_NS1_11comp_targetILNS1_3genE10ELNS1_11target_archE1201ELNS1_3gpuE5ELNS1_3repE0EEENS1_30default_config_static_selectorELNS0_4arch9wavefront6targetE1EEEvT1_: ; @_ZN7rocprim17ROCPRIM_400000_NS6detail17trampoline_kernelINS0_14default_configENS1_20scan_config_selectorIN3c107complexIfEEEEZZNS1_9scan_implILNS1_25lookback_scan_determinismE0ELb0ELb0ES3_PKS7_PS7_S7_ZZZN2at6native31launch_logcumsumexp_cuda_kernelERKNSE_10TensorBaseESI_lENKUlvE_clEvENKUlvE2_clEvEUlS7_S7_E_S7_EEDaPvRmT3_T4_T5_mT6_P12ihipStream_tbENKUlT_T0_E_clISt17integral_constantIbLb0EESY_IbLb1EEEEDaSU_SV_EUlSU_E0_NS1_11comp_targetILNS1_3genE10ELNS1_11target_archE1201ELNS1_3gpuE5ELNS1_3repE0EEENS1_30default_config_static_selectorELNS0_4arch9wavefront6targetE1EEEvT1_
; %bb.0:
	.section	.rodata,"a",@progbits
	.p2align	6, 0x0
	.amdhsa_kernel _ZN7rocprim17ROCPRIM_400000_NS6detail17trampoline_kernelINS0_14default_configENS1_20scan_config_selectorIN3c107complexIfEEEEZZNS1_9scan_implILNS1_25lookback_scan_determinismE0ELb0ELb0ES3_PKS7_PS7_S7_ZZZN2at6native31launch_logcumsumexp_cuda_kernelERKNSE_10TensorBaseESI_lENKUlvE_clEvENKUlvE2_clEvEUlS7_S7_E_S7_EEDaPvRmT3_T4_T5_mT6_P12ihipStream_tbENKUlT_T0_E_clISt17integral_constantIbLb0EESY_IbLb1EEEEDaSU_SV_EUlSU_E0_NS1_11comp_targetILNS1_3genE10ELNS1_11target_archE1201ELNS1_3gpuE5ELNS1_3repE0EEENS1_30default_config_static_selectorELNS0_4arch9wavefront6targetE1EEEvT1_
		.amdhsa_group_segment_fixed_size 0
		.amdhsa_private_segment_fixed_size 0
		.amdhsa_kernarg_size 40
		.amdhsa_user_sgpr_count 2
		.amdhsa_user_sgpr_dispatch_ptr 0
		.amdhsa_user_sgpr_queue_ptr 0
		.amdhsa_user_sgpr_kernarg_segment_ptr 1
		.amdhsa_user_sgpr_dispatch_id 0
		.amdhsa_user_sgpr_kernarg_preload_length 0
		.amdhsa_user_sgpr_kernarg_preload_offset 0
		.amdhsa_user_sgpr_private_segment_size 0
		.amdhsa_uses_dynamic_stack 0
		.amdhsa_enable_private_segment 0
		.amdhsa_system_sgpr_workgroup_id_x 1
		.amdhsa_system_sgpr_workgroup_id_y 0
		.amdhsa_system_sgpr_workgroup_id_z 0
		.amdhsa_system_sgpr_workgroup_info 0
		.amdhsa_system_vgpr_workitem_id 0
		.amdhsa_next_free_vgpr 1
		.amdhsa_next_free_sgpr 0
		.amdhsa_accum_offset 4
		.amdhsa_reserve_vcc 0
		.amdhsa_float_round_mode_32 0
		.amdhsa_float_round_mode_16_64 0
		.amdhsa_float_denorm_mode_32 3
		.amdhsa_float_denorm_mode_16_64 3
		.amdhsa_dx10_clamp 1
		.amdhsa_ieee_mode 1
		.amdhsa_fp16_overflow 0
		.amdhsa_tg_split 0
		.amdhsa_exception_fp_ieee_invalid_op 0
		.amdhsa_exception_fp_denorm_src 0
		.amdhsa_exception_fp_ieee_div_zero 0
		.amdhsa_exception_fp_ieee_overflow 0
		.amdhsa_exception_fp_ieee_underflow 0
		.amdhsa_exception_fp_ieee_inexact 0
		.amdhsa_exception_int_div_zero 0
	.end_amdhsa_kernel
	.section	.text._ZN7rocprim17ROCPRIM_400000_NS6detail17trampoline_kernelINS0_14default_configENS1_20scan_config_selectorIN3c107complexIfEEEEZZNS1_9scan_implILNS1_25lookback_scan_determinismE0ELb0ELb0ES3_PKS7_PS7_S7_ZZZN2at6native31launch_logcumsumexp_cuda_kernelERKNSE_10TensorBaseESI_lENKUlvE_clEvENKUlvE2_clEvEUlS7_S7_E_S7_EEDaPvRmT3_T4_T5_mT6_P12ihipStream_tbENKUlT_T0_E_clISt17integral_constantIbLb0EESY_IbLb1EEEEDaSU_SV_EUlSU_E0_NS1_11comp_targetILNS1_3genE10ELNS1_11target_archE1201ELNS1_3gpuE5ELNS1_3repE0EEENS1_30default_config_static_selectorELNS0_4arch9wavefront6targetE1EEEvT1_,"axG",@progbits,_ZN7rocprim17ROCPRIM_400000_NS6detail17trampoline_kernelINS0_14default_configENS1_20scan_config_selectorIN3c107complexIfEEEEZZNS1_9scan_implILNS1_25lookback_scan_determinismE0ELb0ELb0ES3_PKS7_PS7_S7_ZZZN2at6native31launch_logcumsumexp_cuda_kernelERKNSE_10TensorBaseESI_lENKUlvE_clEvENKUlvE2_clEvEUlS7_S7_E_S7_EEDaPvRmT3_T4_T5_mT6_P12ihipStream_tbENKUlT_T0_E_clISt17integral_constantIbLb0EESY_IbLb1EEEEDaSU_SV_EUlSU_E0_NS1_11comp_targetILNS1_3genE10ELNS1_11target_archE1201ELNS1_3gpuE5ELNS1_3repE0EEENS1_30default_config_static_selectorELNS0_4arch9wavefront6targetE1EEEvT1_,comdat
.Lfunc_end351:
	.size	_ZN7rocprim17ROCPRIM_400000_NS6detail17trampoline_kernelINS0_14default_configENS1_20scan_config_selectorIN3c107complexIfEEEEZZNS1_9scan_implILNS1_25lookback_scan_determinismE0ELb0ELb0ES3_PKS7_PS7_S7_ZZZN2at6native31launch_logcumsumexp_cuda_kernelERKNSE_10TensorBaseESI_lENKUlvE_clEvENKUlvE2_clEvEUlS7_S7_E_S7_EEDaPvRmT3_T4_T5_mT6_P12ihipStream_tbENKUlT_T0_E_clISt17integral_constantIbLb0EESY_IbLb1EEEEDaSU_SV_EUlSU_E0_NS1_11comp_targetILNS1_3genE10ELNS1_11target_archE1201ELNS1_3gpuE5ELNS1_3repE0EEENS1_30default_config_static_selectorELNS0_4arch9wavefront6targetE1EEEvT1_, .Lfunc_end351-_ZN7rocprim17ROCPRIM_400000_NS6detail17trampoline_kernelINS0_14default_configENS1_20scan_config_selectorIN3c107complexIfEEEEZZNS1_9scan_implILNS1_25lookback_scan_determinismE0ELb0ELb0ES3_PKS7_PS7_S7_ZZZN2at6native31launch_logcumsumexp_cuda_kernelERKNSE_10TensorBaseESI_lENKUlvE_clEvENKUlvE2_clEvEUlS7_S7_E_S7_EEDaPvRmT3_T4_T5_mT6_P12ihipStream_tbENKUlT_T0_E_clISt17integral_constantIbLb0EESY_IbLb1EEEEDaSU_SV_EUlSU_E0_NS1_11comp_targetILNS1_3genE10ELNS1_11target_archE1201ELNS1_3gpuE5ELNS1_3repE0EEENS1_30default_config_static_selectorELNS0_4arch9wavefront6targetE1EEEvT1_
                                        ; -- End function
	.section	.AMDGPU.csdata,"",@progbits
; Kernel info:
; codeLenInByte = 0
; NumSgprs: 6
; NumVgprs: 0
; NumAgprs: 0
; TotalNumVgprs: 0
; ScratchSize: 0
; MemoryBound: 0
; FloatMode: 240
; IeeeMode: 1
; LDSByteSize: 0 bytes/workgroup (compile time only)
; SGPRBlocks: 0
; VGPRBlocks: 0
; NumSGPRsForWavesPerEU: 6
; NumVGPRsForWavesPerEU: 1
; AccumOffset: 4
; Occupancy: 8
; WaveLimiterHint : 0
; COMPUTE_PGM_RSRC2:SCRATCH_EN: 0
; COMPUTE_PGM_RSRC2:USER_SGPR: 2
; COMPUTE_PGM_RSRC2:TRAP_HANDLER: 0
; COMPUTE_PGM_RSRC2:TGID_X_EN: 1
; COMPUTE_PGM_RSRC2:TGID_Y_EN: 0
; COMPUTE_PGM_RSRC2:TGID_Z_EN: 0
; COMPUTE_PGM_RSRC2:TIDIG_COMP_CNT: 0
; COMPUTE_PGM_RSRC3_GFX90A:ACCUM_OFFSET: 0
; COMPUTE_PGM_RSRC3_GFX90A:TG_SPLIT: 0
	.section	.text._ZN7rocprim17ROCPRIM_400000_NS6detail17trampoline_kernelINS0_14default_configENS1_20scan_config_selectorIN3c107complexIfEEEEZZNS1_9scan_implILNS1_25lookback_scan_determinismE0ELb0ELb0ES3_PKS7_PS7_S7_ZZZN2at6native31launch_logcumsumexp_cuda_kernelERKNSE_10TensorBaseESI_lENKUlvE_clEvENKUlvE2_clEvEUlS7_S7_E_S7_EEDaPvRmT3_T4_T5_mT6_P12ihipStream_tbENKUlT_T0_E_clISt17integral_constantIbLb0EESY_IbLb1EEEEDaSU_SV_EUlSU_E0_NS1_11comp_targetILNS1_3genE10ELNS1_11target_archE1200ELNS1_3gpuE4ELNS1_3repE0EEENS1_30default_config_static_selectorELNS0_4arch9wavefront6targetE1EEEvT1_,"axG",@progbits,_ZN7rocprim17ROCPRIM_400000_NS6detail17trampoline_kernelINS0_14default_configENS1_20scan_config_selectorIN3c107complexIfEEEEZZNS1_9scan_implILNS1_25lookback_scan_determinismE0ELb0ELb0ES3_PKS7_PS7_S7_ZZZN2at6native31launch_logcumsumexp_cuda_kernelERKNSE_10TensorBaseESI_lENKUlvE_clEvENKUlvE2_clEvEUlS7_S7_E_S7_EEDaPvRmT3_T4_T5_mT6_P12ihipStream_tbENKUlT_T0_E_clISt17integral_constantIbLb0EESY_IbLb1EEEEDaSU_SV_EUlSU_E0_NS1_11comp_targetILNS1_3genE10ELNS1_11target_archE1200ELNS1_3gpuE4ELNS1_3repE0EEENS1_30default_config_static_selectorELNS0_4arch9wavefront6targetE1EEEvT1_,comdat
	.globl	_ZN7rocprim17ROCPRIM_400000_NS6detail17trampoline_kernelINS0_14default_configENS1_20scan_config_selectorIN3c107complexIfEEEEZZNS1_9scan_implILNS1_25lookback_scan_determinismE0ELb0ELb0ES3_PKS7_PS7_S7_ZZZN2at6native31launch_logcumsumexp_cuda_kernelERKNSE_10TensorBaseESI_lENKUlvE_clEvENKUlvE2_clEvEUlS7_S7_E_S7_EEDaPvRmT3_T4_T5_mT6_P12ihipStream_tbENKUlT_T0_E_clISt17integral_constantIbLb0EESY_IbLb1EEEEDaSU_SV_EUlSU_E0_NS1_11comp_targetILNS1_3genE10ELNS1_11target_archE1200ELNS1_3gpuE4ELNS1_3repE0EEENS1_30default_config_static_selectorELNS0_4arch9wavefront6targetE1EEEvT1_ ; -- Begin function _ZN7rocprim17ROCPRIM_400000_NS6detail17trampoline_kernelINS0_14default_configENS1_20scan_config_selectorIN3c107complexIfEEEEZZNS1_9scan_implILNS1_25lookback_scan_determinismE0ELb0ELb0ES3_PKS7_PS7_S7_ZZZN2at6native31launch_logcumsumexp_cuda_kernelERKNSE_10TensorBaseESI_lENKUlvE_clEvENKUlvE2_clEvEUlS7_S7_E_S7_EEDaPvRmT3_T4_T5_mT6_P12ihipStream_tbENKUlT_T0_E_clISt17integral_constantIbLb0EESY_IbLb1EEEEDaSU_SV_EUlSU_E0_NS1_11comp_targetILNS1_3genE10ELNS1_11target_archE1200ELNS1_3gpuE4ELNS1_3repE0EEENS1_30default_config_static_selectorELNS0_4arch9wavefront6targetE1EEEvT1_
	.p2align	8
	.type	_ZN7rocprim17ROCPRIM_400000_NS6detail17trampoline_kernelINS0_14default_configENS1_20scan_config_selectorIN3c107complexIfEEEEZZNS1_9scan_implILNS1_25lookback_scan_determinismE0ELb0ELb0ES3_PKS7_PS7_S7_ZZZN2at6native31launch_logcumsumexp_cuda_kernelERKNSE_10TensorBaseESI_lENKUlvE_clEvENKUlvE2_clEvEUlS7_S7_E_S7_EEDaPvRmT3_T4_T5_mT6_P12ihipStream_tbENKUlT_T0_E_clISt17integral_constantIbLb0EESY_IbLb1EEEEDaSU_SV_EUlSU_E0_NS1_11comp_targetILNS1_3genE10ELNS1_11target_archE1200ELNS1_3gpuE4ELNS1_3repE0EEENS1_30default_config_static_selectorELNS0_4arch9wavefront6targetE1EEEvT1_,@function
_ZN7rocprim17ROCPRIM_400000_NS6detail17trampoline_kernelINS0_14default_configENS1_20scan_config_selectorIN3c107complexIfEEEEZZNS1_9scan_implILNS1_25lookback_scan_determinismE0ELb0ELb0ES3_PKS7_PS7_S7_ZZZN2at6native31launch_logcumsumexp_cuda_kernelERKNSE_10TensorBaseESI_lENKUlvE_clEvENKUlvE2_clEvEUlS7_S7_E_S7_EEDaPvRmT3_T4_T5_mT6_P12ihipStream_tbENKUlT_T0_E_clISt17integral_constantIbLb0EESY_IbLb1EEEEDaSU_SV_EUlSU_E0_NS1_11comp_targetILNS1_3genE10ELNS1_11target_archE1200ELNS1_3gpuE4ELNS1_3repE0EEENS1_30default_config_static_selectorELNS0_4arch9wavefront6targetE1EEEvT1_: ; @_ZN7rocprim17ROCPRIM_400000_NS6detail17trampoline_kernelINS0_14default_configENS1_20scan_config_selectorIN3c107complexIfEEEEZZNS1_9scan_implILNS1_25lookback_scan_determinismE0ELb0ELb0ES3_PKS7_PS7_S7_ZZZN2at6native31launch_logcumsumexp_cuda_kernelERKNSE_10TensorBaseESI_lENKUlvE_clEvENKUlvE2_clEvEUlS7_S7_E_S7_EEDaPvRmT3_T4_T5_mT6_P12ihipStream_tbENKUlT_T0_E_clISt17integral_constantIbLb0EESY_IbLb1EEEEDaSU_SV_EUlSU_E0_NS1_11comp_targetILNS1_3genE10ELNS1_11target_archE1200ELNS1_3gpuE4ELNS1_3repE0EEENS1_30default_config_static_selectorELNS0_4arch9wavefront6targetE1EEEvT1_
; %bb.0:
	.section	.rodata,"a",@progbits
	.p2align	6, 0x0
	.amdhsa_kernel _ZN7rocprim17ROCPRIM_400000_NS6detail17trampoline_kernelINS0_14default_configENS1_20scan_config_selectorIN3c107complexIfEEEEZZNS1_9scan_implILNS1_25lookback_scan_determinismE0ELb0ELb0ES3_PKS7_PS7_S7_ZZZN2at6native31launch_logcumsumexp_cuda_kernelERKNSE_10TensorBaseESI_lENKUlvE_clEvENKUlvE2_clEvEUlS7_S7_E_S7_EEDaPvRmT3_T4_T5_mT6_P12ihipStream_tbENKUlT_T0_E_clISt17integral_constantIbLb0EESY_IbLb1EEEEDaSU_SV_EUlSU_E0_NS1_11comp_targetILNS1_3genE10ELNS1_11target_archE1200ELNS1_3gpuE4ELNS1_3repE0EEENS1_30default_config_static_selectorELNS0_4arch9wavefront6targetE1EEEvT1_
		.amdhsa_group_segment_fixed_size 0
		.amdhsa_private_segment_fixed_size 0
		.amdhsa_kernarg_size 40
		.amdhsa_user_sgpr_count 2
		.amdhsa_user_sgpr_dispatch_ptr 0
		.amdhsa_user_sgpr_queue_ptr 0
		.amdhsa_user_sgpr_kernarg_segment_ptr 1
		.amdhsa_user_sgpr_dispatch_id 0
		.amdhsa_user_sgpr_kernarg_preload_length 0
		.amdhsa_user_sgpr_kernarg_preload_offset 0
		.amdhsa_user_sgpr_private_segment_size 0
		.amdhsa_uses_dynamic_stack 0
		.amdhsa_enable_private_segment 0
		.amdhsa_system_sgpr_workgroup_id_x 1
		.amdhsa_system_sgpr_workgroup_id_y 0
		.amdhsa_system_sgpr_workgroup_id_z 0
		.amdhsa_system_sgpr_workgroup_info 0
		.amdhsa_system_vgpr_workitem_id 0
		.amdhsa_next_free_vgpr 1
		.amdhsa_next_free_sgpr 0
		.amdhsa_accum_offset 4
		.amdhsa_reserve_vcc 0
		.amdhsa_float_round_mode_32 0
		.amdhsa_float_round_mode_16_64 0
		.amdhsa_float_denorm_mode_32 3
		.amdhsa_float_denorm_mode_16_64 3
		.amdhsa_dx10_clamp 1
		.amdhsa_ieee_mode 1
		.amdhsa_fp16_overflow 0
		.amdhsa_tg_split 0
		.amdhsa_exception_fp_ieee_invalid_op 0
		.amdhsa_exception_fp_denorm_src 0
		.amdhsa_exception_fp_ieee_div_zero 0
		.amdhsa_exception_fp_ieee_overflow 0
		.amdhsa_exception_fp_ieee_underflow 0
		.amdhsa_exception_fp_ieee_inexact 0
		.amdhsa_exception_int_div_zero 0
	.end_amdhsa_kernel
	.section	.text._ZN7rocprim17ROCPRIM_400000_NS6detail17trampoline_kernelINS0_14default_configENS1_20scan_config_selectorIN3c107complexIfEEEEZZNS1_9scan_implILNS1_25lookback_scan_determinismE0ELb0ELb0ES3_PKS7_PS7_S7_ZZZN2at6native31launch_logcumsumexp_cuda_kernelERKNSE_10TensorBaseESI_lENKUlvE_clEvENKUlvE2_clEvEUlS7_S7_E_S7_EEDaPvRmT3_T4_T5_mT6_P12ihipStream_tbENKUlT_T0_E_clISt17integral_constantIbLb0EESY_IbLb1EEEEDaSU_SV_EUlSU_E0_NS1_11comp_targetILNS1_3genE10ELNS1_11target_archE1200ELNS1_3gpuE4ELNS1_3repE0EEENS1_30default_config_static_selectorELNS0_4arch9wavefront6targetE1EEEvT1_,"axG",@progbits,_ZN7rocprim17ROCPRIM_400000_NS6detail17trampoline_kernelINS0_14default_configENS1_20scan_config_selectorIN3c107complexIfEEEEZZNS1_9scan_implILNS1_25lookback_scan_determinismE0ELb0ELb0ES3_PKS7_PS7_S7_ZZZN2at6native31launch_logcumsumexp_cuda_kernelERKNSE_10TensorBaseESI_lENKUlvE_clEvENKUlvE2_clEvEUlS7_S7_E_S7_EEDaPvRmT3_T4_T5_mT6_P12ihipStream_tbENKUlT_T0_E_clISt17integral_constantIbLb0EESY_IbLb1EEEEDaSU_SV_EUlSU_E0_NS1_11comp_targetILNS1_3genE10ELNS1_11target_archE1200ELNS1_3gpuE4ELNS1_3repE0EEENS1_30default_config_static_selectorELNS0_4arch9wavefront6targetE1EEEvT1_,comdat
.Lfunc_end352:
	.size	_ZN7rocprim17ROCPRIM_400000_NS6detail17trampoline_kernelINS0_14default_configENS1_20scan_config_selectorIN3c107complexIfEEEEZZNS1_9scan_implILNS1_25lookback_scan_determinismE0ELb0ELb0ES3_PKS7_PS7_S7_ZZZN2at6native31launch_logcumsumexp_cuda_kernelERKNSE_10TensorBaseESI_lENKUlvE_clEvENKUlvE2_clEvEUlS7_S7_E_S7_EEDaPvRmT3_T4_T5_mT6_P12ihipStream_tbENKUlT_T0_E_clISt17integral_constantIbLb0EESY_IbLb1EEEEDaSU_SV_EUlSU_E0_NS1_11comp_targetILNS1_3genE10ELNS1_11target_archE1200ELNS1_3gpuE4ELNS1_3repE0EEENS1_30default_config_static_selectorELNS0_4arch9wavefront6targetE1EEEvT1_, .Lfunc_end352-_ZN7rocprim17ROCPRIM_400000_NS6detail17trampoline_kernelINS0_14default_configENS1_20scan_config_selectorIN3c107complexIfEEEEZZNS1_9scan_implILNS1_25lookback_scan_determinismE0ELb0ELb0ES3_PKS7_PS7_S7_ZZZN2at6native31launch_logcumsumexp_cuda_kernelERKNSE_10TensorBaseESI_lENKUlvE_clEvENKUlvE2_clEvEUlS7_S7_E_S7_EEDaPvRmT3_T4_T5_mT6_P12ihipStream_tbENKUlT_T0_E_clISt17integral_constantIbLb0EESY_IbLb1EEEEDaSU_SV_EUlSU_E0_NS1_11comp_targetILNS1_3genE10ELNS1_11target_archE1200ELNS1_3gpuE4ELNS1_3repE0EEENS1_30default_config_static_selectorELNS0_4arch9wavefront6targetE1EEEvT1_
                                        ; -- End function
	.section	.AMDGPU.csdata,"",@progbits
; Kernel info:
; codeLenInByte = 0
; NumSgprs: 6
; NumVgprs: 0
; NumAgprs: 0
; TotalNumVgprs: 0
; ScratchSize: 0
; MemoryBound: 0
; FloatMode: 240
; IeeeMode: 1
; LDSByteSize: 0 bytes/workgroup (compile time only)
; SGPRBlocks: 0
; VGPRBlocks: 0
; NumSGPRsForWavesPerEU: 6
; NumVGPRsForWavesPerEU: 1
; AccumOffset: 4
; Occupancy: 8
; WaveLimiterHint : 0
; COMPUTE_PGM_RSRC2:SCRATCH_EN: 0
; COMPUTE_PGM_RSRC2:USER_SGPR: 2
; COMPUTE_PGM_RSRC2:TRAP_HANDLER: 0
; COMPUTE_PGM_RSRC2:TGID_X_EN: 1
; COMPUTE_PGM_RSRC2:TGID_Y_EN: 0
; COMPUTE_PGM_RSRC2:TGID_Z_EN: 0
; COMPUTE_PGM_RSRC2:TIDIG_COMP_CNT: 0
; COMPUTE_PGM_RSRC3_GFX90A:ACCUM_OFFSET: 0
; COMPUTE_PGM_RSRC3_GFX90A:TG_SPLIT: 0
	.section	.text._ZN7rocprim17ROCPRIM_400000_NS6detail17trampoline_kernelINS0_14default_configENS1_20scan_config_selectorIN3c107complexIfEEEEZZNS1_9scan_implILNS1_25lookback_scan_determinismE0ELb0ELb0ES3_PKS7_PS7_S7_ZZZN2at6native31launch_logcumsumexp_cuda_kernelERKNSE_10TensorBaseESI_lENKUlvE_clEvENKUlvE2_clEvEUlS7_S7_E_S7_EEDaPvRmT3_T4_T5_mT6_P12ihipStream_tbENKUlT_T0_E_clISt17integral_constantIbLb0EESY_IbLb1EEEEDaSU_SV_EUlSU_E0_NS1_11comp_targetILNS1_3genE9ELNS1_11target_archE1100ELNS1_3gpuE3ELNS1_3repE0EEENS1_30default_config_static_selectorELNS0_4arch9wavefront6targetE1EEEvT1_,"axG",@progbits,_ZN7rocprim17ROCPRIM_400000_NS6detail17trampoline_kernelINS0_14default_configENS1_20scan_config_selectorIN3c107complexIfEEEEZZNS1_9scan_implILNS1_25lookback_scan_determinismE0ELb0ELb0ES3_PKS7_PS7_S7_ZZZN2at6native31launch_logcumsumexp_cuda_kernelERKNSE_10TensorBaseESI_lENKUlvE_clEvENKUlvE2_clEvEUlS7_S7_E_S7_EEDaPvRmT3_T4_T5_mT6_P12ihipStream_tbENKUlT_T0_E_clISt17integral_constantIbLb0EESY_IbLb1EEEEDaSU_SV_EUlSU_E0_NS1_11comp_targetILNS1_3genE9ELNS1_11target_archE1100ELNS1_3gpuE3ELNS1_3repE0EEENS1_30default_config_static_selectorELNS0_4arch9wavefront6targetE1EEEvT1_,comdat
	.globl	_ZN7rocprim17ROCPRIM_400000_NS6detail17trampoline_kernelINS0_14default_configENS1_20scan_config_selectorIN3c107complexIfEEEEZZNS1_9scan_implILNS1_25lookback_scan_determinismE0ELb0ELb0ES3_PKS7_PS7_S7_ZZZN2at6native31launch_logcumsumexp_cuda_kernelERKNSE_10TensorBaseESI_lENKUlvE_clEvENKUlvE2_clEvEUlS7_S7_E_S7_EEDaPvRmT3_T4_T5_mT6_P12ihipStream_tbENKUlT_T0_E_clISt17integral_constantIbLb0EESY_IbLb1EEEEDaSU_SV_EUlSU_E0_NS1_11comp_targetILNS1_3genE9ELNS1_11target_archE1100ELNS1_3gpuE3ELNS1_3repE0EEENS1_30default_config_static_selectorELNS0_4arch9wavefront6targetE1EEEvT1_ ; -- Begin function _ZN7rocprim17ROCPRIM_400000_NS6detail17trampoline_kernelINS0_14default_configENS1_20scan_config_selectorIN3c107complexIfEEEEZZNS1_9scan_implILNS1_25lookback_scan_determinismE0ELb0ELb0ES3_PKS7_PS7_S7_ZZZN2at6native31launch_logcumsumexp_cuda_kernelERKNSE_10TensorBaseESI_lENKUlvE_clEvENKUlvE2_clEvEUlS7_S7_E_S7_EEDaPvRmT3_T4_T5_mT6_P12ihipStream_tbENKUlT_T0_E_clISt17integral_constantIbLb0EESY_IbLb1EEEEDaSU_SV_EUlSU_E0_NS1_11comp_targetILNS1_3genE9ELNS1_11target_archE1100ELNS1_3gpuE3ELNS1_3repE0EEENS1_30default_config_static_selectorELNS0_4arch9wavefront6targetE1EEEvT1_
	.p2align	8
	.type	_ZN7rocprim17ROCPRIM_400000_NS6detail17trampoline_kernelINS0_14default_configENS1_20scan_config_selectorIN3c107complexIfEEEEZZNS1_9scan_implILNS1_25lookback_scan_determinismE0ELb0ELb0ES3_PKS7_PS7_S7_ZZZN2at6native31launch_logcumsumexp_cuda_kernelERKNSE_10TensorBaseESI_lENKUlvE_clEvENKUlvE2_clEvEUlS7_S7_E_S7_EEDaPvRmT3_T4_T5_mT6_P12ihipStream_tbENKUlT_T0_E_clISt17integral_constantIbLb0EESY_IbLb1EEEEDaSU_SV_EUlSU_E0_NS1_11comp_targetILNS1_3genE9ELNS1_11target_archE1100ELNS1_3gpuE3ELNS1_3repE0EEENS1_30default_config_static_selectorELNS0_4arch9wavefront6targetE1EEEvT1_,@function
_ZN7rocprim17ROCPRIM_400000_NS6detail17trampoline_kernelINS0_14default_configENS1_20scan_config_selectorIN3c107complexIfEEEEZZNS1_9scan_implILNS1_25lookback_scan_determinismE0ELb0ELb0ES3_PKS7_PS7_S7_ZZZN2at6native31launch_logcumsumexp_cuda_kernelERKNSE_10TensorBaseESI_lENKUlvE_clEvENKUlvE2_clEvEUlS7_S7_E_S7_EEDaPvRmT3_T4_T5_mT6_P12ihipStream_tbENKUlT_T0_E_clISt17integral_constantIbLb0EESY_IbLb1EEEEDaSU_SV_EUlSU_E0_NS1_11comp_targetILNS1_3genE9ELNS1_11target_archE1100ELNS1_3gpuE3ELNS1_3repE0EEENS1_30default_config_static_selectorELNS0_4arch9wavefront6targetE1EEEvT1_: ; @_ZN7rocprim17ROCPRIM_400000_NS6detail17trampoline_kernelINS0_14default_configENS1_20scan_config_selectorIN3c107complexIfEEEEZZNS1_9scan_implILNS1_25lookback_scan_determinismE0ELb0ELb0ES3_PKS7_PS7_S7_ZZZN2at6native31launch_logcumsumexp_cuda_kernelERKNSE_10TensorBaseESI_lENKUlvE_clEvENKUlvE2_clEvEUlS7_S7_E_S7_EEDaPvRmT3_T4_T5_mT6_P12ihipStream_tbENKUlT_T0_E_clISt17integral_constantIbLb0EESY_IbLb1EEEEDaSU_SV_EUlSU_E0_NS1_11comp_targetILNS1_3genE9ELNS1_11target_archE1100ELNS1_3gpuE3ELNS1_3repE0EEENS1_30default_config_static_selectorELNS0_4arch9wavefront6targetE1EEEvT1_
; %bb.0:
	.section	.rodata,"a",@progbits
	.p2align	6, 0x0
	.amdhsa_kernel _ZN7rocprim17ROCPRIM_400000_NS6detail17trampoline_kernelINS0_14default_configENS1_20scan_config_selectorIN3c107complexIfEEEEZZNS1_9scan_implILNS1_25lookback_scan_determinismE0ELb0ELb0ES3_PKS7_PS7_S7_ZZZN2at6native31launch_logcumsumexp_cuda_kernelERKNSE_10TensorBaseESI_lENKUlvE_clEvENKUlvE2_clEvEUlS7_S7_E_S7_EEDaPvRmT3_T4_T5_mT6_P12ihipStream_tbENKUlT_T0_E_clISt17integral_constantIbLb0EESY_IbLb1EEEEDaSU_SV_EUlSU_E0_NS1_11comp_targetILNS1_3genE9ELNS1_11target_archE1100ELNS1_3gpuE3ELNS1_3repE0EEENS1_30default_config_static_selectorELNS0_4arch9wavefront6targetE1EEEvT1_
		.amdhsa_group_segment_fixed_size 0
		.amdhsa_private_segment_fixed_size 0
		.amdhsa_kernarg_size 40
		.amdhsa_user_sgpr_count 2
		.amdhsa_user_sgpr_dispatch_ptr 0
		.amdhsa_user_sgpr_queue_ptr 0
		.amdhsa_user_sgpr_kernarg_segment_ptr 1
		.amdhsa_user_sgpr_dispatch_id 0
		.amdhsa_user_sgpr_kernarg_preload_length 0
		.amdhsa_user_sgpr_kernarg_preload_offset 0
		.amdhsa_user_sgpr_private_segment_size 0
		.amdhsa_uses_dynamic_stack 0
		.amdhsa_enable_private_segment 0
		.amdhsa_system_sgpr_workgroup_id_x 1
		.amdhsa_system_sgpr_workgroup_id_y 0
		.amdhsa_system_sgpr_workgroup_id_z 0
		.amdhsa_system_sgpr_workgroup_info 0
		.amdhsa_system_vgpr_workitem_id 0
		.amdhsa_next_free_vgpr 1
		.amdhsa_next_free_sgpr 0
		.amdhsa_accum_offset 4
		.amdhsa_reserve_vcc 0
		.amdhsa_float_round_mode_32 0
		.amdhsa_float_round_mode_16_64 0
		.amdhsa_float_denorm_mode_32 3
		.amdhsa_float_denorm_mode_16_64 3
		.amdhsa_dx10_clamp 1
		.amdhsa_ieee_mode 1
		.amdhsa_fp16_overflow 0
		.amdhsa_tg_split 0
		.amdhsa_exception_fp_ieee_invalid_op 0
		.amdhsa_exception_fp_denorm_src 0
		.amdhsa_exception_fp_ieee_div_zero 0
		.amdhsa_exception_fp_ieee_overflow 0
		.amdhsa_exception_fp_ieee_underflow 0
		.amdhsa_exception_fp_ieee_inexact 0
		.amdhsa_exception_int_div_zero 0
	.end_amdhsa_kernel
	.section	.text._ZN7rocprim17ROCPRIM_400000_NS6detail17trampoline_kernelINS0_14default_configENS1_20scan_config_selectorIN3c107complexIfEEEEZZNS1_9scan_implILNS1_25lookback_scan_determinismE0ELb0ELb0ES3_PKS7_PS7_S7_ZZZN2at6native31launch_logcumsumexp_cuda_kernelERKNSE_10TensorBaseESI_lENKUlvE_clEvENKUlvE2_clEvEUlS7_S7_E_S7_EEDaPvRmT3_T4_T5_mT6_P12ihipStream_tbENKUlT_T0_E_clISt17integral_constantIbLb0EESY_IbLb1EEEEDaSU_SV_EUlSU_E0_NS1_11comp_targetILNS1_3genE9ELNS1_11target_archE1100ELNS1_3gpuE3ELNS1_3repE0EEENS1_30default_config_static_selectorELNS0_4arch9wavefront6targetE1EEEvT1_,"axG",@progbits,_ZN7rocprim17ROCPRIM_400000_NS6detail17trampoline_kernelINS0_14default_configENS1_20scan_config_selectorIN3c107complexIfEEEEZZNS1_9scan_implILNS1_25lookback_scan_determinismE0ELb0ELb0ES3_PKS7_PS7_S7_ZZZN2at6native31launch_logcumsumexp_cuda_kernelERKNSE_10TensorBaseESI_lENKUlvE_clEvENKUlvE2_clEvEUlS7_S7_E_S7_EEDaPvRmT3_T4_T5_mT6_P12ihipStream_tbENKUlT_T0_E_clISt17integral_constantIbLb0EESY_IbLb1EEEEDaSU_SV_EUlSU_E0_NS1_11comp_targetILNS1_3genE9ELNS1_11target_archE1100ELNS1_3gpuE3ELNS1_3repE0EEENS1_30default_config_static_selectorELNS0_4arch9wavefront6targetE1EEEvT1_,comdat
.Lfunc_end353:
	.size	_ZN7rocprim17ROCPRIM_400000_NS6detail17trampoline_kernelINS0_14default_configENS1_20scan_config_selectorIN3c107complexIfEEEEZZNS1_9scan_implILNS1_25lookback_scan_determinismE0ELb0ELb0ES3_PKS7_PS7_S7_ZZZN2at6native31launch_logcumsumexp_cuda_kernelERKNSE_10TensorBaseESI_lENKUlvE_clEvENKUlvE2_clEvEUlS7_S7_E_S7_EEDaPvRmT3_T4_T5_mT6_P12ihipStream_tbENKUlT_T0_E_clISt17integral_constantIbLb0EESY_IbLb1EEEEDaSU_SV_EUlSU_E0_NS1_11comp_targetILNS1_3genE9ELNS1_11target_archE1100ELNS1_3gpuE3ELNS1_3repE0EEENS1_30default_config_static_selectorELNS0_4arch9wavefront6targetE1EEEvT1_, .Lfunc_end353-_ZN7rocprim17ROCPRIM_400000_NS6detail17trampoline_kernelINS0_14default_configENS1_20scan_config_selectorIN3c107complexIfEEEEZZNS1_9scan_implILNS1_25lookback_scan_determinismE0ELb0ELb0ES3_PKS7_PS7_S7_ZZZN2at6native31launch_logcumsumexp_cuda_kernelERKNSE_10TensorBaseESI_lENKUlvE_clEvENKUlvE2_clEvEUlS7_S7_E_S7_EEDaPvRmT3_T4_T5_mT6_P12ihipStream_tbENKUlT_T0_E_clISt17integral_constantIbLb0EESY_IbLb1EEEEDaSU_SV_EUlSU_E0_NS1_11comp_targetILNS1_3genE9ELNS1_11target_archE1100ELNS1_3gpuE3ELNS1_3repE0EEENS1_30default_config_static_selectorELNS0_4arch9wavefront6targetE1EEEvT1_
                                        ; -- End function
	.section	.AMDGPU.csdata,"",@progbits
; Kernel info:
; codeLenInByte = 0
; NumSgprs: 6
; NumVgprs: 0
; NumAgprs: 0
; TotalNumVgprs: 0
; ScratchSize: 0
; MemoryBound: 0
; FloatMode: 240
; IeeeMode: 1
; LDSByteSize: 0 bytes/workgroup (compile time only)
; SGPRBlocks: 0
; VGPRBlocks: 0
; NumSGPRsForWavesPerEU: 6
; NumVGPRsForWavesPerEU: 1
; AccumOffset: 4
; Occupancy: 8
; WaveLimiterHint : 0
; COMPUTE_PGM_RSRC2:SCRATCH_EN: 0
; COMPUTE_PGM_RSRC2:USER_SGPR: 2
; COMPUTE_PGM_RSRC2:TRAP_HANDLER: 0
; COMPUTE_PGM_RSRC2:TGID_X_EN: 1
; COMPUTE_PGM_RSRC2:TGID_Y_EN: 0
; COMPUTE_PGM_RSRC2:TGID_Z_EN: 0
; COMPUTE_PGM_RSRC2:TIDIG_COMP_CNT: 0
; COMPUTE_PGM_RSRC3_GFX90A:ACCUM_OFFSET: 0
; COMPUTE_PGM_RSRC3_GFX90A:TG_SPLIT: 0
	.section	.text._ZN7rocprim17ROCPRIM_400000_NS6detail17trampoline_kernelINS0_14default_configENS1_20scan_config_selectorIN3c107complexIfEEEEZZNS1_9scan_implILNS1_25lookback_scan_determinismE0ELb0ELb0ES3_PKS7_PS7_S7_ZZZN2at6native31launch_logcumsumexp_cuda_kernelERKNSE_10TensorBaseESI_lENKUlvE_clEvENKUlvE2_clEvEUlS7_S7_E_S7_EEDaPvRmT3_T4_T5_mT6_P12ihipStream_tbENKUlT_T0_E_clISt17integral_constantIbLb0EESY_IbLb1EEEEDaSU_SV_EUlSU_E0_NS1_11comp_targetILNS1_3genE8ELNS1_11target_archE1030ELNS1_3gpuE2ELNS1_3repE0EEENS1_30default_config_static_selectorELNS0_4arch9wavefront6targetE1EEEvT1_,"axG",@progbits,_ZN7rocprim17ROCPRIM_400000_NS6detail17trampoline_kernelINS0_14default_configENS1_20scan_config_selectorIN3c107complexIfEEEEZZNS1_9scan_implILNS1_25lookback_scan_determinismE0ELb0ELb0ES3_PKS7_PS7_S7_ZZZN2at6native31launch_logcumsumexp_cuda_kernelERKNSE_10TensorBaseESI_lENKUlvE_clEvENKUlvE2_clEvEUlS7_S7_E_S7_EEDaPvRmT3_T4_T5_mT6_P12ihipStream_tbENKUlT_T0_E_clISt17integral_constantIbLb0EESY_IbLb1EEEEDaSU_SV_EUlSU_E0_NS1_11comp_targetILNS1_3genE8ELNS1_11target_archE1030ELNS1_3gpuE2ELNS1_3repE0EEENS1_30default_config_static_selectorELNS0_4arch9wavefront6targetE1EEEvT1_,comdat
	.globl	_ZN7rocprim17ROCPRIM_400000_NS6detail17trampoline_kernelINS0_14default_configENS1_20scan_config_selectorIN3c107complexIfEEEEZZNS1_9scan_implILNS1_25lookback_scan_determinismE0ELb0ELb0ES3_PKS7_PS7_S7_ZZZN2at6native31launch_logcumsumexp_cuda_kernelERKNSE_10TensorBaseESI_lENKUlvE_clEvENKUlvE2_clEvEUlS7_S7_E_S7_EEDaPvRmT3_T4_T5_mT6_P12ihipStream_tbENKUlT_T0_E_clISt17integral_constantIbLb0EESY_IbLb1EEEEDaSU_SV_EUlSU_E0_NS1_11comp_targetILNS1_3genE8ELNS1_11target_archE1030ELNS1_3gpuE2ELNS1_3repE0EEENS1_30default_config_static_selectorELNS0_4arch9wavefront6targetE1EEEvT1_ ; -- Begin function _ZN7rocprim17ROCPRIM_400000_NS6detail17trampoline_kernelINS0_14default_configENS1_20scan_config_selectorIN3c107complexIfEEEEZZNS1_9scan_implILNS1_25lookback_scan_determinismE0ELb0ELb0ES3_PKS7_PS7_S7_ZZZN2at6native31launch_logcumsumexp_cuda_kernelERKNSE_10TensorBaseESI_lENKUlvE_clEvENKUlvE2_clEvEUlS7_S7_E_S7_EEDaPvRmT3_T4_T5_mT6_P12ihipStream_tbENKUlT_T0_E_clISt17integral_constantIbLb0EESY_IbLb1EEEEDaSU_SV_EUlSU_E0_NS1_11comp_targetILNS1_3genE8ELNS1_11target_archE1030ELNS1_3gpuE2ELNS1_3repE0EEENS1_30default_config_static_selectorELNS0_4arch9wavefront6targetE1EEEvT1_
	.p2align	8
	.type	_ZN7rocprim17ROCPRIM_400000_NS6detail17trampoline_kernelINS0_14default_configENS1_20scan_config_selectorIN3c107complexIfEEEEZZNS1_9scan_implILNS1_25lookback_scan_determinismE0ELb0ELb0ES3_PKS7_PS7_S7_ZZZN2at6native31launch_logcumsumexp_cuda_kernelERKNSE_10TensorBaseESI_lENKUlvE_clEvENKUlvE2_clEvEUlS7_S7_E_S7_EEDaPvRmT3_T4_T5_mT6_P12ihipStream_tbENKUlT_T0_E_clISt17integral_constantIbLb0EESY_IbLb1EEEEDaSU_SV_EUlSU_E0_NS1_11comp_targetILNS1_3genE8ELNS1_11target_archE1030ELNS1_3gpuE2ELNS1_3repE0EEENS1_30default_config_static_selectorELNS0_4arch9wavefront6targetE1EEEvT1_,@function
_ZN7rocprim17ROCPRIM_400000_NS6detail17trampoline_kernelINS0_14default_configENS1_20scan_config_selectorIN3c107complexIfEEEEZZNS1_9scan_implILNS1_25lookback_scan_determinismE0ELb0ELb0ES3_PKS7_PS7_S7_ZZZN2at6native31launch_logcumsumexp_cuda_kernelERKNSE_10TensorBaseESI_lENKUlvE_clEvENKUlvE2_clEvEUlS7_S7_E_S7_EEDaPvRmT3_T4_T5_mT6_P12ihipStream_tbENKUlT_T0_E_clISt17integral_constantIbLb0EESY_IbLb1EEEEDaSU_SV_EUlSU_E0_NS1_11comp_targetILNS1_3genE8ELNS1_11target_archE1030ELNS1_3gpuE2ELNS1_3repE0EEENS1_30default_config_static_selectorELNS0_4arch9wavefront6targetE1EEEvT1_: ; @_ZN7rocprim17ROCPRIM_400000_NS6detail17trampoline_kernelINS0_14default_configENS1_20scan_config_selectorIN3c107complexIfEEEEZZNS1_9scan_implILNS1_25lookback_scan_determinismE0ELb0ELb0ES3_PKS7_PS7_S7_ZZZN2at6native31launch_logcumsumexp_cuda_kernelERKNSE_10TensorBaseESI_lENKUlvE_clEvENKUlvE2_clEvEUlS7_S7_E_S7_EEDaPvRmT3_T4_T5_mT6_P12ihipStream_tbENKUlT_T0_E_clISt17integral_constantIbLb0EESY_IbLb1EEEEDaSU_SV_EUlSU_E0_NS1_11comp_targetILNS1_3genE8ELNS1_11target_archE1030ELNS1_3gpuE2ELNS1_3repE0EEENS1_30default_config_static_selectorELNS0_4arch9wavefront6targetE1EEEvT1_
; %bb.0:
	.section	.rodata,"a",@progbits
	.p2align	6, 0x0
	.amdhsa_kernel _ZN7rocprim17ROCPRIM_400000_NS6detail17trampoline_kernelINS0_14default_configENS1_20scan_config_selectorIN3c107complexIfEEEEZZNS1_9scan_implILNS1_25lookback_scan_determinismE0ELb0ELb0ES3_PKS7_PS7_S7_ZZZN2at6native31launch_logcumsumexp_cuda_kernelERKNSE_10TensorBaseESI_lENKUlvE_clEvENKUlvE2_clEvEUlS7_S7_E_S7_EEDaPvRmT3_T4_T5_mT6_P12ihipStream_tbENKUlT_T0_E_clISt17integral_constantIbLb0EESY_IbLb1EEEEDaSU_SV_EUlSU_E0_NS1_11comp_targetILNS1_3genE8ELNS1_11target_archE1030ELNS1_3gpuE2ELNS1_3repE0EEENS1_30default_config_static_selectorELNS0_4arch9wavefront6targetE1EEEvT1_
		.amdhsa_group_segment_fixed_size 0
		.amdhsa_private_segment_fixed_size 0
		.amdhsa_kernarg_size 40
		.amdhsa_user_sgpr_count 2
		.amdhsa_user_sgpr_dispatch_ptr 0
		.amdhsa_user_sgpr_queue_ptr 0
		.amdhsa_user_sgpr_kernarg_segment_ptr 1
		.amdhsa_user_sgpr_dispatch_id 0
		.amdhsa_user_sgpr_kernarg_preload_length 0
		.amdhsa_user_sgpr_kernarg_preload_offset 0
		.amdhsa_user_sgpr_private_segment_size 0
		.amdhsa_uses_dynamic_stack 0
		.amdhsa_enable_private_segment 0
		.amdhsa_system_sgpr_workgroup_id_x 1
		.amdhsa_system_sgpr_workgroup_id_y 0
		.amdhsa_system_sgpr_workgroup_id_z 0
		.amdhsa_system_sgpr_workgroup_info 0
		.amdhsa_system_vgpr_workitem_id 0
		.amdhsa_next_free_vgpr 1
		.amdhsa_next_free_sgpr 0
		.amdhsa_accum_offset 4
		.amdhsa_reserve_vcc 0
		.amdhsa_float_round_mode_32 0
		.amdhsa_float_round_mode_16_64 0
		.amdhsa_float_denorm_mode_32 3
		.amdhsa_float_denorm_mode_16_64 3
		.amdhsa_dx10_clamp 1
		.amdhsa_ieee_mode 1
		.amdhsa_fp16_overflow 0
		.amdhsa_tg_split 0
		.amdhsa_exception_fp_ieee_invalid_op 0
		.amdhsa_exception_fp_denorm_src 0
		.amdhsa_exception_fp_ieee_div_zero 0
		.amdhsa_exception_fp_ieee_overflow 0
		.amdhsa_exception_fp_ieee_underflow 0
		.amdhsa_exception_fp_ieee_inexact 0
		.amdhsa_exception_int_div_zero 0
	.end_amdhsa_kernel
	.section	.text._ZN7rocprim17ROCPRIM_400000_NS6detail17trampoline_kernelINS0_14default_configENS1_20scan_config_selectorIN3c107complexIfEEEEZZNS1_9scan_implILNS1_25lookback_scan_determinismE0ELb0ELb0ES3_PKS7_PS7_S7_ZZZN2at6native31launch_logcumsumexp_cuda_kernelERKNSE_10TensorBaseESI_lENKUlvE_clEvENKUlvE2_clEvEUlS7_S7_E_S7_EEDaPvRmT3_T4_T5_mT6_P12ihipStream_tbENKUlT_T0_E_clISt17integral_constantIbLb0EESY_IbLb1EEEEDaSU_SV_EUlSU_E0_NS1_11comp_targetILNS1_3genE8ELNS1_11target_archE1030ELNS1_3gpuE2ELNS1_3repE0EEENS1_30default_config_static_selectorELNS0_4arch9wavefront6targetE1EEEvT1_,"axG",@progbits,_ZN7rocprim17ROCPRIM_400000_NS6detail17trampoline_kernelINS0_14default_configENS1_20scan_config_selectorIN3c107complexIfEEEEZZNS1_9scan_implILNS1_25lookback_scan_determinismE0ELb0ELb0ES3_PKS7_PS7_S7_ZZZN2at6native31launch_logcumsumexp_cuda_kernelERKNSE_10TensorBaseESI_lENKUlvE_clEvENKUlvE2_clEvEUlS7_S7_E_S7_EEDaPvRmT3_T4_T5_mT6_P12ihipStream_tbENKUlT_T0_E_clISt17integral_constantIbLb0EESY_IbLb1EEEEDaSU_SV_EUlSU_E0_NS1_11comp_targetILNS1_3genE8ELNS1_11target_archE1030ELNS1_3gpuE2ELNS1_3repE0EEENS1_30default_config_static_selectorELNS0_4arch9wavefront6targetE1EEEvT1_,comdat
.Lfunc_end354:
	.size	_ZN7rocprim17ROCPRIM_400000_NS6detail17trampoline_kernelINS0_14default_configENS1_20scan_config_selectorIN3c107complexIfEEEEZZNS1_9scan_implILNS1_25lookback_scan_determinismE0ELb0ELb0ES3_PKS7_PS7_S7_ZZZN2at6native31launch_logcumsumexp_cuda_kernelERKNSE_10TensorBaseESI_lENKUlvE_clEvENKUlvE2_clEvEUlS7_S7_E_S7_EEDaPvRmT3_T4_T5_mT6_P12ihipStream_tbENKUlT_T0_E_clISt17integral_constantIbLb0EESY_IbLb1EEEEDaSU_SV_EUlSU_E0_NS1_11comp_targetILNS1_3genE8ELNS1_11target_archE1030ELNS1_3gpuE2ELNS1_3repE0EEENS1_30default_config_static_selectorELNS0_4arch9wavefront6targetE1EEEvT1_, .Lfunc_end354-_ZN7rocprim17ROCPRIM_400000_NS6detail17trampoline_kernelINS0_14default_configENS1_20scan_config_selectorIN3c107complexIfEEEEZZNS1_9scan_implILNS1_25lookback_scan_determinismE0ELb0ELb0ES3_PKS7_PS7_S7_ZZZN2at6native31launch_logcumsumexp_cuda_kernelERKNSE_10TensorBaseESI_lENKUlvE_clEvENKUlvE2_clEvEUlS7_S7_E_S7_EEDaPvRmT3_T4_T5_mT6_P12ihipStream_tbENKUlT_T0_E_clISt17integral_constantIbLb0EESY_IbLb1EEEEDaSU_SV_EUlSU_E0_NS1_11comp_targetILNS1_3genE8ELNS1_11target_archE1030ELNS1_3gpuE2ELNS1_3repE0EEENS1_30default_config_static_selectorELNS0_4arch9wavefront6targetE1EEEvT1_
                                        ; -- End function
	.section	.AMDGPU.csdata,"",@progbits
; Kernel info:
; codeLenInByte = 0
; NumSgprs: 6
; NumVgprs: 0
; NumAgprs: 0
; TotalNumVgprs: 0
; ScratchSize: 0
; MemoryBound: 0
; FloatMode: 240
; IeeeMode: 1
; LDSByteSize: 0 bytes/workgroup (compile time only)
; SGPRBlocks: 0
; VGPRBlocks: 0
; NumSGPRsForWavesPerEU: 6
; NumVGPRsForWavesPerEU: 1
; AccumOffset: 4
; Occupancy: 8
; WaveLimiterHint : 0
; COMPUTE_PGM_RSRC2:SCRATCH_EN: 0
; COMPUTE_PGM_RSRC2:USER_SGPR: 2
; COMPUTE_PGM_RSRC2:TRAP_HANDLER: 0
; COMPUTE_PGM_RSRC2:TGID_X_EN: 1
; COMPUTE_PGM_RSRC2:TGID_Y_EN: 0
; COMPUTE_PGM_RSRC2:TGID_Z_EN: 0
; COMPUTE_PGM_RSRC2:TIDIG_COMP_CNT: 0
; COMPUTE_PGM_RSRC3_GFX90A:ACCUM_OFFSET: 0
; COMPUTE_PGM_RSRC3_GFX90A:TG_SPLIT: 0
	.section	.text._ZN2at6native32tensor_kernel_scan_innermost_dimIN3c107complexIfEEZZZNS0_31launch_logcumsumexp_cuda_kernelERKNS_10TensorBaseES7_lENKUlvE_clEvENKUlvE2_clEvEUlS4_S4_E_EEvPT_PKSB_jjjSB_T0_,"axG",@progbits,_ZN2at6native32tensor_kernel_scan_innermost_dimIN3c107complexIfEEZZZNS0_31launch_logcumsumexp_cuda_kernelERKNS_10TensorBaseES7_lENKUlvE_clEvENKUlvE2_clEvEUlS4_S4_E_EEvPT_PKSB_jjjSB_T0_,comdat
	.globl	_ZN2at6native32tensor_kernel_scan_innermost_dimIN3c107complexIfEEZZZNS0_31launch_logcumsumexp_cuda_kernelERKNS_10TensorBaseES7_lENKUlvE_clEvENKUlvE2_clEvEUlS4_S4_E_EEvPT_PKSB_jjjSB_T0_ ; -- Begin function _ZN2at6native32tensor_kernel_scan_innermost_dimIN3c107complexIfEEZZZNS0_31launch_logcumsumexp_cuda_kernelERKNS_10TensorBaseES7_lENKUlvE_clEvENKUlvE2_clEvEUlS4_S4_E_EEvPT_PKSB_jjjSB_T0_
	.p2align	8
	.type	_ZN2at6native32tensor_kernel_scan_innermost_dimIN3c107complexIfEEZZZNS0_31launch_logcumsumexp_cuda_kernelERKNS_10TensorBaseES7_lENKUlvE_clEvENKUlvE2_clEvEUlS4_S4_E_EEvPT_PKSB_jjjSB_T0_,@function
_ZN2at6native32tensor_kernel_scan_innermost_dimIN3c107complexIfEEZZZNS0_31launch_logcumsumexp_cuda_kernelERKNS_10TensorBaseES7_lENKUlvE_clEvENKUlvE2_clEvEUlS4_S4_E_EEvPT_PKSB_jjjSB_T0_: ; @_ZN2at6native32tensor_kernel_scan_innermost_dimIN3c107complexIfEEZZZNS0_31launch_logcumsumexp_cuda_kernelERKNS_10TensorBaseES7_lENKUlvE_clEvENKUlvE2_clEvEUlS4_S4_E_EEvPT_PKSB_jjjSB_T0_
; %bb.0:
	s_load_dwordx8 s[20:27], s[0:1], 0x0
	s_load_dwordx2 s[18:19], s[0:1], 0x20
	v_bfe_u32 v2, v0, 10, 10
	s_waitcnt lgkmcnt(0)
	s_lshl_b32 s3, 2, s26
	v_mul_lo_u32 v1, s3, v2
	s_mul_hi_u32 s4, s24, s25
	s_mov_b32 s28, s24
	v_lshl_add_u32 v26, v1, 3, 0
	s_cmp_lg_u32 s4, 0
	s_mov_b64 s[4:5], -1
	s_cbranch_scc1 .LBB355_122
; %bb.1:
	s_load_dword s6, s[0:1], 0x3c
	s_add_u32 s4, s0, 48
	s_addc_u32 s5, s1, 0
	s_waitcnt lgkmcnt(0)
	s_lshr_b32 s6, s6, 16
	s_mul_i32 s27, s2, s6
	s_cmp_ge_u32 s27, s24
	s_cbranch_scc1 .LBB355_121
; %bb.2:
	s_load_dword s33, s[4:5], 0x0
	s_lshl_b32 s29, 1, s26
	s_cmp_lg_u32 s25, 0
	v_and_b32_e32 v1, 0x3ff, v0
	s_cselect_b64 s[4:5], -1, 0
	v_lshl_add_u32 v3, v1, 3, v26
	s_lshl_b32 s7, s3, 3
	v_cndmask_b32_e64 v4, 0, 1, s[4:5]
	v_lshl_add_u32 v27, s29, 3, v3
	v_cmp_eq_u32_e64 s[8:9], 0, v1
	v_add3_u32 v28, v26, s7, -8
	s_waitcnt lgkmcnt(0)
	s_mul_i32 s33, s33, s6
	s_add_i32 s48, s26, 1
	v_cmp_ne_u32_e64 s[4:5], 1, v4
	v_mov_b32_e32 v5, 0
	s_mov_b32 s30, 0x7fc00000
	s_movk_i32 s49, 0x1f8
	s_brev_b32 s50, -2
	s_brev_b32 s51, 18
	s_mov_b32 s52, 0x800000
	s_mov_b32 s53, 0xfe5163ab
	;; [unrolled: 1-line block ×16, first 2 shown]
	v_mov_b32_e32 v29, 0x3c0881c4
	v_mov_b32_e32 v30, 0xbab64f3b
	v_mov_b32_e32 v6, 1.0
	s_mov_b32 s68, 0x3f317217
	s_mov_b32 s69, 0x3f2aaaab
	v_mov_b32_e32 v31, 0x3ecc95a3
	s_mov_b32 s70, 0x3f317218
	s_movk_i32 s71, 0x204
	v_mov_b32_e32 v32, 0xbc7a590c
	v_not_b32_e32 v33, 63
	v_not_b32_e32 v34, 31
	v_mov_b32_e32 v35, 0x7f800000
	v_mov_b32_e32 v36, 0x7fc00000
	;; [unrolled: 1-line block ×9, first 2 shown]
                                        ; implicit-def: $vgpr4
                                        ; implicit-def: $vgpr4
	;; [unrolled: 1-line block ×10, first 2 shown]
	s_branch .LBB355_4
.LBB355_3:                              ;   in Loop: Header=BB355_4 Depth=1
	s_add_i32 s27, s27, s33
	s_cmp_ge_u32 s27, s24
	s_cbranch_scc1 .LBB355_121
.LBB355_4:                              ; =>This Loop Header: Depth=1
                                        ;     Child Loop BB355_7 Depth 2
                                        ;       Child Loop BB355_69 Depth 3
	s_and_b64 vcc, exec, s[4:5]
	s_cbranch_vccnz .LBB355_3
; %bb.5:                                ;   in Loop: Header=BB355_4 Depth=1
	v_add_u32_e32 v7, s27, v2
	v_mul_lo_u32 v4, v7, s25
	v_lshlrev_b64 v[12:13], 3, v[4:5]
	v_lshl_add_u64 v[10:11], s[22:23], 0, v[12:13]
	v_lshl_add_u64 v[12:13], s[20:21], 0, v[12:13]
	v_cmp_gt_u32_e32 vcc, s24, v7
	v_cmp_le_u32_e64 s[6:7], s24, v7
	s_mov_b32 s72, 0
	v_mov_b64_e32 v[18:19], s[18:19]
	s_branch .LBB355_7
.LBB355_6:                              ;   in Loop: Header=BB355_7 Depth=2
	s_or_b64 exec, exec, s[12:13]
	ds_read_b64 v[18:19], v28
	s_add_i32 s72, s72, s3
	s_cmp_ge_u32 s72, s25
	s_waitcnt lgkmcnt(0)
	s_barrier
	s_cbranch_scc1 .LBB355_3
.LBB355_7:                              ;   Parent Loop BB355_4 Depth=1
                                        ; =>  This Loop Header: Depth=2
                                        ;       Child Loop BB355_69 Depth 3
	v_add_u32_e32 v16, s72, v1
	v_add_u32_e32 v14, s29, v16
	s_and_saveexec_b64 s[34:35], vcc
	s_cbranch_execz .LBB355_62
; %bb.8:                                ;   in Loop: Header=BB355_7 Depth=2
	v_cmp_gt_u32_e64 s[10:11], s25, v16
	v_mov_b64_e32 v[20:21], s[18:19]
	s_and_saveexec_b64 s[12:13], s[10:11]
	s_cbranch_execz .LBB355_10
; %bb.9:                                ;   in Loop: Header=BB355_7 Depth=2
	v_mov_b32_e32 v17, v5
	v_lshl_add_u64 v[20:21], v[16:17], 3, v[10:11]
	global_load_dwordx2 v[20:21], v[20:21], off
.LBB355_10:                             ;   in Loop: Header=BB355_7 Depth=2
	s_or_b64 exec, exec, s[12:13]
	s_waitcnt vmcnt(0)
	ds_write_b64 v3, v[20:21]
	v_cmp_gt_u32_e64 s[10:11], s25, v14
	v_mov_b64_e32 v[20:21], s[18:19]
	s_and_saveexec_b64 s[12:13], s[10:11]
	s_cbranch_execz .LBB355_12
; %bb.11:                               ;   in Loop: Header=BB355_7 Depth=2
	v_mov_b32_e32 v15, v5
	v_lshl_add_u64 v[20:21], v[14:15], 3, v[10:11]
	global_load_dwordx2 v[20:21], v[20:21], off
.LBB355_12:                             ;   in Loop: Header=BB355_7 Depth=2
	s_or_b64 exec, exec, s[12:13]
	s_waitcnt vmcnt(0)
	ds_write_b64 v27, v[20:21]
	s_and_b64 exec, exec, s[8:9]
	s_cbranch_execz .LBB355_62
; %bb.13:                               ;   in Loop: Header=BB355_7 Depth=2
	ds_read_b64 v[24:25], v26
	v_cmp_o_f32_e64 s[10:11], v18, v18
	v_cmp_o_f32_e64 s[12:13], v19, v19
	s_and_b64 s[14:15], s[10:11], s[12:13]
	v_mov_b32_e32 v23, v19
	v_mov_b64_e32 v[20:21], v[18:19]
	s_and_saveexec_b64 s[16:17], s[14:15]
	s_cbranch_execz .LBB355_15
; %bb.14:                               ;   in Loop: Header=BB355_7 Depth=2
	s_waitcnt lgkmcnt(0)
	v_cmp_u_f32_e64 s[10:11], v24, v24
	v_cmp_u_f32_e64 s[12:13], v25, v25
	s_or_b64 s[12:13], s[10:11], s[12:13]
	v_cmp_lt_f32_e64 s[10:11], v24, v18
	s_or_b64 s[10:11], s[10:11], s[12:13]
	s_nop 0
	v_cndmask_b32_e64 v23, v19, v25, s[10:11]
	v_cndmask_b32_e64 v22, v18, v24, s[10:11]
	v_mov_b64_e32 v[20:21], v[22:23]
.LBB355_15:                             ;   in Loop: Header=BB355_7 Depth=2
	s_or_b64 exec, exec, s[16:17]
	s_and_saveexec_b64 s[10:11], s[14:15]
	s_xor_b64 s[14:15], exec, s[10:11]
	s_cbranch_execz .LBB355_17
; %bb.16:                               ;   in Loop: Header=BB355_7 Depth=2
	s_waitcnt lgkmcnt(0)
	v_cmp_u_f32_e64 s[10:11], v24, v24
	v_cmp_u_f32_e64 s[12:13], v25, v25
	s_or_b64 s[12:13], s[10:11], s[12:13]
	v_cmp_ge_f32_e64 s[10:11], v24, v18
	s_or_b64 s[10:11], s[10:11], s[12:13]
	s_nop 0
	v_cndmask_b32_e64 v19, v19, v25, s[10:11]
	v_cndmask_b32_e64 v18, v18, v24, s[10:11]
.LBB355_17:                             ;   in Loop: Header=BB355_7 Depth=2
	s_andn2_saveexec_b64 s[10:11], s[14:15]
	s_or_b64 exec, exec, s[10:11]
	v_cmp_o_f32_e64 s[10:11], v20, v20
	v_cmp_o_f32_e64 s[12:13], v21, v21
	s_mov_b32 s31, s30
	s_and_b64 s[10:11], s[10:11], s[12:13]
	s_waitcnt lgkmcnt(0)
	v_mov_b64_e32 v[24:25], s[30:31]
	s_and_saveexec_b64 s[36:37], s[10:11]
	s_cbranch_execz .LBB355_61
; %bb.18:                               ;   in Loop: Header=BB355_7 Depth=2
	v_cmp_class_f32_e64 s[12:13], v20, s49
	v_cmp_neq_f32_e64 s[10:11], v18, v20
	s_or_b64 s[10:11], s[12:13], s[10:11]
	s_and_saveexec_b64 s[12:13], s[10:11]
	s_xor_b64 s[38:39], exec, s[12:13]
	s_cbranch_execz .LBB355_34
; %bb.19:                               ;   in Loop: Header=BB355_7 Depth=2
	v_pk_add_f32 v[20:21], v[20:21], v[18:19] neg_lo:[0,1] neg_hi:[0,1]
                                        ; implicit-def: $vgpr22
	s_nop 0
	v_and_b32_e32 v7, 0x7fffffff, v21
	v_lshrrev_b32_e32 v4, 23, v7
	v_and_b32_e32 v9, 0x7fffff, v7
	v_cmp_nlt_f32_e64 s[40:41], |v21|, s51
	v_add_u32_e32 v17, 0xffffff88, v4
	v_or_b32_e32 v15, 0x800000, v9
                                        ; implicit-def: $vgpr9
	s_and_saveexec_b64 s[10:11], s[40:41]
	s_xor_b64 s[42:43], exec, s[10:11]
	s_cbranch_execz .LBB355_21
; %bb.20:                               ;   in Loop: Header=BB355_7 Depth=2
	v_cmp_lt_u32_e64 s[10:11], 63, v17
	v_mad_u64_u32 v[22:23], s[16:17], v15, s53, 0
	s_nop 0
	v_cndmask_b32_e64 v4, 0, v33, s[10:11]
	v_add_u32_e32 v4, v4, v17
	v_cmp_lt_u32_e64 s[12:13], 31, v4
	s_nop 1
	v_cndmask_b32_e64 v9, 0, v34, s[12:13]
	v_add_u32_e32 v4, v9, v4
	v_cmp_lt_u32_e64 s[14:15], 31, v4
	s_nop 1
	v_cndmask_b32_e64 v9, 0, v34, s[14:15]
	v_add_u32_e32 v9, v9, v4
	v_mov_b32_e32 v4, v23
	v_mad_u64_u32 v[24:25], s[16:17], v15, s54, v[4:5]
	v_mov_b32_e32 v4, v25
	v_mad_u64_u32 v[44:45], s[16:17], v15, s55, v[4:5]
	;; [unrolled: 2-line block ×6, first 2 shown]
	v_cndmask_b32_e64 v23, v50, v46, s[10:11]
	v_cndmask_b32_e64 v4, v52, v48, s[10:11]
	;; [unrolled: 1-line block ×7, first 2 shown]
	v_sub_u32_e32 v45, 32, v9
	v_cmp_eq_u32_e64 s[16:17], 0, v9
	v_cndmask_b32_e64 v9, v46, v24, s[10:11]
	v_cndmask_b32_e64 v4, v4, v25, s[14:15]
	;; [unrolled: 1-line block ×4, first 2 shown]
	v_alignbit_b32 v47, v4, v25, v45
	v_cndmask_b32_e64 v23, v23, v24, s[14:15]
	v_cndmask_b32_e64 v4, v47, v4, s[16:17]
	v_alignbit_b32 v43, v25, v23, v45
	v_cndmask_b32_e64 v25, v43, v25, s[16:17]
	v_bfe_u32 v47, v4, 29, 1
	v_cndmask_b32_e64 v22, v44, v22, s[10:11]
	v_alignbit_b32 v43, v4, v25, 30
	v_sub_u32_e32 v48, 0, v47
	v_cndmask_b32_e64 v9, v9, v22, s[12:13]
	v_xor_b32_e32 v49, v43, v48
	v_cndmask_b32_e64 v9, v24, v9, s[14:15]
	v_alignbit_b32 v22, v23, v9, v45
	v_ffbh_u32_e32 v24, v49
	v_cndmask_b32_e64 v22, v22, v23, s[16:17]
	v_add_u32_e32 v24, 1, v24
	v_cmp_ne_u32_e64 s[10:11], v43, v48
	v_alignbit_b32 v23, v25, v22, 30
	v_alignbit_b32 v9, v22, v9, 30
	v_cndmask_b32_e64 v24, 33, v24, s[10:11]
	v_xor_b32_e32 v23, v23, v48
	v_sub_u32_e32 v25, 32, v24
	v_xor_b32_e32 v9, v9, v48
	v_alignbit_b32 v43, v49, v23, v25
	v_alignbit_b32 v9, v23, v9, v25
	;; [unrolled: 1-line block ×3, first 2 shown]
	v_ffbh_u32_e32 v23, v22
	v_min_u32_e32 v23, 32, v23
	v_lshrrev_b32_e32 v46, 29, v4
	v_sub_u32_e32 v25, 31, v23
	v_alignbit_b32 v9, v22, v9, v25
	v_lshlrev_b32_e32 v22, 31, v46
	v_or_b32_e32 v25, 0x33800000, v22
	v_add_lshl_u32 v23, v23, v24, 23
	v_lshrrev_b32_e32 v9, 9, v9
	v_sub_u32_e32 v23, v25, v23
	v_or_b32_e32 v9, v23, v9
	v_alignbit_b32 v23, v24, v43, 9
	v_or_b32_e32 v22, v23, v22
	v_xor_b32_e32 v22, 1.0, v22
	v_mul_f32_e32 v23, 0x3fc90fda, v22
	v_fma_f32 v24, v22, s61, -v23
	v_fmac_f32_e32 v24, 0x33a22168, v22
	v_fmac_f32_e32 v24, 0x3fc90fda, v9
	v_lshrrev_b32_e32 v4, 30, v4
	v_add_f32_e32 v22, v23, v24
	v_add_u32_e32 v9, v47, v4
.LBB355_21:                             ;   in Loop: Header=BB355_7 Depth=2
	s_or_saveexec_b64 s[10:11], s[42:43]
	v_mul_f32_e64 v4, |v21|, s62
	v_rndne_f32_e32 v23, v4
	s_xor_b64 exec, exec, s[10:11]
; %bb.22:                               ;   in Loop: Header=BB355_7 Depth=2
	v_cvt_i32_f32_e32 v9, v23
	v_fma_f32 v22, v23, s63, |v21|
	v_fmac_f32_e32 v22, 0xb3a22168, v23
	v_fmac_f32_e32 v22, 0xa7c234c4, v23
; %bb.23:                               ;   in Loop: Header=BB355_7 Depth=2
	s_or_b64 exec, exec, s[10:11]
                                        ; implicit-def: $vgpr4
                                        ; implicit-def: $vgpr25
	s_and_saveexec_b64 s[10:11], s[40:41]
	s_xor_b64 s[40:41], exec, s[10:11]
	s_cbranch_execz .LBB355_25
; %bb.24:                               ;   in Loop: Header=BB355_7 Depth=2
	v_cmp_lt_u32_e64 s[10:11], 63, v17
	v_mad_u64_u32 v[24:25], s[16:17], v15, s53, 0
	s_nop 0
	v_cndmask_b32_e64 v4, 0, v33, s[10:11]
	v_add_u32_e32 v4, v4, v17
	v_cmp_lt_u32_e64 s[12:13], 31, v4
	s_nop 1
	v_cndmask_b32_e64 v17, 0, v34, s[12:13]
	v_add_u32_e32 v4, v17, v4
	v_cmp_lt_u32_e64 s[14:15], 31, v4
	s_nop 1
	v_cndmask_b32_e64 v17, 0, v34, s[14:15]
	v_add_u32_e32 v17, v17, v4
	v_mov_b32_e32 v4, v25
	v_mad_u64_u32 v[44:45], s[16:17], v15, s54, v[4:5]
	v_mov_b32_e32 v4, v45
	v_mad_u64_u32 v[46:47], s[16:17], v15, s55, v[4:5]
	v_mov_b32_e32 v4, v47
	v_mad_u64_u32 v[48:49], s[16:17], v15, s56, v[4:5]
	v_mov_b32_e32 v4, v49
	v_mad_u64_u32 v[50:51], s[16:17], v15, s57, v[4:5]
	v_mov_b32_e32 v4, v51
	v_mad_u64_u32 v[52:53], s[16:17], v15, s58, v[4:5]
	v_mov_b32_e32 v4, v53
	v_mad_u64_u32 v[54:55], s[16:17], v15, s59, v[4:5]
	v_cndmask_b32_e64 v23, v52, v48, s[10:11]
	v_cndmask_b32_e64 v4, v54, v50, s[10:11]
	;; [unrolled: 1-line block ×7, first 2 shown]
	v_sub_u32_e32 v43, 32, v17
	v_cmp_eq_u32_e64 s[16:17], 0, v17
	v_cndmask_b32_e64 v17, v48, v44, s[10:11]
	v_cndmask_b32_e64 v4, v4, v15, s[14:15]
	;; [unrolled: 1-line block ×4, first 2 shown]
	v_alignbit_b32 v45, v4, v15, v43
	v_cndmask_b32_e64 v23, v23, v25, s[14:15]
	v_cndmask_b32_e64 v4, v45, v4, s[16:17]
	v_alignbit_b32 v44, v15, v23, v43
	v_cndmask_b32_e64 v24, v46, v24, s[10:11]
	v_cndmask_b32_e64 v15, v44, v15, s[16:17]
	v_bfe_u32 v47, v4, 29, 1
	v_cndmask_b32_e64 v17, v17, v24, s[12:13]
	v_alignbit_b32 v44, v4, v15, 30
	v_sub_u32_e32 v48, 0, v47
	v_cndmask_b32_e64 v17, v25, v17, s[14:15]
	v_xor_b32_e32 v49, v44, v48
	v_alignbit_b32 v24, v23, v17, v43
	v_cndmask_b32_e64 v23, v24, v23, s[16:17]
	v_ffbh_u32_e32 v24, v49
	v_add_u32_e32 v24, 1, v24
	v_cmp_ne_u32_e64 s[10:11], v44, v48
	v_alignbit_b32 v15, v15, v23, 30
	v_alignbit_b32 v17, v23, v17, 30
	v_cndmask_b32_e64 v24, 33, v24, s[10:11]
	v_xor_b32_e32 v15, v15, v48
	v_sub_u32_e32 v25, 32, v24
	v_xor_b32_e32 v17, v17, v48
	v_alignbit_b32 v43, v49, v15, v25
	v_alignbit_b32 v15, v15, v17, v25
	;; [unrolled: 1-line block ×3, first 2 shown]
	v_ffbh_u32_e32 v23, v17
	v_min_u32_e32 v23, 32, v23
	v_lshrrev_b32_e32 v45, 29, v4
	v_sub_u32_e32 v25, 31, v23
	v_alignbit_b32 v15, v17, v15, v25
	v_lshlrev_b32_e32 v17, 31, v45
	v_or_b32_e32 v25, 0x33800000, v17
	v_add_lshl_u32 v23, v23, v24, 23
	v_lshrrev_b32_e32 v15, 9, v15
	v_sub_u32_e32 v23, v25, v23
	v_or_b32_e32 v15, v23, v15
	v_alignbit_b32 v23, v24, v43, 9
	v_or_b32_e32 v17, v23, v17
	v_xor_b32_e32 v17, 1.0, v17
	v_mul_f32_e32 v23, 0x3fc90fda, v17
	v_fma_f32 v24, v17, s61, -v23
	v_fmac_f32_e32 v24, 0x33a22168, v17
	v_fmac_f32_e32 v24, 0x3fc90fda, v15
	v_lshrrev_b32_e32 v4, 30, v4
	v_add_f32_e32 v25, v23, v24
	v_add_u32_e32 v4, v47, v4
                                        ; implicit-def: $vgpr23
	s_andn2_saveexec_b64 s[10:11], s[40:41]
	s_cbranch_execnz .LBB355_26
	s_branch .LBB355_27
.LBB355_25:                             ;   in Loop: Header=BB355_7 Depth=2
	s_andn2_saveexec_b64 s[10:11], s[40:41]
.LBB355_26:                             ;   in Loop: Header=BB355_7 Depth=2
	v_cvt_i32_f32_e32 v4, v23
	v_fma_f32 v25, v23, s63, |v21|
	v_fmac_f32_e32 v25, 0xb3a22168, v23
	v_fmac_f32_e32 v25, 0xa7c234c4, v23
.LBB355_27:                             ;   in Loop: Header=BB355_7 Depth=2
	s_or_b64 exec, exec, s[10:11]
	v_mul_f32_e32 v15, 0x3fb8aa3b, v20
	v_rndne_f32_e32 v17, v15
	v_sub_f32_e32 v23, v15, v17
	v_fma_f32 v15, v20, s64, -v15
	v_fmac_f32_e32 v15, 0x32a5705f, v20
	v_add_f32_e32 v15, v23, v15
	v_cvt_i32_f32_e32 v17, v17
	v_exp_f32_e32 v15, v15
	v_mul_f32_e32 v23, v25, v25
	v_fmamk_f32 v24, v23, 0xb94c1982, v29
	v_fmaak_f32 v45, v23, v24, 0xbe2aaa9d
	v_ldexp_f32 v15, v15, v17
	v_and_b32_e32 v17, 1, v4
	v_lshlrev_b32_e32 v4, 30, v4
	v_mov_b32_e32 v44, v22
	v_fmamk_f32 v24, v23, 0x37d75334, v30
	v_and_b32_e32 v4, 0x80000000, v4
	v_xor_b32_e32 v7, v7, v21
	v_pk_mul_f32 v[44:45], v[22:23], v[44:45]
	v_fmaak_f32 v24, v23, v24, 0x3d2aabf7
	v_xor_b32_e32 v4, v7, v4
	v_fmamk_f32 v7, v44, 0x37d75334, v30
	v_fmaak_f32 v24, v23, v24, 0xbf000004
	v_fmaak_f32 v7, v44, v7, 0x3d2aabf7
	v_fma_f32 v43, v23, v24, 1.0
	v_fmaak_f32 v24, v44, v7, 0xbf000004
	v_fmamk_f32 v7, v44, 0xb94c1982, v29
	v_fmaak_f32 v7, v44, v7, 0xbe2aaa9d
	v_cmp_ngt_f32_e64 s[10:11], s65, v20
	v_mul_f32_e32 v7, v44, v7
	v_fmac_f32_e32 v22, v22, v7
	v_cndmask_b32_e64 v15, 0, v15, s[10:11]
	v_cmp_nlt_f32_e64 s[10:11], s66, v20
	v_mov_b32_e32 v7, v25
	v_pk_fma_f32 v[24:25], v[44:45], v[24:25], v[6:7]
	v_cndmask_b32_e64 v20, v35, v15, s[10:11]
	v_lshlrev_b32_e32 v15, 30, v9
	v_and_b32_e32 v9, 1, v9
	v_cmp_eq_u32_e64 s[10:11], 0, v17
	v_and_b32_e32 v15, 0x80000000, v15
	s_nop 0
	v_cndmask_b32_e64 v7, v43, v25, s[10:11]
	v_cmp_eq_u32_e64 s[10:11], 0, v9
	v_xor_b32_e32 v4, v4, v7
	s_nop 0
	v_cndmask_b32_e64 v9, -v22, v24, s[10:11]
	v_xor_b32_e32 v9, v15, v9
	v_cmp_class_f32_e64 s[10:11], v21, s49
	s_nop 1
	v_cndmask_b32_e64 v23, v36, v4, s[10:11]
	v_cndmask_b32_e64 v22, v36, v9, s[10:11]
	v_pk_mul_f32 v[20:21], v[20:21], v[22:23] op_sel_hi:[0,1]
	v_max_f32_e64 v4, |v20|, |v21|
	v_cvt_f64_f32_e32 v[22:23], v4
	v_frexp_exp_i32_f64_e32 v7, v[22:23]
	v_sub_u32_e32 v9, 0, v7
	v_ldexp_f32 v15, |v20|, v9
	v_ldexp_f32 v9, |v21|, v9
	v_mul_f32_e32 v9, v9, v9
	v_fmac_f32_e32 v9, v15, v15
	v_sqrt_f32_e32 v9, v9
	v_cmp_eq_f32_e64 s[10:11], s67, v4
	v_add_f32_e32 v4, 1.0, v20
                                        ; implicit-def: $vgpr22
	v_ldexp_f32 v7, v9, v7
	v_cmp_ngt_f32_e64 s[12:13], 0.5, v7
	v_max_f32_e64 v7, |v4|, |v21|
	s_or_b64 s[10:11], s[10:11], s[12:13]
	s_and_saveexec_b64 s[12:13], s[10:11]
	s_xor_b64 s[14:15], exec, s[12:13]
	s_cbranch_execz .LBB355_29
; %bb.28:                               ;   in Loop: Header=BB355_7 Depth=2
	v_cvt_f64_f32_e32 v[22:23], v7
	v_frexp_exp_i32_f64_e32 v9, v[22:23]
	v_sub_u32_e32 v15, 0, v9
	v_ldexp_f32 v17, |v4|, v15
	v_ldexp_f32 v15, |v21|, v15
	v_mul_f32_e32 v15, v15, v15
	v_fmac_f32_e32 v15, v17, v17
	v_sqrt_f32_e32 v15, v15
	v_cmp_neq_f32_e64 s[10:11], s67, v7
	v_ldexp_f32 v9, v15, v9
	s_nop 0
	v_cndmask_b32_e64 v9, v35, v9, s[10:11]
	v_cmp_gt_f32_e64 s[10:11], s52, v9
	s_nop 1
	v_cndmask_b32_e64 v15, 1.0, v37, s[10:11]
	v_mul_f32_e32 v9, v9, v15
	v_log_f32_e32 v9, v9
	s_nop 0
	v_mul_f32_e32 v15, 0x3f317217, v9
	v_fma_f32 v17, v9, s68, -v15
	v_fmac_f32_e32 v17, 0x3377d1cf, v9
	v_add_f32_e32 v15, v15, v17
	v_cmp_lt_f32_e64 s[12:13], |v9|, s67
	s_nop 1
	v_cndmask_b32_e64 v9, v9, v15, s[12:13]
	v_cndmask_b32_e64 v15, 0, v38, s[10:11]
	v_sub_f32_e32 v22, v9, v15
.LBB355_29:                             ;   in Loop: Header=BB355_7 Depth=2
	s_andn2_saveexec_b64 s[12:13], s[14:15]
	s_cbranch_execz .LBB355_33
; %bb.30:                               ;   in Loop: Header=BB355_7 Depth=2
	v_add_f32_e32 v22, 2.0, v20
	v_mov_b32_e32 v23, v21
	v_pk_mul_f32 v[22:23], v[20:21], v[22:23]
	s_nop 0
	v_add_f32_e32 v15, v22, v23
	v_cmp_neq_f32_e64 s[10:11], 0, v15
	s_and_saveexec_b64 s[14:15], s[10:11]
	s_cbranch_execz .LBB355_32
; %bb.31:                               ;   in Loop: Header=BB355_7 Depth=2
	v_add_f32_e32 v9, 1.0, v15
	v_add_f32_e32 v17, -1.0, v9
	v_sub_f32_e32 v20, v17, v9
	v_add_f32_e32 v20, 1.0, v20
	v_sub_f32_e32 v17, v15, v17
	v_add_f32_e32 v17, v17, v20
	v_frexp_mant_f32_e32 v20, v9
	v_cvt_f64_f32_e32 v[22:23], v9
	v_frexp_exp_i32_f64_e32 v22, v[22:23]
	v_cmp_gt_f32_e64 s[10:11], s69, v20
	s_nop 1
	v_subbrev_co_u32_e64 v20, s[10:11], 0, v22, s[10:11]
	v_sub_u32_e32 v22, 0, v20
	v_ldexp_f32 v9, v9, v22
	v_ldexp_f32 v17, v17, v22
	v_add_f32_e32 v22, -1.0, v9
	v_add_f32_e32 v23, 1.0, v22
	v_sub_f32_e32 v23, v9, v23
	v_add_f32_e32 v24, v17, v23
	v_add_f32_e32 v23, 1.0, v9
	v_add_f32_e32 v25, -1.0, v23
	v_sub_f32_e32 v9, v9, v25
	v_add_f32_e32 v9, v17, v9
	v_add_f32_e32 v17, v23, v9
	v_rcp_f32_e32 v43, v17
	v_sub_f32_e32 v23, v17, v23
	v_sub_f32_e32 v9, v9, v23
	v_add_f32_e32 v23, v22, v24
	v_sub_f32_e32 v22, v23, v22
	v_mul_f32_e32 v49, v23, v43
	v_sub_f32_e32 v48, v24, v22
	v_mul_f32_e32 v24, v17, v49
	v_fma_f32 v44, v49, v17, -v24
	v_fmac_f32_e32 v44, v49, v9
	v_add_f32_e32 v22, v24, v44
	v_sub_f32_e32 v25, v23, v22
	v_pk_add_f32 v[46:47], v[22:23], v[24:25] neg_lo:[0,1] neg_hi:[0,1]
	v_mov_b32_e32 v45, v22
	v_pk_add_f32 v[22:23], v[46:47], v[44:45] neg_lo:[0,1] neg_hi:[0,1]
	v_cmp_eq_f32_e64 s[10:11], s67, v15
	v_add_f32_e32 v23, v48, v23
	v_add_f32_e32 v22, v22, v23
	;; [unrolled: 1-line block ×3, first 2 shown]
	v_mul_f32_e32 v48, v43, v23
	v_mul_f32_e32 v24, v17, v48
	v_fma_f32 v44, v48, v17, -v24
	v_fmac_f32_e32 v44, v48, v9
	v_sub_f32_e32 v9, v25, v23
	v_add_f32_e32 v9, v22, v9
	v_add_f32_e32 v22, v24, v44
	v_sub_f32_e32 v25, v23, v22
	v_pk_add_f32 v[46:47], v[22:23], v[24:25] neg_lo:[0,1] neg_hi:[0,1]
	v_mov_b32_e32 v45, v22
	v_pk_add_f32 v[22:23], v[46:47], v[44:45] neg_lo:[0,1] neg_hi:[0,1]
	v_add_f32_e32 v17, v49, v48
	v_add_f32_e32 v9, v9, v23
	;; [unrolled: 1-line block ×4, first 2 shown]
	v_sub_f32_e32 v22, v17, v49
	v_mul_f32_e32 v9, v43, v9
	v_sub_f32_e32 v22, v48, v22
	v_add_f32_e32 v23, v22, v9
	v_add_f32_e32 v24, v17, v23
	v_cvt_f32_i32_e32 v22, v20
	v_mul_f32_e32 v43, v24, v24
	v_fmamk_f32 v9, v43, 0x3e9b6dac, v31
	v_sub_f32_e32 v17, v24, v17
	v_fmaak_f32 v9, v43, v9, 0x3f2aaada
	v_sub_f32_e32 v17, v23, v17
	v_mul_f32_e32 v23, v24, v43
	v_pk_mul_f32 v[44:45], v[22:23], v[8:9]
	v_ldexp_f32 v25, v24, 1
	v_fma_f32 v24, v22, s70, -v44
	v_fmac_f32_e32 v24, 0xb102e308, v22
	v_pk_add_f32 v[22:23], v[44:45], v[24:25]
	v_ldexp_f32 v17, v17, 1
	v_sub_f32_e32 v9, v23, v25
	v_sub_f32_e32 v9, v45, v9
	v_add_f32_e32 v47, v17, v9
	v_mov_b32_e32 v46, v44
	v_pk_add_f32 v[44:45], v[22:23], v[44:45] neg_lo:[0,1] neg_hi:[0,1]
	v_pk_add_f32 v[48:49], v[22:23], v[46:47]
	v_mov_b32_e32 v25, v22
	v_mov_b32_e32 v45, v49
	v_pk_add_f32 v[50:51], v[24:25], v[44:45] neg_lo:[0,1] neg_hi:[0,1]
	v_pk_add_f32 v[24:25], v[24:25], v[44:45]
	s_nop 0
	v_mov_b32_e32 v20, v25
	v_pk_add_f32 v[44:45], v[20:21], v[22:23] neg_lo:[0,1] neg_hi:[0,1]
	v_mov_b32_e32 v24, v49
	v_mov_b32_e32 v9, v44
	v_pk_add_f32 v[52:53], v[48:49], v[8:9] neg_lo:[0,1] neg_hi:[0,1]
	v_mov_b32_e32 v48, v23
	v_mov_b32_e32 v49, v44
	v_mov_b32_e32 v51, v25
	v_pk_add_f32 v[24:25], v[24:25], v[48:49] neg_lo:[0,1] neg_hi:[0,1]
	v_mov_b32_e32 v44, v47
	v_mov_b32_e32 v45, v22
	v_pk_add_f32 v[22:23], v[44:45], v[24:25] neg_lo:[0,1] neg_hi:[0,1]
	v_mov_b32_e32 v52, v50
	v_pk_add_f32 v[24:25], v[52:53], v[22:23]
	s_nop 0
	v_mov_b32_e32 v44, v25
	v_pk_add_f32 v[44:45], v[24:25], v[44:45]
	s_nop 0
	v_pk_add_f32 v[46:47], v[20:21], v[44:45]
	v_mov_b32_e32 v23, v44
	v_mov_b32_e32 v25, v46
	v_pk_add_f32 v[48:49], v[24:25], v[50:51] neg_lo:[0,1] neg_hi:[0,1]
	s_nop 0
	v_sub_f32_e32 v9, v24, v48
	v_pk_add_f32 v[22:23], v[22:23], v[48:49] neg_lo:[0,1] neg_hi:[0,1]
	v_sub_f32_e32 v9, v50, v9
	v_add_f32_e32 v9, v22, v9
	v_add_f32_e32 v9, v9, v23
	;; [unrolled: 1-line block ×3, first 2 shown]
	v_cndmask_b32_e64 v9, v9, v15, s[10:11]
	v_cmp_ngt_f32_e64 s[10:11], -1.0, v15
	s_nop 1
	v_cndmask_b32_e64 v9, v36, v9, s[10:11]
	v_cmp_neq_f32_e64 s[10:11], -1.0, v15
	s_nop 1
	v_cndmask_b32_e64 v9, v39, v9, s[10:11]
	v_cmp_lt_f32_e64 s[10:11], |v15|, s60
	s_nop 1
	v_cndmask_b32_e64 v9, v9, v15, s[10:11]
	v_mul_f32_e32 v20, 0.5, v9
.LBB355_32:                             ;   in Loop: Header=BB355_7 Depth=2
	s_or_b64 exec, exec, s[14:15]
	v_mov_b32_e32 v22, v20
.LBB355_33:                             ;   in Loop: Header=BB355_7 Depth=2
	s_or_b64 exec, exec, s[12:13]
	v_max_f32_e64 v17, |v21|, |v21|
	v_max_f32_e64 v20, |v4|, |v4|
	v_min_f32_e32 v17, v20, v17
	v_frexp_mant_f32_e32 v20, v7
	v_rcp_f32_e32 v20, v20
	v_frexp_exp_i32_f32_e32 v7, v7
	v_frexp_exp_i32_f32_e32 v23, v17
	v_frexp_mant_f32_e32 v17, v17
	v_mul_f32_e32 v17, v17, v20
	v_sub_u32_e32 v7, v23, v7
	v_ldexp_f32 v7, v17, v7
	v_mul_f32_e32 v17, v7, v7
	v_fmamk_f32 v20, v17, 0x3b2d2a58, v32
	v_fmaak_f32 v20, v17, v20, 0x3d29fb3f
	v_fmaak_f32 v20, v17, v20, 0xbd97d4d7
	;; [unrolled: 1-line block ×6, first 2 shown]
	v_mul_f32_e32 v17, v17, v20
	v_cmp_gt_i32_e64 s[12:13], 0, v4
	v_fmac_f32_e32 v7, v7, v17
	v_sub_f32_e32 v17, 0x3fc90fdb, v7
	v_cndmask_b32_e64 v15, 0, v42, s[12:13]
	v_cmp_gt_f32_e64 s[12:13], |v21|, |v4|
	v_cmp_gt_f32_e64 s[10:11], 0, v4
	v_cmp_class_f32_e64 s[14:15], v21, s71
	v_cndmask_b32_e64 v7, v7, v17, s[12:13]
	v_sub_f32_e32 v17, 0x40490fdb, v7
	v_cmp_class_f32_e64 s[16:17], v4, s71
	v_cndmask_b32_e64 v9, v40, v41, s[10:11]
	v_cndmask_b32_e64 v7, v7, v17, s[10:11]
	v_cmp_eq_f32_e64 s[10:11], 0, v21
	s_nop 1
	v_cndmask_b32_e64 v7, v7, v15, s[10:11]
	s_and_b64 s[10:11], s[16:17], s[14:15]
	v_cndmask_b32_e64 v7, v7, v9, s[10:11]
	v_cmp_o_f32_e64 s[10:11], v4, v21
	s_nop 1
	v_cndmask_b32_e64 v4, v36, v7, s[10:11]
	v_bfi_b32 v23, s50, v4, v21
	v_pk_add_f32 v[20:21], v[18:19], v[22:23]
                                        ; implicit-def: $vgpr23
                                        ; implicit-def: $vgpr19
.LBB355_34:                             ;   in Loop: Header=BB355_7 Depth=2
	s_andn2_saveexec_b64 s[38:39], s[38:39]
	s_cbranch_execz .LBB355_60
; %bb.35:                               ;   in Loop: Header=BB355_7 Depth=2
	v_cmp_ngt_f32_e64 s[10:11], 0, v20
	s_and_saveexec_b64 s[40:41], s[10:11]
	s_cbranch_execz .LBB355_59
; %bb.36:                               ;   in Loop: Header=BB355_7 Depth=2
	v_and_b32_e32 v7, 0x7fffffff, v21
	v_lshrrev_b32_e32 v4, 23, v7
	v_and_b32_e32 v9, 0x7fffff, v7
	v_cmp_nlt_f32_e64 s[42:43], |v21|, s51
	v_add_u32_e32 v22, 0xffffff88, v4
	v_or_b32_e32 v20, 0x800000, v9
                                        ; implicit-def: $vgpr15
                                        ; implicit-def: $vgpr9
	s_and_saveexec_b64 s[10:11], s[42:43]
	s_xor_b64 s[44:45], exec, s[10:11]
	s_cbranch_execz .LBB355_38
; %bb.37:                               ;   in Loop: Header=BB355_7 Depth=2
	v_cmp_lt_u32_e64 s[10:11], 63, v22
	v_mad_u64_u32 v[24:25], s[16:17], v20, s53, 0
	s_nop 0
	v_cndmask_b32_e64 v4, 0, v33, s[10:11]
	v_add_u32_e32 v4, v4, v22
	v_cmp_lt_u32_e64 s[12:13], 31, v4
	s_nop 1
	v_cndmask_b32_e64 v9, 0, v34, s[12:13]
	v_add_u32_e32 v4, v9, v4
	v_cmp_lt_u32_e64 s[14:15], 31, v4
	s_nop 1
	v_cndmask_b32_e64 v9, 0, v34, s[14:15]
	v_add_u32_e32 v9, v9, v4
	v_mov_b32_e32 v4, v25
	v_mad_u64_u32 v[44:45], s[16:17], v20, s54, v[4:5]
	v_mov_b32_e32 v4, v45
	v_mad_u64_u32 v[46:47], s[16:17], v20, s55, v[4:5]
	v_mov_b32_e32 v4, v47
	v_mad_u64_u32 v[48:49], s[16:17], v20, s56, v[4:5]
	v_mov_b32_e32 v4, v49
	v_mad_u64_u32 v[50:51], s[16:17], v20, s57, v[4:5]
	v_mov_b32_e32 v4, v51
	v_mad_u64_u32 v[52:53], s[16:17], v20, s58, v[4:5]
	v_mov_b32_e32 v4, v53
	v_mad_u64_u32 v[54:55], s[16:17], v20, s59, v[4:5]
	v_cndmask_b32_e64 v15, v52, v48, s[10:11]
	v_cndmask_b32_e64 v4, v54, v50, s[10:11]
	;; [unrolled: 1-line block ×7, first 2 shown]
	v_sub_u32_e32 v25, 32, v9
	v_cmp_eq_u32_e64 s[16:17], 0, v9
	v_cndmask_b32_e64 v9, v48, v44, s[10:11]
	v_cndmask_b32_e64 v4, v4, v17, s[14:15]
	;; [unrolled: 1-line block ×4, first 2 shown]
	v_alignbit_b32 v43, v4, v17, v25
	v_cndmask_b32_e64 v15, v15, v18, s[14:15]
	v_cndmask_b32_e64 v4, v43, v4, s[16:17]
	v_alignbit_b32 v43, v17, v15, v25
	v_cndmask_b32_e64 v24, v46, v24, s[10:11]
	v_cndmask_b32_e64 v17, v43, v17, s[16:17]
	v_bfe_u32 v45, v4, 29, 1
	v_cndmask_b32_e64 v9, v9, v24, s[12:13]
	v_alignbit_b32 v43, v4, v17, 30
	v_sub_u32_e32 v47, 0, v45
	v_cndmask_b32_e64 v9, v18, v9, s[14:15]
	v_xor_b32_e32 v48, v43, v47
	v_alignbit_b32 v18, v15, v9, v25
	v_cndmask_b32_e64 v15, v18, v15, s[16:17]
	v_ffbh_u32_e32 v18, v48
	v_add_u32_e32 v18, 1, v18
	v_cmp_ne_u32_e64 s[10:11], v43, v47
	v_alignbit_b32 v17, v17, v15, 30
	v_alignbit_b32 v9, v15, v9, 30
	v_cndmask_b32_e64 v18, 33, v18, s[10:11]
	v_xor_b32_e32 v17, v17, v47
	v_sub_u32_e32 v24, 32, v18
	v_xor_b32_e32 v9, v9, v47
	v_alignbit_b32 v25, v48, v17, v24
	v_alignbit_b32 v9, v17, v9, v24
	;; [unrolled: 1-line block ×3, first 2 shown]
	v_ffbh_u32_e32 v17, v15
	v_min_u32_e32 v17, 32, v17
	v_lshrrev_b32_e32 v44, 29, v4
	v_sub_u32_e32 v24, 31, v17
	v_alignbit_b32 v9, v15, v9, v24
	v_lshlrev_b32_e32 v15, 31, v44
	v_or_b32_e32 v24, 0x33800000, v15
	v_add_lshl_u32 v17, v17, v18, 23
	v_lshrrev_b32_e32 v9, 9, v9
	v_sub_u32_e32 v17, v24, v17
	v_or_b32_e32 v9, v17, v9
	v_alignbit_b32 v17, v18, v25, 9
	v_or_b32_e32 v15, v17, v15
	v_xor_b32_e32 v15, 1.0, v15
	v_mul_f32_e32 v17, 0x3fc90fda, v15
	v_fma_f32 v18, v15, s61, -v17
	v_fmac_f32_e32 v18, 0x33a22168, v15
	v_fmac_f32_e32 v18, 0x3fc90fda, v9
	v_lshrrev_b32_e32 v4, 30, v4
	v_add_f32_e32 v9, v17, v18
	v_add_u32_e32 v15, v45, v4
.LBB355_38:                             ;   in Loop: Header=BB355_7 Depth=2
	s_or_saveexec_b64 s[10:11], s[44:45]
	v_mul_f32_e64 v4, |v21|, s62
	v_rndne_f32_e32 v4, v4
	s_xor_b64 exec, exec, s[10:11]
; %bb.39:                               ;   in Loop: Header=BB355_7 Depth=2
	v_cvt_i32_f32_e32 v15, v4
	v_fma_f32 v9, v4, s63, |v21|
	v_fmac_f32_e32 v9, 0xb3a22168, v4
	v_fmac_f32_e32 v9, 0xa7c234c4, v4
; %bb.40:                               ;   in Loop: Header=BB355_7 Depth=2
	s_or_b64 exec, exec, s[10:11]
                                        ; implicit-def: $vgpr17
                                        ; implicit-def: $vgpr18
	s_and_saveexec_b64 s[10:11], s[42:43]
	s_xor_b64 s[42:43], exec, s[10:11]
	s_cbranch_execz .LBB355_42
; %bb.41:                               ;   in Loop: Header=BB355_7 Depth=2
	v_cmp_lt_u32_e64 s[10:11], 63, v22
	v_mad_u64_u32 v[24:25], s[16:17], v20, s53, 0
	s_nop 0
	v_cndmask_b32_e64 v4, 0, v33, s[10:11]
	v_add_u32_e32 v4, v4, v22
	v_cmp_lt_u32_e64 s[12:13], 31, v4
	s_nop 1
	v_cndmask_b32_e64 v17, 0, v34, s[12:13]
	v_add_u32_e32 v4, v17, v4
	v_cmp_lt_u32_e64 s[14:15], 31, v4
	s_nop 1
	v_cndmask_b32_e64 v17, 0, v34, s[14:15]
	v_add_u32_e32 v17, v17, v4
	v_mov_b32_e32 v4, v25
	v_mad_u64_u32 v[44:45], s[16:17], v20, s54, v[4:5]
	v_mov_b32_e32 v4, v45
	v_mad_u64_u32 v[46:47], s[16:17], v20, s55, v[4:5]
	;; [unrolled: 2-line block ×6, first 2 shown]
	v_cndmask_b32_e64 v18, v52, v48, s[10:11]
	v_cndmask_b32_e64 v4, v54, v50, s[10:11]
	;; [unrolled: 1-line block ×7, first 2 shown]
	v_sub_u32_e32 v25, 32, v17
	v_cmp_eq_u32_e64 s[16:17], 0, v17
	v_cndmask_b32_e64 v17, v48, v44, s[10:11]
	v_cndmask_b32_e64 v4, v4, v20, s[14:15]
	;; [unrolled: 1-line block ×4, first 2 shown]
	v_alignbit_b32 v43, v4, v20, v25
	v_cndmask_b32_e64 v18, v18, v22, s[14:15]
	v_cndmask_b32_e64 v4, v43, v4, s[16:17]
	v_alignbit_b32 v43, v20, v18, v25
	v_cndmask_b32_e64 v24, v46, v24, s[10:11]
	v_cndmask_b32_e64 v20, v43, v20, s[16:17]
	v_bfe_u32 v45, v4, 29, 1
	v_cndmask_b32_e64 v17, v17, v24, s[12:13]
	v_alignbit_b32 v43, v4, v20, 30
	v_sub_u32_e32 v47, 0, v45
	v_cndmask_b32_e64 v17, v22, v17, s[14:15]
	v_xor_b32_e32 v48, v43, v47
	v_alignbit_b32 v22, v18, v17, v25
	v_cndmask_b32_e64 v18, v22, v18, s[16:17]
	v_ffbh_u32_e32 v22, v48
	v_add_u32_e32 v22, 1, v22
	v_cmp_ne_u32_e64 s[10:11], v43, v47
	v_alignbit_b32 v20, v20, v18, 30
	v_alignbit_b32 v17, v18, v17, 30
	v_cndmask_b32_e64 v22, 33, v22, s[10:11]
	v_xor_b32_e32 v20, v20, v47
	v_sub_u32_e32 v24, 32, v22
	v_xor_b32_e32 v17, v17, v47
	v_alignbit_b32 v25, v48, v20, v24
	v_alignbit_b32 v17, v20, v17, v24
	;; [unrolled: 1-line block ×3, first 2 shown]
	v_ffbh_u32_e32 v20, v18
	v_min_u32_e32 v20, 32, v20
	v_lshrrev_b32_e32 v44, 29, v4
	v_sub_u32_e32 v24, 31, v20
	v_alignbit_b32 v17, v18, v17, v24
	v_lshlrev_b32_e32 v18, 31, v44
	v_or_b32_e32 v24, 0x33800000, v18
	v_add_lshl_u32 v20, v20, v22, 23
	v_lshrrev_b32_e32 v17, 9, v17
	v_sub_u32_e32 v20, v24, v20
	v_or_b32_e32 v17, v20, v17
	v_alignbit_b32 v20, v22, v25, 9
	v_or_b32_e32 v18, v20, v18
	v_xor_b32_e32 v18, 1.0, v18
	v_mul_f32_e32 v20, 0x3fc90fda, v18
	v_fma_f32 v22, v18, s61, -v20
	v_fmac_f32_e32 v22, 0x33a22168, v18
	v_fmac_f32_e32 v22, 0x3fc90fda, v17
	v_lshrrev_b32_e32 v4, 30, v4
	v_add_f32_e32 v18, v20, v22
	v_add_u32_e32 v17, v45, v4
                                        ; implicit-def: $vgpr4
	s_andn2_saveexec_b64 s[10:11], s[42:43]
	s_cbranch_execnz .LBB355_43
	s_branch .LBB355_44
.LBB355_42:                             ;   in Loop: Header=BB355_7 Depth=2
	s_andn2_saveexec_b64 s[10:11], s[42:43]
.LBB355_43:                             ;   in Loop: Header=BB355_7 Depth=2
	v_cvt_i32_f32_e32 v17, v4
	v_fma_f32 v18, v4, s63, |v21|
	v_fmac_f32_e32 v18, 0xb3a22168, v4
	v_fmac_f32_e32 v18, 0xa7c234c4, v4
.LBB355_44:                             ;   in Loop: Header=BB355_7 Depth=2
	s_or_b64 exec, exec, s[10:11]
	v_and_b32_e32 v20, 0x7fffffff, v19
	v_lshrrev_b32_e32 v4, 23, v20
	v_and_b32_e32 v22, 0x7fffff, v20
	v_cmp_nlt_f32_e64 s[42:43], |v19|, s51
	v_add_u32_e32 v43, 0xffffff88, v4
	v_or_b32_e32 v25, 0x800000, v22
                                        ; implicit-def: $vgpr24
                                        ; implicit-def: $vgpr22
	s_and_saveexec_b64 s[10:11], s[42:43]
	s_xor_b64 s[44:45], exec, s[10:11]
	s_cbranch_execz .LBB355_46
; %bb.45:                               ;   in Loop: Header=BB355_7 Depth=2
	v_cmp_lt_u32_e64 s[10:11], 63, v43
	v_mad_u64_u32 v[44:45], s[16:17], v25, s53, 0
	s_nop 0
	v_cndmask_b32_e64 v4, 0, v33, s[10:11]
	v_add_u32_e32 v4, v4, v43
	v_cmp_lt_u32_e64 s[12:13], 31, v4
	s_nop 1
	v_cndmask_b32_e64 v22, 0, v34, s[12:13]
	v_add_u32_e32 v4, v22, v4
	v_cmp_lt_u32_e64 s[14:15], 31, v4
	s_nop 1
	v_cndmask_b32_e64 v22, 0, v34, s[14:15]
	v_add_u32_e32 v22, v22, v4
	v_mov_b32_e32 v4, v45
	v_mad_u64_u32 v[46:47], s[16:17], v25, s54, v[4:5]
	v_mov_b32_e32 v4, v47
	v_mad_u64_u32 v[48:49], s[16:17], v25, s55, v[4:5]
	v_mov_b32_e32 v4, v49
	v_mad_u64_u32 v[50:51], s[16:17], v25, s56, v[4:5]
	v_mov_b32_e32 v4, v51
	v_mad_u64_u32 v[52:53], s[16:17], v25, s57, v[4:5]
	v_mov_b32_e32 v4, v53
	v_mad_u64_u32 v[54:55], s[16:17], v25, s58, v[4:5]
	v_mov_b32_e32 v4, v55
	v_mad_u64_u32 v[56:57], s[16:17], v25, s59, v[4:5]
	v_cndmask_b32_e64 v24, v54, v50, s[10:11]
	v_cndmask_b32_e64 v4, v56, v52, s[10:11]
	v_cndmask_b32_e64 v47, v57, v54, s[10:11]
	v_cndmask_b32_e64 v45, v4, v24, s[12:13]
	v_cndmask_b32_e64 v4, v47, v4, s[12:13]
	v_cndmask_b32_e64 v47, v52, v48, s[10:11]
	v_cndmask_b32_e64 v24, v24, v47, s[12:13]
	v_sub_u32_e32 v49, 32, v22
	v_cmp_eq_u32_e64 s[16:17], 0, v22
	v_cndmask_b32_e64 v22, v50, v46, s[10:11]
	v_cndmask_b32_e64 v4, v4, v45, s[14:15]
	;; [unrolled: 1-line block ×4, first 2 shown]
	v_alignbit_b32 v51, v4, v45, v49
	v_cndmask_b32_e64 v24, v24, v46, s[14:15]
	v_cndmask_b32_e64 v44, v48, v44, s[10:11]
	;; [unrolled: 1-line block ×3, first 2 shown]
	v_alignbit_b32 v47, v45, v24, v49
	v_cndmask_b32_e64 v22, v22, v44, s[12:13]
	v_cndmask_b32_e64 v45, v47, v45, s[16:17]
	v_bfe_u32 v51, v4, 29, 1
	v_cndmask_b32_e64 v22, v46, v22, s[14:15]
	v_alignbit_b32 v47, v4, v45, 30
	v_sub_u32_e32 v52, 0, v51
	v_alignbit_b32 v44, v24, v22, v49
	v_xor_b32_e32 v53, v47, v52
	v_cndmask_b32_e64 v24, v44, v24, s[16:17]
	v_alignbit_b32 v44, v45, v24, 30
	v_ffbh_u32_e32 v45, v53
	v_add_u32_e32 v45, 1, v45
	v_cmp_ne_u32_e64 s[10:11], v47, v52
	v_alignbit_b32 v22, v24, v22, 30
	v_xor_b32_e32 v44, v44, v52
	v_cndmask_b32_e64 v45, 33, v45, s[10:11]
	v_sub_u32_e32 v46, 32, v45
	v_xor_b32_e32 v22, v22, v52
	v_alignbit_b32 v47, v53, v44, v46
	v_alignbit_b32 v22, v44, v22, v46
	;; [unrolled: 1-line block ×3, first 2 shown]
	v_ffbh_u32_e32 v44, v24
	v_min_u32_e32 v44, 32, v44
	v_lshrrev_b32_e32 v50, 29, v4
	v_sub_u32_e32 v46, 31, v44
	v_alignbit_b32 v22, v24, v22, v46
	v_lshlrev_b32_e32 v24, 31, v50
	v_or_b32_e32 v46, 0x33800000, v24
	v_add_lshl_u32 v44, v44, v45, 23
	v_lshrrev_b32_e32 v22, 9, v22
	v_sub_u32_e32 v44, v46, v44
	v_or_b32_e32 v22, v44, v22
	v_alignbit_b32 v44, v45, v47, 9
	v_or_b32_e32 v24, v44, v24
	v_xor_b32_e32 v24, 1.0, v24
	v_mul_f32_e32 v44, 0x3fc90fda, v24
	v_fma_f32 v45, v24, s61, -v44
	v_fmac_f32_e32 v45, 0x33a22168, v24
	v_fmac_f32_e32 v45, 0x3fc90fda, v22
	v_lshrrev_b32_e32 v4, 30, v4
	v_add_f32_e32 v22, v44, v45
	v_add_u32_e32 v24, v51, v4
.LBB355_46:                             ;   in Loop: Header=BB355_7 Depth=2
	s_or_saveexec_b64 s[10:11], s[44:45]
	v_mul_f32_e64 v4, |v19|, s62
	v_rndne_f32_e32 v45, v4
	s_xor_b64 exec, exec, s[10:11]
; %bb.47:                               ;   in Loop: Header=BB355_7 Depth=2
	v_cvt_i32_f32_e32 v24, v45
	v_fma_f32 v22, v45, s63, |v19|
	v_fmac_f32_e32 v22, 0xb3a22168, v45
	v_fmac_f32_e32 v22, 0xa7c234c4, v45
; %bb.48:                               ;   in Loop: Header=BB355_7 Depth=2
	s_or_b64 exec, exec, s[10:11]
                                        ; implicit-def: $vgpr4
                                        ; implicit-def: $vgpr44
	s_and_saveexec_b64 s[10:11], s[42:43]
	s_xor_b64 s[42:43], exec, s[10:11]
	s_cbranch_execz .LBB355_50
; %bb.49:                               ;   in Loop: Header=BB355_7 Depth=2
	v_cmp_lt_u32_e64 s[10:11], 63, v43
	v_mad_u64_u32 v[44:45], s[16:17], v25, s53, 0
	s_nop 0
	v_cndmask_b32_e64 v4, 0, v33, s[10:11]
	v_add_u32_e32 v4, v4, v43
	v_cmp_lt_u32_e64 s[12:13], 31, v4
	s_nop 1
	v_cndmask_b32_e64 v43, 0, v34, s[12:13]
	v_add_u32_e32 v4, v43, v4
	v_cmp_lt_u32_e64 s[14:15], 31, v4
	s_nop 1
	v_cndmask_b32_e64 v43, 0, v34, s[14:15]
	v_add_u32_e32 v43, v43, v4
	v_mov_b32_e32 v4, v45
	v_mad_u64_u32 v[46:47], s[16:17], v25, s54, v[4:5]
	v_mov_b32_e32 v4, v47
	v_mad_u64_u32 v[48:49], s[16:17], v25, s55, v[4:5]
	v_mov_b32_e32 v4, v49
	v_mad_u64_u32 v[50:51], s[16:17], v25, s56, v[4:5]
	v_mov_b32_e32 v4, v51
	v_mad_u64_u32 v[52:53], s[16:17], v25, s57, v[4:5]
	v_mov_b32_e32 v4, v53
	v_mad_u64_u32 v[54:55], s[16:17], v25, s58, v[4:5]
	v_mov_b32_e32 v4, v55
	v_mad_u64_u32 v[56:57], s[16:17], v25, s59, v[4:5]
	v_cndmask_b32_e64 v45, v54, v50, s[10:11]
	v_cndmask_b32_e64 v4, v56, v52, s[10:11]
	;; [unrolled: 1-line block ×7, first 2 shown]
	v_sub_u32_e32 v49, 32, v43
	v_cmp_eq_u32_e64 s[16:17], 0, v43
	v_cndmask_b32_e64 v43, v50, v46, s[10:11]
	v_cndmask_b32_e64 v4, v4, v25, s[14:15]
	;; [unrolled: 1-line block ×4, first 2 shown]
	v_alignbit_b32 v51, v4, v25, v49
	v_cndmask_b32_e64 v45, v45, v46, s[14:15]
	v_cndmask_b32_e64 v4, v51, v4, s[16:17]
	v_alignbit_b32 v47, v25, v45, v49
	v_cndmask_b32_e64 v44, v48, v44, s[10:11]
	v_cndmask_b32_e64 v25, v47, v25, s[16:17]
	v_bfe_u32 v51, v4, 29, 1
	v_cndmask_b32_e64 v43, v43, v44, s[12:13]
	v_alignbit_b32 v47, v4, v25, 30
	v_sub_u32_e32 v52, 0, v51
	v_cndmask_b32_e64 v43, v46, v43, s[14:15]
	v_xor_b32_e32 v53, v47, v52
	v_alignbit_b32 v44, v45, v43, v49
	v_cndmask_b32_e64 v44, v44, v45, s[16:17]
	v_ffbh_u32_e32 v45, v53
	v_add_u32_e32 v45, 1, v45
	v_cmp_ne_u32_e64 s[10:11], v47, v52
	v_alignbit_b32 v25, v25, v44, 30
	v_alignbit_b32 v43, v44, v43, 30
	v_cndmask_b32_e64 v45, 33, v45, s[10:11]
	v_xor_b32_e32 v25, v25, v52
	v_sub_u32_e32 v46, 32, v45
	v_xor_b32_e32 v43, v43, v52
	v_alignbit_b32 v47, v53, v25, v46
	v_alignbit_b32 v25, v25, v43, v46
	;; [unrolled: 1-line block ×3, first 2 shown]
	v_ffbh_u32_e32 v44, v43
	v_min_u32_e32 v44, 32, v44
	v_lshrrev_b32_e32 v50, 29, v4
	v_sub_u32_e32 v46, 31, v44
	v_alignbit_b32 v25, v43, v25, v46
	v_lshlrev_b32_e32 v43, 31, v50
	v_or_b32_e32 v46, 0x33800000, v43
	v_add_lshl_u32 v44, v44, v45, 23
	v_lshrrev_b32_e32 v25, 9, v25
	v_sub_u32_e32 v44, v46, v44
	v_or_b32_e32 v25, v44, v25
	v_alignbit_b32 v44, v45, v47, 9
	v_or_b32_e32 v43, v44, v43
	v_xor_b32_e32 v43, 1.0, v43
	v_mul_f32_e32 v44, 0x3fc90fda, v43
	v_fma_f32 v45, v43, s61, -v44
	v_fmac_f32_e32 v45, 0x33a22168, v43
	v_fmac_f32_e32 v45, 0x3fc90fda, v25
	v_lshrrev_b32_e32 v4, 30, v4
	v_add_f32_e32 v44, v44, v45
	v_add_u32_e32 v4, v51, v4
                                        ; implicit-def: $vgpr45
	s_andn2_saveexec_b64 s[10:11], s[42:43]
	s_cbranch_execnz .LBB355_51
	s_branch .LBB355_52
.LBB355_50:                             ;   in Loop: Header=BB355_7 Depth=2
	s_andn2_saveexec_b64 s[10:11], s[42:43]
.LBB355_51:                             ;   in Loop: Header=BB355_7 Depth=2
	v_cvt_i32_f32_e32 v4, v45
	v_fma_f32 v44, v45, s63, |v19|
	v_fmac_f32_e32 v44, 0xb3a22168, v45
	v_fmac_f32_e32 v44, 0xa7c234c4, v45
.LBB355_52:                             ;   in Loop: Header=BB355_7 Depth=2
	s_or_b64 exec, exec, s[10:11]
	v_mul_f32_e32 v43, v9, v9
	v_fmamk_f32 v45, v43, 0xb94c1982, v29
	v_fmaak_f32 v45, v43, v45, 0xbe2aaa9d
	v_mul_f32_e32 v45, v43, v45
	v_fmac_f32_e32 v9, v9, v45
	v_fmamk_f32 v45, v43, 0x37d75334, v30
	v_fmaak_f32 v45, v43, v45, 0x3d2aabf7
	v_lshlrev_b32_e32 v25, 30, v15
	v_and_b32_e32 v15, 1, v15
	v_fmaak_f32 v45, v43, v45, 0xbf000004
	v_and_b32_e32 v25, 0x80000000, v25
	v_fma_f32 v43, v43, v45, 1.0
	v_cmp_eq_u32_e64 s[10:11], 0, v15
	v_xor_b32_e32 v7, v7, v23
	v_xor_b32_e32 v7, v7, v25
	v_cndmask_b32_e64 v9, v43, v9, s[10:11]
	v_xor_b32_e32 v7, v7, v9
	v_mul_f32_e32 v9, v18, v18
	v_fmamk_f32 v15, v9, 0xb94c1982, v29
	v_fmaak_f32 v15, v9, v15, 0xbe2aaa9d
	v_mul_f32_e32 v15, v9, v15
	v_fmac_f32_e32 v18, v18, v15
	v_fmamk_f32 v15, v9, 0x37d75334, v30
	v_fmaak_f32 v15, v9, v15, 0x3d2aabf7
	v_fmaak_f32 v15, v9, v15, 0xbf000004
	v_fma_f32 v9, v9, v15, 1.0
	v_and_b32_e32 v15, 1, v17
	v_cmp_eq_u32_e64 s[12:13], 0, v15
	v_cmp_class_f32_e64 s[10:11], v21, s49
	v_lshlrev_b32_e32 v15, 30, v17
	v_cndmask_b32_e64 v9, -v18, v9, s[12:13]
	v_mul_f32_e32 v18, v22, v22
	v_fmamk_f32 v21, v18, 0xb94c1982, v29
	v_and_b32_e32 v15, 0x80000000, v15
	v_fmaak_f32 v21, v18, v21, 0xbe2aaa9d
	v_xor_b32_e32 v9, v15, v9
	v_mul_f32_e32 v21, v18, v21
	v_cndmask_b32_e64 v9, v36, v9, s[10:11]
	v_fmac_f32_e32 v22, v22, v21
	v_fmamk_f32 v21, v18, 0x37d75334, v30
	v_cndmask_b32_e64 v7, v36, v7, s[10:11]
	v_mul_f32_e32 v15, 0x7f800000, v9
	v_cmp_neq_f32_e64 s[10:11], 0, v9
	v_fmaak_f32 v21, v18, v21, 0x3d2aabf7
	v_and_b32_e32 v17, 1, v24
	v_cndmask_b32_e64 v9, 0, v15, s[10:11]
	v_mul_f32_e32 v15, 0x7f800000, v7
	v_cmp_neq_f32_e64 s[10:11], 0, v7
	v_fmaak_f32 v21, v18, v21, 0xbf000004
	v_fma_f32 v18, v18, v21, 1.0
	v_cndmask_b32_e64 v7, 0, v15, s[10:11]
	v_lshlrev_b32_e32 v15, 30, v24
	v_cmp_eq_u32_e64 s[10:11], 0, v17
	v_and_b32_e32 v15, 0x80000000, v15
	s_nop 0
	v_cndmask_b32_e64 v17, v18, v22, s[10:11]
	v_xor_b32_e32 v18, v20, v19
	v_xor_b32_e32 v15, v18, v15
	;; [unrolled: 1-line block ×3, first 2 shown]
	v_mul_f32_e32 v17, v44, v44
	v_fmamk_f32 v18, v17, 0xb94c1982, v29
	v_fmaak_f32 v18, v17, v18, 0xbe2aaa9d
	v_mul_f32_e32 v18, v17, v18
	v_fmac_f32_e32 v44, v44, v18
	v_fmamk_f32 v18, v17, 0x37d75334, v30
	v_fmaak_f32 v18, v17, v18, 0x3d2aabf7
	v_fmaak_f32 v18, v17, v18, 0xbf000004
	v_fma_f32 v17, v17, v18, 1.0
	v_and_b32_e32 v18, 1, v4
	v_cmp_eq_u32_e64 s[12:13], 0, v18
	v_lshlrev_b32_e32 v4, 30, v4
	v_and_b32_e32 v4, 0x80000000, v4
	v_cndmask_b32_e64 v17, -v44, v17, s[12:13]
	v_cmp_class_f32_e64 s[10:11], v19, s49
	v_xor_b32_e32 v4, v4, v17
	s_nop 0
	v_cndmask_b32_e64 v4, v36, v4, s[10:11]
	v_cndmask_b32_e64 v15, v36, v15, s[10:11]
	v_mul_f32_e32 v17, 0x7f800000, v4
	v_cmp_neq_f32_e64 s[10:11], 0, v4
	s_nop 1
	v_cndmask_b32_e64 v4, 0, v17, s[10:11]
	v_mul_f32_e32 v17, 0x7f800000, v15
	v_cmp_neq_f32_e64 s[10:11], 0, v15
	v_add_f32_e32 v9, v9, v4
	v_add_f32_e32 v20, -1.0, v9
	v_cndmask_b32_e64 v15, 0, v17, s[10:11]
	v_add_f32_e32 v4, v7, v15
	v_max_f32_e64 v7, |v20|, |v4|
	v_cvt_f64_f32_e32 v[18:19], v7
	v_frexp_exp_i32_f64_e32 v9, v[18:19]
	v_sub_u32_e32 v15, 0, v9
	v_ldexp_f32 v17, |v20|, v15
	v_ldexp_f32 v15, |v4|, v15
	v_mul_f32_e32 v15, v15, v15
	v_fmac_f32_e32 v15, v17, v17
	v_sqrt_f32_e32 v15, v15
	v_cmp_eq_f32_e64 s[10:11], s67, v7
	v_add_f32_e32 v7, 1.0, v20
	v_ldexp_f32 v9, v15, v9
	v_cmp_ngt_f32_e64 s[12:13], 0.5, v9
	v_max_f32_e64 v15, |v7|, |v4|
	s_or_b64 s[10:11], s[10:11], s[12:13]
	s_and_saveexec_b64 s[12:13], s[10:11]
	s_xor_b64 s[14:15], exec, s[12:13]
	s_cbranch_execz .LBB355_54
; %bb.53:                               ;   in Loop: Header=BB355_7 Depth=2
	v_cvt_f64_f32_e32 v[18:19], v15
	v_frexp_exp_i32_f64_e32 v9, v[18:19]
	v_sub_u32_e32 v17, 0, v9
	v_ldexp_f32 v18, |v7|, v17
	v_ldexp_f32 v17, |v4|, v17
	v_mul_f32_e32 v17, v17, v17
	v_fmac_f32_e32 v17, v18, v18
	v_sqrt_f32_e32 v17, v17
	v_cmp_neq_f32_e64 s[10:11], s67, v15
	v_ldexp_f32 v9, v17, v9
	s_nop 0
	v_cndmask_b32_e64 v9, v35, v9, s[10:11]
	v_cmp_gt_f32_e64 s[10:11], s52, v9
	s_nop 1
	v_cndmask_b32_e64 v17, 1.0, v37, s[10:11]
	v_mul_f32_e32 v9, v9, v17
	v_log_f32_e32 v9, v9
	s_nop 0
	v_mul_f32_e32 v17, 0x3f317217, v9
	v_fma_f32 v18, v9, s68, -v17
	v_fmac_f32_e32 v18, 0x3377d1cf, v9
	v_add_f32_e32 v17, v17, v18
	v_cmp_lt_f32_e64 s[12:13], |v9|, s67
	s_nop 1
	v_cndmask_b32_e64 v9, v9, v17, s[12:13]
	v_cndmask_b32_e64 v17, 0, v38, s[10:11]
	v_sub_f32_e32 v20, v9, v17
.LBB355_54:                             ;   in Loop: Header=BB355_7 Depth=2
	s_andn2_saveexec_b64 s[12:13], s[14:15]
	s_cbranch_execz .LBB355_58
; %bb.55:                               ;   in Loop: Header=BB355_7 Depth=2
	v_add_f32_e32 v9, 2.0, v20
	v_mul_f32_e32 v17, v20, v9
	v_fmac_f32_e32 v17, v4, v4
	v_cmp_neq_f32_e64 s[10:11], 0, v17
	s_and_saveexec_b64 s[14:15], s[10:11]
	s_cbranch_execz .LBB355_57
; %bb.56:                               ;   in Loop: Header=BB355_7 Depth=2
	v_add_f32_e32 v9, 1.0, v17
	v_add_f32_e32 v18, -1.0, v9
	v_sub_f32_e32 v19, v18, v9
	v_add_f32_e32 v19, 1.0, v19
	v_sub_f32_e32 v18, v17, v18
	v_add_f32_e32 v20, v18, v19
	v_frexp_mant_f32_e32 v21, v9
	v_cvt_f64_f32_e32 v[18:19], v9
	v_frexp_exp_i32_f64_e32 v18, v[18:19]
	v_cmp_gt_f32_e64 s[10:11], s69, v21
	s_nop 1
	v_subbrev_co_u32_e64 v43, s[10:11], 0, v18, s[10:11]
	v_sub_u32_e32 v18, 0, v43
	v_ldexp_f32 v9, v9, v18
	v_ldexp_f32 v18, v20, v18
	v_add_f32_e32 v20, -1.0, v9
	v_add_f32_e32 v19, 1.0, v20
	v_sub_f32_e32 v19, v9, v19
	v_add_f32_e32 v21, v18, v19
	v_add_f32_e32 v19, 1.0, v9
	v_add_f32_e32 v22, -1.0, v19
	v_sub_f32_e32 v9, v9, v22
	v_add_f32_e32 v9, v18, v9
	v_add_f32_e32 v44, v19, v9
	v_rcp_f32_e32 v45, v44
	v_sub_f32_e32 v18, v44, v19
	v_add_f32_e32 v19, v20, v21
	v_sub_f32_e32 v9, v9, v18
	v_mul_f32_e32 v47, v19, v45
	v_sub_f32_e32 v18, v19, v20
	v_mul_f32_e32 v20, v44, v47
	v_fma_f32 v22, v47, v44, -v20
	v_fmac_f32_e32 v22, v47, v9
	v_sub_f32_e32 v46, v21, v18
	v_add_f32_e32 v18, v20, v22
	v_sub_f32_e32 v21, v19, v18
	v_pk_add_f32 v[24:25], v[18:19], v[20:21] neg_lo:[0,1] neg_hi:[0,1]
	v_mov_b32_e32 v23, v18
	v_pk_add_f32 v[18:19], v[24:25], v[22:23] neg_lo:[0,1] neg_hi:[0,1]
	v_cmp_eq_f32_e64 s[10:11], s67, v17
	v_add_f32_e32 v19, v46, v19
	v_add_f32_e32 v18, v18, v19
	;; [unrolled: 1-line block ×3, first 2 shown]
	v_mul_f32_e32 v46, v45, v19
	v_mul_f32_e32 v20, v44, v46
	v_fma_f32 v22, v46, v44, -v20
	v_fmac_f32_e32 v22, v46, v9
	v_sub_f32_e32 v9, v21, v19
	v_add_f32_e32 v9, v18, v9
	v_add_f32_e32 v18, v20, v22
	v_sub_f32_e32 v21, v19, v18
	v_pk_add_f32 v[24:25], v[18:19], v[20:21] neg_lo:[0,1] neg_hi:[0,1]
	v_mov_b32_e32 v23, v18
	v_pk_add_f32 v[18:19], v[24:25], v[22:23] neg_lo:[0,1] neg_hi:[0,1]
	s_nop 0
	v_add_f32_e32 v9, v9, v19
	v_add_f32_e32 v9, v18, v9
	;; [unrolled: 1-line block ×4, first 2 shown]
	v_sub_f32_e32 v18, v19, v47
	v_mul_f32_e32 v9, v45, v9
	v_sub_f32_e32 v18, v46, v18
	v_add_f32_e32 v20, v18, v9
	v_add_f32_e32 v22, v19, v20
	v_cvt_f32_i32_e32 v18, v43
	v_mul_f32_e32 v23, v22, v22
	v_sub_f32_e32 v19, v22, v19
	v_fmamk_f32 v9, v23, 0x3e9b6dac, v31
	v_sub_f32_e32 v19, v20, v19
	v_fmaak_f32 v9, v23, v9, 0x3f2aaada
	v_ldexp_f32 v24, v19, 1
	v_mul_f32_e32 v19, v22, v23
	v_ldexp_f32 v21, v22, 1
	v_pk_mul_f32 v[22:23], v[18:19], v[8:9]
	s_nop 0
	v_fma_f32 v20, v18, s70, -v22
	v_fmac_f32_e32 v20, 0xb102e308, v18
	v_pk_add_f32 v[18:19], v[22:23], v[20:21]
	s_nop 0
	v_sub_f32_e32 v9, v19, v21
	v_sub_f32_e32 v9, v23, v9
	v_add_f32_e32 v25, v24, v9
	v_mov_b32_e32 v24, v22
	v_pk_add_f32 v[22:23], v[18:19], v[22:23] neg_lo:[0,1] neg_hi:[0,1]
	v_pk_add_f32 v[44:45], v[18:19], v[24:25]
	v_mov_b32_e32 v21, v18
	v_mov_b32_e32 v23, v45
	v_pk_add_f32 v[46:47], v[20:21], v[22:23] neg_lo:[0,1] neg_hi:[0,1]
	v_pk_add_f32 v[20:21], v[20:21], v[22:23]
	v_mov_b32_e32 v24, v25
	v_mov_b32_e32 v22, v21
	v_pk_add_f32 v[48:49], v[22:23], v[18:19] neg_lo:[0,1] neg_hi:[0,1]
	v_mov_b32_e32 v20, v45
	v_mov_b32_e32 v9, v48
	v_pk_add_f32 v[50:51], v[44:45], v[8:9] neg_lo:[0,1] neg_hi:[0,1]
	v_mov_b32_e32 v44, v19
	v_mov_b32_e32 v45, v48
	;; [unrolled: 1-line block ×3, first 2 shown]
	v_pk_add_f32 v[20:21], v[20:21], v[44:45] neg_lo:[0,1] neg_hi:[0,1]
	v_mov_b32_e32 v25, v18
	v_pk_add_f32 v[18:19], v[24:25], v[20:21] neg_lo:[0,1] neg_hi:[0,1]
	v_mov_b32_e32 v50, v46
	v_pk_add_f32 v[20:21], v[50:51], v[18:19]
	s_nop 0
	v_mov_b32_e32 v24, v21
	v_pk_add_f32 v[24:25], v[20:21], v[24:25]
	s_nop 0
	v_pk_add_f32 v[22:23], v[22:23], v[24:25]
	v_mov_b32_e32 v19, v24
	v_mov_b32_e32 v21, v22
	v_pk_add_f32 v[44:45], v[20:21], v[46:47] neg_lo:[0,1] neg_hi:[0,1]
	s_nop 0
	v_sub_f32_e32 v9, v20, v44
	v_pk_add_f32 v[18:19], v[18:19], v[44:45] neg_lo:[0,1] neg_hi:[0,1]
	v_sub_f32_e32 v9, v46, v9
	v_add_f32_e32 v9, v18, v9
	v_add_f32_e32 v9, v9, v19
	;; [unrolled: 1-line block ×3, first 2 shown]
	v_cndmask_b32_e64 v9, v9, v17, s[10:11]
	v_cmp_ngt_f32_e64 s[10:11], -1.0, v17
	s_nop 1
	v_cndmask_b32_e64 v9, v36, v9, s[10:11]
	v_cmp_neq_f32_e64 s[10:11], -1.0, v17
	s_nop 1
	v_cndmask_b32_e64 v9, v39, v9, s[10:11]
	v_cmp_lt_f32_e64 s[10:11], |v17|, s60
	s_nop 1
	v_cndmask_b32_e64 v9, v9, v17, s[10:11]
	v_mul_f32_e32 v20, 0.5, v9
.LBB355_57:                             ;   in Loop: Header=BB355_7 Depth=2
	s_or_b64 exec, exec, s[14:15]
.LBB355_58:                             ;   in Loop: Header=BB355_7 Depth=2
	s_or_b64 exec, exec, s[12:13]
	v_max_f32_e64 v18, |v4|, |v4|
	v_max_f32_e64 v19, |v7|, |v7|
	v_min_f32_e32 v18, v19, v18
	v_frexp_mant_f32_e32 v19, v15
	v_rcp_f32_e32 v19, v19
	v_frexp_exp_i32_f32_e32 v15, v15
	v_frexp_exp_i32_f32_e32 v21, v18
	v_frexp_mant_f32_e32 v18, v18
	v_mul_f32_e32 v18, v18, v19
	v_sub_u32_e32 v15, v21, v15
	v_ldexp_f32 v15, v18, v15
	v_mul_f32_e32 v18, v15, v15
	v_fmamk_f32 v19, v18, 0x3b2d2a58, v32
	v_fmaak_f32 v19, v18, v19, 0x3d29fb3f
	v_fmaak_f32 v19, v18, v19, 0xbd97d4d7
	;; [unrolled: 1-line block ×6, first 2 shown]
	v_mul_f32_e32 v18, v18, v19
	v_cmp_gt_i32_e64 s[12:13], 0, v7
	v_fmac_f32_e32 v15, v15, v18
	v_sub_f32_e32 v18, 0x3fc90fdb, v15
	v_cndmask_b32_e64 v17, 0, v42, s[12:13]
	v_cmp_gt_f32_e64 s[12:13], |v4|, |v7|
	v_cmp_gt_f32_e64 s[10:11], 0, v7
	v_cmp_class_f32_e64 s[14:15], v4, s71
	v_cndmask_b32_e64 v15, v15, v18, s[12:13]
	v_sub_f32_e32 v18, 0x40490fdb, v15
	v_cmp_class_f32_e64 s[16:17], v7, s71
	v_cndmask_b32_e64 v9, v40, v41, s[10:11]
	v_cndmask_b32_e64 v15, v15, v18, s[10:11]
	v_cmp_eq_f32_e64 s[10:11], 0, v4
	s_nop 1
	v_cndmask_b32_e64 v15, v15, v17, s[10:11]
	s_and_b64 s[10:11], s[14:15], s[16:17]
	v_cndmask_b32_e64 v9, v15, v9, s[10:11]
	v_cmp_o_f32_e64 s[10:11], v7, v4
	s_nop 1
	v_cndmask_b32_e64 v7, v36, v9, s[10:11]
	v_bfi_b32 v21, s50, v7, v4
.LBB355_59:                             ;   in Loop: Header=BB355_7 Depth=2
	s_or_b64 exec, exec, s[40:41]
.LBB355_60:                             ;   in Loop: Header=BB355_7 Depth=2
	s_or_b64 exec, exec, s[38:39]
	v_mov_b64_e32 v[24:25], v[20:21]
.LBB355_61:                             ;   in Loop: Header=BB355_7 Depth=2
	s_or_b64 exec, exec, s[36:37]
	ds_write_b64 v26, v[24:25]
.LBB355_62:                             ;   in Loop: Header=BB355_7 Depth=2
	s_or_b64 exec, exec, s[34:35]
	s_mov_b64 s[34:35], 0
	v_mov_b32_e32 v4, 0
	s_waitcnt lgkmcnt(0)
	s_barrier
	s_branch .LBB355_69
.LBB355_63:                             ;   in Loop: Header=BB355_69 Depth=3
	s_or_b64 exec, exec, s[14:15]
.LBB355_64:                             ;   in Loop: Header=BB355_69 Depth=3
	s_or_b64 exec, exec, s[12:13]
	v_max_f32_e64 v21, |v4|, |v4|
	v_max_f32_e64 v22, |v7|, |v7|
	v_min_f32_e32 v21, v22, v21
	v_frexp_mant_f32_e32 v22, v18
	v_rcp_f32_e32 v22, v22
	v_frexp_exp_i32_f32_e32 v18, v18
	v_frexp_exp_i32_f32_e32 v23, v21
	v_frexp_mant_f32_e32 v21, v21
	v_mul_f32_e32 v21, v21, v22
	v_sub_u32_e32 v18, v23, v18
	v_ldexp_f32 v18, v21, v18
	v_mul_f32_e32 v21, v18, v18
	v_fmamk_f32 v22, v21, 0x3b2d2a58, v32
	v_fmaak_f32 v22, v21, v22, 0x3d29fb3f
	v_fmaak_f32 v22, v21, v22, 0xbd97d4d7
	v_fmaak_f32 v22, v21, v22, 0x3dd931b2
	v_fmaak_f32 v22, v21, v22, 0xbe1160e6
	v_fmaak_f32 v22, v21, v22, 0x3e4cb8bf
	v_fmaak_f32 v22, v21, v22, 0xbeaaaa62
	v_mul_f32_e32 v21, v21, v22
	v_cmp_gt_i32_e64 s[12:13], 0, v7
	v_fmac_f32_e32 v18, v18, v21
	v_sub_f32_e32 v21, 0x3fc90fdb, v18
	v_cndmask_b32_e64 v19, 0, v42, s[12:13]
	v_cmp_gt_f32_e64 s[12:13], |v4|, |v7|
	v_cmp_gt_f32_e64 s[10:11], 0, v7
	v_cmp_class_f32_e64 s[14:15], v4, s71
	v_cndmask_b32_e64 v18, v18, v21, s[12:13]
	v_sub_f32_e32 v21, 0x40490fdb, v18
	v_cmp_class_f32_e64 s[16:17], v7, s71
	v_cndmask_b32_e64 v9, v40, v41, s[10:11]
	v_cndmask_b32_e64 v18, v18, v21, s[10:11]
	v_cmp_eq_f32_e64 s[10:11], 0, v4
	s_nop 1
	v_cndmask_b32_e64 v18, v18, v19, s[10:11]
	s_and_b64 s[10:11], s[14:15], s[16:17]
	v_cndmask_b32_e64 v9, v18, v9, s[10:11]
	v_cmp_o_f32_e64 s[10:11], v7, v4
	s_nop 1
	v_cndmask_b32_e64 v7, v36, v9, s[10:11]
	v_bfi_b32 v21, s50, v7, v4
.LBB355_65:                             ;   in Loop: Header=BB355_69 Depth=3
	s_or_b64 exec, exec, s[42:43]
.LBB355_66:                             ;   in Loop: Header=BB355_69 Depth=3
	s_or_b64 exec, exec, s[40:41]
	v_mov_b64_e32 v[24:25], v[20:21]
.LBB355_67:                             ;   in Loop: Header=BB355_69 Depth=3
	s_or_b64 exec, exec, s[38:39]
	ds_write_b64 v17, v[24:25]
.LBB355_68:                             ;   in Loop: Header=BB355_69 Depth=3
	s_or_b64 exec, exec, s[36:37]
	v_cmp_eq_u32_e64 s[10:11], s48, v15
	s_or_b64 s[34:35], s[10:11], s[34:35]
	v_mov_b32_e32 v4, v15
	s_waitcnt lgkmcnt(0)
	s_barrier
	s_andn2_b64 exec, exec, s[34:35]
	s_cbranch_execz .LBB355_116
.LBB355_69:                             ;   Parent Loop BB355_4 Depth=1
                                        ;     Parent Loop BB355_7 Depth=2
                                        ; =>    This Inner Loop Header: Depth=3
	v_add_u32_e32 v15, 1, v4
	s_and_saveexec_b64 s[10:11], s[6:7]
	s_xor_b64 s[10:11], exec, s[10:11]
; %bb.70:                               ;   in Loop: Header=BB355_69 Depth=3
	v_add_u32_e32 v15, 1, v4
                                        ; implicit-def: $vgpr4
; %bb.71:                               ;   in Loop: Header=BB355_69 Depth=3
	s_andn2_saveexec_b64 s[36:37], s[10:11]
	s_cbranch_execz .LBB355_68
; %bb.72:                               ;   in Loop: Header=BB355_69 Depth=3
	v_lshlrev_b32_e64 v7, v4, 1
	v_lshrrev_b32_e32 v9, v4, v1
	v_lshl_or_b32 v7, v9, v15, v7
	v_lshl_add_u32 v7, v7, 3, v26
	v_add_u32_e32 v9, -8, v7
	v_bfm_b32 v4, v4, 0
	ds_read_b64 v[18:19], v9
	v_and_b32_e32 v4, v4, v1
	v_lshl_add_u32 v17, v4, 3, v7
	ds_read_b64 v[24:25], v17
	s_waitcnt lgkmcnt(1)
	v_cmp_o_f32_e64 s[10:11], v18, v18
	v_cmp_o_f32_e64 s[12:13], v19, v19
	s_and_b64 s[14:15], s[10:11], s[12:13]
	v_mov_b32_e32 v23, v19
	v_mov_b64_e32 v[20:21], v[18:19]
	s_and_saveexec_b64 s[16:17], s[14:15]
	s_cbranch_execz .LBB355_74
; %bb.73:                               ;   in Loop: Header=BB355_69 Depth=3
	s_waitcnt lgkmcnt(0)
	v_cmp_u_f32_e64 s[10:11], v24, v24
	v_cmp_u_f32_e64 s[12:13], v25, v25
	s_or_b64 s[12:13], s[10:11], s[12:13]
	v_cmp_lt_f32_e64 s[10:11], v24, v18
	s_or_b64 s[10:11], s[12:13], s[10:11]
	s_nop 0
	v_cndmask_b32_e64 v23, v19, v25, s[10:11]
	v_cndmask_b32_e64 v22, v18, v24, s[10:11]
	v_mov_b64_e32 v[20:21], v[22:23]
.LBB355_74:                             ;   in Loop: Header=BB355_69 Depth=3
	s_or_b64 exec, exec, s[16:17]
	s_and_saveexec_b64 s[10:11], s[14:15]
	s_xor_b64 s[14:15], exec, s[10:11]
	s_cbranch_execz .LBB355_76
; %bb.75:                               ;   in Loop: Header=BB355_69 Depth=3
	s_waitcnt lgkmcnt(0)
	v_cmp_u_f32_e64 s[10:11], v24, v24
	v_cmp_u_f32_e64 s[12:13], v25, v25
	s_or_b64 s[12:13], s[10:11], s[12:13]
	v_cmp_ge_f32_e64 s[10:11], v24, v18
	s_or_b64 s[10:11], s[12:13], s[10:11]
	s_nop 0
	v_cndmask_b32_e64 v19, v19, v25, s[10:11]
	v_cndmask_b32_e64 v18, v18, v24, s[10:11]
.LBB355_76:                             ;   in Loop: Header=BB355_69 Depth=3
	s_andn2_saveexec_b64 s[10:11], s[14:15]
	s_or_b64 exec, exec, s[10:11]
	v_cmp_o_f32_e64 s[10:11], v20, v20
	v_cmp_o_f32_e64 s[12:13], v21, v21
	s_mov_b32 s31, s30
	s_and_b64 s[10:11], s[10:11], s[12:13]
	s_waitcnt lgkmcnt(0)
	v_mov_b64_e32 v[24:25], s[30:31]
	s_and_saveexec_b64 s[38:39], s[10:11]
	s_cbranch_execz .LBB355_67
; %bb.77:                               ;   in Loop: Header=BB355_69 Depth=3
	v_cmp_class_f32_e64 s[12:13], v20, s49
	v_cmp_neq_f32_e64 s[10:11], v18, v20
	s_or_b64 s[10:11], s[12:13], s[10:11]
	s_and_saveexec_b64 s[12:13], s[10:11]
	s_xor_b64 s[40:41], exec, s[12:13]
	s_cbranch_execz .LBB355_93
; %bb.78:                               ;   in Loop: Header=BB355_69 Depth=3
	v_pk_add_f32 v[20:21], v[20:21], v[18:19] neg_lo:[0,1] neg_hi:[0,1]
                                        ; implicit-def: $vgpr22
	s_nop 0
	v_and_b32_e32 v7, 0x7fffffff, v21
	v_lshrrev_b32_e32 v4, 23, v7
	v_and_b32_e32 v9, 0x7fffff, v7
	v_cmp_nlt_f32_e64 s[42:43], |v21|, s51
	v_add_u32_e32 v24, 0xffffff88, v4
	v_or_b32_e32 v23, 0x800000, v9
                                        ; implicit-def: $vgpr9
	s_and_saveexec_b64 s[10:11], s[42:43]
	s_xor_b64 s[44:45], exec, s[10:11]
	s_cbranch_execz .LBB355_80
; %bb.79:                               ;   in Loop: Header=BB355_69 Depth=3
	v_cmp_lt_u32_e64 s[10:11], 63, v24
	v_mad_u64_u32 v[44:45], s[16:17], v23, s53, 0
	s_nop 0
	v_cndmask_b32_e64 v4, 0, v33, s[10:11]
	v_add_u32_e32 v4, v4, v24
	v_cmp_lt_u32_e64 s[12:13], 31, v4
	s_nop 1
	v_cndmask_b32_e64 v9, 0, v34, s[12:13]
	v_add_u32_e32 v4, v9, v4
	v_cmp_lt_u32_e64 s[14:15], 31, v4
	s_nop 1
	v_cndmask_b32_e64 v9, 0, v34, s[14:15]
	v_add_u32_e32 v9, v9, v4
	v_mov_b32_e32 v4, v45
	v_mad_u64_u32 v[46:47], s[16:17], v23, s54, v[4:5]
	v_mov_b32_e32 v4, v47
	v_mad_u64_u32 v[48:49], s[16:17], v23, s55, v[4:5]
	;; [unrolled: 2-line block ×6, first 2 shown]
	v_cndmask_b32_e64 v22, v54, v50, s[10:11]
	v_cndmask_b32_e64 v4, v56, v52, s[10:11]
	;; [unrolled: 1-line block ×7, first 2 shown]
	v_sub_u32_e32 v45, 32, v9
	v_cmp_eq_u32_e64 s[16:17], 0, v9
	v_cndmask_b32_e64 v9, v50, v46, s[10:11]
	v_cndmask_b32_e64 v4, v4, v25, s[14:15]
	;; [unrolled: 1-line block ×4, first 2 shown]
	v_alignbit_b32 v47, v4, v25, v45
	v_cndmask_b32_e64 v22, v22, v43, s[14:15]
	v_cndmask_b32_e64 v4, v47, v4, s[16:17]
	v_alignbit_b32 v46, v25, v22, v45
	v_cndmask_b32_e64 v44, v48, v44, s[10:11]
	v_cndmask_b32_e64 v25, v46, v25, s[16:17]
	v_bfe_u32 v49, v4, 29, 1
	v_cndmask_b32_e64 v9, v9, v44, s[12:13]
	v_alignbit_b32 v46, v4, v25, 30
	v_sub_u32_e32 v50, 0, v49
	v_cndmask_b32_e64 v9, v43, v9, s[14:15]
	v_xor_b32_e32 v51, v46, v50
	v_alignbit_b32 v43, v22, v9, v45
	v_cndmask_b32_e64 v22, v43, v22, s[16:17]
	v_ffbh_u32_e32 v43, v51
	v_add_u32_e32 v43, 1, v43
	v_cmp_ne_u32_e64 s[10:11], v46, v50
	v_alignbit_b32 v25, v25, v22, 30
	v_alignbit_b32 v9, v22, v9, 30
	v_cndmask_b32_e64 v43, 33, v43, s[10:11]
	v_xor_b32_e32 v25, v25, v50
	v_sub_u32_e32 v44, 32, v43
	v_xor_b32_e32 v9, v9, v50
	v_alignbit_b32 v45, v51, v25, v44
	v_alignbit_b32 v9, v25, v9, v44
	;; [unrolled: 1-line block ×3, first 2 shown]
	v_ffbh_u32_e32 v25, v22
	v_min_u32_e32 v25, 32, v25
	v_lshrrev_b32_e32 v47, 29, v4
	v_sub_u32_e32 v44, 31, v25
	v_alignbit_b32 v9, v22, v9, v44
	v_lshlrev_b32_e32 v22, 31, v47
	v_or_b32_e32 v44, 0x33800000, v22
	v_add_lshl_u32 v25, v25, v43, 23
	v_lshrrev_b32_e32 v9, 9, v9
	v_sub_u32_e32 v25, v44, v25
	v_or_b32_e32 v9, v25, v9
	v_alignbit_b32 v25, v43, v45, 9
	v_or_b32_e32 v22, v25, v22
	v_xor_b32_e32 v22, 1.0, v22
	v_mul_f32_e32 v25, 0x3fc90fda, v22
	v_fma_f32 v43, v22, s61, -v25
	v_fmac_f32_e32 v43, 0x33a22168, v22
	v_fmac_f32_e32 v43, 0x3fc90fda, v9
	v_lshrrev_b32_e32 v4, 30, v4
	v_add_f32_e32 v22, v25, v43
	v_add_u32_e32 v9, v49, v4
.LBB355_80:                             ;   in Loop: Header=BB355_69 Depth=3
	s_or_saveexec_b64 s[10:11], s[44:45]
	v_mul_f32_e64 v4, |v21|, s62
	v_rndne_f32_e32 v43, v4
	s_xor_b64 exec, exec, s[10:11]
; %bb.81:                               ;   in Loop: Header=BB355_69 Depth=3
	v_cvt_i32_f32_e32 v9, v43
	v_fma_f32 v22, v43, s63, |v21|
	v_fmac_f32_e32 v22, 0xb3a22168, v43
	v_fmac_f32_e32 v22, 0xa7c234c4, v43
; %bb.82:                               ;   in Loop: Header=BB355_69 Depth=3
	s_or_b64 exec, exec, s[10:11]
                                        ; implicit-def: $vgpr4
                                        ; implicit-def: $vgpr25
	s_and_saveexec_b64 s[10:11], s[42:43]
	s_xor_b64 s[42:43], exec, s[10:11]
	s_cbranch_execz .LBB355_84
; %bb.83:                               ;   in Loop: Header=BB355_69 Depth=3
	v_cmp_lt_u32_e64 s[10:11], 63, v24
	s_nop 1
	v_cndmask_b32_e64 v4, 0, v33, s[10:11]
	v_add_u32_e32 v4, v4, v24
	v_cmp_lt_u32_e64 s[12:13], 31, v4
	s_nop 1
	v_cndmask_b32_e64 v24, 0, v34, s[12:13]
	v_add_u32_e32 v4, v24, v4
	;; [unrolled: 4-line block ×3, first 2 shown]
	v_mad_u64_u32 v[24:25], s[16:17], v23, s53, 0
	v_mov_b32_e32 v4, v25
	v_mad_u64_u32 v[44:45], s[16:17], v23, s54, v[4:5]
	v_mov_b32_e32 v4, v45
	;; [unrolled: 2-line block ×6, first 2 shown]
	v_mad_u64_u32 v[54:55], s[16:17], v23, s59, v[4:5]
	v_cndmask_b32_e64 v25, v52, v48, s[10:11]
	v_cndmask_b32_e64 v4, v54, v50, s[10:11]
	;; [unrolled: 1-line block ×7, first 2 shown]
	v_sub_u32_e32 v47, 32, v43
	v_cmp_eq_u32_e64 s[16:17], 0, v43
	v_cndmask_b32_e64 v43, v48, v44, s[10:11]
	v_cndmask_b32_e64 v4, v4, v23, s[14:15]
	;; [unrolled: 1-line block ×4, first 2 shown]
	v_alignbit_b32 v49, v4, v23, v47
	v_cndmask_b32_e64 v25, v25, v44, s[14:15]
	v_cndmask_b32_e64 v4, v49, v4, s[16:17]
	v_alignbit_b32 v45, v23, v25, v47
	v_cndmask_b32_e64 v24, v46, v24, s[10:11]
	v_cndmask_b32_e64 v23, v45, v23, s[16:17]
	v_bfe_u32 v49, v4, 29, 1
	v_cndmask_b32_e64 v24, v43, v24, s[12:13]
	v_alignbit_b32 v45, v4, v23, 30
	v_sub_u32_e32 v50, 0, v49
	v_cndmask_b32_e64 v24, v44, v24, s[14:15]
	v_xor_b32_e32 v51, v45, v50
	v_alignbit_b32 v43, v25, v24, v47
	v_cndmask_b32_e64 v25, v43, v25, s[16:17]
	v_ffbh_u32_e32 v43, v51
	v_add_u32_e32 v43, 1, v43
	v_cmp_ne_u32_e64 s[10:11], v45, v50
	v_alignbit_b32 v23, v23, v25, 30
	v_alignbit_b32 v24, v25, v24, 30
	v_cndmask_b32_e64 v43, 33, v43, s[10:11]
	v_xor_b32_e32 v23, v23, v50
	v_sub_u32_e32 v44, 32, v43
	v_xor_b32_e32 v24, v24, v50
	v_alignbit_b32 v45, v51, v23, v44
	v_alignbit_b32 v23, v23, v24, v44
	;; [unrolled: 1-line block ×3, first 2 shown]
	v_ffbh_u32_e32 v25, v24
	v_min_u32_e32 v25, 32, v25
	v_lshrrev_b32_e32 v48, 29, v4
	v_sub_u32_e32 v44, 31, v25
	v_alignbit_b32 v23, v24, v23, v44
	v_lshlrev_b32_e32 v24, 31, v48
	v_or_b32_e32 v44, 0x33800000, v24
	v_add_lshl_u32 v25, v25, v43, 23
	v_lshrrev_b32_e32 v23, 9, v23
	v_sub_u32_e32 v25, v44, v25
	v_or_b32_e32 v23, v25, v23
	v_alignbit_b32 v25, v43, v45, 9
	v_or_b32_e32 v24, v25, v24
	v_xor_b32_e32 v24, 1.0, v24
	v_mul_f32_e32 v25, 0x3fc90fda, v24
	v_fma_f32 v43, v24, s61, -v25
	v_fmac_f32_e32 v43, 0x33a22168, v24
	v_fmac_f32_e32 v43, 0x3fc90fda, v23
	v_lshrrev_b32_e32 v4, 30, v4
	v_add_f32_e32 v25, v25, v43
	v_add_u32_e32 v4, v49, v4
                                        ; implicit-def: $vgpr43
	s_andn2_saveexec_b64 s[10:11], s[42:43]
	s_cbranch_execnz .LBB355_85
	s_branch .LBB355_86
.LBB355_84:                             ;   in Loop: Header=BB355_69 Depth=3
	s_andn2_saveexec_b64 s[10:11], s[42:43]
.LBB355_85:                             ;   in Loop: Header=BB355_69 Depth=3
	v_cvt_i32_f32_e32 v4, v43
	v_fma_f32 v25, v43, s63, |v21|
	v_fmac_f32_e32 v25, 0xb3a22168, v43
	v_fmac_f32_e32 v25, 0xa7c234c4, v43
.LBB355_86:                             ;   in Loop: Header=BB355_69 Depth=3
	s_or_b64 exec, exec, s[10:11]
	v_mul_f32_e32 v23, 0x3fb8aa3b, v20
	v_rndne_f32_e32 v24, v23
	v_sub_f32_e32 v43, v23, v24
	v_fma_f32 v23, v20, s64, -v23
	v_fmac_f32_e32 v23, 0x32a5705f, v20
	v_add_f32_e32 v23, v43, v23
	v_cvt_i32_f32_e32 v24, v24
	v_exp_f32_e32 v23, v23
	v_cmp_ngt_f32_e64 s[10:11], s65, v20
	v_and_b32_e32 v46, 1, v4
	v_lshlrev_b32_e32 v4, 30, v4
	v_ldexp_f32 v23, v23, v24
	v_cndmask_b32_e64 v23, 0, v23, s[10:11]
	v_cmp_nlt_f32_e64 s[10:11], s66, v20
	v_mov_b32_e32 v44, v22
	v_and_b32_e32 v4, 0x80000000, v4
	v_cndmask_b32_e64 v20, v35, v23, s[10:11]
	v_lshlrev_b32_e32 v23, 30, v9
	v_and_b32_e32 v43, 0x80000000, v23
	v_mul_f32_e32 v23, v25, v25
	v_fmamk_f32 v24, v23, 0xb94c1982, v29
	v_fmaak_f32 v45, v23, v24, 0xbe2aaa9d
	v_fmamk_f32 v24, v23, 0x37d75334, v30
	v_xor_b32_e32 v7, v7, v21
	v_pk_mul_f32 v[44:45], v[22:23], v[44:45]
	v_fmaak_f32 v24, v23, v24, 0x3d2aabf7
	v_xor_b32_e32 v4, v7, v4
	v_fmamk_f32 v7, v44, 0x37d75334, v30
	v_fmaak_f32 v24, v23, v24, 0xbf000004
	v_fmaak_f32 v7, v44, v7, 0x3d2aabf7
	v_fma_f32 v47, v23, v24, 1.0
	v_fmaak_f32 v24, v44, v7, 0xbf000004
	v_fmamk_f32 v7, v44, 0xb94c1982, v29
	v_fmaak_f32 v7, v44, v7, 0xbe2aaa9d
	v_mul_f32_e32 v7, v44, v7
	v_fmac_f32_e32 v22, v22, v7
	v_mov_b32_e32 v7, v25
	v_and_b32_e32 v9, 1, v9
	v_pk_fma_f32 v[24:25], v[44:45], v[24:25], v[6:7]
	v_cmp_eq_u32_e64 s[10:11], 0, v46
	s_nop 1
	v_cndmask_b32_e64 v7, v47, v25, s[10:11]
	v_cmp_eq_u32_e64 s[10:11], 0, v9
	v_xor_b32_e32 v4, v4, v7
	s_nop 0
	v_cndmask_b32_e64 v9, -v22, v24, s[10:11]
	v_xor_b32_e32 v9, v43, v9
	v_cmp_class_f32_e64 s[10:11], v21, s49
	s_nop 1
	v_cndmask_b32_e64 v23, v36, v4, s[10:11]
	v_cndmask_b32_e64 v22, v36, v9, s[10:11]
	v_pk_mul_f32 v[20:21], v[20:21], v[22:23] op_sel_hi:[0,1]
	v_max_f32_e64 v4, |v20|, |v21|
	v_cvt_f64_f32_e32 v[22:23], v4
	v_frexp_exp_i32_f64_e32 v7, v[22:23]
	v_sub_u32_e32 v9, 0, v7
	v_ldexp_f32 v22, |v20|, v9
	v_ldexp_f32 v9, |v21|, v9
	v_mul_f32_e32 v9, v9, v9
	v_fmac_f32_e32 v9, v22, v22
	v_sqrt_f32_e32 v9, v9
	v_cmp_eq_f32_e64 s[10:11], s67, v4
	v_add_f32_e32 v4, 1.0, v20
                                        ; implicit-def: $vgpr22
	v_ldexp_f32 v7, v9, v7
	v_cmp_ngt_f32_e64 s[12:13], 0.5, v7
	v_max_f32_e64 v7, |v4|, |v21|
	s_or_b64 s[10:11], s[10:11], s[12:13]
	s_and_saveexec_b64 s[12:13], s[10:11]
	s_xor_b64 s[14:15], exec, s[12:13]
	s_cbranch_execz .LBB355_88
; %bb.87:                               ;   in Loop: Header=BB355_69 Depth=3
	v_cvt_f64_f32_e32 v[22:23], v7
	v_frexp_exp_i32_f64_e32 v9, v[22:23]
	v_sub_u32_e32 v22, 0, v9
	v_ldexp_f32 v23, |v4|, v22
	v_ldexp_f32 v22, |v21|, v22
	v_mul_f32_e32 v22, v22, v22
	v_fmac_f32_e32 v22, v23, v23
	v_sqrt_f32_e32 v22, v22
	v_cmp_neq_f32_e64 s[10:11], s67, v7
	v_ldexp_f32 v9, v22, v9
	s_nop 0
	v_cndmask_b32_e64 v9, v35, v9, s[10:11]
	v_cmp_gt_f32_e64 s[10:11], s52, v9
	s_nop 1
	v_cndmask_b32_e64 v22, 1.0, v37, s[10:11]
	v_mul_f32_e32 v9, v9, v22
	v_log_f32_e32 v9, v9
	s_nop 0
	v_mul_f32_e32 v22, 0x3f317217, v9
	v_fma_f32 v23, v9, s68, -v22
	v_fmac_f32_e32 v23, 0x3377d1cf, v9
	v_add_f32_e32 v22, v22, v23
	v_cmp_lt_f32_e64 s[12:13], |v9|, s67
	s_nop 1
	v_cndmask_b32_e64 v9, v9, v22, s[12:13]
	v_cndmask_b32_e64 v22, 0, v38, s[10:11]
	v_sub_f32_e32 v22, v9, v22
.LBB355_88:                             ;   in Loop: Header=BB355_69 Depth=3
	s_andn2_saveexec_b64 s[12:13], s[14:15]
	s_cbranch_execz .LBB355_92
; %bb.89:                               ;   in Loop: Header=BB355_69 Depth=3
	v_add_f32_e32 v22, 2.0, v20
	v_mov_b32_e32 v23, v21
	v_pk_mul_f32 v[22:23], v[20:21], v[22:23]
	s_nop 0
	v_add_f32_e32 v22, v22, v23
	v_cmp_neq_f32_e64 s[10:11], 0, v22
	s_and_saveexec_b64 s[14:15], s[10:11]
	s_cbranch_execz .LBB355_91
; %bb.90:                               ;   in Loop: Header=BB355_69 Depth=3
	v_add_f32_e32 v9, 1.0, v22
	v_add_f32_e32 v20, -1.0, v9
	v_sub_f32_e32 v23, v20, v9
	v_add_f32_e32 v23, 1.0, v23
	v_sub_f32_e32 v20, v22, v20
	v_add_f32_e32 v20, v20, v23
	v_frexp_mant_f32_e32 v23, v9
	v_cvt_f64_f32_e32 v[24:25], v9
	v_frexp_exp_i32_f64_e32 v24, v[24:25]
	v_cmp_gt_f32_e64 s[10:11], s69, v23
	s_nop 1
	v_subbrev_co_u32_e64 v23, s[10:11], 0, v24, s[10:11]
	v_sub_u32_e32 v24, 0, v23
	v_ldexp_f32 v9, v9, v24
	v_ldexp_f32 v20, v20, v24
	v_add_f32_e32 v24, -1.0, v9
	v_add_f32_e32 v25, 1.0, v24
	v_sub_f32_e32 v25, v9, v25
	v_add_f32_e32 v43, v20, v25
	v_add_f32_e32 v25, 1.0, v9
	v_add_f32_e32 v44, -1.0, v25
	v_sub_f32_e32 v9, v9, v44
	v_add_f32_e32 v9, v20, v9
	v_add_f32_e32 v20, v25, v9
	v_rcp_f32_e32 v50, v20
	v_sub_f32_e32 v25, v20, v25
	v_sub_f32_e32 v9, v9, v25
	v_add_f32_e32 v25, v24, v43
	v_mul_f32_e32 v51, v25, v50
	v_mul_f32_e32 v44, v20, v51
	v_fma_f32 v46, v51, v20, -v44
	v_sub_f32_e32 v24, v25, v24
	v_fmac_f32_e32 v46, v51, v9
	v_sub_f32_e32 v43, v43, v24
	v_add_f32_e32 v24, v44, v46
	v_sub_f32_e32 v45, v25, v24
	v_pk_add_f32 v[48:49], v[24:25], v[44:45] neg_lo:[0,1] neg_hi:[0,1]
	v_mov_b32_e32 v47, v24
	v_pk_add_f32 v[24:25], v[48:49], v[46:47] neg_lo:[0,1] neg_hi:[0,1]
	v_cmp_eq_f32_e64 s[10:11], s67, v22
	v_add_f32_e32 v25, v43, v25
	v_add_f32_e32 v24, v24, v25
	;; [unrolled: 1-line block ×3, first 2 shown]
	v_mul_f32_e32 v43, v50, v25
	v_mul_f32_e32 v44, v20, v43
	v_fma_f32 v46, v43, v20, -v44
	v_fmac_f32_e32 v46, v43, v9
	v_sub_f32_e32 v9, v45, v25
	v_add_f32_e32 v9, v24, v9
	v_add_f32_e32 v24, v44, v46
	v_sub_f32_e32 v45, v25, v24
	v_pk_add_f32 v[48:49], v[24:25], v[44:45] neg_lo:[0,1] neg_hi:[0,1]
	v_mov_b32_e32 v47, v24
	v_pk_add_f32 v[24:25], v[48:49], v[46:47] neg_lo:[0,1] neg_hi:[0,1]
	v_add_f32_e32 v20, v51, v43
	v_add_f32_e32 v9, v9, v25
	;; [unrolled: 1-line block ×4, first 2 shown]
	v_sub_f32_e32 v24, v20, v51
	v_mul_f32_e32 v9, v50, v9
	v_sub_f32_e32 v24, v43, v24
	v_add_f32_e32 v25, v24, v9
	v_add_f32_e32 v43, v20, v25
	v_cvt_f32_i32_e32 v24, v23
	v_mul_f32_e32 v44, v43, v43
	v_fmamk_f32 v9, v44, 0x3e9b6dac, v31
	v_sub_f32_e32 v20, v43, v20
	v_fmaak_f32 v9, v44, v9, 0x3f2aaada
	v_sub_f32_e32 v20, v25, v20
	v_mul_f32_e32 v25, v43, v44
	v_pk_mul_f32 v[46:47], v[24:25], v[8:9]
	v_ldexp_f32 v45, v43, 1
	v_fma_f32 v44, v24, s70, -v46
	v_fmac_f32_e32 v44, 0xb102e308, v24
	v_pk_add_f32 v[24:25], v[46:47], v[44:45]
	v_ldexp_f32 v20, v20, 1
	v_sub_f32_e32 v9, v25, v45
	v_sub_f32_e32 v9, v47, v9
	v_add_f32_e32 v49, v20, v9
	v_mov_b32_e32 v48, v46
	v_pk_add_f32 v[46:47], v[24:25], v[46:47] neg_lo:[0,1] neg_hi:[0,1]
	v_pk_add_f32 v[50:51], v[24:25], v[48:49]
	v_mov_b32_e32 v45, v24
	v_mov_b32_e32 v47, v51
	v_pk_add_f32 v[52:53], v[44:45], v[46:47] neg_lo:[0,1] neg_hi:[0,1]
	v_pk_add_f32 v[44:45], v[44:45], v[46:47]
	s_nop 0
	v_mov_b32_e32 v20, v45
	v_pk_add_f32 v[46:47], v[20:21], v[24:25] neg_lo:[0,1] neg_hi:[0,1]
	v_mov_b32_e32 v44, v51
	v_mov_b32_e32 v9, v46
	v_pk_add_f32 v[54:55], v[50:51], v[8:9] neg_lo:[0,1] neg_hi:[0,1]
	v_mov_b32_e32 v50, v25
	v_mov_b32_e32 v51, v46
	;; [unrolled: 1-line block ×3, first 2 shown]
	v_pk_add_f32 v[44:45], v[44:45], v[50:51] neg_lo:[0,1] neg_hi:[0,1]
	v_mov_b32_e32 v46, v49
	v_mov_b32_e32 v47, v24
	v_pk_add_f32 v[24:25], v[46:47], v[44:45] neg_lo:[0,1] neg_hi:[0,1]
	v_mov_b32_e32 v54, v52
	v_pk_add_f32 v[44:45], v[54:55], v[24:25]
	s_nop 0
	v_mov_b32_e32 v46, v45
	v_pk_add_f32 v[46:47], v[44:45], v[46:47]
	s_nop 0
	v_pk_add_f32 v[48:49], v[20:21], v[46:47]
	v_mov_b32_e32 v25, v46
	v_mov_b32_e32 v45, v48
	v_pk_add_f32 v[50:51], v[44:45], v[52:53] neg_lo:[0,1] neg_hi:[0,1]
	s_nop 0
	v_sub_f32_e32 v9, v44, v50
	v_pk_add_f32 v[24:25], v[24:25], v[50:51] neg_lo:[0,1] neg_hi:[0,1]
	v_sub_f32_e32 v9, v52, v9
	v_add_f32_e32 v9, v24, v9
	v_add_f32_e32 v9, v9, v25
	v_add_f32_e32 v9, v48, v9
	v_cndmask_b32_e64 v9, v9, v22, s[10:11]
	v_cmp_ngt_f32_e64 s[10:11], -1.0, v22
	s_nop 1
	v_cndmask_b32_e64 v9, v36, v9, s[10:11]
	v_cmp_neq_f32_e64 s[10:11], -1.0, v22
	s_nop 1
	v_cndmask_b32_e64 v9, v39, v9, s[10:11]
	v_cmp_lt_f32_e64 s[10:11], |v22|, s60
	s_nop 1
	v_cndmask_b32_e64 v9, v9, v22, s[10:11]
	v_mul_f32_e32 v20, 0.5, v9
.LBB355_91:                             ;   in Loop: Header=BB355_69 Depth=3
	s_or_b64 exec, exec, s[14:15]
	v_mov_b32_e32 v22, v20
.LBB355_92:                             ;   in Loop: Header=BB355_69 Depth=3
	s_or_b64 exec, exec, s[12:13]
	v_max_f32_e64 v23, |v21|, |v21|
	v_max_f32_e64 v24, |v4|, |v4|
	v_min_f32_e32 v23, v24, v23
	v_frexp_mant_f32_e32 v24, v7
	v_rcp_f32_e32 v24, v24
	v_frexp_exp_i32_f32_e32 v7, v7
	v_frexp_exp_i32_f32_e32 v25, v23
	v_frexp_mant_f32_e32 v23, v23
	v_mul_f32_e32 v23, v23, v24
	v_sub_u32_e32 v7, v25, v7
	v_ldexp_f32 v7, v23, v7
	v_mul_f32_e32 v23, v7, v7
	v_fmamk_f32 v24, v23, 0x3b2d2a58, v32
	v_fmaak_f32 v24, v23, v24, 0x3d29fb3f
	v_fmaak_f32 v24, v23, v24, 0xbd97d4d7
	v_fmaak_f32 v24, v23, v24, 0x3dd931b2
	v_fmaak_f32 v24, v23, v24, 0xbe1160e6
	v_fmaak_f32 v24, v23, v24, 0x3e4cb8bf
	v_fmaak_f32 v24, v23, v24, 0xbeaaaa62
	v_mul_f32_e32 v23, v23, v24
	v_cmp_gt_i32_e64 s[12:13], 0, v4
	v_fmac_f32_e32 v7, v7, v23
	v_sub_f32_e32 v23, 0x3fc90fdb, v7
	v_cndmask_b32_e64 v20, 0, v42, s[12:13]
	v_cmp_gt_f32_e64 s[12:13], |v21|, |v4|
	v_cmp_gt_f32_e64 s[10:11], 0, v4
	v_cmp_class_f32_e64 s[14:15], v21, s71
	v_cndmask_b32_e64 v7, v7, v23, s[12:13]
	v_sub_f32_e32 v23, 0x40490fdb, v7
	v_cmp_class_f32_e64 s[16:17], v4, s71
	v_cndmask_b32_e64 v9, v40, v41, s[10:11]
	v_cndmask_b32_e64 v7, v7, v23, s[10:11]
	v_cmp_eq_f32_e64 s[10:11], 0, v21
	s_nop 1
	v_cndmask_b32_e64 v7, v7, v20, s[10:11]
	s_and_b64 s[10:11], s[16:17], s[14:15]
	v_cndmask_b32_e64 v7, v7, v9, s[10:11]
	v_cmp_o_f32_e64 s[10:11], v4, v21
	s_nop 1
	v_cndmask_b32_e64 v4, v36, v7, s[10:11]
	v_bfi_b32 v23, s50, v4, v21
	v_pk_add_f32 v[20:21], v[18:19], v[22:23]
                                        ; implicit-def: $vgpr23
                                        ; implicit-def: $vgpr19
.LBB355_93:                             ;   in Loop: Header=BB355_69 Depth=3
	s_andn2_saveexec_b64 s[40:41], s[40:41]
	s_cbranch_execz .LBB355_66
; %bb.94:                               ;   in Loop: Header=BB355_69 Depth=3
	v_cmp_ngt_f32_e64 s[10:11], 0, v20
	s_and_saveexec_b64 s[42:43], s[10:11]
	s_cbranch_execz .LBB355_65
; %bb.95:                               ;   in Loop: Header=BB355_69 Depth=3
	v_and_b32_e32 v7, 0x7fffffff, v21
	v_lshrrev_b32_e32 v4, 23, v7
	v_and_b32_e32 v9, 0x7fffff, v7
	v_cmp_nlt_f32_e64 s[44:45], |v21|, s51
	v_add_u32_e32 v25, 0xffffff88, v4
	v_or_b32_e32 v24, 0x800000, v9
                                        ; implicit-def: $vgpr18
                                        ; implicit-def: $vgpr9
	s_and_saveexec_b64 s[10:11], s[44:45]
	s_xor_b64 s[46:47], exec, s[10:11]
	s_cbranch_execz .LBB355_97
; %bb.96:                               ;   in Loop: Header=BB355_69 Depth=3
	v_cmp_lt_u32_e64 s[10:11], 63, v25
	v_mad_u64_u32 v[44:45], s[16:17], v24, s53, 0
	s_nop 0
	v_cndmask_b32_e64 v4, 0, v33, s[10:11]
	v_add_u32_e32 v4, v4, v25
	v_cmp_lt_u32_e64 s[12:13], 31, v4
	s_nop 1
	v_cndmask_b32_e64 v9, 0, v34, s[12:13]
	v_add_u32_e32 v4, v9, v4
	v_cmp_lt_u32_e64 s[14:15], 31, v4
	s_nop 1
	v_cndmask_b32_e64 v9, 0, v34, s[14:15]
	v_add_u32_e32 v9, v9, v4
	v_mov_b32_e32 v4, v45
	v_mad_u64_u32 v[46:47], s[16:17], v24, s54, v[4:5]
	v_mov_b32_e32 v4, v47
	v_mad_u64_u32 v[48:49], s[16:17], v24, s55, v[4:5]
	;; [unrolled: 2-line block ×6, first 2 shown]
	v_cndmask_b32_e64 v18, v54, v50, s[10:11]
	v_cndmask_b32_e64 v4, v56, v52, s[10:11]
	;; [unrolled: 1-line block ×7, first 2 shown]
	v_sub_u32_e32 v43, 32, v9
	v_cmp_eq_u32_e64 s[16:17], 0, v9
	v_cndmask_b32_e64 v9, v50, v46, s[10:11]
	v_cndmask_b32_e64 v4, v4, v20, s[14:15]
	;; [unrolled: 1-line block ×4, first 2 shown]
	v_alignbit_b32 v45, v4, v20, v43
	v_cndmask_b32_e64 v18, v18, v22, s[14:15]
	v_cndmask_b32_e64 v4, v45, v4, s[16:17]
	v_alignbit_b32 v45, v20, v18, v43
	v_cndmask_b32_e64 v44, v48, v44, s[10:11]
	v_cndmask_b32_e64 v20, v45, v20, s[16:17]
	v_bfe_u32 v47, v4, 29, 1
	v_cndmask_b32_e64 v9, v9, v44, s[12:13]
	v_alignbit_b32 v45, v4, v20, 30
	v_sub_u32_e32 v49, 0, v47
	v_cndmask_b32_e64 v9, v22, v9, s[14:15]
	v_xor_b32_e32 v50, v45, v49
	v_alignbit_b32 v22, v18, v9, v43
	v_cndmask_b32_e64 v18, v22, v18, s[16:17]
	v_ffbh_u32_e32 v22, v50
	v_add_u32_e32 v22, 1, v22
	v_cmp_ne_u32_e64 s[10:11], v45, v49
	v_alignbit_b32 v20, v20, v18, 30
	v_alignbit_b32 v9, v18, v9, 30
	v_cndmask_b32_e64 v22, 33, v22, s[10:11]
	v_xor_b32_e32 v20, v20, v49
	v_sub_u32_e32 v43, 32, v22
	v_xor_b32_e32 v9, v9, v49
	v_alignbit_b32 v44, v50, v20, v43
	v_alignbit_b32 v9, v20, v9, v43
	;; [unrolled: 1-line block ×3, first 2 shown]
	v_ffbh_u32_e32 v20, v18
	v_min_u32_e32 v20, 32, v20
	v_lshrrev_b32_e32 v46, 29, v4
	v_sub_u32_e32 v43, 31, v20
	v_alignbit_b32 v9, v18, v9, v43
	v_lshlrev_b32_e32 v18, 31, v46
	v_or_b32_e32 v43, 0x33800000, v18
	v_add_lshl_u32 v20, v20, v22, 23
	v_lshrrev_b32_e32 v9, 9, v9
	v_sub_u32_e32 v20, v43, v20
	v_or_b32_e32 v9, v20, v9
	v_alignbit_b32 v20, v22, v44, 9
	v_or_b32_e32 v18, v20, v18
	v_xor_b32_e32 v18, 1.0, v18
	v_mul_f32_e32 v20, 0x3fc90fda, v18
	v_fma_f32 v22, v18, s61, -v20
	v_fmac_f32_e32 v22, 0x33a22168, v18
	v_fmac_f32_e32 v22, 0x3fc90fda, v9
	v_lshrrev_b32_e32 v4, 30, v4
	v_add_f32_e32 v9, v20, v22
	v_add_u32_e32 v18, v47, v4
.LBB355_97:                             ;   in Loop: Header=BB355_69 Depth=3
	s_or_saveexec_b64 s[10:11], s[46:47]
	v_mul_f32_e64 v4, |v21|, s62
	v_rndne_f32_e32 v4, v4
	s_xor_b64 exec, exec, s[10:11]
; %bb.98:                               ;   in Loop: Header=BB355_69 Depth=3
	v_cvt_i32_f32_e32 v18, v4
	v_fma_f32 v9, v4, s63, |v21|
	v_fmac_f32_e32 v9, 0xb3a22168, v4
	v_fmac_f32_e32 v9, 0xa7c234c4, v4
; %bb.99:                               ;   in Loop: Header=BB355_69 Depth=3
	s_or_b64 exec, exec, s[10:11]
                                        ; implicit-def: $vgpr20
                                        ; implicit-def: $vgpr22
	s_and_saveexec_b64 s[10:11], s[44:45]
	s_xor_b64 s[44:45], exec, s[10:11]
	s_cbranch_execz .LBB355_101
; %bb.100:                              ;   in Loop: Header=BB355_69 Depth=3
	v_cmp_lt_u32_e64 s[10:11], 63, v25
	v_mad_u64_u32 v[44:45], s[16:17], v24, s53, 0
	s_nop 0
	v_cndmask_b32_e64 v4, 0, v33, s[10:11]
	v_add_u32_e32 v4, v4, v25
	v_cmp_lt_u32_e64 s[12:13], 31, v4
	s_nop 1
	v_cndmask_b32_e64 v20, 0, v34, s[12:13]
	v_add_u32_e32 v4, v20, v4
	v_cmp_lt_u32_e64 s[14:15], 31, v4
	s_nop 1
	v_cndmask_b32_e64 v20, 0, v34, s[14:15]
	v_add_u32_e32 v20, v20, v4
	v_mov_b32_e32 v4, v45
	v_mad_u64_u32 v[46:47], s[16:17], v24, s54, v[4:5]
	v_mov_b32_e32 v4, v47
	v_mad_u64_u32 v[48:49], s[16:17], v24, s55, v[4:5]
	;; [unrolled: 2-line block ×6, first 2 shown]
	v_cndmask_b32_e64 v22, v54, v50, s[10:11]
	v_cndmask_b32_e64 v4, v24, v52, s[10:11]
	;; [unrolled: 1-line block ×7, first 2 shown]
	v_sub_u32_e32 v43, 32, v20
	v_cmp_eq_u32_e64 s[16:17], 0, v20
	v_cndmask_b32_e64 v20, v50, v46, s[10:11]
	v_cndmask_b32_e64 v4, v4, v24, s[14:15]
	;; [unrolled: 1-line block ×4, first 2 shown]
	v_alignbit_b32 v45, v4, v24, v43
	v_cndmask_b32_e64 v22, v22, v25, s[14:15]
	v_cndmask_b32_e64 v4, v45, v4, s[16:17]
	v_alignbit_b32 v45, v24, v22, v43
	v_cndmask_b32_e64 v44, v48, v44, s[10:11]
	v_cndmask_b32_e64 v24, v45, v24, s[16:17]
	v_bfe_u32 v47, v4, 29, 1
	v_cndmask_b32_e64 v20, v20, v44, s[12:13]
	v_alignbit_b32 v45, v4, v24, 30
	v_sub_u32_e32 v49, 0, v47
	v_cndmask_b32_e64 v20, v25, v20, s[14:15]
	v_xor_b32_e32 v50, v45, v49
	v_alignbit_b32 v25, v22, v20, v43
	v_cndmask_b32_e64 v22, v25, v22, s[16:17]
	v_ffbh_u32_e32 v25, v50
	v_add_u32_e32 v25, 1, v25
	v_cmp_ne_u32_e64 s[10:11], v45, v49
	v_alignbit_b32 v24, v24, v22, 30
	v_alignbit_b32 v20, v22, v20, 30
	v_cndmask_b32_e64 v25, 33, v25, s[10:11]
	v_xor_b32_e32 v24, v24, v49
	v_sub_u32_e32 v43, 32, v25
	v_xor_b32_e32 v20, v20, v49
	v_alignbit_b32 v44, v50, v24, v43
	v_alignbit_b32 v20, v24, v20, v43
	;; [unrolled: 1-line block ×3, first 2 shown]
	v_ffbh_u32_e32 v24, v22
	v_min_u32_e32 v24, 32, v24
	v_lshrrev_b32_e32 v46, 29, v4
	v_sub_u32_e32 v43, 31, v24
	v_alignbit_b32 v20, v22, v20, v43
	v_lshlrev_b32_e32 v22, 31, v46
	v_or_b32_e32 v43, 0x33800000, v22
	v_add_lshl_u32 v24, v24, v25, 23
	v_lshrrev_b32_e32 v20, 9, v20
	v_sub_u32_e32 v24, v43, v24
	v_or_b32_e32 v20, v24, v20
	v_alignbit_b32 v24, v25, v44, 9
	v_or_b32_e32 v22, v24, v22
	v_xor_b32_e32 v22, 1.0, v22
	v_mul_f32_e32 v24, 0x3fc90fda, v22
	v_fma_f32 v25, v22, s61, -v24
	v_fmac_f32_e32 v25, 0x33a22168, v22
	v_fmac_f32_e32 v25, 0x3fc90fda, v20
	v_lshrrev_b32_e32 v4, 30, v4
	v_add_f32_e32 v22, v24, v25
	v_add_u32_e32 v20, v47, v4
                                        ; implicit-def: $vgpr4
	s_andn2_saveexec_b64 s[10:11], s[44:45]
	s_cbranch_execnz .LBB355_102
	s_branch .LBB355_103
.LBB355_101:                            ;   in Loop: Header=BB355_69 Depth=3
	s_andn2_saveexec_b64 s[10:11], s[44:45]
.LBB355_102:                            ;   in Loop: Header=BB355_69 Depth=3
	v_cvt_i32_f32_e32 v20, v4
	v_fma_f32 v22, v4, s63, |v21|
	v_fmac_f32_e32 v22, 0xb3a22168, v4
	v_fmac_f32_e32 v22, 0xa7c234c4, v4
.LBB355_103:                            ;   in Loop: Header=BB355_69 Depth=3
	s_or_b64 exec, exec, s[10:11]
	v_and_b32_e32 v24, 0x7fffffff, v19
	v_lshrrev_b32_e32 v4, 23, v24
	v_and_b32_e32 v25, 0x7fffff, v24
	v_cmp_nlt_f32_e64 s[44:45], |v19|, s51
	v_add_u32_e32 v45, 0xffffff88, v4
	v_or_b32_e32 v44, 0x800000, v25
                                        ; implicit-def: $vgpr43
                                        ; implicit-def: $vgpr25
	s_and_saveexec_b64 s[10:11], s[44:45]
	s_xor_b64 s[46:47], exec, s[10:11]
	s_cbranch_execz .LBB355_105
; %bb.104:                              ;   in Loop: Header=BB355_69 Depth=3
	v_cmp_lt_u32_e64 s[10:11], 63, v45
	v_mad_u64_u32 v[46:47], s[16:17], v44, s53, 0
	s_nop 0
	v_cndmask_b32_e64 v4, 0, v33, s[10:11]
	v_add_u32_e32 v4, v4, v45
	v_cmp_lt_u32_e64 s[12:13], 31, v4
	s_nop 1
	v_cndmask_b32_e64 v25, 0, v34, s[12:13]
	v_add_u32_e32 v4, v25, v4
	v_cmp_lt_u32_e64 s[14:15], 31, v4
	s_nop 1
	v_cndmask_b32_e64 v25, 0, v34, s[14:15]
	v_add_u32_e32 v25, v25, v4
	v_mov_b32_e32 v4, v47
	v_mad_u64_u32 v[48:49], s[16:17], v44, s54, v[4:5]
	v_mov_b32_e32 v4, v49
	v_mad_u64_u32 v[50:51], s[16:17], v44, s55, v[4:5]
	;; [unrolled: 2-line block ×6, first 2 shown]
	v_cndmask_b32_e64 v43, v56, v52, s[10:11]
	v_cndmask_b32_e64 v4, v58, v54, s[10:11]
	;; [unrolled: 1-line block ×7, first 2 shown]
	v_sub_u32_e32 v51, 32, v25
	v_cmp_eq_u32_e64 s[16:17], 0, v25
	v_cndmask_b32_e64 v25, v52, v48, s[10:11]
	v_cndmask_b32_e64 v4, v4, v47, s[14:15]
	;; [unrolled: 1-line block ×4, first 2 shown]
	v_alignbit_b32 v53, v4, v47, v51
	v_cndmask_b32_e64 v43, v43, v48, s[14:15]
	v_cndmask_b32_e64 v46, v50, v46, s[10:11]
	;; [unrolled: 1-line block ×3, first 2 shown]
	v_alignbit_b32 v49, v47, v43, v51
	v_cndmask_b32_e64 v25, v25, v46, s[12:13]
	v_cndmask_b32_e64 v47, v49, v47, s[16:17]
	v_bfe_u32 v53, v4, 29, 1
	v_cndmask_b32_e64 v25, v48, v25, s[14:15]
	v_alignbit_b32 v49, v4, v47, 30
	v_sub_u32_e32 v54, 0, v53
	v_alignbit_b32 v46, v43, v25, v51
	v_xor_b32_e32 v55, v49, v54
	v_cndmask_b32_e64 v43, v46, v43, s[16:17]
	v_alignbit_b32 v46, v47, v43, 30
	v_ffbh_u32_e32 v47, v55
	v_add_u32_e32 v47, 1, v47
	v_cmp_ne_u32_e64 s[10:11], v49, v54
	v_alignbit_b32 v25, v43, v25, 30
	v_xor_b32_e32 v46, v46, v54
	v_cndmask_b32_e64 v47, 33, v47, s[10:11]
	v_sub_u32_e32 v48, 32, v47
	v_xor_b32_e32 v25, v25, v54
	v_alignbit_b32 v49, v55, v46, v48
	v_alignbit_b32 v25, v46, v25, v48
	;; [unrolled: 1-line block ×3, first 2 shown]
	v_ffbh_u32_e32 v46, v43
	v_min_u32_e32 v46, 32, v46
	v_lshrrev_b32_e32 v52, 29, v4
	v_sub_u32_e32 v48, 31, v46
	v_alignbit_b32 v25, v43, v25, v48
	v_lshlrev_b32_e32 v43, 31, v52
	v_or_b32_e32 v48, 0x33800000, v43
	v_add_lshl_u32 v46, v46, v47, 23
	v_lshrrev_b32_e32 v25, 9, v25
	v_sub_u32_e32 v46, v48, v46
	v_or_b32_e32 v25, v46, v25
	v_alignbit_b32 v46, v47, v49, 9
	v_or_b32_e32 v43, v46, v43
	v_xor_b32_e32 v43, 1.0, v43
	v_mul_f32_e32 v46, 0x3fc90fda, v43
	v_fma_f32 v47, v43, s61, -v46
	v_fmac_f32_e32 v47, 0x33a22168, v43
	v_fmac_f32_e32 v47, 0x3fc90fda, v25
	v_lshrrev_b32_e32 v4, 30, v4
	v_add_f32_e32 v25, v46, v47
	v_add_u32_e32 v43, v53, v4
.LBB355_105:                            ;   in Loop: Header=BB355_69 Depth=3
	s_or_saveexec_b64 s[10:11], s[46:47]
	v_mul_f32_e64 v4, |v19|, s62
	v_rndne_f32_e32 v47, v4
	s_xor_b64 exec, exec, s[10:11]
; %bb.106:                              ;   in Loop: Header=BB355_69 Depth=3
	v_cvt_i32_f32_e32 v43, v47
	v_fma_f32 v25, v47, s63, |v19|
	v_fmac_f32_e32 v25, 0xb3a22168, v47
	v_fmac_f32_e32 v25, 0xa7c234c4, v47
; %bb.107:                              ;   in Loop: Header=BB355_69 Depth=3
	s_or_b64 exec, exec, s[10:11]
                                        ; implicit-def: $vgpr4
                                        ; implicit-def: $vgpr46
	s_and_saveexec_b64 s[10:11], s[44:45]
	s_xor_b64 s[44:45], exec, s[10:11]
	s_cbranch_execz .LBB355_109
; %bb.108:                              ;   in Loop: Header=BB355_69 Depth=3
	v_cmp_lt_u32_e64 s[10:11], 63, v45
	v_mad_u64_u32 v[46:47], s[16:17], v44, s53, 0
	s_nop 0
	v_cndmask_b32_e64 v4, 0, v33, s[10:11]
	v_add_u32_e32 v4, v4, v45
	v_cmp_lt_u32_e64 s[12:13], 31, v4
	s_nop 1
	v_cndmask_b32_e64 v45, 0, v34, s[12:13]
	v_add_u32_e32 v4, v45, v4
	v_cmp_lt_u32_e64 s[14:15], 31, v4
	s_nop 1
	v_cndmask_b32_e64 v45, 0, v34, s[14:15]
	v_add_u32_e32 v58, v45, v4
	v_mov_b32_e32 v4, v47
	v_mad_u64_u32 v[48:49], s[16:17], v44, s54, v[4:5]
	v_mov_b32_e32 v4, v49
	v_mad_u64_u32 v[50:51], s[16:17], v44, s55, v[4:5]
	;; [unrolled: 2-line block ×6, first 2 shown]
	v_cndmask_b32_e64 v47, v56, v52, s[10:11]
	v_cndmask_b32_e64 v4, v44, v54, s[10:11]
	;; [unrolled: 1-line block ×10, first 2 shown]
	v_sub_u32_e32 v49, 32, v58
	v_cndmask_b32_e64 v45, v45, v48, s[12:13]
	v_alignbit_b32 v51, v4, v44, v49
	v_cmp_eq_u32_e64 s[16:17], 0, v58
	v_cndmask_b32_e64 v47, v47, v45, s[14:15]
	v_cndmask_b32_e64 v46, v50, v46, s[10:11]
	;; [unrolled: 1-line block ×3, first 2 shown]
	v_alignbit_b32 v51, v44, v47, v49
	v_cndmask_b32_e64 v44, v51, v44, s[16:17]
	v_bfe_u32 v53, v4, 29, 1
	v_cndmask_b32_e64 v46, v48, v46, s[12:13]
	v_alignbit_b32 v51, v4, v44, 30
	v_sub_u32_e32 v54, 0, v53
	v_cndmask_b32_e64 v45, v45, v46, s[14:15]
	v_xor_b32_e32 v55, v51, v54
	v_alignbit_b32 v46, v47, v45, v49
	v_cndmask_b32_e64 v46, v46, v47, s[16:17]
	v_ffbh_u32_e32 v47, v55
	v_add_u32_e32 v47, 1, v47
	v_cmp_ne_u32_e64 s[10:11], v51, v54
	v_alignbit_b32 v44, v44, v46, 30
	v_alignbit_b32 v45, v46, v45, 30
	v_cndmask_b32_e64 v47, 33, v47, s[10:11]
	v_xor_b32_e32 v44, v44, v54
	v_sub_u32_e32 v48, 32, v47
	v_xor_b32_e32 v45, v45, v54
	v_alignbit_b32 v49, v55, v44, v48
	v_alignbit_b32 v44, v44, v45, v48
	;; [unrolled: 1-line block ×3, first 2 shown]
	v_ffbh_u32_e32 v46, v45
	v_min_u32_e32 v46, 32, v46
	v_lshrrev_b32_e32 v52, 29, v4
	v_sub_u32_e32 v48, 31, v46
	v_alignbit_b32 v44, v45, v44, v48
	v_lshlrev_b32_e32 v45, 31, v52
	v_or_b32_e32 v48, 0x33800000, v45
	v_add_lshl_u32 v46, v46, v47, 23
	v_lshrrev_b32_e32 v44, 9, v44
	v_sub_u32_e32 v46, v48, v46
	v_or_b32_e32 v44, v46, v44
	v_alignbit_b32 v46, v47, v49, 9
	v_or_b32_e32 v45, v46, v45
	v_xor_b32_e32 v45, 1.0, v45
	v_mul_f32_e32 v46, 0x3fc90fda, v45
	v_fma_f32 v47, v45, s61, -v46
	v_fmac_f32_e32 v47, 0x33a22168, v45
	v_fmac_f32_e32 v47, 0x3fc90fda, v44
	v_lshrrev_b32_e32 v4, 30, v4
	v_add_f32_e32 v46, v46, v47
	v_add_u32_e32 v4, v53, v4
                                        ; implicit-def: $vgpr47
	s_andn2_saveexec_b64 s[10:11], s[44:45]
	s_cbranch_execnz .LBB355_110
	s_branch .LBB355_111
.LBB355_109:                            ;   in Loop: Header=BB355_69 Depth=3
	s_andn2_saveexec_b64 s[10:11], s[44:45]
.LBB355_110:                            ;   in Loop: Header=BB355_69 Depth=3
	v_cvt_i32_f32_e32 v4, v47
	v_fma_f32 v46, v47, s63, |v19|
	v_fmac_f32_e32 v46, 0xb3a22168, v47
	v_fmac_f32_e32 v46, 0xa7c234c4, v47
.LBB355_111:                            ;   in Loop: Header=BB355_69 Depth=3
	s_or_b64 exec, exec, s[10:11]
	v_mul_f32_e32 v45, v9, v9
	v_fmamk_f32 v47, v45, 0xb94c1982, v29
	v_fmaak_f32 v47, v45, v47, 0xbe2aaa9d
	v_mul_f32_e32 v47, v45, v47
	v_fmac_f32_e32 v9, v9, v47
	v_fmamk_f32 v47, v45, 0x37d75334, v30
	v_fmaak_f32 v47, v45, v47, 0x3d2aabf7
	v_lshlrev_b32_e32 v44, 30, v18
	v_and_b32_e32 v18, 1, v18
	v_fmaak_f32 v47, v45, v47, 0xbf000004
	v_and_b32_e32 v44, 0x80000000, v44
	v_fma_f32 v45, v45, v47, 1.0
	v_cmp_eq_u32_e64 s[10:11], 0, v18
	v_xor_b32_e32 v7, v7, v23
	v_xor_b32_e32 v7, v7, v44
	v_cndmask_b32_e64 v9, v45, v9, s[10:11]
	v_xor_b32_e32 v7, v7, v9
	v_mul_f32_e32 v9, v22, v22
	v_fmamk_f32 v18, v9, 0xb94c1982, v29
	v_fmaak_f32 v18, v9, v18, 0xbe2aaa9d
	v_mul_f32_e32 v18, v9, v18
	v_fmac_f32_e32 v22, v22, v18
	v_fmamk_f32 v18, v9, 0x37d75334, v30
	v_fmaak_f32 v18, v9, v18, 0x3d2aabf7
	v_fmaak_f32 v18, v9, v18, 0xbf000004
	v_fma_f32 v9, v9, v18, 1.0
	v_and_b32_e32 v18, 1, v20
	v_cmp_class_f32_e64 s[10:11], v21, s49
	v_cmp_eq_u32_e64 s[12:13], 0, v18
	v_mul_f32_e32 v21, v25, v25
	v_lshlrev_b32_e32 v18, 30, v20
	v_cndmask_b32_e64 v9, -v22, v9, s[12:13]
	v_fmamk_f32 v22, v21, 0xb94c1982, v29
	v_and_b32_e32 v18, 0x80000000, v18
	v_fmaak_f32 v22, v21, v22, 0xbe2aaa9d
	v_xor_b32_e32 v9, v18, v9
	v_mul_f32_e32 v22, v21, v22
	v_cndmask_b32_e64 v9, v36, v9, s[10:11]
	v_fmac_f32_e32 v25, v25, v22
	v_fmamk_f32 v22, v21, 0x37d75334, v30
	v_cndmask_b32_e64 v7, v36, v7, s[10:11]
	v_mul_f32_e32 v18, 0x7f800000, v9
	v_cmp_neq_f32_e64 s[10:11], 0, v9
	v_fmaak_f32 v22, v21, v22, 0x3d2aabf7
	v_and_b32_e32 v20, 1, v43
	v_cndmask_b32_e64 v9, 0, v18, s[10:11]
	v_mul_f32_e32 v18, 0x7f800000, v7
	v_cmp_neq_f32_e64 s[10:11], 0, v7
	v_fmaak_f32 v22, v21, v22, 0xbf000004
	v_fma_f32 v21, v21, v22, 1.0
	v_cndmask_b32_e64 v7, 0, v18, s[10:11]
	v_lshlrev_b32_e32 v18, 30, v43
	v_cmp_eq_u32_e64 s[10:11], 0, v20
	v_and_b32_e32 v18, 0x80000000, v18
	s_nop 0
	v_cndmask_b32_e64 v20, v21, v25, s[10:11]
	v_xor_b32_e32 v21, v24, v19
	v_xor_b32_e32 v18, v21, v18
	v_cmp_class_f32_e64 s[10:11], v19, s49
	v_mul_f32_e32 v19, v46, v46
	v_xor_b32_e32 v18, v18, v20
	v_fmamk_f32 v20, v19, 0xb94c1982, v29
	v_fmaak_f32 v20, v19, v20, 0xbe2aaa9d
	v_mul_f32_e32 v20, v19, v20
	v_fmac_f32_e32 v46, v46, v20
	v_fmamk_f32 v20, v19, 0x37d75334, v30
	v_fmaak_f32 v20, v19, v20, 0x3d2aabf7
	v_fmaak_f32 v20, v19, v20, 0xbf000004
	v_fma_f32 v19, v19, v20, 1.0
	v_and_b32_e32 v20, 1, v4
	v_cmp_eq_u32_e64 s[12:13], 0, v20
	v_lshlrev_b32_e32 v4, 30, v4
	v_and_b32_e32 v4, 0x80000000, v4
	v_cndmask_b32_e64 v19, -v46, v19, s[12:13]
	v_xor_b32_e32 v4, v4, v19
	v_cndmask_b32_e64 v4, v36, v4, s[10:11]
	v_cndmask_b32_e64 v18, v36, v18, s[10:11]
	v_mul_f32_e32 v19, 0x7f800000, v4
	v_cmp_neq_f32_e64 s[10:11], 0, v4
	s_nop 1
	v_cndmask_b32_e64 v4, 0, v19, s[10:11]
	v_mul_f32_e32 v19, 0x7f800000, v18
	v_cmp_neq_f32_e64 s[10:11], 0, v18
	v_add_f32_e32 v9, v9, v4
	v_add_f32_e32 v20, -1.0, v9
	v_cndmask_b32_e64 v18, 0, v19, s[10:11]
	v_add_f32_e32 v4, v7, v18
	v_max_f32_e64 v7, |v20|, |v4|
	v_cvt_f64_f32_e32 v[18:19], v7
	v_frexp_exp_i32_f64_e32 v9, v[18:19]
	v_sub_u32_e32 v18, 0, v9
	v_ldexp_f32 v19, |v20|, v18
	v_ldexp_f32 v18, |v4|, v18
	v_mul_f32_e32 v18, v18, v18
	v_fmac_f32_e32 v18, v19, v19
	v_sqrt_f32_e32 v18, v18
	v_cmp_eq_f32_e64 s[10:11], s67, v7
	v_add_f32_e32 v7, 1.0, v20
	v_ldexp_f32 v9, v18, v9
	v_cmp_ngt_f32_e64 s[12:13], 0.5, v9
	v_max_f32_e64 v18, |v7|, |v4|
	s_or_b64 s[10:11], s[10:11], s[12:13]
	s_and_saveexec_b64 s[12:13], s[10:11]
	s_xor_b64 s[14:15], exec, s[12:13]
	s_cbranch_execz .LBB355_113
; %bb.112:                              ;   in Loop: Header=BB355_69 Depth=3
	v_cvt_f64_f32_e32 v[20:21], v18
	v_frexp_exp_i32_f64_e32 v9, v[20:21]
	v_sub_u32_e32 v19, 0, v9
	v_ldexp_f32 v20, |v7|, v19
	v_ldexp_f32 v19, |v4|, v19
	v_mul_f32_e32 v19, v19, v19
	v_fmac_f32_e32 v19, v20, v20
	v_sqrt_f32_e32 v19, v19
	v_cmp_neq_f32_e64 s[10:11], s67, v18
	v_ldexp_f32 v9, v19, v9
	s_nop 0
	v_cndmask_b32_e64 v9, v35, v9, s[10:11]
	v_cmp_gt_f32_e64 s[10:11], s52, v9
	s_nop 1
	v_cndmask_b32_e64 v19, 1.0, v37, s[10:11]
	v_mul_f32_e32 v9, v9, v19
	v_log_f32_e32 v9, v9
	s_nop 0
	v_mul_f32_e32 v19, 0x3f317217, v9
	v_fma_f32 v20, v9, s68, -v19
	v_fmac_f32_e32 v20, 0x3377d1cf, v9
	v_add_f32_e32 v19, v19, v20
	v_cmp_lt_f32_e64 s[12:13], |v9|, s67
	s_nop 1
	v_cndmask_b32_e64 v9, v9, v19, s[12:13]
	v_cndmask_b32_e64 v19, 0, v38, s[10:11]
	v_sub_f32_e32 v20, v9, v19
.LBB355_113:                            ;   in Loop: Header=BB355_69 Depth=3
	s_andn2_saveexec_b64 s[12:13], s[14:15]
	s_cbranch_execz .LBB355_64
; %bb.114:                              ;   in Loop: Header=BB355_69 Depth=3
	v_add_f32_e32 v9, 2.0, v20
	v_mul_f32_e32 v19, v20, v9
	v_fmac_f32_e32 v19, v4, v4
	v_cmp_neq_f32_e64 s[10:11], 0, v19
	s_and_saveexec_b64 s[14:15], s[10:11]
	s_cbranch_execz .LBB355_63
; %bb.115:                              ;   in Loop: Header=BB355_69 Depth=3
	v_add_f32_e32 v9, 1.0, v19
	v_add_f32_e32 v20, -1.0, v9
	v_sub_f32_e32 v21, v20, v9
	v_add_f32_e32 v21, 1.0, v21
	v_sub_f32_e32 v20, v19, v20
	v_add_f32_e32 v22, v20, v21
	v_frexp_mant_f32_e32 v23, v9
	v_cvt_f64_f32_e32 v[20:21], v9
	v_frexp_exp_i32_f64_e32 v20, v[20:21]
	v_cmp_gt_f32_e64 s[10:11], s69, v23
	s_nop 1
	v_subbrev_co_u32_e64 v43, s[10:11], 0, v20, s[10:11]
	v_sub_u32_e32 v20, 0, v43
	v_ldexp_f32 v9, v9, v20
	v_ldexp_f32 v20, v22, v20
	v_add_f32_e32 v22, -1.0, v9
	v_add_f32_e32 v21, 1.0, v22
	v_sub_f32_e32 v21, v9, v21
	v_add_f32_e32 v23, v20, v21
	v_add_f32_e32 v21, 1.0, v9
	v_add_f32_e32 v24, -1.0, v21
	v_sub_f32_e32 v9, v9, v24
	v_add_f32_e32 v9, v20, v9
	v_add_f32_e32 v46, v21, v9
	v_rcp_f32_e32 v47, v46
	v_sub_f32_e32 v20, v46, v21
	v_add_f32_e32 v21, v22, v23
	v_sub_f32_e32 v9, v9, v20
	v_mul_f32_e32 v49, v21, v47
	v_sub_f32_e32 v20, v21, v22
	v_mul_f32_e32 v22, v46, v49
	v_fma_f32 v24, v49, v46, -v22
	v_fmac_f32_e32 v24, v49, v9
	v_sub_f32_e32 v48, v23, v20
	v_add_f32_e32 v20, v22, v24
	v_sub_f32_e32 v23, v21, v20
	v_pk_add_f32 v[44:45], v[20:21], v[22:23] neg_lo:[0,1] neg_hi:[0,1]
	v_mov_b32_e32 v25, v20
	v_pk_add_f32 v[20:21], v[44:45], v[24:25] neg_lo:[0,1] neg_hi:[0,1]
	v_cmp_eq_f32_e64 s[10:11], s67, v19
	v_add_f32_e32 v21, v48, v21
	v_add_f32_e32 v20, v20, v21
	;; [unrolled: 1-line block ×3, first 2 shown]
	v_mul_f32_e32 v48, v47, v21
	v_mul_f32_e32 v22, v46, v48
	v_fma_f32 v24, v48, v46, -v22
	v_fmac_f32_e32 v24, v48, v9
	v_sub_f32_e32 v9, v23, v21
	v_add_f32_e32 v9, v20, v9
	v_add_f32_e32 v20, v22, v24
	v_sub_f32_e32 v23, v21, v20
	v_pk_add_f32 v[44:45], v[20:21], v[22:23] neg_lo:[0,1] neg_hi:[0,1]
	v_mov_b32_e32 v25, v20
	v_pk_add_f32 v[20:21], v[44:45], v[24:25] neg_lo:[0,1] neg_hi:[0,1]
	s_nop 0
	v_add_f32_e32 v9, v9, v21
	v_add_f32_e32 v9, v20, v9
	;; [unrolled: 1-line block ×4, first 2 shown]
	v_sub_f32_e32 v20, v21, v49
	v_mul_f32_e32 v9, v47, v9
	v_sub_f32_e32 v20, v48, v20
	v_add_f32_e32 v22, v20, v9
	v_add_f32_e32 v24, v21, v22
	v_cvt_f32_i32_e32 v20, v43
	v_mul_f32_e32 v25, v24, v24
	v_sub_f32_e32 v21, v24, v21
	v_fmamk_f32 v9, v25, 0x3e9b6dac, v31
	v_sub_f32_e32 v21, v22, v21
	v_fmaak_f32 v9, v25, v9, 0x3f2aaada
	v_ldexp_f32 v43, v21, 1
	v_mul_f32_e32 v21, v24, v25
	v_ldexp_f32 v23, v24, 1
	v_pk_mul_f32 v[24:25], v[20:21], v[8:9]
	s_nop 0
	v_fma_f32 v22, v20, s70, -v24
	v_fmac_f32_e32 v22, 0xb102e308, v20
	v_pk_add_f32 v[20:21], v[24:25], v[22:23]
	v_mov_b32_e32 v44, v24
	v_sub_f32_e32 v9, v21, v23
	v_sub_f32_e32 v9, v25, v9
	v_add_f32_e32 v45, v43, v9
	v_pk_add_f32 v[24:25], v[20:21], v[24:25] neg_lo:[0,1] neg_hi:[0,1]
	v_pk_add_f32 v[46:47], v[20:21], v[44:45]
	v_mov_b32_e32 v23, v20
	v_mov_b32_e32 v25, v47
	v_pk_add_f32 v[48:49], v[22:23], v[24:25] neg_lo:[0,1] neg_hi:[0,1]
	v_pk_add_f32 v[22:23], v[22:23], v[24:25]
	v_mov_b32_e32 v44, v45
	v_mov_b32_e32 v24, v23
	v_pk_add_f32 v[50:51], v[24:25], v[20:21] neg_lo:[0,1] neg_hi:[0,1]
	v_mov_b32_e32 v22, v47
	v_mov_b32_e32 v9, v50
	v_pk_add_f32 v[52:53], v[46:47], v[8:9] neg_lo:[0,1] neg_hi:[0,1]
	v_mov_b32_e32 v46, v21
	v_mov_b32_e32 v47, v50
	;; [unrolled: 1-line block ×3, first 2 shown]
	v_pk_add_f32 v[22:23], v[22:23], v[46:47] neg_lo:[0,1] neg_hi:[0,1]
	v_mov_b32_e32 v45, v20
	v_pk_add_f32 v[20:21], v[44:45], v[22:23] neg_lo:[0,1] neg_hi:[0,1]
	v_mov_b32_e32 v52, v48
	v_pk_add_f32 v[22:23], v[52:53], v[20:21]
	s_nop 0
	v_mov_b32_e32 v44, v23
	v_pk_add_f32 v[44:45], v[22:23], v[44:45]
	s_nop 0
	v_pk_add_f32 v[24:25], v[24:25], v[44:45]
	v_mov_b32_e32 v21, v44
	v_mov_b32_e32 v23, v24
	v_pk_add_f32 v[46:47], v[22:23], v[48:49] neg_lo:[0,1] neg_hi:[0,1]
	s_nop 0
	v_sub_f32_e32 v9, v22, v46
	v_pk_add_f32 v[20:21], v[20:21], v[46:47] neg_lo:[0,1] neg_hi:[0,1]
	v_sub_f32_e32 v9, v48, v9
	v_add_f32_e32 v9, v20, v9
	v_add_f32_e32 v9, v9, v21
	;; [unrolled: 1-line block ×3, first 2 shown]
	v_cndmask_b32_e64 v9, v9, v19, s[10:11]
	v_cmp_ngt_f32_e64 s[10:11], -1.0, v19
	s_nop 1
	v_cndmask_b32_e64 v9, v36, v9, s[10:11]
	v_cmp_neq_f32_e64 s[10:11], -1.0, v19
	s_nop 1
	v_cndmask_b32_e64 v9, v39, v9, s[10:11]
	v_cmp_lt_f32_e64 s[10:11], |v19|, s60
	s_nop 1
	v_cndmask_b32_e64 v9, v9, v19, s[10:11]
	v_mul_f32_e32 v20, 0.5, v9
	s_branch .LBB355_63
.LBB355_116:                            ;   in Loop: Header=BB355_7 Depth=2
	s_or_b64 exec, exec, s[34:35]
	s_and_saveexec_b64 s[12:13], vcc
	s_cbranch_execz .LBB355_6
; %bb.117:                              ;   in Loop: Header=BB355_7 Depth=2
	v_cmp_gt_u32_e64 s[10:11], s25, v16
	s_and_saveexec_b64 s[14:15], s[10:11]
	s_cbranch_execz .LBB355_119
; %bb.118:                              ;   in Loop: Header=BB355_7 Depth=2
	ds_read_b64 v[18:19], v3
	v_mov_b32_e32 v17, v5
	v_lshl_add_u64 v[16:17], v[16:17], 3, v[12:13]
	s_waitcnt lgkmcnt(0)
	global_store_dwordx2 v[16:17], v[18:19], off
.LBB355_119:                            ;   in Loop: Header=BB355_7 Depth=2
	s_or_b64 exec, exec, s[14:15]
	v_cmp_gt_u32_e64 s[10:11], s25, v14
	s_and_b64 exec, exec, s[10:11]
	s_cbranch_execz .LBB355_6
; %bb.120:                              ;   in Loop: Header=BB355_7 Depth=2
	ds_read_b64 v[16:17], v27
	v_mov_b32_e32 v15, v5
	v_lshl_add_u64 v[14:15], v[14:15], 3, v[12:13]
	s_waitcnt lgkmcnt(0)
	global_store_dwordx2 v[14:15], v[16:17], off
	s_branch .LBB355_6
.LBB355_121:
	s_mov_b64 s[4:5], 0
.LBB355_122:
	s_andn2_b64 vcc, exec, s[4:5]
	s_cbranch_vccnz .LBB355_245
; %bb.123:
	s_load_dword s3, s[0:1], 0x3c
	s_add_u32 s4, s0, 48
	s_mov_b32 s29, 0
	s_addc_u32 s5, s1, 0
	v_mov_b64_e32 v[4:5], s[28:29]
	s_waitcnt lgkmcnt(0)
	s_lshr_b32 s0, s3, 16
	s_mul_hi_u32 s15, s0, s2
	s_mul_i32 s14, s0, s2
	v_cmp_ge_u64_e32 vcc, s[14:15], v[4:5]
	s_cbranch_vccnz .LBB355_245
; %bb.124:
	s_lshl_b32 s16, 1, s26
	s_load_dword s4, s[4:5], 0x0
	s_and_b32 s6, 0xffff, s0
	s_ashr_i32 s17, s16, 31
	s_cmp_lg_u32 s25, 0
	s_mov_b32 s30, s25
	v_and_b32_e32 v4, 0x3ff, v0
	s_cselect_b64 s[2:3], -1, 0
	s_lshl_b64 s[24:25], s[16:17], 1
	v_mov_b32_e32 v1, 0
	v_lshl_add_u32 v27, v4, 3, v26
	s_lshl_b32 s5, s24, 3
	v_cndmask_b32_e64 v0, 0, 1, s[2:3]
	v_mov_b32_e32 v3, v1
	s_mov_b32 s31, s29
	v_mov_b32_e32 v5, v1
	v_lshl_add_u32 v28, s16, 3, v27
	v_cmp_eq_u32_e64 s[0:1], 0, v4
	v_add3_u32 v29, v26, s5, -8
	s_waitcnt lgkmcnt(0)
	s_mul_i32 s33, s4, s6
	s_add_i32 s50, s26, 1
	v_cmp_ne_u32_e64 s[2:3], 1, v0
	s_mov_b32 s26, 0x7fc00000
	s_movk_i32 s51, 0x1f8
	s_brev_b32 s52, -2
	s_brev_b32 s53, 18
	s_mov_b32 s54, 0x800000
	s_mov_b32 s55, 0xfe5163ab
	;; [unrolled: 1-line block ×16, first 2 shown]
	v_mov_b32_e32 v30, 0x3c0881c4
	v_mov_b32_e32 v31, 0xbab64f3b
	v_mov_b32_e32 v6, 1.0
	s_mov_b32 s70, 0x3f317217
	s_mov_b32 s71, 0x3f2aaaab
	v_mov_b32_e32 v32, 0x3ecc95a3
	s_mov_b32 s72, 0x3f317218
	s_movk_i32 s73, 0x204
	v_mov_b32_e32 v33, 0xbc7a590c
	v_not_b32_e32 v34, 63
	v_not_b32_e32 v35, 31
	v_mov_b32_e32 v36, 0x7f800000
	v_mov_b32_e32 v37, 0x7fc00000
	;; [unrolled: 1-line block ×9, first 2 shown]
                                        ; implicit-def: $vgpr0
                                        ; implicit-def: $vgpr0
	;; [unrolled: 1-line block ×10, first 2 shown]
	s_branch .LBB355_126
.LBB355_125:                            ;   in Loop: Header=BB355_126 Depth=1
	s_add_u32 s14, s14, s33
	s_addc_u32 s15, s15, 0
	v_mov_b64_e32 v[10:11], s[28:29]
	v_cmp_ge_u64_e32 vcc, s[14:15], v[10:11]
	s_cbranch_vccnz .LBB355_245
.LBB355_126:                            ; =>This Loop Header: Depth=1
                                        ;     Child Loop BB355_129 Depth 2
                                        ;       Child Loop BB355_191 Depth 3
	s_and_b64 vcc, exec, s[2:3]
	s_cbranch_vccnz .LBB355_125
; %bb.127:                              ;   in Loop: Header=BB355_126 Depth=1
	v_lshl_add_u64 v[14:15], s[14:15], 0, v[2:3]
	v_mad_u64_u32 v[10:11], s[4:5], v14, s30, 0
	v_mov_b32_e32 v0, v11
	v_mad_u64_u32 v[12:13], s[4:5], v15, s30, v[0:1]
	v_mov_b32_e32 v11, v12
	v_lshlrev_b64 v[12:13], 3, v[10:11]
	v_lshl_add_u64 v[10:11], s[22:23], 0, v[12:13]
	v_lshl_add_u64 v[12:13], s[20:21], 0, v[12:13]
	v_cmp_gt_u64_e64 s[4:5], s[28:29], v[14:15]
	v_cmp_le_u64_e64 s[6:7], s[28:29], v[14:15]
	s_mov_b64 s[34:35], 0
	v_mov_b64_e32 v[18:19], s[18:19]
	s_branch .LBB355_129
.LBB355_128:                            ;   in Loop: Header=BB355_129 Depth=2
	s_or_b64 exec, exec, s[8:9]
	ds_read_b64 v[18:19], v29
	s_add_u32 s34, s34, s24
	s_addc_u32 s35, s35, s25
	v_mov_b64_e32 v[14:15], s[30:31]
	v_cmp_ge_u64_e32 vcc, s[34:35], v[14:15]
	s_waitcnt lgkmcnt(0)
	s_barrier
	s_cbranch_vccnz .LBB355_125
.LBB355_129:                            ;   Parent Loop BB355_126 Depth=1
                                        ; =>  This Loop Header: Depth=2
                                        ;       Child Loop BB355_191 Depth 3
	v_lshl_add_u64 v[16:17], s[34:35], 0, v[4:5]
	v_lshl_add_u64 v[14:15], v[16:17], 0, s[16:17]
	s_and_saveexec_b64 s[36:37], s[4:5]
	s_cbranch_execz .LBB355_184
; %bb.130:                              ;   in Loop: Header=BB355_129 Depth=2
	v_cmp_gt_u64_e32 vcc, s[30:31], v[16:17]
	v_mov_b64_e32 v[20:21], s[18:19]
	s_and_saveexec_b64 s[8:9], vcc
	s_cbranch_execz .LBB355_132
; %bb.131:                              ;   in Loop: Header=BB355_129 Depth=2
	v_lshl_add_u64 v[20:21], v[16:17], 3, v[10:11]
	global_load_dwordx2 v[20:21], v[20:21], off
.LBB355_132:                            ;   in Loop: Header=BB355_129 Depth=2
	s_or_b64 exec, exec, s[8:9]
	s_waitcnt vmcnt(0)
	ds_write_b64 v27, v[20:21]
	v_cmp_gt_u64_e32 vcc, s[30:31], v[14:15]
	v_mov_b64_e32 v[20:21], s[18:19]
	s_and_saveexec_b64 s[8:9], vcc
	s_cbranch_execz .LBB355_134
; %bb.133:                              ;   in Loop: Header=BB355_129 Depth=2
	v_lshl_add_u64 v[20:21], v[14:15], 3, v[10:11]
	global_load_dwordx2 v[20:21], v[20:21], off
.LBB355_134:                            ;   in Loop: Header=BB355_129 Depth=2
	s_or_b64 exec, exec, s[8:9]
	s_waitcnt vmcnt(0)
	ds_write_b64 v28, v[20:21]
	s_and_b64 exec, exec, s[0:1]
	s_cbranch_execz .LBB355_184
; %bb.135:                              ;   in Loop: Header=BB355_129 Depth=2
	ds_read_b64 v[24:25], v26
	v_cmp_o_f32_e32 vcc, v18, v18
	v_cmp_o_f32_e64 s[8:9], v19, v19
	s_and_b64 s[10:11], vcc, s[8:9]
	v_mov_b32_e32 v23, v19
	v_mov_b64_e32 v[20:21], v[18:19]
	s_and_saveexec_b64 s[12:13], s[10:11]
	s_cbranch_execz .LBB355_137
; %bb.136:                              ;   in Loop: Header=BB355_129 Depth=2
	s_waitcnt lgkmcnt(0)
	v_cmp_u_f32_e32 vcc, v24, v24
	v_cmp_u_f32_e64 s[8:9], v25, v25
	s_or_b64 s[8:9], vcc, s[8:9]
	v_cmp_lt_f32_e32 vcc, v24, v18
	s_or_b64 vcc, vcc, s[8:9]
	s_nop 0
	v_cndmask_b32_e32 v23, v19, v25, vcc
	v_cndmask_b32_e32 v22, v18, v24, vcc
	v_mov_b64_e32 v[20:21], v[22:23]
.LBB355_137:                            ;   in Loop: Header=BB355_129 Depth=2
	s_or_b64 exec, exec, s[12:13]
	s_and_saveexec_b64 s[8:9], s[10:11]
	s_xor_b64 s[10:11], exec, s[8:9]
	s_cbranch_execz .LBB355_139
; %bb.138:                              ;   in Loop: Header=BB355_129 Depth=2
	s_waitcnt lgkmcnt(0)
	v_cmp_u_f32_e32 vcc, v24, v24
	v_cmp_u_f32_e64 s[8:9], v25, v25
	s_or_b64 s[8:9], vcc, s[8:9]
	v_cmp_ge_f32_e32 vcc, v24, v18
	s_or_b64 vcc, vcc, s[8:9]
	s_nop 0
	v_cndmask_b32_e32 v19, v19, v25, vcc
	v_cndmask_b32_e32 v18, v18, v24, vcc
.LBB355_139:                            ;   in Loop: Header=BB355_129 Depth=2
	s_andn2_saveexec_b64 s[8:9], s[10:11]
	s_or_b64 exec, exec, s[8:9]
	v_cmp_o_f32_e32 vcc, v20, v20
	v_cmp_o_f32_e64 s[8:9], v21, v21
	s_mov_b32 s27, s26
	s_and_b64 s[8:9], vcc, s[8:9]
	s_waitcnt lgkmcnt(0)
	v_mov_b64_e32 v[24:25], s[26:27]
	s_and_saveexec_b64 s[38:39], s[8:9]
	s_cbranch_execz .LBB355_183
; %bb.140:                              ;   in Loop: Header=BB355_129 Depth=2
	v_cmp_class_f32_e64 s[8:9], v20, s51
	v_cmp_neq_f32_e32 vcc, v18, v20
	s_or_b64 s[8:9], s[8:9], vcc
	s_and_saveexec_b64 s[10:11], s[8:9]
	s_xor_b64 s[40:41], exec, s[10:11]
	s_cbranch_execz .LBB355_156
; %bb.141:                              ;   in Loop: Header=BB355_129 Depth=2
	v_pk_add_f32 v[20:21], v[20:21], v[18:19] neg_lo:[0,1] neg_hi:[0,1]
                                        ; implicit-def: $vgpr22
	s_nop 0
	v_and_b32_e32 v7, 0x7fffffff, v21
	v_lshrrev_b32_e32 v0, 23, v7
	v_and_b32_e32 v9, 0x7fffff, v7
	v_cmp_nlt_f32_e64 s[42:43], |v21|, s53
	v_add_u32_e32 v24, 0xffffff88, v0
	v_or_b32_e32 v23, 0x800000, v9
                                        ; implicit-def: $vgpr9
	s_and_saveexec_b64 s[8:9], s[42:43]
	s_xor_b64 s[44:45], exec, s[8:9]
	s_cbranch_execz .LBB355_143
; %bb.142:                              ;   in Loop: Header=BB355_129 Depth=2
	v_cmp_lt_u32_e32 vcc, 63, v24
	v_mad_u64_u32 v[44:45], s[12:13], v23, s55, 0
	s_nop 0
	v_cndmask_b32_e32 v0, 0, v34, vcc
	v_add_u32_e32 v0, v0, v24
	v_cmp_lt_u32_e64 s[8:9], 31, v0
	s_nop 1
	v_cndmask_b32_e64 v9, 0, v35, s[8:9]
	v_add_u32_e32 v0, v9, v0
	v_cmp_lt_u32_e64 s[10:11], 31, v0
	s_nop 1
	v_cndmask_b32_e64 v9, 0, v35, s[10:11]
	v_add_u32_e32 v9, v9, v0
	v_mov_b32_e32 v0, v45
	v_mad_u64_u32 v[46:47], s[12:13], v23, s56, v[0:1]
	v_mov_b32_e32 v0, v47
	v_mad_u64_u32 v[48:49], s[12:13], v23, s57, v[0:1]
	;; [unrolled: 2-line block ×6, first 2 shown]
	v_cndmask_b32_e32 v22, v54, v50, vcc
	v_cndmask_b32_e32 v0, v56, v52, vcc
	;; [unrolled: 1-line block ×3, first 2 shown]
	v_cndmask_b32_e64 v25, v0, v22, s[8:9]
	v_cndmask_b32_e64 v0, v45, v0, s[8:9]
	v_cndmask_b32_e32 v45, v52, v48, vcc
	v_cndmask_b32_e64 v22, v22, v45, s[8:9]
	v_sub_u32_e32 v47, 32, v9
	v_cmp_eq_u32_e64 s[12:13], 0, v9
	v_cndmask_b32_e32 v9, v50, v46, vcc
	v_cndmask_b32_e64 v0, v0, v25, s[10:11]
	v_cndmask_b32_e64 v25, v25, v22, s[10:11]
	;; [unrolled: 1-line block ×3, first 2 shown]
	v_alignbit_b32 v49, v0, v25, v47
	v_cndmask_b32_e64 v22, v22, v45, s[10:11]
	v_cndmask_b32_e64 v0, v49, v0, s[12:13]
	v_alignbit_b32 v46, v25, v22, v47
	v_cndmask_b32_e32 v44, v48, v44, vcc
	v_cndmask_b32_e64 v25, v46, v25, s[12:13]
	v_bfe_u32 v50, v0, 29, 1
	v_cndmask_b32_e64 v9, v9, v44, s[8:9]
	v_alignbit_b32 v46, v0, v25, 30
	v_sub_u32_e32 v51, 0, v50
	v_cndmask_b32_e64 v9, v45, v9, s[10:11]
	v_xor_b32_e32 v52, v46, v51
	v_alignbit_b32 v44, v22, v9, v47
	v_cndmask_b32_e64 v22, v44, v22, s[12:13]
	v_ffbh_u32_e32 v44, v52
	v_add_u32_e32 v44, 1, v44
	v_cmp_ne_u32_e32 vcc, v46, v51
	v_alignbit_b32 v25, v25, v22, 30
	v_alignbit_b32 v9, v22, v9, 30
	v_cndmask_b32_e32 v44, 33, v44, vcc
	v_xor_b32_e32 v25, v25, v51
	v_sub_u32_e32 v45, 32, v44
	v_xor_b32_e32 v9, v9, v51
	v_alignbit_b32 v46, v52, v25, v45
	v_alignbit_b32 v9, v25, v9, v45
	;; [unrolled: 1-line block ×3, first 2 shown]
	v_ffbh_u32_e32 v25, v22
	v_min_u32_e32 v25, 32, v25
	v_lshrrev_b32_e32 v49, 29, v0
	v_sub_u32_e32 v45, 31, v25
	v_alignbit_b32 v9, v22, v9, v45
	v_lshlrev_b32_e32 v22, 31, v49
	v_or_b32_e32 v45, 0x33800000, v22
	v_add_lshl_u32 v25, v25, v44, 23
	v_lshrrev_b32_e32 v9, 9, v9
	v_sub_u32_e32 v25, v45, v25
	v_or_b32_e32 v9, v25, v9
	v_alignbit_b32 v25, v44, v46, 9
	v_or_b32_e32 v22, v25, v22
	v_xor_b32_e32 v22, 1.0, v22
	v_mul_f32_e32 v25, 0x3fc90fda, v22
	v_fma_f32 v44, v22, s63, -v25
	v_fmac_f32_e32 v44, 0x33a22168, v22
	v_fmac_f32_e32 v44, 0x3fc90fda, v9
	v_lshrrev_b32_e32 v0, 30, v0
	v_add_f32_e32 v22, v25, v44
	v_add_u32_e32 v9, v50, v0
.LBB355_143:                            ;   in Loop: Header=BB355_129 Depth=2
	s_or_saveexec_b64 s[8:9], s[44:45]
	v_mul_f32_e64 v0, |v21|, s64
	v_rndne_f32_e32 v44, v0
	s_xor_b64 exec, exec, s[8:9]
; %bb.144:                              ;   in Loop: Header=BB355_129 Depth=2
	v_cvt_i32_f32_e32 v9, v44
	v_fma_f32 v22, v44, s65, |v21|
	v_fmac_f32_e32 v22, 0xb3a22168, v44
	v_fmac_f32_e32 v22, 0xa7c234c4, v44
; %bb.145:                              ;   in Loop: Header=BB355_129 Depth=2
	s_or_b64 exec, exec, s[8:9]
                                        ; implicit-def: $vgpr0
                                        ; implicit-def: $vgpr25
	s_and_saveexec_b64 s[8:9], s[42:43]
	s_xor_b64 s[42:43], exec, s[8:9]
	s_cbranch_execz .LBB355_147
; %bb.146:                              ;   in Loop: Header=BB355_129 Depth=2
	v_cmp_lt_u32_e32 vcc, 63, v24
	s_nop 1
	v_cndmask_b32_e32 v0, 0, v34, vcc
	v_add_u32_e32 v0, v0, v24
	v_cmp_lt_u32_e64 s[8:9], 31, v0
	s_nop 1
	v_cndmask_b32_e64 v24, 0, v35, s[8:9]
	v_add_u32_e32 v0, v24, v0
	v_cmp_lt_u32_e64 s[10:11], 31, v0
	s_nop 1
	v_cndmask_b32_e64 v24, 0, v35, s[10:11]
	v_add_u32_e32 v56, v24, v0
	v_mad_u64_u32 v[24:25], s[12:13], v23, s55, 0
	v_mov_b32_e32 v0, v25
	v_mad_u64_u32 v[44:45], s[12:13], v23, s56, v[0:1]
	v_mov_b32_e32 v0, v45
	;; [unrolled: 2-line block ×6, first 2 shown]
	v_mad_u64_u32 v[54:55], s[12:13], v23, s61, v[0:1]
	v_cndmask_b32_e32 v25, v52, v48, vcc
	v_cndmask_b32_e32 v0, v54, v50, vcc
	;; [unrolled: 1-line block ×3, first 2 shown]
	v_cndmask_b32_e64 v23, v0, v25, s[8:9]
	v_cndmask_b32_e64 v0, v45, v0, s[8:9]
	v_cndmask_b32_e32 v45, v50, v46, vcc
	v_cndmask_b32_e64 v25, v25, v45, s[8:9]
	v_cndmask_b32_e32 v44, v48, v44, vcc
	v_cndmask_b32_e64 v0, v0, v23, s[10:11]
	v_cndmask_b32_e64 v23, v23, v25, s[10:11]
	v_sub_u32_e32 v47, 32, v56
	v_cndmask_b32_e64 v45, v45, v44, s[8:9]
	v_alignbit_b32 v49, v0, v23, v47
	v_cmp_eq_u32_e64 s[12:13], 0, v56
	v_cndmask_b32_e64 v25, v25, v45, s[10:11]
	v_alignbit_b32 v48, v23, v25, v47
	v_cndmask_b32_e64 v0, v49, v0, s[12:13]
	v_cndmask_b32_e32 v24, v46, v24, vcc
	v_cndmask_b32_e64 v23, v48, v23, s[12:13]
	v_bfe_u32 v50, v0, 29, 1
	v_cndmask_b32_e64 v24, v44, v24, s[8:9]
	v_alignbit_b32 v48, v0, v23, 30
	v_sub_u32_e32 v51, 0, v50
	v_cndmask_b32_e64 v24, v45, v24, s[10:11]
	v_xor_b32_e32 v52, v48, v51
	v_alignbit_b32 v44, v25, v24, v47
	v_cndmask_b32_e64 v25, v44, v25, s[12:13]
	v_ffbh_u32_e32 v44, v52
	v_add_u32_e32 v44, 1, v44
	v_cmp_ne_u32_e32 vcc, v48, v51
	v_alignbit_b32 v23, v23, v25, 30
	v_alignbit_b32 v24, v25, v24, 30
	v_cndmask_b32_e32 v44, 33, v44, vcc
	v_xor_b32_e32 v23, v23, v51
	v_sub_u32_e32 v45, 32, v44
	v_xor_b32_e32 v24, v24, v51
	v_alignbit_b32 v46, v52, v23, v45
	v_alignbit_b32 v23, v23, v24, v45
	;; [unrolled: 1-line block ×3, first 2 shown]
	v_ffbh_u32_e32 v25, v24
	v_min_u32_e32 v25, 32, v25
	v_lshrrev_b32_e32 v49, 29, v0
	v_sub_u32_e32 v45, 31, v25
	v_alignbit_b32 v23, v24, v23, v45
	v_lshlrev_b32_e32 v24, 31, v49
	v_or_b32_e32 v45, 0x33800000, v24
	v_add_lshl_u32 v25, v25, v44, 23
	v_lshrrev_b32_e32 v23, 9, v23
	v_sub_u32_e32 v25, v45, v25
	v_or_b32_e32 v23, v25, v23
	v_alignbit_b32 v25, v44, v46, 9
	v_or_b32_e32 v24, v25, v24
	v_xor_b32_e32 v24, 1.0, v24
	v_mul_f32_e32 v25, 0x3fc90fda, v24
	v_fma_f32 v44, v24, s63, -v25
	v_fmac_f32_e32 v44, 0x33a22168, v24
	v_fmac_f32_e32 v44, 0x3fc90fda, v23
	v_lshrrev_b32_e32 v0, 30, v0
	v_add_f32_e32 v25, v25, v44
	v_add_u32_e32 v0, v50, v0
                                        ; implicit-def: $vgpr44
	s_andn2_saveexec_b64 s[8:9], s[42:43]
	s_cbranch_execnz .LBB355_148
	s_branch .LBB355_149
.LBB355_147:                            ;   in Loop: Header=BB355_129 Depth=2
	s_andn2_saveexec_b64 s[8:9], s[42:43]
.LBB355_148:                            ;   in Loop: Header=BB355_129 Depth=2
	v_cvt_i32_f32_e32 v0, v44
	v_fma_f32 v25, v44, s65, |v21|
	v_fmac_f32_e32 v25, 0xb3a22168, v44
	v_fmac_f32_e32 v25, 0xa7c234c4, v44
.LBB355_149:                            ;   in Loop: Header=BB355_129 Depth=2
	s_or_b64 exec, exec, s[8:9]
	v_mul_f32_e32 v23, 0x3fb8aa3b, v20
	v_rndne_f32_e32 v24, v23
	v_sub_f32_e32 v44, v23, v24
	v_fma_f32 v23, v20, s66, -v23
	v_fmac_f32_e32 v23, 0x32a5705f, v20
	v_add_f32_e32 v23, v44, v23
	v_cvt_i32_f32_e32 v24, v24
	v_exp_f32_e32 v23, v23
	v_cmp_ngt_f32_e32 vcc, s67, v20
	v_and_b32_e32 v47, 1, v0
	v_lshlrev_b32_e32 v0, 30, v0
	v_ldexp_f32 v23, v23, v24
	v_cndmask_b32_e32 v23, 0, v23, vcc
	v_cmp_nlt_f32_e32 vcc, s68, v20
	v_mov_b32_e32 v44, v22
	v_and_b32_e32 v0, 0x80000000, v0
	v_cndmask_b32_e32 v20, v36, v23, vcc
	v_lshlrev_b32_e32 v23, 30, v9
	v_and_b32_e32 v46, 0x80000000, v23
	v_mul_f32_e32 v23, v25, v25
	v_fmamk_f32 v24, v23, 0xb94c1982, v30
	v_fmaak_f32 v45, v23, v24, 0xbe2aaa9d
	v_fmamk_f32 v24, v23, 0x37d75334, v31
	v_xor_b32_e32 v7, v7, v21
	v_pk_mul_f32 v[44:45], v[22:23], v[44:45]
	v_fmaak_f32 v24, v23, v24, 0x3d2aabf7
	v_xor_b32_e32 v0, v7, v0
	v_fmamk_f32 v7, v44, 0x37d75334, v31
	v_fmaak_f32 v24, v23, v24, 0xbf000004
	v_fmaak_f32 v7, v44, v7, 0x3d2aabf7
	v_fma_f32 v48, v23, v24, 1.0
	v_fmaak_f32 v24, v44, v7, 0xbf000004
	v_fmamk_f32 v7, v44, 0xb94c1982, v30
	v_fmaak_f32 v7, v44, v7, 0xbe2aaa9d
	v_mul_f32_e32 v7, v44, v7
	v_fmac_f32_e32 v22, v22, v7
	v_mov_b32_e32 v7, v25
	v_and_b32_e32 v9, 1, v9
	v_pk_fma_f32 v[24:25], v[44:45], v[24:25], v[6:7]
	v_cmp_eq_u32_e32 vcc, 0, v47
	s_nop 1
	v_cndmask_b32_e32 v7, v48, v25, vcc
	v_cmp_eq_u32_e32 vcc, 0, v9
	v_xor_b32_e32 v0, v0, v7
	s_nop 0
	v_cndmask_b32_e64 v9, -v22, v24, vcc
	v_xor_b32_e32 v9, v46, v9
	v_cmp_class_f32_e64 vcc, v21, s51
	s_nop 1
	v_cndmask_b32_e32 v23, v37, v0, vcc
	v_cndmask_b32_e32 v22, v37, v9, vcc
	v_pk_mul_f32 v[20:21], v[20:21], v[22:23] op_sel_hi:[0,1]
	v_max_f32_e64 v0, |v20|, |v21|
	v_cvt_f64_f32_e32 v[22:23], v0
	v_frexp_exp_i32_f64_e32 v7, v[22:23]
	v_sub_u32_e32 v9, 0, v7
	v_ldexp_f32 v22, |v20|, v9
	v_ldexp_f32 v9, |v21|, v9
	v_mul_f32_e32 v9, v9, v9
	v_fmac_f32_e32 v9, v22, v22
	v_sqrt_f32_e32 v9, v9
	v_cmp_eq_f32_e32 vcc, s69, v0
	v_add_f32_e32 v0, 1.0, v20
                                        ; implicit-def: $vgpr22
	v_ldexp_f32 v7, v9, v7
	v_cmp_ngt_f32_e64 s[8:9], 0.5, v7
	v_max_f32_e64 v7, |v0|, |v21|
	s_or_b64 s[8:9], vcc, s[8:9]
	s_and_saveexec_b64 s[10:11], s[8:9]
	s_xor_b64 s[10:11], exec, s[10:11]
	s_cbranch_execz .LBB355_151
; %bb.150:                              ;   in Loop: Header=BB355_129 Depth=2
	v_cvt_f64_f32_e32 v[22:23], v7
	v_frexp_exp_i32_f64_e32 v9, v[22:23]
	v_sub_u32_e32 v22, 0, v9
	v_ldexp_f32 v23, |v0|, v22
	v_ldexp_f32 v22, |v21|, v22
	v_mul_f32_e32 v22, v22, v22
	v_fmac_f32_e32 v22, v23, v23
	v_sqrt_f32_e32 v22, v22
	v_cmp_neq_f32_e32 vcc, s69, v7
	v_ldexp_f32 v9, v22, v9
	s_nop 0
	v_cndmask_b32_e32 v9, v36, v9, vcc
	v_cmp_gt_f32_e32 vcc, s54, v9
	s_nop 1
	v_cndmask_b32_e32 v22, 1.0, v38, vcc
	v_mul_f32_e32 v9, v9, v22
	v_log_f32_e32 v9, v9
	s_nop 0
	v_mul_f32_e32 v22, 0x3f317217, v9
	v_fma_f32 v23, v9, s70, -v22
	v_fmac_f32_e32 v23, 0x3377d1cf, v9
	v_add_f32_e32 v22, v22, v23
	v_cmp_lt_f32_e64 s[8:9], |v9|, s69
	s_nop 1
	v_cndmask_b32_e64 v9, v9, v22, s[8:9]
	v_cndmask_b32_e32 v22, 0, v39, vcc
	v_sub_f32_e32 v22, v9, v22
.LBB355_151:                            ;   in Loop: Header=BB355_129 Depth=2
	s_andn2_saveexec_b64 s[8:9], s[10:11]
	s_cbranch_execz .LBB355_155
; %bb.152:                              ;   in Loop: Header=BB355_129 Depth=2
	v_add_f32_e32 v22, 2.0, v20
	v_mov_b32_e32 v23, v21
	v_pk_mul_f32 v[22:23], v[20:21], v[22:23]
	s_nop 0
	v_add_f32_e32 v22, v22, v23
	v_cmp_neq_f32_e32 vcc, 0, v22
	s_and_saveexec_b64 s[10:11], vcc
	s_cbranch_execz .LBB355_154
; %bb.153:                              ;   in Loop: Header=BB355_129 Depth=2
	v_add_f32_e32 v9, 1.0, v22
	v_add_f32_e32 v20, -1.0, v9
	v_sub_f32_e32 v23, v20, v9
	v_add_f32_e32 v23, 1.0, v23
	v_sub_f32_e32 v20, v22, v20
	v_add_f32_e32 v20, v20, v23
	v_frexp_mant_f32_e32 v23, v9
	v_cvt_f64_f32_e32 v[24:25], v9
	v_frexp_exp_i32_f64_e32 v24, v[24:25]
	v_cmp_gt_f32_e32 vcc, s71, v23
	s_nop 1
	v_subbrev_co_u32_e32 v23, vcc, 0, v24, vcc
	v_sub_u32_e32 v24, 0, v23
	v_ldexp_f32 v9, v9, v24
	v_ldexp_f32 v20, v20, v24
	v_add_f32_e32 v24, -1.0, v9
	v_add_f32_e32 v25, 1.0, v24
	v_sub_f32_e32 v25, v9, v25
	v_add_f32_e32 v44, v20, v25
	v_add_f32_e32 v25, 1.0, v9
	v_add_f32_e32 v45, -1.0, v25
	v_sub_f32_e32 v9, v9, v45
	v_add_f32_e32 v9, v20, v9
	v_add_f32_e32 v20, v25, v9
	v_rcp_f32_e32 v50, v20
	v_sub_f32_e32 v25, v20, v25
	v_sub_f32_e32 v9, v9, v25
	v_add_f32_e32 v25, v24, v44
	v_sub_f32_e32 v24, v25, v24
	v_mul_f32_e32 v52, v25, v50
	v_sub_f32_e32 v51, v44, v24
	v_mul_f32_e32 v44, v20, v52
	v_fma_f32 v46, v52, v20, -v44
	v_fmac_f32_e32 v46, v52, v9
	v_add_f32_e32 v24, v44, v46
	v_sub_f32_e32 v45, v25, v24
	v_pk_add_f32 v[48:49], v[24:25], v[44:45] neg_lo:[0,1] neg_hi:[0,1]
	v_mov_b32_e32 v47, v24
	v_pk_add_f32 v[24:25], v[48:49], v[46:47] neg_lo:[0,1] neg_hi:[0,1]
	v_cmp_eq_f32_e32 vcc, s69, v22
	v_add_f32_e32 v25, v51, v25
	v_add_f32_e32 v24, v24, v25
	;; [unrolled: 1-line block ×3, first 2 shown]
	v_mul_f32_e32 v51, v50, v25
	v_mul_f32_e32 v44, v20, v51
	v_fma_f32 v46, v51, v20, -v44
	v_fmac_f32_e32 v46, v51, v9
	v_sub_f32_e32 v9, v45, v25
	v_add_f32_e32 v9, v24, v9
	v_add_f32_e32 v24, v44, v46
	v_sub_f32_e32 v45, v25, v24
	v_pk_add_f32 v[48:49], v[24:25], v[44:45] neg_lo:[0,1] neg_hi:[0,1]
	v_mov_b32_e32 v47, v24
	v_pk_add_f32 v[24:25], v[48:49], v[46:47] neg_lo:[0,1] neg_hi:[0,1]
	v_add_f32_e32 v20, v52, v51
	v_add_f32_e32 v9, v9, v25
	;; [unrolled: 1-line block ×4, first 2 shown]
	v_sub_f32_e32 v24, v20, v52
	v_mul_f32_e32 v9, v50, v9
	v_sub_f32_e32 v24, v51, v24
	v_add_f32_e32 v25, v24, v9
	v_add_f32_e32 v44, v20, v25
	v_cvt_f32_i32_e32 v24, v23
	v_mul_f32_e32 v46, v44, v44
	v_fmamk_f32 v9, v46, 0x3e9b6dac, v32
	v_sub_f32_e32 v20, v44, v20
	v_fmaak_f32 v9, v46, v9, 0x3f2aaada
	v_sub_f32_e32 v20, v25, v20
	v_mul_f32_e32 v25, v44, v46
	v_pk_mul_f32 v[46:47], v[24:25], v[8:9]
	v_ldexp_f32 v45, v44, 1
	v_fma_f32 v44, v24, s72, -v46
	v_fmac_f32_e32 v44, 0xb102e308, v24
	v_pk_add_f32 v[24:25], v[46:47], v[44:45]
	v_ldexp_f32 v20, v20, 1
	v_sub_f32_e32 v9, v25, v45
	v_sub_f32_e32 v9, v47, v9
	v_add_f32_e32 v49, v20, v9
	v_mov_b32_e32 v48, v46
	v_pk_add_f32 v[46:47], v[24:25], v[46:47] neg_lo:[0,1] neg_hi:[0,1]
	v_pk_add_f32 v[50:51], v[24:25], v[48:49]
	v_mov_b32_e32 v45, v24
	v_mov_b32_e32 v47, v51
	v_pk_add_f32 v[52:53], v[44:45], v[46:47] neg_lo:[0,1] neg_hi:[0,1]
	v_pk_add_f32 v[44:45], v[44:45], v[46:47]
	s_nop 0
	v_mov_b32_e32 v20, v45
	v_pk_add_f32 v[46:47], v[20:21], v[24:25] neg_lo:[0,1] neg_hi:[0,1]
	v_mov_b32_e32 v44, v51
	v_mov_b32_e32 v9, v46
	v_pk_add_f32 v[54:55], v[50:51], v[8:9] neg_lo:[0,1] neg_hi:[0,1]
	v_mov_b32_e32 v50, v25
	v_mov_b32_e32 v51, v46
	v_mov_b32_e32 v53, v45
	v_pk_add_f32 v[44:45], v[44:45], v[50:51] neg_lo:[0,1] neg_hi:[0,1]
	v_mov_b32_e32 v46, v49
	v_mov_b32_e32 v47, v24
	v_pk_add_f32 v[24:25], v[46:47], v[44:45] neg_lo:[0,1] neg_hi:[0,1]
	v_mov_b32_e32 v54, v52
	v_pk_add_f32 v[44:45], v[54:55], v[24:25]
	s_nop 0
	v_mov_b32_e32 v46, v45
	v_pk_add_f32 v[46:47], v[44:45], v[46:47]
	s_nop 0
	v_pk_add_f32 v[48:49], v[20:21], v[46:47]
	v_mov_b32_e32 v25, v46
	v_mov_b32_e32 v45, v48
	v_pk_add_f32 v[50:51], v[44:45], v[52:53] neg_lo:[0,1] neg_hi:[0,1]
	s_nop 0
	v_sub_f32_e32 v9, v44, v50
	v_pk_add_f32 v[24:25], v[24:25], v[50:51] neg_lo:[0,1] neg_hi:[0,1]
	v_sub_f32_e32 v9, v52, v9
	v_add_f32_e32 v9, v24, v9
	v_add_f32_e32 v9, v9, v25
	;; [unrolled: 1-line block ×3, first 2 shown]
	v_cndmask_b32_e32 v9, v9, v22, vcc
	v_cmp_ngt_f32_e32 vcc, -1.0, v22
	s_nop 1
	v_cndmask_b32_e32 v9, v37, v9, vcc
	v_cmp_neq_f32_e32 vcc, -1.0, v22
	s_nop 1
	v_cndmask_b32_e32 v9, v40, v9, vcc
	v_cmp_lt_f32_e64 vcc, |v22|, s62
	s_nop 1
	v_cndmask_b32_e32 v9, v9, v22, vcc
	v_mul_f32_e32 v20, 0.5, v9
.LBB355_154:                            ;   in Loop: Header=BB355_129 Depth=2
	s_or_b64 exec, exec, s[10:11]
	v_mov_b32_e32 v22, v20
.LBB355_155:                            ;   in Loop: Header=BB355_129 Depth=2
	s_or_b64 exec, exec, s[8:9]
	v_max_f32_e64 v23, |v21|, |v21|
	v_max_f32_e64 v24, |v0|, |v0|
	v_min_f32_e32 v23, v24, v23
	v_frexp_mant_f32_e32 v24, v7
	v_rcp_f32_e32 v24, v24
	v_frexp_exp_i32_f32_e32 v7, v7
	v_frexp_exp_i32_f32_e32 v25, v23
	v_frexp_mant_f32_e32 v23, v23
	v_mul_f32_e32 v23, v23, v24
	v_sub_u32_e32 v7, v25, v7
	v_ldexp_f32 v7, v23, v7
	v_mul_f32_e32 v23, v7, v7
	v_fmamk_f32 v24, v23, 0x3b2d2a58, v33
	v_fmaak_f32 v24, v23, v24, 0x3d29fb3f
	v_fmaak_f32 v24, v23, v24, 0xbd97d4d7
	;; [unrolled: 1-line block ×6, first 2 shown]
	v_mul_f32_e32 v23, v23, v24
	v_cmp_gt_i32_e64 s[8:9], 0, v0
	v_fmac_f32_e32 v7, v7, v23
	v_sub_f32_e32 v23, 0x3fc90fdb, v7
	v_cndmask_b32_e64 v20, 0, v43, s[8:9]
	v_cmp_gt_f32_e64 s[8:9], |v21|, |v0|
	v_cmp_gt_f32_e32 vcc, 0, v0
	v_cmp_class_f32_e64 s[10:11], v21, s73
	v_cndmask_b32_e64 v7, v7, v23, s[8:9]
	v_sub_f32_e32 v23, 0x40490fdb, v7
	v_cmp_class_f32_e64 s[12:13], v0, s73
	v_cndmask_b32_e32 v9, v41, v42, vcc
	v_cndmask_b32_e32 v7, v7, v23, vcc
	v_cmp_eq_f32_e32 vcc, 0, v21
	s_nop 1
	v_cndmask_b32_e32 v7, v7, v20, vcc
	s_and_b64 vcc, s[12:13], s[10:11]
	v_cndmask_b32_e32 v7, v7, v9, vcc
	v_cmp_o_f32_e32 vcc, v0, v21
	s_nop 1
	v_cndmask_b32_e32 v0, v37, v7, vcc
	v_bfi_b32 v23, s52, v0, v21
	v_pk_add_f32 v[20:21], v[18:19], v[22:23]
                                        ; implicit-def: $vgpr23
                                        ; implicit-def: $vgpr19
.LBB355_156:                            ;   in Loop: Header=BB355_129 Depth=2
	s_andn2_saveexec_b64 s[40:41], s[40:41]
	s_cbranch_execz .LBB355_182
; %bb.157:                              ;   in Loop: Header=BB355_129 Depth=2
	v_cmp_ngt_f32_e32 vcc, 0, v20
	s_and_saveexec_b64 s[42:43], vcc
	s_cbranch_execz .LBB355_181
; %bb.158:                              ;   in Loop: Header=BB355_129 Depth=2
	v_and_b32_e32 v7, 0x7fffffff, v21
	v_lshrrev_b32_e32 v0, 23, v7
	v_and_b32_e32 v9, 0x7fffff, v7
	v_cmp_nlt_f32_e64 s[44:45], |v21|, s53
	v_add_u32_e32 v25, 0xffffff88, v0
	v_or_b32_e32 v24, 0x800000, v9
                                        ; implicit-def: $vgpr18
                                        ; implicit-def: $vgpr9
	s_and_saveexec_b64 s[8:9], s[44:45]
	s_xor_b64 s[46:47], exec, s[8:9]
	s_cbranch_execz .LBB355_160
; %bb.159:                              ;   in Loop: Header=BB355_129 Depth=2
	v_cmp_lt_u32_e32 vcc, 63, v25
	v_mad_u64_u32 v[44:45], s[12:13], v24, s55, 0
	s_nop 0
	v_cndmask_b32_e32 v0, 0, v34, vcc
	v_add_u32_e32 v0, v0, v25
	v_cmp_lt_u32_e64 s[8:9], 31, v0
	s_nop 1
	v_cndmask_b32_e64 v9, 0, v35, s[8:9]
	v_add_u32_e32 v0, v9, v0
	v_cmp_lt_u32_e64 s[10:11], 31, v0
	s_nop 1
	v_cndmask_b32_e64 v9, 0, v35, s[10:11]
	v_add_u32_e32 v9, v9, v0
	v_mov_b32_e32 v0, v45
	v_mad_u64_u32 v[46:47], s[12:13], v24, s56, v[0:1]
	v_mov_b32_e32 v0, v47
	v_mad_u64_u32 v[48:49], s[12:13], v24, s57, v[0:1]
	;; [unrolled: 2-line block ×6, first 2 shown]
	v_cndmask_b32_e32 v18, v54, v50, vcc
	v_cndmask_b32_e32 v0, v56, v52, vcc
	;; [unrolled: 1-line block ×3, first 2 shown]
	v_cndmask_b32_e64 v20, v0, v18, s[8:9]
	v_cndmask_b32_e64 v0, v22, v0, s[8:9]
	v_cndmask_b32_e32 v22, v52, v48, vcc
	v_cndmask_b32_e64 v18, v18, v22, s[8:9]
	v_sub_u32_e32 v45, 32, v9
	v_cmp_eq_u32_e64 s[12:13], 0, v9
	v_cndmask_b32_e32 v9, v50, v46, vcc
	v_cndmask_b32_e64 v0, v0, v20, s[10:11]
	v_cndmask_b32_e64 v20, v20, v18, s[10:11]
	;; [unrolled: 1-line block ×3, first 2 shown]
	v_alignbit_b32 v47, v0, v20, v45
	v_cndmask_b32_e64 v18, v18, v22, s[10:11]
	v_cndmask_b32_e64 v0, v47, v0, s[12:13]
	v_alignbit_b32 v46, v20, v18, v45
	v_cndmask_b32_e32 v44, v48, v44, vcc
	v_cndmask_b32_e64 v20, v46, v20, s[12:13]
	v_bfe_u32 v49, v0, 29, 1
	v_cndmask_b32_e64 v9, v9, v44, s[8:9]
	v_alignbit_b32 v46, v0, v20, 30
	v_sub_u32_e32 v50, 0, v49
	v_cndmask_b32_e64 v9, v22, v9, s[10:11]
	v_xor_b32_e32 v51, v46, v50
	v_alignbit_b32 v22, v18, v9, v45
	v_cndmask_b32_e64 v18, v22, v18, s[12:13]
	v_ffbh_u32_e32 v22, v51
	v_add_u32_e32 v22, 1, v22
	v_cmp_ne_u32_e32 vcc, v46, v50
	v_alignbit_b32 v20, v20, v18, 30
	v_alignbit_b32 v9, v18, v9, 30
	v_cndmask_b32_e32 v22, 33, v22, vcc
	v_xor_b32_e32 v20, v20, v50
	v_sub_u32_e32 v44, 32, v22
	v_xor_b32_e32 v9, v9, v50
	v_alignbit_b32 v45, v51, v20, v44
	v_alignbit_b32 v9, v20, v9, v44
	;; [unrolled: 1-line block ×3, first 2 shown]
	v_ffbh_u32_e32 v20, v18
	v_min_u32_e32 v20, 32, v20
	v_lshrrev_b32_e32 v47, 29, v0
	v_sub_u32_e32 v44, 31, v20
	v_alignbit_b32 v9, v18, v9, v44
	v_lshlrev_b32_e32 v18, 31, v47
	v_or_b32_e32 v44, 0x33800000, v18
	v_add_lshl_u32 v20, v20, v22, 23
	v_lshrrev_b32_e32 v9, 9, v9
	v_sub_u32_e32 v20, v44, v20
	v_or_b32_e32 v9, v20, v9
	v_alignbit_b32 v20, v22, v45, 9
	v_or_b32_e32 v18, v20, v18
	v_xor_b32_e32 v18, 1.0, v18
	v_mul_f32_e32 v20, 0x3fc90fda, v18
	v_fma_f32 v22, v18, s63, -v20
	v_fmac_f32_e32 v22, 0x33a22168, v18
	v_fmac_f32_e32 v22, 0x3fc90fda, v9
	v_lshrrev_b32_e32 v0, 30, v0
	v_add_f32_e32 v9, v20, v22
	v_add_u32_e32 v18, v49, v0
.LBB355_160:                            ;   in Loop: Header=BB355_129 Depth=2
	s_or_saveexec_b64 s[8:9], s[46:47]
	v_mul_f32_e64 v0, |v21|, s64
	v_rndne_f32_e32 v0, v0
	s_xor_b64 exec, exec, s[8:9]
; %bb.161:                              ;   in Loop: Header=BB355_129 Depth=2
	v_cvt_i32_f32_e32 v18, v0
	v_fma_f32 v9, v0, s65, |v21|
	v_fmac_f32_e32 v9, 0xb3a22168, v0
	v_fmac_f32_e32 v9, 0xa7c234c4, v0
; %bb.162:                              ;   in Loop: Header=BB355_129 Depth=2
	s_or_b64 exec, exec, s[8:9]
                                        ; implicit-def: $vgpr20
                                        ; implicit-def: $vgpr22
	s_and_saveexec_b64 s[8:9], s[44:45]
	s_xor_b64 s[44:45], exec, s[8:9]
	s_cbranch_execz .LBB355_164
; %bb.163:                              ;   in Loop: Header=BB355_129 Depth=2
	v_cmp_lt_u32_e32 vcc, 63, v25
	v_mad_u64_u32 v[44:45], s[12:13], v24, s55, 0
	s_nop 0
	v_cndmask_b32_e32 v0, 0, v34, vcc
	v_add_u32_e32 v0, v0, v25
	v_cmp_lt_u32_e64 s[8:9], 31, v0
	s_nop 1
	v_cndmask_b32_e64 v20, 0, v35, s[8:9]
	v_add_u32_e32 v0, v20, v0
	v_cmp_lt_u32_e64 s[10:11], 31, v0
	s_nop 1
	v_cndmask_b32_e64 v20, 0, v35, s[10:11]
	v_add_u32_e32 v20, v20, v0
	v_mov_b32_e32 v0, v45
	v_mad_u64_u32 v[46:47], s[12:13], v24, s56, v[0:1]
	v_mov_b32_e32 v0, v47
	v_mad_u64_u32 v[48:49], s[12:13], v24, s57, v[0:1]
	;; [unrolled: 2-line block ×6, first 2 shown]
	v_cndmask_b32_e32 v22, v54, v50, vcc
	v_cndmask_b32_e32 v0, v24, v52, vcc
	;; [unrolled: 1-line block ×3, first 2 shown]
	v_cndmask_b32_e64 v24, v0, v22, s[8:9]
	v_cndmask_b32_e64 v0, v25, v0, s[8:9]
	v_cndmask_b32_e32 v25, v52, v48, vcc
	v_cndmask_b32_e64 v22, v22, v25, s[8:9]
	v_sub_u32_e32 v45, 32, v20
	v_cmp_eq_u32_e64 s[12:13], 0, v20
	v_cndmask_b32_e32 v20, v50, v46, vcc
	v_cndmask_b32_e64 v0, v0, v24, s[10:11]
	v_cndmask_b32_e64 v24, v24, v22, s[10:11]
	;; [unrolled: 1-line block ×3, first 2 shown]
	v_alignbit_b32 v47, v0, v24, v45
	v_cndmask_b32_e64 v22, v22, v25, s[10:11]
	v_cndmask_b32_e64 v0, v47, v0, s[12:13]
	v_alignbit_b32 v46, v24, v22, v45
	v_cndmask_b32_e32 v44, v48, v44, vcc
	v_cndmask_b32_e64 v24, v46, v24, s[12:13]
	v_bfe_u32 v49, v0, 29, 1
	v_cndmask_b32_e64 v20, v20, v44, s[8:9]
	v_alignbit_b32 v46, v0, v24, 30
	v_sub_u32_e32 v50, 0, v49
	v_cndmask_b32_e64 v20, v25, v20, s[10:11]
	v_xor_b32_e32 v51, v46, v50
	v_alignbit_b32 v25, v22, v20, v45
	v_cndmask_b32_e64 v22, v25, v22, s[12:13]
	v_ffbh_u32_e32 v25, v51
	v_add_u32_e32 v25, 1, v25
	v_cmp_ne_u32_e32 vcc, v46, v50
	v_alignbit_b32 v24, v24, v22, 30
	v_alignbit_b32 v20, v22, v20, 30
	v_cndmask_b32_e32 v25, 33, v25, vcc
	v_xor_b32_e32 v24, v24, v50
	v_sub_u32_e32 v44, 32, v25
	v_xor_b32_e32 v20, v20, v50
	v_alignbit_b32 v45, v51, v24, v44
	v_alignbit_b32 v20, v24, v20, v44
	;; [unrolled: 1-line block ×3, first 2 shown]
	v_ffbh_u32_e32 v24, v22
	v_min_u32_e32 v24, 32, v24
	v_lshrrev_b32_e32 v47, 29, v0
	v_sub_u32_e32 v44, 31, v24
	v_alignbit_b32 v20, v22, v20, v44
	v_lshlrev_b32_e32 v22, 31, v47
	v_or_b32_e32 v44, 0x33800000, v22
	v_add_lshl_u32 v24, v24, v25, 23
	v_lshrrev_b32_e32 v20, 9, v20
	v_sub_u32_e32 v24, v44, v24
	v_or_b32_e32 v20, v24, v20
	v_alignbit_b32 v24, v25, v45, 9
	v_or_b32_e32 v22, v24, v22
	v_xor_b32_e32 v22, 1.0, v22
	v_mul_f32_e32 v24, 0x3fc90fda, v22
	v_fma_f32 v25, v22, s63, -v24
	v_fmac_f32_e32 v25, 0x33a22168, v22
	v_fmac_f32_e32 v25, 0x3fc90fda, v20
	v_lshrrev_b32_e32 v0, 30, v0
	v_add_f32_e32 v22, v24, v25
	v_add_u32_e32 v20, v49, v0
                                        ; implicit-def: $vgpr0
	s_andn2_saveexec_b64 s[8:9], s[44:45]
	s_cbranch_execnz .LBB355_165
	s_branch .LBB355_166
.LBB355_164:                            ;   in Loop: Header=BB355_129 Depth=2
	s_andn2_saveexec_b64 s[8:9], s[44:45]
.LBB355_165:                            ;   in Loop: Header=BB355_129 Depth=2
	v_cvt_i32_f32_e32 v20, v0
	v_fma_f32 v22, v0, s65, |v21|
	v_fmac_f32_e32 v22, 0xb3a22168, v0
	v_fmac_f32_e32 v22, 0xa7c234c4, v0
.LBB355_166:                            ;   in Loop: Header=BB355_129 Depth=2
	s_or_b64 exec, exec, s[8:9]
	v_and_b32_e32 v24, 0x7fffffff, v19
	v_lshrrev_b32_e32 v0, 23, v24
	v_and_b32_e32 v25, 0x7fffff, v24
	v_cmp_nlt_f32_e64 s[44:45], |v19|, s53
	v_add_u32_e32 v46, 0xffffff88, v0
	v_or_b32_e32 v45, 0x800000, v25
                                        ; implicit-def: $vgpr44
                                        ; implicit-def: $vgpr25
	s_and_saveexec_b64 s[8:9], s[44:45]
	s_xor_b64 s[46:47], exec, s[8:9]
	s_cbranch_execz .LBB355_168
; %bb.167:                              ;   in Loop: Header=BB355_129 Depth=2
	v_cmp_lt_u32_e32 vcc, 63, v46
	v_mad_u64_u32 v[48:49], s[12:13], v45, s55, 0
	s_nop 0
	v_cndmask_b32_e32 v0, 0, v34, vcc
	v_add_u32_e32 v0, v0, v46
	v_cmp_lt_u32_e64 s[8:9], 31, v0
	s_nop 1
	v_cndmask_b32_e64 v25, 0, v35, s[8:9]
	v_add_u32_e32 v0, v25, v0
	v_cmp_lt_u32_e64 s[10:11], 31, v0
	s_nop 1
	v_cndmask_b32_e64 v25, 0, v35, s[10:11]
	v_add_u32_e32 v25, v25, v0
	v_mov_b32_e32 v0, v49
	v_mad_u64_u32 v[50:51], s[12:13], v45, s56, v[0:1]
	v_mov_b32_e32 v0, v51
	v_mad_u64_u32 v[52:53], s[12:13], v45, s57, v[0:1]
	;; [unrolled: 2-line block ×6, first 2 shown]
	v_cndmask_b32_e32 v44, v58, v54, vcc
	v_cndmask_b32_e32 v0, v60, v56, vcc
	;; [unrolled: 1-line block ×3, first 2 shown]
	v_cndmask_b32_e64 v47, v0, v44, s[8:9]
	v_cndmask_b32_e64 v0, v49, v0, s[8:9]
	v_cndmask_b32_e32 v49, v56, v52, vcc
	v_cndmask_b32_e64 v44, v44, v49, s[8:9]
	v_sub_u32_e32 v51, 32, v25
	v_cmp_eq_u32_e64 s[12:13], 0, v25
	v_cndmask_b32_e32 v25, v54, v50, vcc
	v_cndmask_b32_e64 v0, v0, v47, s[10:11]
	v_cndmask_b32_e64 v47, v47, v44, s[10:11]
	;; [unrolled: 1-line block ×3, first 2 shown]
	v_alignbit_b32 v53, v0, v47, v51
	v_cndmask_b32_e64 v44, v44, v49, s[10:11]
	v_cndmask_b32_e64 v0, v53, v0, s[12:13]
	v_alignbit_b32 v50, v47, v44, v51
	v_cndmask_b32_e32 v48, v52, v48, vcc
	v_cndmask_b32_e64 v47, v50, v47, s[12:13]
	v_bfe_u32 v54, v0, 29, 1
	v_cndmask_b32_e64 v25, v25, v48, s[8:9]
	v_alignbit_b32 v50, v0, v47, 30
	v_sub_u32_e32 v55, 0, v54
	v_cndmask_b32_e64 v25, v49, v25, s[10:11]
	v_xor_b32_e32 v56, v50, v55
	v_alignbit_b32 v48, v44, v25, v51
	v_cndmask_b32_e64 v44, v48, v44, s[12:13]
	v_ffbh_u32_e32 v48, v56
	v_add_u32_e32 v48, 1, v48
	v_cmp_ne_u32_e32 vcc, v50, v55
	v_alignbit_b32 v47, v47, v44, 30
	v_alignbit_b32 v25, v44, v25, 30
	v_cndmask_b32_e32 v48, 33, v48, vcc
	v_xor_b32_e32 v47, v47, v55
	v_sub_u32_e32 v49, 32, v48
	v_xor_b32_e32 v25, v25, v55
	v_alignbit_b32 v50, v56, v47, v49
	v_alignbit_b32 v25, v47, v25, v49
	;; [unrolled: 1-line block ×3, first 2 shown]
	v_ffbh_u32_e32 v47, v44
	v_min_u32_e32 v47, 32, v47
	v_lshrrev_b32_e32 v53, 29, v0
	v_sub_u32_e32 v49, 31, v47
	v_alignbit_b32 v25, v44, v25, v49
	v_lshlrev_b32_e32 v44, 31, v53
	v_or_b32_e32 v49, 0x33800000, v44
	v_add_lshl_u32 v47, v47, v48, 23
	v_lshrrev_b32_e32 v25, 9, v25
	v_sub_u32_e32 v47, v49, v47
	v_or_b32_e32 v25, v47, v25
	v_alignbit_b32 v47, v48, v50, 9
	v_or_b32_e32 v44, v47, v44
	v_xor_b32_e32 v44, 1.0, v44
	v_mul_f32_e32 v47, 0x3fc90fda, v44
	v_fma_f32 v48, v44, s63, -v47
	v_fmac_f32_e32 v48, 0x33a22168, v44
	v_fmac_f32_e32 v48, 0x3fc90fda, v25
	v_lshrrev_b32_e32 v0, 30, v0
	v_add_f32_e32 v25, v47, v48
	v_add_u32_e32 v44, v54, v0
.LBB355_168:                            ;   in Loop: Header=BB355_129 Depth=2
	s_or_saveexec_b64 s[8:9], s[46:47]
	v_mul_f32_e64 v0, |v19|, s64
	v_rndne_f32_e32 v48, v0
	s_xor_b64 exec, exec, s[8:9]
; %bb.169:                              ;   in Loop: Header=BB355_129 Depth=2
	v_cvt_i32_f32_e32 v44, v48
	v_fma_f32 v25, v48, s65, |v19|
	v_fmac_f32_e32 v25, 0xb3a22168, v48
	v_fmac_f32_e32 v25, 0xa7c234c4, v48
; %bb.170:                              ;   in Loop: Header=BB355_129 Depth=2
	s_or_b64 exec, exec, s[8:9]
                                        ; implicit-def: $vgpr0
                                        ; implicit-def: $vgpr47
	s_and_saveexec_b64 s[8:9], s[44:45]
	s_xor_b64 s[44:45], exec, s[8:9]
	s_cbranch_execz .LBB355_172
; %bb.171:                              ;   in Loop: Header=BB355_129 Depth=2
	v_cmp_lt_u32_e32 vcc, 63, v46
	s_nop 1
	v_cndmask_b32_e32 v0, 0, v34, vcc
	v_add_u32_e32 v0, v0, v46
	v_cmp_lt_u32_e64 s[8:9], 31, v0
	s_nop 1
	v_cndmask_b32_e64 v46, 0, v35, s[8:9]
	v_add_u32_e32 v0, v46, v0
	v_cmp_lt_u32_e64 s[10:11], 31, v0
	s_nop 1
	v_cndmask_b32_e64 v46, 0, v35, s[10:11]
	v_add_u32_e32 v60, v46, v0
	v_mad_u64_u32 v[46:47], s[12:13], v45, s55, 0
	v_mov_b32_e32 v0, v47
	v_mad_u64_u32 v[48:49], s[12:13], v45, s56, v[0:1]
	v_mov_b32_e32 v0, v49
	;; [unrolled: 2-line block ×6, first 2 shown]
	v_mad_u64_u32 v[58:59], s[12:13], v45, s61, v[0:1]
	v_cndmask_b32_e32 v47, v56, v52, vcc
	v_cndmask_b32_e32 v0, v58, v54, vcc
	;; [unrolled: 1-line block ×3, first 2 shown]
	v_cndmask_b32_e64 v45, v0, v47, s[8:9]
	v_cndmask_b32_e64 v0, v49, v0, s[8:9]
	v_cndmask_b32_e32 v49, v54, v50, vcc
	v_cndmask_b32_e64 v47, v47, v49, s[8:9]
	v_cndmask_b32_e32 v48, v52, v48, vcc
	v_cndmask_b32_e64 v0, v0, v45, s[10:11]
	v_cndmask_b32_e64 v45, v45, v47, s[10:11]
	v_sub_u32_e32 v51, 32, v60
	v_cndmask_b32_e64 v49, v49, v48, s[8:9]
	v_alignbit_b32 v53, v0, v45, v51
	v_cmp_eq_u32_e64 s[12:13], 0, v60
	v_cndmask_b32_e64 v47, v47, v49, s[10:11]
	v_alignbit_b32 v52, v45, v47, v51
	v_cndmask_b32_e64 v0, v53, v0, s[12:13]
	v_cndmask_b32_e32 v46, v50, v46, vcc
	v_cndmask_b32_e64 v45, v52, v45, s[12:13]
	v_bfe_u32 v54, v0, 29, 1
	v_cndmask_b32_e64 v46, v48, v46, s[8:9]
	v_alignbit_b32 v52, v0, v45, 30
	v_sub_u32_e32 v55, 0, v54
	v_cndmask_b32_e64 v46, v49, v46, s[10:11]
	v_xor_b32_e32 v56, v52, v55
	v_alignbit_b32 v48, v47, v46, v51
	v_cndmask_b32_e64 v47, v48, v47, s[12:13]
	v_ffbh_u32_e32 v48, v56
	v_add_u32_e32 v48, 1, v48
	v_cmp_ne_u32_e32 vcc, v52, v55
	v_alignbit_b32 v45, v45, v47, 30
	v_alignbit_b32 v46, v47, v46, 30
	v_cndmask_b32_e32 v48, 33, v48, vcc
	v_xor_b32_e32 v45, v45, v55
	v_sub_u32_e32 v49, 32, v48
	v_xor_b32_e32 v46, v46, v55
	v_alignbit_b32 v50, v56, v45, v49
	v_alignbit_b32 v45, v45, v46, v49
	;; [unrolled: 1-line block ×3, first 2 shown]
	v_ffbh_u32_e32 v47, v46
	v_min_u32_e32 v47, 32, v47
	v_lshrrev_b32_e32 v53, 29, v0
	v_sub_u32_e32 v49, 31, v47
	v_alignbit_b32 v45, v46, v45, v49
	v_lshlrev_b32_e32 v46, 31, v53
	v_or_b32_e32 v49, 0x33800000, v46
	v_add_lshl_u32 v47, v47, v48, 23
	v_lshrrev_b32_e32 v45, 9, v45
	v_sub_u32_e32 v47, v49, v47
	v_or_b32_e32 v45, v47, v45
	v_alignbit_b32 v47, v48, v50, 9
	v_or_b32_e32 v46, v47, v46
	v_xor_b32_e32 v46, 1.0, v46
	v_mul_f32_e32 v47, 0x3fc90fda, v46
	v_fma_f32 v48, v46, s63, -v47
	v_fmac_f32_e32 v48, 0x33a22168, v46
	v_fmac_f32_e32 v48, 0x3fc90fda, v45
	v_lshrrev_b32_e32 v0, 30, v0
	v_add_f32_e32 v47, v47, v48
	v_add_u32_e32 v0, v54, v0
                                        ; implicit-def: $vgpr48
	s_andn2_saveexec_b64 s[8:9], s[44:45]
	s_cbranch_execnz .LBB355_173
	s_branch .LBB355_174
.LBB355_172:                            ;   in Loop: Header=BB355_129 Depth=2
	s_andn2_saveexec_b64 s[8:9], s[44:45]
.LBB355_173:                            ;   in Loop: Header=BB355_129 Depth=2
	v_cvt_i32_f32_e32 v0, v48
	v_fma_f32 v47, v48, s65, |v19|
	v_fmac_f32_e32 v47, 0xb3a22168, v48
	v_fmac_f32_e32 v47, 0xa7c234c4, v48
.LBB355_174:                            ;   in Loop: Header=BB355_129 Depth=2
	s_or_b64 exec, exec, s[8:9]
	v_mul_f32_e32 v46, v9, v9
	v_fmamk_f32 v48, v46, 0xb94c1982, v30
	v_fmaak_f32 v48, v46, v48, 0xbe2aaa9d
	v_mul_f32_e32 v48, v46, v48
	v_fmac_f32_e32 v9, v9, v48
	v_fmamk_f32 v48, v46, 0x37d75334, v31
	v_fmaak_f32 v48, v46, v48, 0x3d2aabf7
	v_lshlrev_b32_e32 v45, 30, v18
	v_and_b32_e32 v18, 1, v18
	v_fmaak_f32 v48, v46, v48, 0xbf000004
	v_and_b32_e32 v45, 0x80000000, v45
	v_fma_f32 v46, v46, v48, 1.0
	v_cmp_eq_u32_e32 vcc, 0, v18
	v_xor_b32_e32 v7, v7, v23
	v_xor_b32_e32 v7, v7, v45
	v_cndmask_b32_e32 v9, v46, v9, vcc
	v_xor_b32_e32 v7, v7, v9
	v_mul_f32_e32 v9, v22, v22
	v_fmamk_f32 v18, v9, 0xb94c1982, v30
	v_fmaak_f32 v18, v9, v18, 0xbe2aaa9d
	v_mul_f32_e32 v18, v9, v18
	v_fmac_f32_e32 v22, v22, v18
	v_fmamk_f32 v18, v9, 0x37d75334, v31
	v_fmaak_f32 v18, v9, v18, 0x3d2aabf7
	v_fmaak_f32 v18, v9, v18, 0xbf000004
	v_fma_f32 v9, v9, v18, 1.0
	v_and_b32_e32 v18, 1, v20
	v_cmp_class_f32_e64 vcc, v21, s51
	v_cmp_eq_u32_e64 s[8:9], 0, v18
	v_mul_f32_e32 v21, v25, v25
	v_lshlrev_b32_e32 v18, 30, v20
	v_cndmask_b32_e64 v9, -v22, v9, s[8:9]
	v_fmamk_f32 v22, v21, 0xb94c1982, v30
	v_and_b32_e32 v18, 0x80000000, v18
	v_fmaak_f32 v22, v21, v22, 0xbe2aaa9d
	v_xor_b32_e32 v9, v18, v9
	v_mul_f32_e32 v22, v21, v22
	v_cndmask_b32_e32 v9, v37, v9, vcc
	v_fmac_f32_e32 v25, v25, v22
	v_fmamk_f32 v22, v21, 0x37d75334, v31
	v_cndmask_b32_e32 v7, v37, v7, vcc
	v_mul_f32_e32 v18, 0x7f800000, v9
	v_cmp_neq_f32_e32 vcc, 0, v9
	v_fmaak_f32 v22, v21, v22, 0x3d2aabf7
	v_and_b32_e32 v20, 1, v44
	v_cndmask_b32_e32 v9, 0, v18, vcc
	v_mul_f32_e32 v18, 0x7f800000, v7
	v_cmp_neq_f32_e32 vcc, 0, v7
	v_fmaak_f32 v22, v21, v22, 0xbf000004
	v_fma_f32 v21, v21, v22, 1.0
	v_cndmask_b32_e32 v7, 0, v18, vcc
	v_lshlrev_b32_e32 v18, 30, v44
	v_cmp_eq_u32_e32 vcc, 0, v20
	v_and_b32_e32 v18, 0x80000000, v18
	s_nop 0
	v_cndmask_b32_e32 v20, v21, v25, vcc
	v_xor_b32_e32 v21, v24, v19
	v_xor_b32_e32 v18, v21, v18
	v_cmp_class_f32_e64 vcc, v19, s51
	v_mul_f32_e32 v19, v47, v47
	v_xor_b32_e32 v18, v18, v20
	v_fmamk_f32 v20, v19, 0xb94c1982, v30
	v_fmaak_f32 v20, v19, v20, 0xbe2aaa9d
	v_mul_f32_e32 v20, v19, v20
	v_fmac_f32_e32 v47, v47, v20
	v_fmamk_f32 v20, v19, 0x37d75334, v31
	v_fmaak_f32 v20, v19, v20, 0x3d2aabf7
	v_fmaak_f32 v20, v19, v20, 0xbf000004
	v_fma_f32 v19, v19, v20, 1.0
	v_and_b32_e32 v20, 1, v0
	v_cmp_eq_u32_e64 s[8:9], 0, v20
	v_lshlrev_b32_e32 v0, 30, v0
	v_and_b32_e32 v0, 0x80000000, v0
	v_cndmask_b32_e64 v19, -v47, v19, s[8:9]
	v_xor_b32_e32 v0, v0, v19
	v_cndmask_b32_e32 v0, v37, v0, vcc
	v_cndmask_b32_e32 v18, v37, v18, vcc
	v_mul_f32_e32 v19, 0x7f800000, v0
	v_cmp_neq_f32_e32 vcc, 0, v0
	s_nop 1
	v_cndmask_b32_e32 v0, 0, v19, vcc
	v_mul_f32_e32 v19, 0x7f800000, v18
	v_cmp_neq_f32_e32 vcc, 0, v18
	v_add_f32_e32 v9, v9, v0
	v_add_f32_e32 v20, -1.0, v9
	v_cndmask_b32_e32 v18, 0, v19, vcc
	v_add_f32_e32 v0, v7, v18
	v_max_f32_e64 v7, |v20|, |v0|
	v_cvt_f64_f32_e32 v[18:19], v7
	v_frexp_exp_i32_f64_e32 v9, v[18:19]
	v_sub_u32_e32 v18, 0, v9
	v_ldexp_f32 v19, |v20|, v18
	v_ldexp_f32 v18, |v0|, v18
	v_mul_f32_e32 v18, v18, v18
	v_fmac_f32_e32 v18, v19, v19
	v_sqrt_f32_e32 v18, v18
	v_cmp_eq_f32_e32 vcc, s69, v7
	v_add_f32_e32 v7, 1.0, v20
	v_ldexp_f32 v9, v18, v9
	v_cmp_ngt_f32_e64 s[8:9], 0.5, v9
	v_max_f32_e64 v18, |v7|, |v0|
	s_or_b64 s[8:9], vcc, s[8:9]
	s_and_saveexec_b64 s[10:11], s[8:9]
	s_xor_b64 s[10:11], exec, s[10:11]
	s_cbranch_execz .LBB355_176
; %bb.175:                              ;   in Loop: Header=BB355_129 Depth=2
	v_cvt_f64_f32_e32 v[20:21], v18
	v_frexp_exp_i32_f64_e32 v9, v[20:21]
	v_sub_u32_e32 v19, 0, v9
	v_ldexp_f32 v20, |v7|, v19
	v_ldexp_f32 v19, |v0|, v19
	v_mul_f32_e32 v19, v19, v19
	v_fmac_f32_e32 v19, v20, v20
	v_sqrt_f32_e32 v19, v19
	v_cmp_neq_f32_e32 vcc, s69, v18
	v_ldexp_f32 v9, v19, v9
	s_nop 0
	v_cndmask_b32_e32 v9, v36, v9, vcc
	v_cmp_gt_f32_e32 vcc, s54, v9
	s_nop 1
	v_cndmask_b32_e32 v19, 1.0, v38, vcc
	v_mul_f32_e32 v9, v9, v19
	v_log_f32_e32 v9, v9
	s_nop 0
	v_mul_f32_e32 v19, 0x3f317217, v9
	v_fma_f32 v20, v9, s70, -v19
	v_fmac_f32_e32 v20, 0x3377d1cf, v9
	v_add_f32_e32 v19, v19, v20
	v_cmp_lt_f32_e64 s[8:9], |v9|, s69
	s_nop 1
	v_cndmask_b32_e64 v9, v9, v19, s[8:9]
	v_cndmask_b32_e32 v19, 0, v39, vcc
	v_sub_f32_e32 v20, v9, v19
.LBB355_176:                            ;   in Loop: Header=BB355_129 Depth=2
	s_andn2_saveexec_b64 s[8:9], s[10:11]
	s_cbranch_execz .LBB355_180
; %bb.177:                              ;   in Loop: Header=BB355_129 Depth=2
	v_add_f32_e32 v9, 2.0, v20
	v_mul_f32_e32 v19, v20, v9
	v_fmac_f32_e32 v19, v0, v0
	v_cmp_neq_f32_e32 vcc, 0, v19
	s_and_saveexec_b64 s[10:11], vcc
	s_cbranch_execz .LBB355_179
; %bb.178:                              ;   in Loop: Header=BB355_129 Depth=2
	v_add_f32_e32 v9, 1.0, v19
	v_add_f32_e32 v20, -1.0, v9
	v_sub_f32_e32 v21, v20, v9
	v_add_f32_e32 v21, 1.0, v21
	v_sub_f32_e32 v20, v19, v20
	v_add_f32_e32 v22, v20, v21
	v_frexp_mant_f32_e32 v23, v9
	v_cvt_f64_f32_e32 v[20:21], v9
	v_frexp_exp_i32_f64_e32 v20, v[20:21]
	v_cmp_gt_f32_e32 vcc, s71, v23
	s_nop 1
	v_subbrev_co_u32_e32 v46, vcc, 0, v20, vcc
	v_sub_u32_e32 v20, 0, v46
	v_ldexp_f32 v9, v9, v20
	v_ldexp_f32 v20, v22, v20
	v_add_f32_e32 v22, -1.0, v9
	v_add_f32_e32 v21, 1.0, v22
	v_sub_f32_e32 v21, v9, v21
	v_add_f32_e32 v23, v20, v21
	v_add_f32_e32 v21, 1.0, v9
	v_add_f32_e32 v24, -1.0, v21
	v_sub_f32_e32 v9, v9, v24
	v_add_f32_e32 v9, v20, v9
	v_add_f32_e32 v47, v21, v9
	v_rcp_f32_e32 v48, v47
	v_sub_f32_e32 v20, v47, v21
	v_add_f32_e32 v21, v22, v23
	v_sub_f32_e32 v9, v9, v20
	v_mul_f32_e32 v50, v21, v48
	v_sub_f32_e32 v20, v21, v22
	v_mul_f32_e32 v22, v47, v50
	v_fma_f32 v24, v50, v47, -v22
	v_fmac_f32_e32 v24, v50, v9
	v_sub_f32_e32 v49, v23, v20
	v_add_f32_e32 v20, v22, v24
	v_sub_f32_e32 v23, v21, v20
	v_pk_add_f32 v[44:45], v[20:21], v[22:23] neg_lo:[0,1] neg_hi:[0,1]
	v_mov_b32_e32 v25, v20
	v_pk_add_f32 v[20:21], v[44:45], v[24:25] neg_lo:[0,1] neg_hi:[0,1]
	v_cmp_eq_f32_e32 vcc, s69, v19
	v_add_f32_e32 v21, v49, v21
	v_add_f32_e32 v20, v20, v21
	;; [unrolled: 1-line block ×3, first 2 shown]
	v_mul_f32_e32 v49, v48, v21
	v_mul_f32_e32 v22, v47, v49
	v_fma_f32 v24, v49, v47, -v22
	v_fmac_f32_e32 v24, v49, v9
	v_sub_f32_e32 v9, v23, v21
	v_add_f32_e32 v9, v20, v9
	v_add_f32_e32 v20, v22, v24
	v_sub_f32_e32 v23, v21, v20
	v_pk_add_f32 v[44:45], v[20:21], v[22:23] neg_lo:[0,1] neg_hi:[0,1]
	v_mov_b32_e32 v25, v20
	v_pk_add_f32 v[20:21], v[44:45], v[24:25] neg_lo:[0,1] neg_hi:[0,1]
	s_nop 0
	v_add_f32_e32 v9, v9, v21
	v_add_f32_e32 v9, v20, v9
	v_add_f32_e32 v21, v50, v49
	v_add_f32_e32 v9, v23, v9
	v_sub_f32_e32 v20, v21, v50
	v_mul_f32_e32 v9, v48, v9
	v_sub_f32_e32 v20, v49, v20
	v_add_f32_e32 v22, v20, v9
	v_add_f32_e32 v24, v21, v22
	v_cvt_f32_i32_e32 v20, v46
	v_mul_f32_e32 v25, v24, v24
	v_sub_f32_e32 v21, v24, v21
	v_fmamk_f32 v9, v25, 0x3e9b6dac, v32
	v_sub_f32_e32 v21, v22, v21
	v_fmaak_f32 v9, v25, v9, 0x3f2aaada
	v_ldexp_f32 v44, v21, 1
	v_mul_f32_e32 v21, v24, v25
	v_ldexp_f32 v23, v24, 1
	v_pk_mul_f32 v[24:25], v[20:21], v[8:9]
	s_nop 0
	v_fma_f32 v22, v20, s72, -v24
	v_fmac_f32_e32 v22, 0xb102e308, v20
	v_pk_add_f32 v[20:21], v[24:25], v[22:23]
	s_nop 0
	v_sub_f32_e32 v9, v21, v23
	v_sub_f32_e32 v9, v25, v9
	v_add_f32_e32 v45, v44, v9
	v_mov_b32_e32 v44, v24
	v_pk_add_f32 v[24:25], v[20:21], v[24:25] neg_lo:[0,1] neg_hi:[0,1]
	v_pk_add_f32 v[46:47], v[20:21], v[44:45]
	v_mov_b32_e32 v23, v20
	v_mov_b32_e32 v25, v47
	v_pk_add_f32 v[48:49], v[22:23], v[24:25] neg_lo:[0,1] neg_hi:[0,1]
	v_pk_add_f32 v[22:23], v[22:23], v[24:25]
	v_mov_b32_e32 v44, v45
	v_mov_b32_e32 v24, v23
	v_pk_add_f32 v[50:51], v[24:25], v[20:21] neg_lo:[0,1] neg_hi:[0,1]
	v_mov_b32_e32 v22, v47
	v_mov_b32_e32 v9, v50
	v_pk_add_f32 v[52:53], v[46:47], v[8:9] neg_lo:[0,1] neg_hi:[0,1]
	v_mov_b32_e32 v46, v21
	v_mov_b32_e32 v47, v50
	;; [unrolled: 1-line block ×3, first 2 shown]
	v_pk_add_f32 v[22:23], v[22:23], v[46:47] neg_lo:[0,1] neg_hi:[0,1]
	v_mov_b32_e32 v45, v20
	v_pk_add_f32 v[20:21], v[44:45], v[22:23] neg_lo:[0,1] neg_hi:[0,1]
	v_mov_b32_e32 v52, v48
	v_pk_add_f32 v[22:23], v[52:53], v[20:21]
	s_nop 0
	v_mov_b32_e32 v44, v23
	v_pk_add_f32 v[44:45], v[22:23], v[44:45]
	s_nop 0
	v_pk_add_f32 v[24:25], v[24:25], v[44:45]
	v_mov_b32_e32 v21, v44
	v_mov_b32_e32 v23, v24
	v_pk_add_f32 v[46:47], v[22:23], v[48:49] neg_lo:[0,1] neg_hi:[0,1]
	s_nop 0
	v_sub_f32_e32 v9, v22, v46
	v_pk_add_f32 v[20:21], v[20:21], v[46:47] neg_lo:[0,1] neg_hi:[0,1]
	v_sub_f32_e32 v9, v48, v9
	v_add_f32_e32 v9, v20, v9
	v_add_f32_e32 v9, v9, v21
	;; [unrolled: 1-line block ×3, first 2 shown]
	v_cndmask_b32_e32 v9, v9, v19, vcc
	v_cmp_ngt_f32_e32 vcc, -1.0, v19
	s_nop 1
	v_cndmask_b32_e32 v9, v37, v9, vcc
	v_cmp_neq_f32_e32 vcc, -1.0, v19
	s_nop 1
	v_cndmask_b32_e32 v9, v40, v9, vcc
	v_cmp_lt_f32_e64 vcc, |v19|, s62
	s_nop 1
	v_cndmask_b32_e32 v9, v9, v19, vcc
	v_mul_f32_e32 v20, 0.5, v9
.LBB355_179:                            ;   in Loop: Header=BB355_129 Depth=2
	s_or_b64 exec, exec, s[10:11]
.LBB355_180:                            ;   in Loop: Header=BB355_129 Depth=2
	s_or_b64 exec, exec, s[8:9]
	v_max_f32_e64 v21, |v0|, |v0|
	v_max_f32_e64 v22, |v7|, |v7|
	v_min_f32_e32 v21, v22, v21
	v_frexp_mant_f32_e32 v22, v18
	v_rcp_f32_e32 v22, v22
	v_frexp_exp_i32_f32_e32 v18, v18
	v_frexp_exp_i32_f32_e32 v23, v21
	v_frexp_mant_f32_e32 v21, v21
	v_mul_f32_e32 v21, v21, v22
	v_sub_u32_e32 v18, v23, v18
	v_ldexp_f32 v18, v21, v18
	v_mul_f32_e32 v21, v18, v18
	v_fmamk_f32 v22, v21, 0x3b2d2a58, v33
	v_fmaak_f32 v22, v21, v22, 0x3d29fb3f
	v_fmaak_f32 v22, v21, v22, 0xbd97d4d7
	;; [unrolled: 1-line block ×6, first 2 shown]
	v_mul_f32_e32 v21, v21, v22
	v_cmp_gt_i32_e64 s[8:9], 0, v7
	v_fmac_f32_e32 v18, v18, v21
	v_sub_f32_e32 v21, 0x3fc90fdb, v18
	v_cndmask_b32_e64 v19, 0, v43, s[8:9]
	v_cmp_gt_f32_e64 s[8:9], |v0|, |v7|
	v_cmp_gt_f32_e32 vcc, 0, v7
	v_cmp_class_f32_e64 s[10:11], v0, s73
	v_cndmask_b32_e64 v18, v18, v21, s[8:9]
	v_sub_f32_e32 v21, 0x40490fdb, v18
	v_cmp_class_f32_e64 s[12:13], v7, s73
	v_cndmask_b32_e32 v9, v41, v42, vcc
	v_cndmask_b32_e32 v18, v18, v21, vcc
	v_cmp_eq_f32_e32 vcc, 0, v0
	s_nop 1
	v_cndmask_b32_e32 v18, v18, v19, vcc
	s_and_b64 vcc, s[10:11], s[12:13]
	v_cndmask_b32_e32 v9, v18, v9, vcc
	v_cmp_o_f32_e32 vcc, v7, v0
	s_nop 1
	v_cndmask_b32_e32 v7, v37, v9, vcc
	v_bfi_b32 v21, s52, v7, v0
.LBB355_181:                            ;   in Loop: Header=BB355_129 Depth=2
	s_or_b64 exec, exec, s[42:43]
.LBB355_182:                            ;   in Loop: Header=BB355_129 Depth=2
	s_or_b64 exec, exec, s[40:41]
	v_mov_b64_e32 v[24:25], v[20:21]
.LBB355_183:                            ;   in Loop: Header=BB355_129 Depth=2
	s_or_b64 exec, exec, s[38:39]
	ds_write_b64 v26, v[24:25]
.LBB355_184:                            ;   in Loop: Header=BB355_129 Depth=2
	s_or_b64 exec, exec, s[36:37]
	s_mov_b64 s[36:37], 0
	v_mov_b32_e32 v0, 0
	s_waitcnt lgkmcnt(0)
	s_barrier
	s_branch .LBB355_191
.LBB355_185:                            ;   in Loop: Header=BB355_191 Depth=3
	s_or_b64 exec, exec, s[10:11]
.LBB355_186:                            ;   in Loop: Header=BB355_191 Depth=3
	s_or_b64 exec, exec, s[8:9]
	v_max_f32_e64 v21, |v0|, |v0|
	v_max_f32_e64 v22, |v7|, |v7|
	v_min_f32_e32 v21, v22, v21
	v_frexp_mant_f32_e32 v22, v18
	v_rcp_f32_e32 v22, v22
	v_frexp_exp_i32_f32_e32 v18, v18
	v_frexp_exp_i32_f32_e32 v23, v21
	v_frexp_mant_f32_e32 v21, v21
	v_mul_f32_e32 v21, v21, v22
	v_sub_u32_e32 v18, v23, v18
	v_ldexp_f32 v18, v21, v18
	v_mul_f32_e32 v21, v18, v18
	v_fmamk_f32 v22, v21, 0x3b2d2a58, v33
	v_fmaak_f32 v22, v21, v22, 0x3d29fb3f
	v_fmaak_f32 v22, v21, v22, 0xbd97d4d7
	;; [unrolled: 1-line block ×6, first 2 shown]
	v_mul_f32_e32 v21, v21, v22
	v_cmp_gt_i32_e64 s[8:9], 0, v7
	v_fmac_f32_e32 v18, v18, v21
	v_sub_f32_e32 v21, 0x3fc90fdb, v18
	v_cndmask_b32_e64 v19, 0, v43, s[8:9]
	v_cmp_gt_f32_e64 s[8:9], |v0|, |v7|
	v_cmp_gt_f32_e32 vcc, 0, v7
	v_cmp_class_f32_e64 s[10:11], v0, s73
	v_cndmask_b32_e64 v18, v18, v21, s[8:9]
	v_sub_f32_e32 v21, 0x40490fdb, v18
	v_cmp_class_f32_e64 s[12:13], v7, s73
	v_cndmask_b32_e32 v9, v41, v42, vcc
	v_cndmask_b32_e32 v18, v18, v21, vcc
	v_cmp_eq_f32_e32 vcc, 0, v0
	s_nop 1
	v_cndmask_b32_e32 v18, v18, v19, vcc
	s_and_b64 vcc, s[10:11], s[12:13]
	v_cndmask_b32_e32 v9, v18, v9, vcc
	v_cmp_o_f32_e32 vcc, v7, v0
	s_nop 1
	v_cndmask_b32_e32 v7, v37, v9, vcc
	v_bfi_b32 v21, s52, v7, v0
.LBB355_187:                            ;   in Loop: Header=BB355_191 Depth=3
	s_or_b64 exec, exec, s[44:45]
.LBB355_188:                            ;   in Loop: Header=BB355_191 Depth=3
	s_or_b64 exec, exec, s[42:43]
	v_mov_b64_e32 v[24:25], v[20:21]
.LBB355_189:                            ;   in Loop: Header=BB355_191 Depth=3
	s_or_b64 exec, exec, s[40:41]
	ds_write_b64 v45, v[24:25]
.LBB355_190:                            ;   in Loop: Header=BB355_191 Depth=3
	s_or_b64 exec, exec, s[38:39]
	v_cmp_eq_u32_e32 vcc, s50, v44
	s_or_b64 s[36:37], vcc, s[36:37]
	v_mov_b32_e32 v0, v44
	s_waitcnt lgkmcnt(0)
	s_barrier
	s_andn2_b64 exec, exec, s[36:37]
	s_cbranch_execz .LBB355_240
.LBB355_191:                            ;   Parent Loop BB355_126 Depth=1
                                        ;     Parent Loop BB355_129 Depth=2
                                        ; =>    This Inner Loop Header: Depth=3
	v_add_u32_e32 v44, 1, v0
	s_and_saveexec_b64 s[8:9], s[6:7]
	s_xor_b64 s[8:9], exec, s[8:9]
; %bb.192:                              ;   in Loop: Header=BB355_191 Depth=3
	v_add_u32_e32 v44, 1, v0
                                        ; implicit-def: $vgpr0
; %bb.193:                              ;   in Loop: Header=BB355_191 Depth=3
	s_andn2_saveexec_b64 s[38:39], s[8:9]
	s_cbranch_execz .LBB355_190
; %bb.194:                              ;   in Loop: Header=BB355_191 Depth=3
	v_lshlrev_b32_e64 v18, v0, 1
	v_ashrrev_i32_e32 v19, 31, v18
	v_cmp_ge_u64_e32 vcc, v[4:5], v[18:19]
	v_mov_b64_e32 v[20:21], v[4:5]
	s_and_saveexec_b64 s[8:9], vcc
	s_cbranch_execz .LBB355_196
; %bb.195:                              ;   in Loop: Header=BB355_191 Depth=3
	v_cvt_f32_u32_e32 v7, v18
	v_sub_u32_e32 v9, 0, v18
	v_rcp_iflag_f32_e32 v7, v7
	s_nop 0
	v_mul_f32_e32 v7, 0x4f7ffffe, v7
	v_cvt_u32_f32_e32 v7, v7
	v_mul_lo_u32 v9, v9, v7
	v_mul_hi_u32 v9, v7, v9
	v_add_u32_e32 v7, v7, v9
	v_mul_hi_u32 v7, v4, v7
	v_mul_lo_u32 v7, v7, v18
	v_sub_u32_e32 v7, v4, v7
	v_sub_u32_e32 v9, v7, v18
	v_cmp_ge_u32_e32 vcc, v7, v18
	s_nop 1
	v_cndmask_b32_e32 v7, v7, v9, vcc
	v_sub_u32_e32 v9, v7, v18
	v_cmp_ge_u32_e32 vcc, v7, v18
	s_nop 1
	v_cndmask_b32_e32 v20, v7, v9, vcc
.LBB355_196:                            ;   in Loop: Header=BB355_191 Depth=3
	s_or_b64 exec, exec, s[8:9]
	v_lshrrev_b32_e32 v0, v0, v4
	v_lshl_or_b32 v0, v0, v44, v18
	v_lshl_add_u32 v0, v0, 3, v26
	v_add_u32_e32 v7, -8, v0
	ds_read_b64 v[18:19], v7
	v_lshl_add_u32 v45, v20, 3, v0
	ds_read_b64 v[24:25], v45
	s_waitcnt lgkmcnt(1)
	v_cmp_o_f32_e32 vcc, v18, v18
	v_cmp_o_f32_e64 s[8:9], v19, v19
	v_mov_b32_e32 v23, v19
	s_and_b64 s[10:11], vcc, s[8:9]
	v_mov_b64_e32 v[20:21], v[18:19]
	s_and_saveexec_b64 s[12:13], s[10:11]
	s_cbranch_execz .LBB355_198
; %bb.197:                              ;   in Loop: Header=BB355_191 Depth=3
	s_waitcnt lgkmcnt(0)
	v_cmp_u_f32_e32 vcc, v24, v24
	v_cmp_u_f32_e64 s[8:9], v25, v25
	s_or_b64 s[8:9], vcc, s[8:9]
	v_cmp_lt_f32_e32 vcc, v24, v18
	s_or_b64 vcc, s[8:9], vcc
	s_nop 0
	v_cndmask_b32_e32 v23, v19, v25, vcc
	v_cndmask_b32_e32 v22, v18, v24, vcc
	v_mov_b64_e32 v[20:21], v[22:23]
.LBB355_198:                            ;   in Loop: Header=BB355_191 Depth=3
	s_or_b64 exec, exec, s[12:13]
	s_and_saveexec_b64 s[8:9], s[10:11]
	s_xor_b64 s[10:11], exec, s[8:9]
	s_cbranch_execz .LBB355_200
; %bb.199:                              ;   in Loop: Header=BB355_191 Depth=3
	s_waitcnt lgkmcnt(0)
	v_cmp_u_f32_e32 vcc, v24, v24
	v_cmp_u_f32_e64 s[8:9], v25, v25
	s_or_b64 s[8:9], vcc, s[8:9]
	v_cmp_ge_f32_e32 vcc, v24, v18
	s_or_b64 vcc, s[8:9], vcc
	s_nop 0
	v_cndmask_b32_e32 v19, v19, v25, vcc
	v_cndmask_b32_e32 v18, v18, v24, vcc
.LBB355_200:                            ;   in Loop: Header=BB355_191 Depth=3
	s_andn2_saveexec_b64 s[8:9], s[10:11]
	s_or_b64 exec, exec, s[8:9]
	v_cmp_o_f32_e32 vcc, v20, v20
	v_cmp_o_f32_e64 s[8:9], v21, v21
	s_mov_b32 s27, s26
	s_and_b64 s[8:9], vcc, s[8:9]
	s_waitcnt lgkmcnt(0)
	v_mov_b64_e32 v[24:25], s[26:27]
	s_and_saveexec_b64 s[40:41], s[8:9]
	s_cbranch_execz .LBB355_189
; %bb.201:                              ;   in Loop: Header=BB355_191 Depth=3
	v_cmp_class_f32_e64 s[8:9], v20, s51
	v_cmp_neq_f32_e32 vcc, v18, v20
	s_or_b64 s[8:9], s[8:9], vcc
	s_and_saveexec_b64 s[10:11], s[8:9]
	s_xor_b64 s[42:43], exec, s[10:11]
	s_cbranch_execz .LBB355_217
; %bb.202:                              ;   in Loop: Header=BB355_191 Depth=3
	v_pk_add_f32 v[20:21], v[20:21], v[18:19] neg_lo:[0,1] neg_hi:[0,1]
                                        ; implicit-def: $vgpr22
	s_nop 0
	v_and_b32_e32 v7, 0x7fffffff, v21
	v_lshrrev_b32_e32 v0, 23, v7
	v_and_b32_e32 v9, 0x7fffff, v7
	v_cmp_nlt_f32_e64 s[44:45], |v21|, s53
	v_add_u32_e32 v24, 0xffffff88, v0
	v_or_b32_e32 v23, 0x800000, v9
                                        ; implicit-def: $vgpr9
	s_and_saveexec_b64 s[8:9], s[44:45]
	s_xor_b64 s[46:47], exec, s[8:9]
	s_cbranch_execz .LBB355_204
; %bb.203:                              ;   in Loop: Header=BB355_191 Depth=3
	v_cmp_lt_u32_e32 vcc, 63, v24
	v_mad_u64_u32 v[46:47], s[12:13], v23, s55, 0
	s_nop 0
	v_cndmask_b32_e32 v0, 0, v34, vcc
	v_add_u32_e32 v0, v0, v24
	v_cmp_lt_u32_e64 s[8:9], 31, v0
	s_nop 1
	v_cndmask_b32_e64 v9, 0, v35, s[8:9]
	v_add_u32_e32 v0, v9, v0
	v_cmp_lt_u32_e64 s[10:11], 31, v0
	s_nop 1
	v_cndmask_b32_e64 v9, 0, v35, s[10:11]
	v_add_u32_e32 v9, v9, v0
	v_mov_b32_e32 v0, v47
	v_mad_u64_u32 v[48:49], s[12:13], v23, s56, v[0:1]
	v_mov_b32_e32 v0, v49
	v_mad_u64_u32 v[50:51], s[12:13], v23, s57, v[0:1]
	;; [unrolled: 2-line block ×6, first 2 shown]
	v_cndmask_b32_e32 v22, v56, v52, vcc
	v_cndmask_b32_e32 v0, v58, v54, vcc
	;; [unrolled: 1-line block ×3, first 2 shown]
	v_cndmask_b32_e64 v25, v0, v22, s[8:9]
	v_cndmask_b32_e64 v0, v47, v0, s[8:9]
	v_cndmask_b32_e32 v47, v54, v50, vcc
	v_cndmask_b32_e64 v22, v22, v47, s[8:9]
	v_sub_u32_e32 v49, 32, v9
	v_cmp_eq_u32_e64 s[12:13], 0, v9
	v_cndmask_b32_e32 v9, v52, v48, vcc
	v_cndmask_b32_e64 v0, v0, v25, s[10:11]
	v_cndmask_b32_e64 v25, v25, v22, s[10:11]
	;; [unrolled: 1-line block ×3, first 2 shown]
	v_alignbit_b32 v51, v0, v25, v49
	v_cndmask_b32_e64 v22, v22, v47, s[10:11]
	v_cndmask_b32_e64 v0, v51, v0, s[12:13]
	v_alignbit_b32 v48, v25, v22, v49
	v_cndmask_b32_e32 v46, v50, v46, vcc
	v_cndmask_b32_e64 v25, v48, v25, s[12:13]
	v_bfe_u32 v52, v0, 29, 1
	v_cndmask_b32_e64 v9, v9, v46, s[8:9]
	v_alignbit_b32 v48, v0, v25, 30
	v_sub_u32_e32 v53, 0, v52
	v_cndmask_b32_e64 v9, v47, v9, s[10:11]
	v_xor_b32_e32 v54, v48, v53
	v_alignbit_b32 v46, v22, v9, v49
	v_cndmask_b32_e64 v22, v46, v22, s[12:13]
	v_ffbh_u32_e32 v46, v54
	v_add_u32_e32 v46, 1, v46
	v_cmp_ne_u32_e32 vcc, v48, v53
	v_alignbit_b32 v25, v25, v22, 30
	v_alignbit_b32 v9, v22, v9, 30
	v_cndmask_b32_e32 v46, 33, v46, vcc
	v_xor_b32_e32 v25, v25, v53
	v_sub_u32_e32 v47, 32, v46
	v_xor_b32_e32 v9, v9, v53
	v_alignbit_b32 v48, v54, v25, v47
	v_alignbit_b32 v9, v25, v9, v47
	;; [unrolled: 1-line block ×3, first 2 shown]
	v_ffbh_u32_e32 v25, v22
	v_min_u32_e32 v25, 32, v25
	v_lshrrev_b32_e32 v51, 29, v0
	v_sub_u32_e32 v47, 31, v25
	v_alignbit_b32 v9, v22, v9, v47
	v_lshlrev_b32_e32 v22, 31, v51
	v_or_b32_e32 v47, 0x33800000, v22
	v_add_lshl_u32 v25, v25, v46, 23
	v_lshrrev_b32_e32 v9, 9, v9
	v_sub_u32_e32 v25, v47, v25
	v_or_b32_e32 v9, v25, v9
	v_alignbit_b32 v25, v46, v48, 9
	v_or_b32_e32 v22, v25, v22
	v_xor_b32_e32 v22, 1.0, v22
	v_mul_f32_e32 v25, 0x3fc90fda, v22
	v_fma_f32 v46, v22, s63, -v25
	v_fmac_f32_e32 v46, 0x33a22168, v22
	v_fmac_f32_e32 v46, 0x3fc90fda, v9
	v_lshrrev_b32_e32 v0, 30, v0
	v_add_f32_e32 v22, v25, v46
	v_add_u32_e32 v9, v52, v0
.LBB355_204:                            ;   in Loop: Header=BB355_191 Depth=3
	s_or_saveexec_b64 s[8:9], s[46:47]
	v_mul_f32_e64 v0, |v21|, s64
	v_rndne_f32_e32 v46, v0
	s_xor_b64 exec, exec, s[8:9]
; %bb.205:                              ;   in Loop: Header=BB355_191 Depth=3
	v_cvt_i32_f32_e32 v9, v46
	v_fma_f32 v22, v46, s65, |v21|
	v_fmac_f32_e32 v22, 0xb3a22168, v46
	v_fmac_f32_e32 v22, 0xa7c234c4, v46
; %bb.206:                              ;   in Loop: Header=BB355_191 Depth=3
	s_or_b64 exec, exec, s[8:9]
                                        ; implicit-def: $vgpr0
                                        ; implicit-def: $vgpr25
	s_and_saveexec_b64 s[8:9], s[44:45]
	s_xor_b64 s[44:45], exec, s[8:9]
	s_cbranch_execz .LBB355_208
; %bb.207:                              ;   in Loop: Header=BB355_191 Depth=3
	v_cmp_lt_u32_e32 vcc, 63, v24
	s_nop 1
	v_cndmask_b32_e32 v0, 0, v34, vcc
	v_add_u32_e32 v0, v0, v24
	v_cmp_lt_u32_e64 s[8:9], 31, v0
	s_nop 1
	v_cndmask_b32_e64 v24, 0, v35, s[8:9]
	v_add_u32_e32 v0, v24, v0
	v_cmp_lt_u32_e64 s[10:11], 31, v0
	s_nop 1
	v_cndmask_b32_e64 v24, 0, v35, s[10:11]
	v_add_u32_e32 v58, v24, v0
	v_mad_u64_u32 v[24:25], s[12:13], v23, s55, 0
	v_mov_b32_e32 v0, v25
	v_mad_u64_u32 v[46:47], s[12:13], v23, s56, v[0:1]
	v_mov_b32_e32 v0, v47
	;; [unrolled: 2-line block ×6, first 2 shown]
	v_mad_u64_u32 v[56:57], s[12:13], v23, s61, v[0:1]
	v_cndmask_b32_e32 v25, v54, v50, vcc
	v_cndmask_b32_e32 v0, v56, v52, vcc
	v_cndmask_b32_e32 v47, v57, v54, vcc
	v_cndmask_b32_e64 v23, v0, v25, s[8:9]
	v_cndmask_b32_e64 v0, v47, v0, s[8:9]
	v_cndmask_b32_e32 v47, v52, v48, vcc
	v_cndmask_b32_e64 v25, v25, v47, s[8:9]
	v_cndmask_b32_e32 v46, v50, v46, vcc
	v_cndmask_b32_e64 v0, v0, v23, s[10:11]
	v_cndmask_b32_e64 v23, v23, v25, s[10:11]
	v_sub_u32_e32 v49, 32, v58
	v_cndmask_b32_e64 v47, v47, v46, s[8:9]
	v_alignbit_b32 v51, v0, v23, v49
	v_cmp_eq_u32_e64 s[12:13], 0, v58
	v_cndmask_b32_e64 v25, v25, v47, s[10:11]
	v_alignbit_b32 v50, v23, v25, v49
	v_cndmask_b32_e64 v0, v51, v0, s[12:13]
	v_cndmask_b32_e32 v24, v48, v24, vcc
	v_cndmask_b32_e64 v23, v50, v23, s[12:13]
	v_bfe_u32 v52, v0, 29, 1
	v_cndmask_b32_e64 v24, v46, v24, s[8:9]
	v_alignbit_b32 v50, v0, v23, 30
	v_sub_u32_e32 v53, 0, v52
	v_cndmask_b32_e64 v24, v47, v24, s[10:11]
	v_xor_b32_e32 v54, v50, v53
	v_alignbit_b32 v46, v25, v24, v49
	v_cndmask_b32_e64 v25, v46, v25, s[12:13]
	v_ffbh_u32_e32 v46, v54
	v_add_u32_e32 v46, 1, v46
	v_cmp_ne_u32_e32 vcc, v50, v53
	v_alignbit_b32 v23, v23, v25, 30
	v_alignbit_b32 v24, v25, v24, 30
	v_cndmask_b32_e32 v46, 33, v46, vcc
	v_xor_b32_e32 v23, v23, v53
	v_sub_u32_e32 v47, 32, v46
	v_xor_b32_e32 v24, v24, v53
	v_alignbit_b32 v48, v54, v23, v47
	v_alignbit_b32 v23, v23, v24, v47
	;; [unrolled: 1-line block ×3, first 2 shown]
	v_ffbh_u32_e32 v25, v24
	v_min_u32_e32 v25, 32, v25
	v_lshrrev_b32_e32 v51, 29, v0
	v_sub_u32_e32 v47, 31, v25
	v_alignbit_b32 v23, v24, v23, v47
	v_lshlrev_b32_e32 v24, 31, v51
	v_or_b32_e32 v47, 0x33800000, v24
	v_add_lshl_u32 v25, v25, v46, 23
	v_lshrrev_b32_e32 v23, 9, v23
	v_sub_u32_e32 v25, v47, v25
	v_or_b32_e32 v23, v25, v23
	v_alignbit_b32 v25, v46, v48, 9
	v_or_b32_e32 v24, v25, v24
	v_xor_b32_e32 v24, 1.0, v24
	v_mul_f32_e32 v25, 0x3fc90fda, v24
	v_fma_f32 v46, v24, s63, -v25
	v_fmac_f32_e32 v46, 0x33a22168, v24
	v_fmac_f32_e32 v46, 0x3fc90fda, v23
	v_lshrrev_b32_e32 v0, 30, v0
	v_add_f32_e32 v25, v25, v46
	v_add_u32_e32 v0, v52, v0
                                        ; implicit-def: $vgpr46
	s_andn2_saveexec_b64 s[8:9], s[44:45]
	s_cbranch_execnz .LBB355_209
	s_branch .LBB355_210
.LBB355_208:                            ;   in Loop: Header=BB355_191 Depth=3
	s_andn2_saveexec_b64 s[8:9], s[44:45]
.LBB355_209:                            ;   in Loop: Header=BB355_191 Depth=3
	v_cvt_i32_f32_e32 v0, v46
	v_fma_f32 v25, v46, s65, |v21|
	v_fmac_f32_e32 v25, 0xb3a22168, v46
	v_fmac_f32_e32 v25, 0xa7c234c4, v46
.LBB355_210:                            ;   in Loop: Header=BB355_191 Depth=3
	s_or_b64 exec, exec, s[8:9]
	v_mul_f32_e32 v23, 0x3fb8aa3b, v20
	v_rndne_f32_e32 v24, v23
	v_sub_f32_e32 v46, v23, v24
	v_fma_f32 v23, v20, s66, -v23
	v_fmac_f32_e32 v23, 0x32a5705f, v20
	v_add_f32_e32 v23, v46, v23
	v_cvt_i32_f32_e32 v24, v24
	v_exp_f32_e32 v23, v23
	v_cmp_ngt_f32_e32 vcc, s67, v20
	v_and_b32_e32 v49, 1, v0
	v_lshlrev_b32_e32 v0, 30, v0
	v_ldexp_f32 v23, v23, v24
	v_cndmask_b32_e32 v23, 0, v23, vcc
	v_cmp_nlt_f32_e32 vcc, s68, v20
	v_mov_b32_e32 v46, v22
	v_and_b32_e32 v0, 0x80000000, v0
	v_cndmask_b32_e32 v20, v36, v23, vcc
	v_lshlrev_b32_e32 v23, 30, v9
	v_and_b32_e32 v48, 0x80000000, v23
	v_mul_f32_e32 v23, v25, v25
	v_fmamk_f32 v24, v23, 0xb94c1982, v30
	v_fmaak_f32 v47, v23, v24, 0xbe2aaa9d
	v_fmamk_f32 v24, v23, 0x37d75334, v31
	v_xor_b32_e32 v7, v7, v21
	v_pk_mul_f32 v[46:47], v[22:23], v[46:47]
	v_fmaak_f32 v24, v23, v24, 0x3d2aabf7
	v_xor_b32_e32 v0, v7, v0
	v_fmamk_f32 v7, v46, 0x37d75334, v31
	v_fmaak_f32 v24, v23, v24, 0xbf000004
	v_fmaak_f32 v7, v46, v7, 0x3d2aabf7
	v_fma_f32 v50, v23, v24, 1.0
	v_fmaak_f32 v24, v46, v7, 0xbf000004
	v_fmamk_f32 v7, v46, 0xb94c1982, v30
	v_fmaak_f32 v7, v46, v7, 0xbe2aaa9d
	v_mul_f32_e32 v7, v46, v7
	v_fmac_f32_e32 v22, v22, v7
	v_mov_b32_e32 v7, v25
	v_and_b32_e32 v9, 1, v9
	v_pk_fma_f32 v[24:25], v[46:47], v[24:25], v[6:7]
	v_cmp_eq_u32_e32 vcc, 0, v49
	s_nop 1
	v_cndmask_b32_e32 v7, v50, v25, vcc
	v_cmp_eq_u32_e32 vcc, 0, v9
	v_xor_b32_e32 v0, v0, v7
	s_nop 0
	v_cndmask_b32_e64 v9, -v22, v24, vcc
	v_xor_b32_e32 v9, v48, v9
	v_cmp_class_f32_e64 vcc, v21, s51
	s_nop 1
	v_cndmask_b32_e32 v23, v37, v0, vcc
	v_cndmask_b32_e32 v22, v37, v9, vcc
	v_pk_mul_f32 v[20:21], v[20:21], v[22:23] op_sel_hi:[0,1]
	v_max_f32_e64 v0, |v20|, |v21|
	v_cvt_f64_f32_e32 v[22:23], v0
	v_frexp_exp_i32_f64_e32 v7, v[22:23]
	v_sub_u32_e32 v9, 0, v7
	v_ldexp_f32 v22, |v20|, v9
	v_ldexp_f32 v9, |v21|, v9
	v_mul_f32_e32 v9, v9, v9
	v_fmac_f32_e32 v9, v22, v22
	v_sqrt_f32_e32 v9, v9
	v_cmp_eq_f32_e32 vcc, s69, v0
	v_add_f32_e32 v0, 1.0, v20
                                        ; implicit-def: $vgpr22
	v_ldexp_f32 v7, v9, v7
	v_cmp_ngt_f32_e64 s[8:9], 0.5, v7
	v_max_f32_e64 v7, |v0|, |v21|
	s_or_b64 s[8:9], vcc, s[8:9]
	s_and_saveexec_b64 s[10:11], s[8:9]
	s_xor_b64 s[10:11], exec, s[10:11]
	s_cbranch_execz .LBB355_212
; %bb.211:                              ;   in Loop: Header=BB355_191 Depth=3
	v_cvt_f64_f32_e32 v[22:23], v7
	v_frexp_exp_i32_f64_e32 v9, v[22:23]
	v_sub_u32_e32 v22, 0, v9
	v_ldexp_f32 v23, |v0|, v22
	v_ldexp_f32 v22, |v21|, v22
	v_mul_f32_e32 v22, v22, v22
	v_fmac_f32_e32 v22, v23, v23
	v_sqrt_f32_e32 v22, v22
	v_cmp_neq_f32_e32 vcc, s69, v7
	v_ldexp_f32 v9, v22, v9
	s_nop 0
	v_cndmask_b32_e32 v9, v36, v9, vcc
	v_cmp_gt_f32_e32 vcc, s54, v9
	s_nop 1
	v_cndmask_b32_e32 v22, 1.0, v38, vcc
	v_mul_f32_e32 v9, v9, v22
	v_log_f32_e32 v9, v9
	s_nop 0
	v_mul_f32_e32 v22, 0x3f317217, v9
	v_fma_f32 v23, v9, s70, -v22
	v_fmac_f32_e32 v23, 0x3377d1cf, v9
	v_add_f32_e32 v22, v22, v23
	v_cmp_lt_f32_e64 s[8:9], |v9|, s69
	s_nop 1
	v_cndmask_b32_e64 v9, v9, v22, s[8:9]
	v_cndmask_b32_e32 v22, 0, v39, vcc
	v_sub_f32_e32 v22, v9, v22
.LBB355_212:                            ;   in Loop: Header=BB355_191 Depth=3
	s_andn2_saveexec_b64 s[8:9], s[10:11]
	s_cbranch_execz .LBB355_216
; %bb.213:                              ;   in Loop: Header=BB355_191 Depth=3
	v_add_f32_e32 v22, 2.0, v20
	v_mov_b32_e32 v23, v21
	v_pk_mul_f32 v[22:23], v[20:21], v[22:23]
	s_nop 0
	v_add_f32_e32 v22, v22, v23
	v_cmp_neq_f32_e32 vcc, 0, v22
	s_and_saveexec_b64 s[10:11], vcc
	s_cbranch_execz .LBB355_215
; %bb.214:                              ;   in Loop: Header=BB355_191 Depth=3
	v_add_f32_e32 v9, 1.0, v22
	v_add_f32_e32 v20, -1.0, v9
	v_sub_f32_e32 v23, v20, v9
	v_add_f32_e32 v23, 1.0, v23
	v_sub_f32_e32 v20, v22, v20
	v_add_f32_e32 v20, v20, v23
	v_frexp_mant_f32_e32 v23, v9
	v_cvt_f64_f32_e32 v[24:25], v9
	v_frexp_exp_i32_f64_e32 v24, v[24:25]
	v_cmp_gt_f32_e32 vcc, s71, v23
	s_nop 1
	v_subbrev_co_u32_e32 v23, vcc, 0, v24, vcc
	v_sub_u32_e32 v24, 0, v23
	v_ldexp_f32 v9, v9, v24
	v_ldexp_f32 v20, v20, v24
	v_add_f32_e32 v24, -1.0, v9
	v_add_f32_e32 v25, 1.0, v24
	v_sub_f32_e32 v25, v9, v25
	v_add_f32_e32 v46, v20, v25
	v_add_f32_e32 v25, 1.0, v9
	v_add_f32_e32 v47, -1.0, v25
	v_sub_f32_e32 v9, v9, v47
	v_add_f32_e32 v9, v20, v9
	v_add_f32_e32 v20, v25, v9
	v_rcp_f32_e32 v52, v20
	v_sub_f32_e32 v25, v20, v25
	v_sub_f32_e32 v9, v9, v25
	v_add_f32_e32 v25, v24, v46
	v_sub_f32_e32 v24, v25, v24
	v_mul_f32_e32 v54, v25, v52
	v_sub_f32_e32 v53, v46, v24
	v_mul_f32_e32 v46, v20, v54
	v_fma_f32 v48, v54, v20, -v46
	v_fmac_f32_e32 v48, v54, v9
	v_add_f32_e32 v24, v46, v48
	v_sub_f32_e32 v47, v25, v24
	v_pk_add_f32 v[50:51], v[24:25], v[46:47] neg_lo:[0,1] neg_hi:[0,1]
	v_mov_b32_e32 v49, v24
	v_pk_add_f32 v[24:25], v[50:51], v[48:49] neg_lo:[0,1] neg_hi:[0,1]
	v_cmp_eq_f32_e32 vcc, s69, v22
	v_add_f32_e32 v25, v53, v25
	v_add_f32_e32 v24, v24, v25
	;; [unrolled: 1-line block ×3, first 2 shown]
	v_mul_f32_e32 v53, v52, v25
	v_mul_f32_e32 v46, v20, v53
	v_fma_f32 v48, v53, v20, -v46
	v_fmac_f32_e32 v48, v53, v9
	v_sub_f32_e32 v9, v47, v25
	v_add_f32_e32 v9, v24, v9
	v_add_f32_e32 v24, v46, v48
	v_sub_f32_e32 v47, v25, v24
	v_pk_add_f32 v[50:51], v[24:25], v[46:47] neg_lo:[0,1] neg_hi:[0,1]
	v_mov_b32_e32 v49, v24
	v_pk_add_f32 v[24:25], v[50:51], v[48:49] neg_lo:[0,1] neg_hi:[0,1]
	v_add_f32_e32 v20, v54, v53
	v_add_f32_e32 v9, v9, v25
	;; [unrolled: 1-line block ×4, first 2 shown]
	v_sub_f32_e32 v24, v20, v54
	v_mul_f32_e32 v9, v52, v9
	v_sub_f32_e32 v24, v53, v24
	v_add_f32_e32 v25, v24, v9
	v_add_f32_e32 v46, v20, v25
	v_cvt_f32_i32_e32 v24, v23
	v_mul_f32_e32 v48, v46, v46
	v_fmamk_f32 v9, v48, 0x3e9b6dac, v32
	v_sub_f32_e32 v20, v46, v20
	v_fmaak_f32 v9, v48, v9, 0x3f2aaada
	v_sub_f32_e32 v20, v25, v20
	v_mul_f32_e32 v25, v46, v48
	v_pk_mul_f32 v[48:49], v[24:25], v[8:9]
	v_ldexp_f32 v47, v46, 1
	v_fma_f32 v46, v24, s72, -v48
	v_fmac_f32_e32 v46, 0xb102e308, v24
	v_pk_add_f32 v[24:25], v[48:49], v[46:47]
	v_ldexp_f32 v20, v20, 1
	v_sub_f32_e32 v9, v25, v47
	v_sub_f32_e32 v9, v49, v9
	v_add_f32_e32 v51, v20, v9
	v_mov_b32_e32 v50, v48
	v_pk_add_f32 v[48:49], v[24:25], v[48:49] neg_lo:[0,1] neg_hi:[0,1]
	v_pk_add_f32 v[52:53], v[24:25], v[50:51]
	v_mov_b32_e32 v47, v24
	v_mov_b32_e32 v49, v53
	v_pk_add_f32 v[54:55], v[46:47], v[48:49] neg_lo:[0,1] neg_hi:[0,1]
	v_pk_add_f32 v[46:47], v[46:47], v[48:49]
	s_nop 0
	v_mov_b32_e32 v20, v47
	v_pk_add_f32 v[48:49], v[20:21], v[24:25] neg_lo:[0,1] neg_hi:[0,1]
	v_mov_b32_e32 v46, v53
	v_mov_b32_e32 v9, v48
	v_pk_add_f32 v[56:57], v[52:53], v[8:9] neg_lo:[0,1] neg_hi:[0,1]
	v_mov_b32_e32 v52, v25
	v_mov_b32_e32 v53, v48
	;; [unrolled: 1-line block ×3, first 2 shown]
	v_pk_add_f32 v[46:47], v[46:47], v[52:53] neg_lo:[0,1] neg_hi:[0,1]
	v_mov_b32_e32 v48, v51
	v_mov_b32_e32 v49, v24
	v_pk_add_f32 v[24:25], v[48:49], v[46:47] neg_lo:[0,1] neg_hi:[0,1]
	v_mov_b32_e32 v56, v54
	v_pk_add_f32 v[46:47], v[56:57], v[24:25]
	s_nop 0
	v_mov_b32_e32 v48, v47
	v_pk_add_f32 v[48:49], v[46:47], v[48:49]
	s_nop 0
	v_pk_add_f32 v[50:51], v[20:21], v[48:49]
	v_mov_b32_e32 v25, v48
	v_mov_b32_e32 v47, v50
	v_pk_add_f32 v[52:53], v[46:47], v[54:55] neg_lo:[0,1] neg_hi:[0,1]
	s_nop 0
	v_sub_f32_e32 v9, v46, v52
	v_pk_add_f32 v[24:25], v[24:25], v[52:53] neg_lo:[0,1] neg_hi:[0,1]
	v_sub_f32_e32 v9, v54, v9
	v_add_f32_e32 v9, v24, v9
	v_add_f32_e32 v9, v9, v25
	v_add_f32_e32 v9, v50, v9
	v_cndmask_b32_e32 v9, v9, v22, vcc
	v_cmp_ngt_f32_e32 vcc, -1.0, v22
	s_nop 1
	v_cndmask_b32_e32 v9, v37, v9, vcc
	v_cmp_neq_f32_e32 vcc, -1.0, v22
	s_nop 1
	v_cndmask_b32_e32 v9, v40, v9, vcc
	v_cmp_lt_f32_e64 vcc, |v22|, s62
	s_nop 1
	v_cndmask_b32_e32 v9, v9, v22, vcc
	v_mul_f32_e32 v20, 0.5, v9
.LBB355_215:                            ;   in Loop: Header=BB355_191 Depth=3
	s_or_b64 exec, exec, s[10:11]
	v_mov_b32_e32 v22, v20
.LBB355_216:                            ;   in Loop: Header=BB355_191 Depth=3
	s_or_b64 exec, exec, s[8:9]
	v_max_f32_e64 v23, |v21|, |v21|
	v_max_f32_e64 v24, |v0|, |v0|
	v_min_f32_e32 v23, v24, v23
	v_frexp_mant_f32_e32 v24, v7
	v_rcp_f32_e32 v24, v24
	v_frexp_exp_i32_f32_e32 v7, v7
	v_frexp_exp_i32_f32_e32 v25, v23
	v_frexp_mant_f32_e32 v23, v23
	v_mul_f32_e32 v23, v23, v24
	v_sub_u32_e32 v7, v25, v7
	v_ldexp_f32 v7, v23, v7
	v_mul_f32_e32 v23, v7, v7
	v_fmamk_f32 v24, v23, 0x3b2d2a58, v33
	v_fmaak_f32 v24, v23, v24, 0x3d29fb3f
	v_fmaak_f32 v24, v23, v24, 0xbd97d4d7
	;; [unrolled: 1-line block ×6, first 2 shown]
	v_mul_f32_e32 v23, v23, v24
	v_cmp_gt_i32_e64 s[8:9], 0, v0
	v_fmac_f32_e32 v7, v7, v23
	v_sub_f32_e32 v23, 0x3fc90fdb, v7
	v_cndmask_b32_e64 v20, 0, v43, s[8:9]
	v_cmp_gt_f32_e64 s[8:9], |v21|, |v0|
	v_cmp_gt_f32_e32 vcc, 0, v0
	v_cmp_class_f32_e64 s[10:11], v21, s73
	v_cndmask_b32_e64 v7, v7, v23, s[8:9]
	v_sub_f32_e32 v23, 0x40490fdb, v7
	v_cmp_class_f32_e64 s[12:13], v0, s73
	v_cndmask_b32_e32 v9, v41, v42, vcc
	v_cndmask_b32_e32 v7, v7, v23, vcc
	v_cmp_eq_f32_e32 vcc, 0, v21
	s_nop 1
	v_cndmask_b32_e32 v7, v7, v20, vcc
	s_and_b64 vcc, s[12:13], s[10:11]
	v_cndmask_b32_e32 v7, v7, v9, vcc
	v_cmp_o_f32_e32 vcc, v0, v21
	s_nop 1
	v_cndmask_b32_e32 v0, v37, v7, vcc
	v_bfi_b32 v23, s52, v0, v21
	v_pk_add_f32 v[20:21], v[18:19], v[22:23]
                                        ; implicit-def: $vgpr23
                                        ; implicit-def: $vgpr19
.LBB355_217:                            ;   in Loop: Header=BB355_191 Depth=3
	s_andn2_saveexec_b64 s[42:43], s[42:43]
	s_cbranch_execz .LBB355_188
; %bb.218:                              ;   in Loop: Header=BB355_191 Depth=3
	v_cmp_ngt_f32_e32 vcc, 0, v20
	s_and_saveexec_b64 s[44:45], vcc
	s_cbranch_execz .LBB355_187
; %bb.219:                              ;   in Loop: Header=BB355_191 Depth=3
	v_and_b32_e32 v7, 0x7fffffff, v21
	v_lshrrev_b32_e32 v0, 23, v7
	v_and_b32_e32 v9, 0x7fffff, v7
	v_cmp_nlt_f32_e64 s[46:47], |v21|, s53
	v_add_u32_e32 v25, 0xffffff88, v0
	v_or_b32_e32 v24, 0x800000, v9
                                        ; implicit-def: $vgpr18
                                        ; implicit-def: $vgpr9
	s_and_saveexec_b64 s[8:9], s[46:47]
	s_xor_b64 s[48:49], exec, s[8:9]
	s_cbranch_execz .LBB355_221
; %bb.220:                              ;   in Loop: Header=BB355_191 Depth=3
	v_cmp_lt_u32_e32 vcc, 63, v25
	v_mad_u64_u32 v[46:47], s[12:13], v24, s55, 0
	s_nop 0
	v_cndmask_b32_e32 v0, 0, v34, vcc
	v_add_u32_e32 v0, v0, v25
	v_cmp_lt_u32_e64 s[8:9], 31, v0
	s_nop 1
	v_cndmask_b32_e64 v9, 0, v35, s[8:9]
	v_add_u32_e32 v0, v9, v0
	v_cmp_lt_u32_e64 s[10:11], 31, v0
	s_nop 1
	v_cndmask_b32_e64 v9, 0, v35, s[10:11]
	v_add_u32_e32 v9, v9, v0
	v_mov_b32_e32 v0, v47
	v_mad_u64_u32 v[48:49], s[12:13], v24, s56, v[0:1]
	v_mov_b32_e32 v0, v49
	v_mad_u64_u32 v[50:51], s[12:13], v24, s57, v[0:1]
	;; [unrolled: 2-line block ×6, first 2 shown]
	v_cndmask_b32_e32 v18, v56, v52, vcc
	v_cndmask_b32_e32 v0, v58, v54, vcc
	;; [unrolled: 1-line block ×3, first 2 shown]
	v_cndmask_b32_e64 v20, v0, v18, s[8:9]
	v_cndmask_b32_e64 v0, v22, v0, s[8:9]
	v_cndmask_b32_e32 v22, v54, v50, vcc
	v_cndmask_b32_e64 v18, v18, v22, s[8:9]
	v_sub_u32_e32 v47, 32, v9
	v_cmp_eq_u32_e64 s[12:13], 0, v9
	v_cndmask_b32_e32 v9, v52, v48, vcc
	v_cndmask_b32_e64 v0, v0, v20, s[10:11]
	v_cndmask_b32_e64 v20, v20, v18, s[10:11]
	;; [unrolled: 1-line block ×3, first 2 shown]
	v_alignbit_b32 v49, v0, v20, v47
	v_cndmask_b32_e64 v18, v18, v22, s[10:11]
	v_cndmask_b32_e64 v0, v49, v0, s[12:13]
	v_alignbit_b32 v48, v20, v18, v47
	v_cndmask_b32_e32 v46, v50, v46, vcc
	v_cndmask_b32_e64 v20, v48, v20, s[12:13]
	v_bfe_u32 v51, v0, 29, 1
	v_cndmask_b32_e64 v9, v9, v46, s[8:9]
	v_alignbit_b32 v48, v0, v20, 30
	v_sub_u32_e32 v52, 0, v51
	v_cndmask_b32_e64 v9, v22, v9, s[10:11]
	v_xor_b32_e32 v53, v48, v52
	v_alignbit_b32 v22, v18, v9, v47
	v_cndmask_b32_e64 v18, v22, v18, s[12:13]
	v_ffbh_u32_e32 v22, v53
	v_add_u32_e32 v22, 1, v22
	v_cmp_ne_u32_e32 vcc, v48, v52
	v_alignbit_b32 v20, v20, v18, 30
	v_alignbit_b32 v9, v18, v9, 30
	v_cndmask_b32_e32 v22, 33, v22, vcc
	v_xor_b32_e32 v20, v20, v52
	v_sub_u32_e32 v46, 32, v22
	v_xor_b32_e32 v9, v9, v52
	v_alignbit_b32 v47, v53, v20, v46
	v_alignbit_b32 v9, v20, v9, v46
	;; [unrolled: 1-line block ×3, first 2 shown]
	v_ffbh_u32_e32 v20, v18
	v_min_u32_e32 v20, 32, v20
	v_lshrrev_b32_e32 v49, 29, v0
	v_sub_u32_e32 v46, 31, v20
	v_alignbit_b32 v9, v18, v9, v46
	v_lshlrev_b32_e32 v18, 31, v49
	v_or_b32_e32 v46, 0x33800000, v18
	v_add_lshl_u32 v20, v20, v22, 23
	v_lshrrev_b32_e32 v9, 9, v9
	v_sub_u32_e32 v20, v46, v20
	v_or_b32_e32 v9, v20, v9
	v_alignbit_b32 v20, v22, v47, 9
	v_or_b32_e32 v18, v20, v18
	v_xor_b32_e32 v18, 1.0, v18
	v_mul_f32_e32 v20, 0x3fc90fda, v18
	v_fma_f32 v22, v18, s63, -v20
	v_fmac_f32_e32 v22, 0x33a22168, v18
	v_fmac_f32_e32 v22, 0x3fc90fda, v9
	v_lshrrev_b32_e32 v0, 30, v0
	v_add_f32_e32 v9, v20, v22
	v_add_u32_e32 v18, v51, v0
.LBB355_221:                            ;   in Loop: Header=BB355_191 Depth=3
	s_or_saveexec_b64 s[8:9], s[48:49]
	v_mul_f32_e64 v0, |v21|, s64
	v_rndne_f32_e32 v0, v0
	s_xor_b64 exec, exec, s[8:9]
; %bb.222:                              ;   in Loop: Header=BB355_191 Depth=3
	v_cvt_i32_f32_e32 v18, v0
	v_fma_f32 v9, v0, s65, |v21|
	v_fmac_f32_e32 v9, 0xb3a22168, v0
	v_fmac_f32_e32 v9, 0xa7c234c4, v0
; %bb.223:                              ;   in Loop: Header=BB355_191 Depth=3
	s_or_b64 exec, exec, s[8:9]
                                        ; implicit-def: $vgpr20
                                        ; implicit-def: $vgpr22
	s_and_saveexec_b64 s[8:9], s[46:47]
	s_xor_b64 s[46:47], exec, s[8:9]
	s_cbranch_execz .LBB355_225
; %bb.224:                              ;   in Loop: Header=BB355_191 Depth=3
	v_cmp_lt_u32_e32 vcc, 63, v25
	v_mad_u64_u32 v[46:47], s[12:13], v24, s55, 0
	s_nop 0
	v_cndmask_b32_e32 v0, 0, v34, vcc
	v_add_u32_e32 v0, v0, v25
	v_cmp_lt_u32_e64 s[8:9], 31, v0
	s_nop 1
	v_cndmask_b32_e64 v20, 0, v35, s[8:9]
	v_add_u32_e32 v0, v20, v0
	v_cmp_lt_u32_e64 s[10:11], 31, v0
	s_nop 1
	v_cndmask_b32_e64 v20, 0, v35, s[10:11]
	v_add_u32_e32 v20, v20, v0
	v_mov_b32_e32 v0, v47
	v_mad_u64_u32 v[48:49], s[12:13], v24, s56, v[0:1]
	v_mov_b32_e32 v0, v49
	v_mad_u64_u32 v[50:51], s[12:13], v24, s57, v[0:1]
	;; [unrolled: 2-line block ×6, first 2 shown]
	v_cndmask_b32_e32 v22, v56, v52, vcc
	v_cndmask_b32_e32 v0, v24, v54, vcc
	;; [unrolled: 1-line block ×3, first 2 shown]
	v_cndmask_b32_e64 v24, v0, v22, s[8:9]
	v_cndmask_b32_e64 v0, v25, v0, s[8:9]
	v_cndmask_b32_e32 v25, v54, v50, vcc
	v_cndmask_b32_e64 v22, v22, v25, s[8:9]
	v_sub_u32_e32 v47, 32, v20
	v_cmp_eq_u32_e64 s[12:13], 0, v20
	v_cndmask_b32_e32 v20, v52, v48, vcc
	v_cndmask_b32_e64 v0, v0, v24, s[10:11]
	v_cndmask_b32_e64 v24, v24, v22, s[10:11]
	;; [unrolled: 1-line block ×3, first 2 shown]
	v_alignbit_b32 v49, v0, v24, v47
	v_cndmask_b32_e64 v22, v22, v25, s[10:11]
	v_cndmask_b32_e64 v0, v49, v0, s[12:13]
	v_alignbit_b32 v48, v24, v22, v47
	v_cndmask_b32_e32 v46, v50, v46, vcc
	v_cndmask_b32_e64 v24, v48, v24, s[12:13]
	v_bfe_u32 v51, v0, 29, 1
	v_cndmask_b32_e64 v20, v20, v46, s[8:9]
	v_alignbit_b32 v48, v0, v24, 30
	v_sub_u32_e32 v52, 0, v51
	v_cndmask_b32_e64 v20, v25, v20, s[10:11]
	v_xor_b32_e32 v53, v48, v52
	v_alignbit_b32 v25, v22, v20, v47
	v_cndmask_b32_e64 v22, v25, v22, s[12:13]
	v_ffbh_u32_e32 v25, v53
	v_add_u32_e32 v25, 1, v25
	v_cmp_ne_u32_e32 vcc, v48, v52
	v_alignbit_b32 v24, v24, v22, 30
	v_alignbit_b32 v20, v22, v20, 30
	v_cndmask_b32_e32 v25, 33, v25, vcc
	v_xor_b32_e32 v24, v24, v52
	v_sub_u32_e32 v46, 32, v25
	v_xor_b32_e32 v20, v20, v52
	v_alignbit_b32 v47, v53, v24, v46
	v_alignbit_b32 v20, v24, v20, v46
	v_alignbit_b32 v22, v47, v20, 9
	v_ffbh_u32_e32 v24, v22
	v_min_u32_e32 v24, 32, v24
	v_lshrrev_b32_e32 v49, 29, v0
	v_sub_u32_e32 v46, 31, v24
	v_alignbit_b32 v20, v22, v20, v46
	v_lshlrev_b32_e32 v22, 31, v49
	v_or_b32_e32 v46, 0x33800000, v22
	v_add_lshl_u32 v24, v24, v25, 23
	v_lshrrev_b32_e32 v20, 9, v20
	v_sub_u32_e32 v24, v46, v24
	v_or_b32_e32 v20, v24, v20
	v_alignbit_b32 v24, v25, v47, 9
	v_or_b32_e32 v22, v24, v22
	v_xor_b32_e32 v22, 1.0, v22
	v_mul_f32_e32 v24, 0x3fc90fda, v22
	v_fma_f32 v25, v22, s63, -v24
	v_fmac_f32_e32 v25, 0x33a22168, v22
	v_fmac_f32_e32 v25, 0x3fc90fda, v20
	v_lshrrev_b32_e32 v0, 30, v0
	v_add_f32_e32 v22, v24, v25
	v_add_u32_e32 v20, v51, v0
                                        ; implicit-def: $vgpr0
	s_andn2_saveexec_b64 s[8:9], s[46:47]
	s_cbranch_execnz .LBB355_226
	s_branch .LBB355_227
.LBB355_225:                            ;   in Loop: Header=BB355_191 Depth=3
	s_andn2_saveexec_b64 s[8:9], s[46:47]
.LBB355_226:                            ;   in Loop: Header=BB355_191 Depth=3
	v_cvt_i32_f32_e32 v20, v0
	v_fma_f32 v22, v0, s65, |v21|
	v_fmac_f32_e32 v22, 0xb3a22168, v0
	v_fmac_f32_e32 v22, 0xa7c234c4, v0
.LBB355_227:                            ;   in Loop: Header=BB355_191 Depth=3
	s_or_b64 exec, exec, s[8:9]
	v_and_b32_e32 v24, 0x7fffffff, v19
	v_lshrrev_b32_e32 v0, 23, v24
	v_and_b32_e32 v25, 0x7fffff, v24
	v_cmp_nlt_f32_e64 s[46:47], |v19|, s53
	v_add_u32_e32 v48, 0xffffff88, v0
	v_or_b32_e32 v47, 0x800000, v25
                                        ; implicit-def: $vgpr46
                                        ; implicit-def: $vgpr25
	s_and_saveexec_b64 s[8:9], s[46:47]
	s_xor_b64 s[48:49], exec, s[8:9]
	s_cbranch_execz .LBB355_229
; %bb.228:                              ;   in Loop: Header=BB355_191 Depth=3
	v_cmp_lt_u32_e32 vcc, 63, v48
	v_mad_u64_u32 v[50:51], s[12:13], v47, s55, 0
	s_nop 0
	v_cndmask_b32_e32 v0, 0, v34, vcc
	v_add_u32_e32 v0, v0, v48
	v_cmp_lt_u32_e64 s[8:9], 31, v0
	s_nop 1
	v_cndmask_b32_e64 v25, 0, v35, s[8:9]
	v_add_u32_e32 v0, v25, v0
	v_cmp_lt_u32_e64 s[10:11], 31, v0
	s_nop 1
	v_cndmask_b32_e64 v25, 0, v35, s[10:11]
	v_add_u32_e32 v25, v25, v0
	v_mov_b32_e32 v0, v51
	v_mad_u64_u32 v[52:53], s[12:13], v47, s56, v[0:1]
	v_mov_b32_e32 v0, v53
	v_mad_u64_u32 v[54:55], s[12:13], v47, s57, v[0:1]
	;; [unrolled: 2-line block ×6, first 2 shown]
	v_cndmask_b32_e32 v46, v60, v56, vcc
	v_cndmask_b32_e32 v0, v62, v58, vcc
	;; [unrolled: 1-line block ×3, first 2 shown]
	v_cndmask_b32_e64 v49, v0, v46, s[8:9]
	v_cndmask_b32_e64 v0, v51, v0, s[8:9]
	v_cndmask_b32_e32 v51, v58, v54, vcc
	v_cndmask_b32_e64 v46, v46, v51, s[8:9]
	v_sub_u32_e32 v53, 32, v25
	v_cmp_eq_u32_e64 s[12:13], 0, v25
	v_cndmask_b32_e32 v25, v56, v52, vcc
	v_cndmask_b32_e64 v0, v0, v49, s[10:11]
	v_cndmask_b32_e64 v49, v49, v46, s[10:11]
	;; [unrolled: 1-line block ×3, first 2 shown]
	v_alignbit_b32 v55, v0, v49, v53
	v_cndmask_b32_e64 v46, v46, v51, s[10:11]
	v_cndmask_b32_e64 v0, v55, v0, s[12:13]
	v_alignbit_b32 v52, v49, v46, v53
	v_cndmask_b32_e32 v50, v54, v50, vcc
	v_cndmask_b32_e64 v49, v52, v49, s[12:13]
	v_bfe_u32 v56, v0, 29, 1
	v_cndmask_b32_e64 v25, v25, v50, s[8:9]
	v_alignbit_b32 v52, v0, v49, 30
	v_sub_u32_e32 v57, 0, v56
	v_cndmask_b32_e64 v25, v51, v25, s[10:11]
	v_xor_b32_e32 v58, v52, v57
	v_alignbit_b32 v50, v46, v25, v53
	v_cndmask_b32_e64 v46, v50, v46, s[12:13]
	v_ffbh_u32_e32 v50, v58
	v_add_u32_e32 v50, 1, v50
	v_cmp_ne_u32_e32 vcc, v52, v57
	v_alignbit_b32 v49, v49, v46, 30
	v_alignbit_b32 v25, v46, v25, 30
	v_cndmask_b32_e32 v50, 33, v50, vcc
	v_xor_b32_e32 v49, v49, v57
	v_sub_u32_e32 v51, 32, v50
	v_xor_b32_e32 v25, v25, v57
	v_alignbit_b32 v52, v58, v49, v51
	v_alignbit_b32 v25, v49, v25, v51
	;; [unrolled: 1-line block ×3, first 2 shown]
	v_ffbh_u32_e32 v49, v46
	v_min_u32_e32 v49, 32, v49
	v_lshrrev_b32_e32 v55, 29, v0
	v_sub_u32_e32 v51, 31, v49
	v_alignbit_b32 v25, v46, v25, v51
	v_lshlrev_b32_e32 v46, 31, v55
	v_or_b32_e32 v51, 0x33800000, v46
	v_add_lshl_u32 v49, v49, v50, 23
	v_lshrrev_b32_e32 v25, 9, v25
	v_sub_u32_e32 v49, v51, v49
	v_or_b32_e32 v25, v49, v25
	v_alignbit_b32 v49, v50, v52, 9
	v_or_b32_e32 v46, v49, v46
	v_xor_b32_e32 v46, 1.0, v46
	v_mul_f32_e32 v49, 0x3fc90fda, v46
	v_fma_f32 v50, v46, s63, -v49
	v_fmac_f32_e32 v50, 0x33a22168, v46
	v_fmac_f32_e32 v50, 0x3fc90fda, v25
	v_lshrrev_b32_e32 v0, 30, v0
	v_add_f32_e32 v25, v49, v50
	v_add_u32_e32 v46, v56, v0
.LBB355_229:                            ;   in Loop: Header=BB355_191 Depth=3
	s_or_saveexec_b64 s[8:9], s[48:49]
	v_mul_f32_e64 v0, |v19|, s64
	v_rndne_f32_e32 v50, v0
	s_xor_b64 exec, exec, s[8:9]
; %bb.230:                              ;   in Loop: Header=BB355_191 Depth=3
	v_cvt_i32_f32_e32 v46, v50
	v_fma_f32 v25, v50, s65, |v19|
	v_fmac_f32_e32 v25, 0xb3a22168, v50
	v_fmac_f32_e32 v25, 0xa7c234c4, v50
; %bb.231:                              ;   in Loop: Header=BB355_191 Depth=3
	s_or_b64 exec, exec, s[8:9]
                                        ; implicit-def: $vgpr0
                                        ; implicit-def: $vgpr49
	s_and_saveexec_b64 s[8:9], s[46:47]
	s_xor_b64 s[46:47], exec, s[8:9]
	s_cbranch_execz .LBB355_233
; %bb.232:                              ;   in Loop: Header=BB355_191 Depth=3
	v_cmp_lt_u32_e32 vcc, 63, v48
	s_nop 1
	v_cndmask_b32_e32 v0, 0, v34, vcc
	v_add_u32_e32 v0, v0, v48
	v_cmp_lt_u32_e64 s[8:9], 31, v0
	s_nop 1
	v_cndmask_b32_e64 v48, 0, v35, s[8:9]
	v_add_u32_e32 v0, v48, v0
	v_cmp_lt_u32_e64 s[10:11], 31, v0
	s_nop 1
	v_cndmask_b32_e64 v48, 0, v35, s[10:11]
	v_add_u32_e32 v62, v48, v0
	v_mad_u64_u32 v[48:49], s[12:13], v47, s55, 0
	v_mov_b32_e32 v0, v49
	v_mad_u64_u32 v[50:51], s[12:13], v47, s56, v[0:1]
	v_mov_b32_e32 v0, v51
	v_mad_u64_u32 v[52:53], s[12:13], v47, s57, v[0:1]
	v_mov_b32_e32 v0, v53
	v_mad_u64_u32 v[54:55], s[12:13], v47, s58, v[0:1]
	v_mov_b32_e32 v0, v55
	v_mad_u64_u32 v[56:57], s[12:13], v47, s59, v[0:1]
	v_mov_b32_e32 v0, v57
	v_mad_u64_u32 v[58:59], s[12:13], v47, s60, v[0:1]
	v_mov_b32_e32 v0, v59
	v_mad_u64_u32 v[60:61], s[12:13], v47, s61, v[0:1]
	v_cndmask_b32_e32 v49, v58, v54, vcc
	v_cndmask_b32_e32 v0, v60, v56, vcc
	;; [unrolled: 1-line block ×3, first 2 shown]
	v_cndmask_b32_e64 v47, v0, v49, s[8:9]
	v_cndmask_b32_e64 v0, v51, v0, s[8:9]
	v_cndmask_b32_e32 v51, v56, v52, vcc
	v_cndmask_b32_e64 v49, v49, v51, s[8:9]
	v_cndmask_b32_e32 v50, v54, v50, vcc
	v_cndmask_b32_e64 v0, v0, v47, s[10:11]
	v_cndmask_b32_e64 v47, v47, v49, s[10:11]
	v_sub_u32_e32 v53, 32, v62
	v_cndmask_b32_e64 v51, v51, v50, s[8:9]
	v_alignbit_b32 v55, v0, v47, v53
	v_cmp_eq_u32_e64 s[12:13], 0, v62
	v_cndmask_b32_e64 v49, v49, v51, s[10:11]
	v_alignbit_b32 v54, v47, v49, v53
	v_cndmask_b32_e64 v0, v55, v0, s[12:13]
	v_cndmask_b32_e32 v48, v52, v48, vcc
	v_cndmask_b32_e64 v47, v54, v47, s[12:13]
	v_bfe_u32 v56, v0, 29, 1
	v_cndmask_b32_e64 v48, v50, v48, s[8:9]
	v_alignbit_b32 v54, v0, v47, 30
	v_sub_u32_e32 v57, 0, v56
	v_cndmask_b32_e64 v48, v51, v48, s[10:11]
	v_xor_b32_e32 v58, v54, v57
	v_alignbit_b32 v50, v49, v48, v53
	v_cndmask_b32_e64 v49, v50, v49, s[12:13]
	v_ffbh_u32_e32 v50, v58
	v_add_u32_e32 v50, 1, v50
	v_cmp_ne_u32_e32 vcc, v54, v57
	v_alignbit_b32 v47, v47, v49, 30
	v_alignbit_b32 v48, v49, v48, 30
	v_cndmask_b32_e32 v50, 33, v50, vcc
	v_xor_b32_e32 v47, v47, v57
	v_sub_u32_e32 v51, 32, v50
	v_xor_b32_e32 v48, v48, v57
	v_alignbit_b32 v52, v58, v47, v51
	v_alignbit_b32 v47, v47, v48, v51
	v_alignbit_b32 v48, v52, v47, 9
	v_ffbh_u32_e32 v49, v48
	v_min_u32_e32 v49, 32, v49
	v_lshrrev_b32_e32 v55, 29, v0
	v_sub_u32_e32 v51, 31, v49
	v_alignbit_b32 v47, v48, v47, v51
	v_lshlrev_b32_e32 v48, 31, v55
	v_or_b32_e32 v51, 0x33800000, v48
	v_add_lshl_u32 v49, v49, v50, 23
	v_lshrrev_b32_e32 v47, 9, v47
	v_sub_u32_e32 v49, v51, v49
	v_or_b32_e32 v47, v49, v47
	v_alignbit_b32 v49, v50, v52, 9
	v_or_b32_e32 v48, v49, v48
	v_xor_b32_e32 v48, 1.0, v48
	v_mul_f32_e32 v49, 0x3fc90fda, v48
	v_fma_f32 v50, v48, s63, -v49
	v_fmac_f32_e32 v50, 0x33a22168, v48
	v_fmac_f32_e32 v50, 0x3fc90fda, v47
	v_lshrrev_b32_e32 v0, 30, v0
	v_add_f32_e32 v49, v49, v50
	v_add_u32_e32 v0, v56, v0
                                        ; implicit-def: $vgpr50
	s_andn2_saveexec_b64 s[8:9], s[46:47]
	s_cbranch_execnz .LBB355_234
	s_branch .LBB355_235
.LBB355_233:                            ;   in Loop: Header=BB355_191 Depth=3
	s_andn2_saveexec_b64 s[8:9], s[46:47]
.LBB355_234:                            ;   in Loop: Header=BB355_191 Depth=3
	v_cvt_i32_f32_e32 v0, v50
	v_fma_f32 v49, v50, s65, |v19|
	v_fmac_f32_e32 v49, 0xb3a22168, v50
	v_fmac_f32_e32 v49, 0xa7c234c4, v50
.LBB355_235:                            ;   in Loop: Header=BB355_191 Depth=3
	s_or_b64 exec, exec, s[8:9]
	v_mul_f32_e32 v48, v9, v9
	v_fmamk_f32 v50, v48, 0xb94c1982, v30
	v_fmaak_f32 v50, v48, v50, 0xbe2aaa9d
	v_mul_f32_e32 v50, v48, v50
	v_fmac_f32_e32 v9, v9, v50
	v_fmamk_f32 v50, v48, 0x37d75334, v31
	v_fmaak_f32 v50, v48, v50, 0x3d2aabf7
	v_lshlrev_b32_e32 v47, 30, v18
	v_and_b32_e32 v18, 1, v18
	v_fmaak_f32 v50, v48, v50, 0xbf000004
	v_and_b32_e32 v47, 0x80000000, v47
	v_fma_f32 v48, v48, v50, 1.0
	v_cmp_eq_u32_e32 vcc, 0, v18
	v_xor_b32_e32 v7, v7, v23
	v_xor_b32_e32 v7, v7, v47
	v_cndmask_b32_e32 v9, v48, v9, vcc
	v_xor_b32_e32 v7, v7, v9
	v_mul_f32_e32 v9, v22, v22
	v_fmamk_f32 v18, v9, 0xb94c1982, v30
	v_fmaak_f32 v18, v9, v18, 0xbe2aaa9d
	v_mul_f32_e32 v18, v9, v18
	v_fmac_f32_e32 v22, v22, v18
	v_fmamk_f32 v18, v9, 0x37d75334, v31
	v_fmaak_f32 v18, v9, v18, 0x3d2aabf7
	v_fmaak_f32 v18, v9, v18, 0xbf000004
	v_fma_f32 v9, v9, v18, 1.0
	v_and_b32_e32 v18, 1, v20
	v_cmp_class_f32_e64 vcc, v21, s51
	v_cmp_eq_u32_e64 s[8:9], 0, v18
	v_mul_f32_e32 v21, v25, v25
	v_lshlrev_b32_e32 v18, 30, v20
	v_cndmask_b32_e64 v9, -v22, v9, s[8:9]
	v_fmamk_f32 v22, v21, 0xb94c1982, v30
	v_and_b32_e32 v18, 0x80000000, v18
	v_fmaak_f32 v22, v21, v22, 0xbe2aaa9d
	v_xor_b32_e32 v9, v18, v9
	v_mul_f32_e32 v22, v21, v22
	v_cndmask_b32_e32 v9, v37, v9, vcc
	v_fmac_f32_e32 v25, v25, v22
	v_fmamk_f32 v22, v21, 0x37d75334, v31
	v_cndmask_b32_e32 v7, v37, v7, vcc
	v_mul_f32_e32 v18, 0x7f800000, v9
	v_cmp_neq_f32_e32 vcc, 0, v9
	v_fmaak_f32 v22, v21, v22, 0x3d2aabf7
	v_and_b32_e32 v20, 1, v46
	v_cndmask_b32_e32 v9, 0, v18, vcc
	v_mul_f32_e32 v18, 0x7f800000, v7
	v_cmp_neq_f32_e32 vcc, 0, v7
	v_fmaak_f32 v22, v21, v22, 0xbf000004
	v_fma_f32 v21, v21, v22, 1.0
	v_cndmask_b32_e32 v7, 0, v18, vcc
	v_lshlrev_b32_e32 v18, 30, v46
	v_cmp_eq_u32_e32 vcc, 0, v20
	v_and_b32_e32 v18, 0x80000000, v18
	s_nop 0
	v_cndmask_b32_e32 v20, v21, v25, vcc
	v_xor_b32_e32 v21, v24, v19
	v_xor_b32_e32 v18, v21, v18
	v_cmp_class_f32_e64 vcc, v19, s51
	v_mul_f32_e32 v19, v49, v49
	v_xor_b32_e32 v18, v18, v20
	v_fmamk_f32 v20, v19, 0xb94c1982, v30
	v_fmaak_f32 v20, v19, v20, 0xbe2aaa9d
	v_mul_f32_e32 v20, v19, v20
	v_fmac_f32_e32 v49, v49, v20
	v_fmamk_f32 v20, v19, 0x37d75334, v31
	v_fmaak_f32 v20, v19, v20, 0x3d2aabf7
	v_fmaak_f32 v20, v19, v20, 0xbf000004
	v_fma_f32 v19, v19, v20, 1.0
	v_and_b32_e32 v20, 1, v0
	v_cmp_eq_u32_e64 s[8:9], 0, v20
	v_lshlrev_b32_e32 v0, 30, v0
	v_and_b32_e32 v0, 0x80000000, v0
	v_cndmask_b32_e64 v19, -v49, v19, s[8:9]
	v_xor_b32_e32 v0, v0, v19
	v_cndmask_b32_e32 v0, v37, v0, vcc
	v_cndmask_b32_e32 v18, v37, v18, vcc
	v_mul_f32_e32 v19, 0x7f800000, v0
	v_cmp_neq_f32_e32 vcc, 0, v0
	s_nop 1
	v_cndmask_b32_e32 v0, 0, v19, vcc
	v_mul_f32_e32 v19, 0x7f800000, v18
	v_cmp_neq_f32_e32 vcc, 0, v18
	v_add_f32_e32 v9, v9, v0
	v_add_f32_e32 v20, -1.0, v9
	v_cndmask_b32_e32 v18, 0, v19, vcc
	v_add_f32_e32 v0, v7, v18
	v_max_f32_e64 v7, |v20|, |v0|
	v_cvt_f64_f32_e32 v[18:19], v7
	v_frexp_exp_i32_f64_e32 v9, v[18:19]
	v_sub_u32_e32 v18, 0, v9
	v_ldexp_f32 v19, |v20|, v18
	v_ldexp_f32 v18, |v0|, v18
	v_mul_f32_e32 v18, v18, v18
	v_fmac_f32_e32 v18, v19, v19
	v_sqrt_f32_e32 v18, v18
	v_cmp_eq_f32_e32 vcc, s69, v7
	v_add_f32_e32 v7, 1.0, v20
	v_ldexp_f32 v9, v18, v9
	v_cmp_ngt_f32_e64 s[8:9], 0.5, v9
	v_max_f32_e64 v18, |v7|, |v0|
	s_or_b64 s[8:9], vcc, s[8:9]
	s_and_saveexec_b64 s[10:11], s[8:9]
	s_xor_b64 s[10:11], exec, s[10:11]
	s_cbranch_execz .LBB355_237
; %bb.236:                              ;   in Loop: Header=BB355_191 Depth=3
	v_cvt_f64_f32_e32 v[20:21], v18
	v_frexp_exp_i32_f64_e32 v9, v[20:21]
	v_sub_u32_e32 v19, 0, v9
	v_ldexp_f32 v20, |v7|, v19
	v_ldexp_f32 v19, |v0|, v19
	v_mul_f32_e32 v19, v19, v19
	v_fmac_f32_e32 v19, v20, v20
	v_sqrt_f32_e32 v19, v19
	v_cmp_neq_f32_e32 vcc, s69, v18
	v_ldexp_f32 v9, v19, v9
	s_nop 0
	v_cndmask_b32_e32 v9, v36, v9, vcc
	v_cmp_gt_f32_e32 vcc, s54, v9
	s_nop 1
	v_cndmask_b32_e32 v19, 1.0, v38, vcc
	v_mul_f32_e32 v9, v9, v19
	v_log_f32_e32 v9, v9
	s_nop 0
	v_mul_f32_e32 v19, 0x3f317217, v9
	v_fma_f32 v20, v9, s70, -v19
	v_fmac_f32_e32 v20, 0x3377d1cf, v9
	v_add_f32_e32 v19, v19, v20
	v_cmp_lt_f32_e64 s[8:9], |v9|, s69
	s_nop 1
	v_cndmask_b32_e64 v9, v9, v19, s[8:9]
	v_cndmask_b32_e32 v19, 0, v39, vcc
	v_sub_f32_e32 v20, v9, v19
.LBB355_237:                            ;   in Loop: Header=BB355_191 Depth=3
	s_andn2_saveexec_b64 s[8:9], s[10:11]
	s_cbranch_execz .LBB355_186
; %bb.238:                              ;   in Loop: Header=BB355_191 Depth=3
	v_add_f32_e32 v9, 2.0, v20
	v_mul_f32_e32 v19, v20, v9
	v_fmac_f32_e32 v19, v0, v0
	v_cmp_neq_f32_e32 vcc, 0, v19
	s_and_saveexec_b64 s[10:11], vcc
	s_cbranch_execz .LBB355_185
; %bb.239:                              ;   in Loop: Header=BB355_191 Depth=3
	v_add_f32_e32 v9, 1.0, v19
	v_add_f32_e32 v20, -1.0, v9
	v_sub_f32_e32 v21, v20, v9
	v_add_f32_e32 v21, 1.0, v21
	v_sub_f32_e32 v20, v19, v20
	v_add_f32_e32 v22, v20, v21
	v_frexp_mant_f32_e32 v23, v9
	v_cvt_f64_f32_e32 v[20:21], v9
	v_frexp_exp_i32_f64_e32 v20, v[20:21]
	v_cmp_gt_f32_e32 vcc, s71, v23
	s_nop 1
	v_subbrev_co_u32_e32 v48, vcc, 0, v20, vcc
	v_sub_u32_e32 v20, 0, v48
	v_ldexp_f32 v9, v9, v20
	v_ldexp_f32 v20, v22, v20
	v_add_f32_e32 v22, -1.0, v9
	v_add_f32_e32 v21, 1.0, v22
	v_sub_f32_e32 v21, v9, v21
	v_add_f32_e32 v23, v20, v21
	v_add_f32_e32 v21, 1.0, v9
	v_add_f32_e32 v24, -1.0, v21
	v_sub_f32_e32 v9, v9, v24
	v_add_f32_e32 v9, v20, v9
	v_add_f32_e32 v49, v21, v9
	v_rcp_f32_e32 v50, v49
	v_sub_f32_e32 v20, v49, v21
	v_add_f32_e32 v21, v22, v23
	v_sub_f32_e32 v9, v9, v20
	v_mul_f32_e32 v52, v21, v50
	v_sub_f32_e32 v20, v21, v22
	v_mul_f32_e32 v22, v49, v52
	v_fma_f32 v24, v52, v49, -v22
	v_fmac_f32_e32 v24, v52, v9
	v_sub_f32_e32 v51, v23, v20
	v_add_f32_e32 v20, v22, v24
	v_sub_f32_e32 v23, v21, v20
	v_pk_add_f32 v[46:47], v[20:21], v[22:23] neg_lo:[0,1] neg_hi:[0,1]
	v_mov_b32_e32 v25, v20
	v_pk_add_f32 v[20:21], v[46:47], v[24:25] neg_lo:[0,1] neg_hi:[0,1]
	v_cmp_eq_f32_e32 vcc, s69, v19
	v_add_f32_e32 v21, v51, v21
	v_add_f32_e32 v20, v20, v21
	;; [unrolled: 1-line block ×3, first 2 shown]
	v_mul_f32_e32 v51, v50, v21
	v_mul_f32_e32 v22, v49, v51
	v_fma_f32 v24, v51, v49, -v22
	v_fmac_f32_e32 v24, v51, v9
	v_sub_f32_e32 v9, v23, v21
	v_add_f32_e32 v9, v20, v9
	v_add_f32_e32 v20, v22, v24
	v_sub_f32_e32 v23, v21, v20
	v_pk_add_f32 v[46:47], v[20:21], v[22:23] neg_lo:[0,1] neg_hi:[0,1]
	v_mov_b32_e32 v25, v20
	v_pk_add_f32 v[20:21], v[46:47], v[24:25] neg_lo:[0,1] neg_hi:[0,1]
	s_nop 0
	v_add_f32_e32 v9, v9, v21
	v_add_f32_e32 v9, v20, v9
	;; [unrolled: 1-line block ×4, first 2 shown]
	v_sub_f32_e32 v20, v21, v52
	v_mul_f32_e32 v9, v50, v9
	v_sub_f32_e32 v20, v51, v20
	v_add_f32_e32 v22, v20, v9
	v_add_f32_e32 v24, v21, v22
	v_cvt_f32_i32_e32 v20, v48
	v_mul_f32_e32 v25, v24, v24
	v_sub_f32_e32 v21, v24, v21
	v_fmamk_f32 v9, v25, 0x3e9b6dac, v32
	v_sub_f32_e32 v21, v22, v21
	v_fmaak_f32 v9, v25, v9, 0x3f2aaada
	v_ldexp_f32 v46, v21, 1
	v_mul_f32_e32 v21, v24, v25
	v_ldexp_f32 v23, v24, 1
	v_pk_mul_f32 v[24:25], v[20:21], v[8:9]
	s_nop 0
	v_fma_f32 v22, v20, s72, -v24
	v_fmac_f32_e32 v22, 0xb102e308, v20
	v_pk_add_f32 v[20:21], v[24:25], v[22:23]
	s_nop 0
	v_sub_f32_e32 v9, v21, v23
	v_sub_f32_e32 v9, v25, v9
	v_add_f32_e32 v47, v46, v9
	v_mov_b32_e32 v46, v24
	v_pk_add_f32 v[24:25], v[20:21], v[24:25] neg_lo:[0,1] neg_hi:[0,1]
	v_pk_add_f32 v[48:49], v[20:21], v[46:47]
	v_mov_b32_e32 v23, v20
	v_mov_b32_e32 v25, v49
	v_pk_add_f32 v[50:51], v[22:23], v[24:25] neg_lo:[0,1] neg_hi:[0,1]
	v_pk_add_f32 v[22:23], v[22:23], v[24:25]
	v_mov_b32_e32 v46, v47
	v_mov_b32_e32 v24, v23
	v_pk_add_f32 v[52:53], v[24:25], v[20:21] neg_lo:[0,1] neg_hi:[0,1]
	v_mov_b32_e32 v22, v49
	v_mov_b32_e32 v9, v52
	v_pk_add_f32 v[54:55], v[48:49], v[8:9] neg_lo:[0,1] neg_hi:[0,1]
	v_mov_b32_e32 v48, v21
	v_mov_b32_e32 v49, v52
	;; [unrolled: 1-line block ×3, first 2 shown]
	v_pk_add_f32 v[22:23], v[22:23], v[48:49] neg_lo:[0,1] neg_hi:[0,1]
	v_mov_b32_e32 v47, v20
	v_pk_add_f32 v[20:21], v[46:47], v[22:23] neg_lo:[0,1] neg_hi:[0,1]
	v_mov_b32_e32 v54, v50
	v_pk_add_f32 v[22:23], v[54:55], v[20:21]
	s_nop 0
	v_mov_b32_e32 v46, v23
	v_pk_add_f32 v[46:47], v[22:23], v[46:47]
	s_nop 0
	v_pk_add_f32 v[24:25], v[24:25], v[46:47]
	v_mov_b32_e32 v21, v46
	v_mov_b32_e32 v23, v24
	v_pk_add_f32 v[48:49], v[22:23], v[50:51] neg_lo:[0,1] neg_hi:[0,1]
	s_nop 0
	v_sub_f32_e32 v9, v22, v48
	v_pk_add_f32 v[20:21], v[20:21], v[48:49] neg_lo:[0,1] neg_hi:[0,1]
	v_sub_f32_e32 v9, v50, v9
	v_add_f32_e32 v9, v20, v9
	v_add_f32_e32 v9, v9, v21
	;; [unrolled: 1-line block ×3, first 2 shown]
	v_cndmask_b32_e32 v9, v9, v19, vcc
	v_cmp_ngt_f32_e32 vcc, -1.0, v19
	s_nop 1
	v_cndmask_b32_e32 v9, v37, v9, vcc
	v_cmp_neq_f32_e32 vcc, -1.0, v19
	s_nop 1
	v_cndmask_b32_e32 v9, v40, v9, vcc
	v_cmp_lt_f32_e64 vcc, |v19|, s62
	s_nop 1
	v_cndmask_b32_e32 v9, v9, v19, vcc
	v_mul_f32_e32 v20, 0.5, v9
	s_branch .LBB355_185
.LBB355_240:                            ;   in Loop: Header=BB355_129 Depth=2
	s_or_b64 exec, exec, s[36:37]
	s_and_saveexec_b64 s[8:9], s[4:5]
	s_cbranch_execz .LBB355_128
; %bb.241:                              ;   in Loop: Header=BB355_129 Depth=2
	v_cmp_gt_u64_e32 vcc, s[30:31], v[16:17]
	s_and_saveexec_b64 s[10:11], vcc
	s_cbranch_execz .LBB355_243
; %bb.242:                              ;   in Loop: Header=BB355_129 Depth=2
	ds_read_b64 v[18:19], v27
	v_lshl_add_u64 v[16:17], v[16:17], 3, v[12:13]
	s_waitcnt lgkmcnt(0)
	global_store_dwordx2 v[16:17], v[18:19], off
.LBB355_243:                            ;   in Loop: Header=BB355_129 Depth=2
	s_or_b64 exec, exec, s[10:11]
	v_cmp_gt_u64_e32 vcc, s[30:31], v[14:15]
	s_and_b64 exec, exec, vcc
	s_cbranch_execz .LBB355_128
; %bb.244:                              ;   in Loop: Header=BB355_129 Depth=2
	ds_read_b64 v[16:17], v28
	v_lshl_add_u64 v[14:15], v[14:15], 3, v[12:13]
	s_waitcnt lgkmcnt(0)
	global_store_dwordx2 v[14:15], v[16:17], off
	s_branch .LBB355_128
.LBB355_245:
	s_endpgm
	.section	.rodata,"a",@progbits
	.p2align	6, 0x0
	.amdhsa_kernel _ZN2at6native32tensor_kernel_scan_innermost_dimIN3c107complexIfEEZZZNS0_31launch_logcumsumexp_cuda_kernelERKNS_10TensorBaseES7_lENKUlvE_clEvENKUlvE2_clEvEUlS4_S4_E_EEvPT_PKSB_jjjSB_T0_
		.amdhsa_group_segment_fixed_size 0
		.amdhsa_private_segment_fixed_size 0
		.amdhsa_kernarg_size 304
		.amdhsa_user_sgpr_count 2
		.amdhsa_user_sgpr_dispatch_ptr 0
		.amdhsa_user_sgpr_queue_ptr 0
		.amdhsa_user_sgpr_kernarg_segment_ptr 1
		.amdhsa_user_sgpr_dispatch_id 0
		.amdhsa_user_sgpr_kernarg_preload_length 0
		.amdhsa_user_sgpr_kernarg_preload_offset 0
		.amdhsa_user_sgpr_private_segment_size 0
		.amdhsa_uses_dynamic_stack 0
		.amdhsa_enable_private_segment 0
		.amdhsa_system_sgpr_workgroup_id_x 1
		.amdhsa_system_sgpr_workgroup_id_y 0
		.amdhsa_system_sgpr_workgroup_id_z 0
		.amdhsa_system_sgpr_workgroup_info 0
		.amdhsa_system_vgpr_workitem_id 1
		.amdhsa_next_free_vgpr 64
		.amdhsa_next_free_sgpr 74
		.amdhsa_accum_offset 64
		.amdhsa_reserve_vcc 1
		.amdhsa_float_round_mode_32 0
		.amdhsa_float_round_mode_16_64 0
		.amdhsa_float_denorm_mode_32 3
		.amdhsa_float_denorm_mode_16_64 3
		.amdhsa_dx10_clamp 1
		.amdhsa_ieee_mode 1
		.amdhsa_fp16_overflow 0
		.amdhsa_tg_split 0
		.amdhsa_exception_fp_ieee_invalid_op 0
		.amdhsa_exception_fp_denorm_src 0
		.amdhsa_exception_fp_ieee_div_zero 0
		.amdhsa_exception_fp_ieee_overflow 0
		.amdhsa_exception_fp_ieee_underflow 0
		.amdhsa_exception_fp_ieee_inexact 0
		.amdhsa_exception_int_div_zero 0
	.end_amdhsa_kernel
	.section	.text._ZN2at6native32tensor_kernel_scan_innermost_dimIN3c107complexIfEEZZZNS0_31launch_logcumsumexp_cuda_kernelERKNS_10TensorBaseES7_lENKUlvE_clEvENKUlvE2_clEvEUlS4_S4_E_EEvPT_PKSB_jjjSB_T0_,"axG",@progbits,_ZN2at6native32tensor_kernel_scan_innermost_dimIN3c107complexIfEEZZZNS0_31launch_logcumsumexp_cuda_kernelERKNS_10TensorBaseES7_lENKUlvE_clEvENKUlvE2_clEvEUlS4_S4_E_EEvPT_PKSB_jjjSB_T0_,comdat
.Lfunc_end355:
	.size	_ZN2at6native32tensor_kernel_scan_innermost_dimIN3c107complexIfEEZZZNS0_31launch_logcumsumexp_cuda_kernelERKNS_10TensorBaseES7_lENKUlvE_clEvENKUlvE2_clEvEUlS4_S4_E_EEvPT_PKSB_jjjSB_T0_, .Lfunc_end355-_ZN2at6native32tensor_kernel_scan_innermost_dimIN3c107complexIfEEZZZNS0_31launch_logcumsumexp_cuda_kernelERKNS_10TensorBaseES7_lENKUlvE_clEvENKUlvE2_clEvEUlS4_S4_E_EEvPT_PKSB_jjjSB_T0_
                                        ; -- End function
	.section	.AMDGPU.csdata,"",@progbits
; Kernel info:
; codeLenInByte = 31044
; NumSgprs: 80
; NumVgprs: 64
; NumAgprs: 0
; TotalNumVgprs: 64
; ScratchSize: 0
; MemoryBound: 0
; FloatMode: 240
; IeeeMode: 1
; LDSByteSize: 0 bytes/workgroup (compile time only)
; SGPRBlocks: 9
; VGPRBlocks: 7
; NumSGPRsForWavesPerEU: 80
; NumVGPRsForWavesPerEU: 64
; AccumOffset: 64
; Occupancy: 8
; WaveLimiterHint : 0
; COMPUTE_PGM_RSRC2:SCRATCH_EN: 0
; COMPUTE_PGM_RSRC2:USER_SGPR: 2
; COMPUTE_PGM_RSRC2:TRAP_HANDLER: 0
; COMPUTE_PGM_RSRC2:TGID_X_EN: 1
; COMPUTE_PGM_RSRC2:TGID_Y_EN: 0
; COMPUTE_PGM_RSRC2:TGID_Z_EN: 0
; COMPUTE_PGM_RSRC2:TIDIG_COMP_CNT: 1
; COMPUTE_PGM_RSRC3_GFX90A:ACCUM_OFFSET: 15
; COMPUTE_PGM_RSRC3_GFX90A:TG_SPLIT: 0
	.section	.text._ZN2at6native28tensor_kernel_scan_outer_dimIN3c107complexIfEEjZZZNS0_31launch_logcumsumexp_cuda_kernelERKNS_10TensorBaseES7_lENKUlvE_clEvENKUlvE2_clEvEUlS4_S4_E_EEvPT_PKSB_jjjSB_T1_,"axG",@progbits,_ZN2at6native28tensor_kernel_scan_outer_dimIN3c107complexIfEEjZZZNS0_31launch_logcumsumexp_cuda_kernelERKNS_10TensorBaseES7_lENKUlvE_clEvENKUlvE2_clEvEUlS4_S4_E_EEvPT_PKSB_jjjSB_T1_,comdat
	.globl	_ZN2at6native28tensor_kernel_scan_outer_dimIN3c107complexIfEEjZZZNS0_31launch_logcumsumexp_cuda_kernelERKNS_10TensorBaseES7_lENKUlvE_clEvENKUlvE2_clEvEUlS4_S4_E_EEvPT_PKSB_jjjSB_T1_ ; -- Begin function _ZN2at6native28tensor_kernel_scan_outer_dimIN3c107complexIfEEjZZZNS0_31launch_logcumsumexp_cuda_kernelERKNS_10TensorBaseES7_lENKUlvE_clEvENKUlvE2_clEvEUlS4_S4_E_EEvPT_PKSB_jjjSB_T1_
	.p2align	8
	.type	_ZN2at6native28tensor_kernel_scan_outer_dimIN3c107complexIfEEjZZZNS0_31launch_logcumsumexp_cuda_kernelERKNS_10TensorBaseES7_lENKUlvE_clEvENKUlvE2_clEvEUlS4_S4_E_EEvPT_PKSB_jjjSB_T1_,@function
_ZN2at6native28tensor_kernel_scan_outer_dimIN3c107complexIfEEjZZZNS0_31launch_logcumsumexp_cuda_kernelERKNS_10TensorBaseES7_lENKUlvE_clEvENKUlvE2_clEvEUlS4_S4_E_EEvPT_PKSB_jjjSB_T1_: ; @_ZN2at6native28tensor_kernel_scan_outer_dimIN3c107complexIfEEjZZZNS0_31launch_logcumsumexp_cuda_kernelERKNS_10TensorBaseES7_lENKUlvE_clEvENKUlvE2_clEvEUlS4_S4_E_EEvPT_PKSB_jjjSB_T1_
; %bb.0:
	s_load_dwordx4 s[12:15], s[0:1], 0x10
	s_waitcnt lgkmcnt(0)
	s_cmp_ge_u32 s2, s12
	s_cbranch_scc1 .LBB356_57
; %bb.1:
	s_load_dword s15, s[0:1], 0x30
	s_load_dword s4, s[0:1], 0x3c
	s_load_dwordx4 s[16:19], s[0:1], 0x0
	s_load_dwordx2 s[20:21], s[0:1], 0x20
	s_add_u32 s22, s0, 48
	s_addc_u32 s23, s1, 0
	s_waitcnt lgkmcnt(0)
	s_and_b32 s33, s4, 0xffff
	s_mul_i32 s3, s3, s33
	s_cmp_lg_u32 s14, 0
	v_add_u32_e32 v18, s3, v0
	s_mul_i32 s3, s2, s14
	s_cselect_b64 s[4:5], -1, 0
	s_mov_b32 s25, 0
	s_mov_b32 s24, s13
	s_mul_i32 s6, s3, s13
	s_mul_i32 s3, s15, s14
	v_cndmask_b32_e64 v0, 0, 1, s[4:5]
	v_cmp_gt_u32_e64 s[0:1], s13, v18
	s_mul_i32 s3, s3, s13
	s_lshl_b64 s[26:27], s[24:25], 3
	v_cmp_ne_u32_e64 s[4:5], 1, v0
	v_mov_b32_e32 v1, 0
	s_mov_b32 s28, 0x7fc00000
	s_movk_i32 s48, 0x1f8
	s_brev_b32 s49, -2
	s_brev_b32 s50, 18
	s_mov_b32 s51, 0x800000
	s_mov_b32 s52, 0xfe5163ab
	;; [unrolled: 1-line block ×16, first 2 shown]
	v_mov_b32_e32 v19, 0x3c0881c4
	v_mov_b32_e32 v20, 0xbab64f3b
	v_mov_b32_e32 v2, 1.0
	s_mov_b32 s67, 0x3f317217
	s_mov_b32 s68, 0x3f2aaaab
	v_mov_b32_e32 v21, 0x3ecc95a3
	s_mov_b32 s69, 0x3f317218
	s_movk_i32 s70, 0x204
	v_mov_b32_e32 v22, 0xbc7a590c
	v_not_b32_e32 v23, 63
	v_not_b32_e32 v24, 31
	v_mov_b32_e32 v25, 0x7f800000
	v_mov_b32_e32 v26, 0x7fc00000
	;; [unrolled: 1-line block ×9, first 2 shown]
	s_mov_b32 s24, s6
                                        ; implicit-def: $vgpr0
                                        ; implicit-def: $vgpr0
	;; [unrolled: 1-line block ×10, first 2 shown]
	s_branch .LBB356_3
.LBB356_2:                              ;   in Loop: Header=BB356_3 Depth=1
	s_or_b64 exec, exec, s[30:31]
	s_add_i32 s2, s15, s2
	s_add_i32 s24, s24, s3
	s_cmp_ge_u32 s2, s12
	s_cbranch_scc1 .LBB356_57
.LBB356_3:                              ; =>This Loop Header: Depth=1
                                        ;     Child Loop BB356_6 Depth 2
                                        ;       Child Loop BB356_13 Depth 3
	s_and_saveexec_b64 s[30:31], s[0:1]
	s_cbranch_execz .LBB356_2
; %bb.4:                                ;   in Loop: Header=BB356_3 Depth=1
	s_load_dword s71, s[22:23], 0x4
	s_lshl_b64 s[34:35], s[24:25], 3
	s_mov_b64 s[36:37], 0
	v_mov_b32_e32 v6, v18
	s_waitcnt lgkmcnt(0)
	s_mul_i32 s71, s71, s33
	s_branch .LBB356_6
.LBB356_5:                              ;   in Loop: Header=BB356_6 Depth=2
	v_add_u32_e32 v6, s71, v6
	v_cmp_le_u32_e32 vcc, s13, v6
	s_or_b64 s[36:37], vcc, s[36:37]
	s_andn2_b64 exec, exec, s[36:37]
	s_cbranch_execz .LBB356_2
.LBB356_6:                              ;   Parent Loop BB356_3 Depth=1
                                        ; =>  This Loop Header: Depth=2
                                        ;       Child Loop BB356_13 Depth 3
	s_and_b64 vcc, exec, s[4:5]
	s_cbranch_vccnz .LBB356_5
; %bb.7:                                ;   in Loop: Header=BB356_6 Depth=2
	v_mov_b32_e32 v7, v1
	v_lshl_add_u64 v[8:9], v[6:7], 3, s[34:35]
	v_mov_b64_e32 v[16:17], s[20:21]
	s_mov_b32 s72, s14
	s_branch .LBB356_13
.LBB356_8:                              ;   in Loop: Header=BB356_13 Depth=3
	s_or_b64 exec, exec, s[8:9]
.LBB356_9:                              ;   in Loop: Header=BB356_13 Depth=3
	s_or_b64 exec, exec, s[6:7]
	v_max_f32_e64 v11, |v0|, |v0|
	v_max_f32_e64 v13, |v3|, |v3|
	v_min_f32_e32 v11, v13, v11
	v_frexp_mant_f32_e32 v13, v7
	v_rcp_f32_e32 v13, v13
	v_frexp_exp_i32_f32_e32 v7, v7
	v_frexp_exp_i32_f32_e32 v14, v11
	v_frexp_mant_f32_e32 v11, v11
	v_mul_f32_e32 v11, v11, v13
	v_sub_u32_e32 v7, v14, v7
	v_ldexp_f32 v7, v11, v7
	v_mul_f32_e32 v11, v7, v7
	v_fmamk_f32 v13, v11, 0x3b2d2a58, v22
	v_fmaak_f32 v13, v11, v13, 0x3d29fb3f
	v_fmaak_f32 v13, v11, v13, 0xbd97d4d7
	;; [unrolled: 1-line block ×6, first 2 shown]
	v_mul_f32_e32 v11, v11, v13
	v_cmp_gt_i32_e64 s[6:7], 0, v3
	v_fmac_f32_e32 v7, v7, v11
	v_sub_f32_e32 v11, 0x3fc90fdb, v7
	v_cndmask_b32_e64 v10, 0, v32, s[6:7]
	v_cmp_gt_f32_e64 s[6:7], |v0|, |v3|
	v_cmp_gt_f32_e32 vcc, 0, v3
	v_cmp_class_f32_e64 s[8:9], v0, s70
	v_cndmask_b32_e64 v7, v7, v11, s[6:7]
	v_sub_f32_e32 v11, 0x40490fdb, v7
	v_cmp_class_f32_e64 s[10:11], v3, s70
	v_cndmask_b32_e32 v5, v30, v31, vcc
	v_cndmask_b32_e32 v7, v7, v11, vcc
	v_cmp_eq_f32_e32 vcc, 0, v0
	s_nop 1
	v_cndmask_b32_e32 v7, v7, v10, vcc
	s_and_b64 vcc, s[8:9], s[10:11]
	v_cndmask_b32_e32 v5, v7, v5, vcc
	v_cmp_o_f32_e32 vcc, v3, v0
	s_nop 1
	v_cndmask_b32_e32 v3, v26, v5, vcc
	v_bfi_b32 v13, s49, v3, v0
.LBB356_10:                             ;   in Loop: Header=BB356_13 Depth=3
	s_or_b64 exec, exec, s[42:43]
.LBB356_11:                             ;   in Loop: Header=BB356_13 Depth=3
	s_or_b64 exec, exec, s[40:41]
	v_mov_b64_e32 v[16:17], v[12:13]
.LBB356_12:                             ;   in Loop: Header=BB356_13 Depth=3
	s_or_b64 exec, exec, s[38:39]
	s_add_i32 s72, s72, -1
	v_lshl_add_u64 v[10:11], s[16:17], 0, v[8:9]
	s_cmp_eq_u32 s72, 0
	v_lshl_add_u64 v[8:9], v[8:9], 0, s[26:27]
	global_store_dwordx2 v[10:11], v[16:17], off
	s_cbranch_scc1 .LBB356_5
.LBB356_13:                             ;   Parent Loop BB356_3 Depth=1
                                        ;     Parent Loop BB356_6 Depth=2
                                        ; =>    This Inner Loop Header: Depth=3
	v_lshl_add_u64 v[10:11], s[18:19], 0, v[8:9]
	global_load_dwordx2 v[10:11], v[10:11], off
	s_waitcnt vmcnt(0)
	v_cmp_o_f32_e32 vcc, v10, v10
	v_cmp_o_f32_e64 s[6:7], v11, v11
	v_mov_b32_e32 v15, v11
	s_and_b64 s[8:9], vcc, s[6:7]
	v_mov_b64_e32 v[12:13], v[10:11]
	s_and_saveexec_b64 s[10:11], s[8:9]
; %bb.14:                               ;   in Loop: Header=BB356_13 Depth=3
	v_cmp_u_f32_e32 vcc, v16, v16
	v_cmp_u_f32_e64 s[6:7], v17, v17
	s_or_b64 s[6:7], vcc, s[6:7]
	v_cmp_lt_f32_e32 vcc, v16, v10
	s_or_b64 vcc, s[6:7], vcc
	s_nop 0
	v_cndmask_b32_e32 v15, v11, v17, vcc
	v_cndmask_b32_e32 v14, v10, v16, vcc
	v_mov_b64_e32 v[12:13], v[14:15]
; %bb.15:                               ;   in Loop: Header=BB356_13 Depth=3
	s_or_b64 exec, exec, s[10:11]
	s_and_saveexec_b64 s[6:7], s[8:9]
	s_xor_b64 s[8:9], exec, s[6:7]
; %bb.16:                               ;   in Loop: Header=BB356_13 Depth=3
	v_cmp_u_f32_e32 vcc, v16, v16
	v_cmp_u_f32_e64 s[6:7], v17, v17
	s_or_b64 s[6:7], vcc, s[6:7]
	v_cmp_ge_f32_e32 vcc, v16, v10
	s_or_b64 vcc, s[6:7], vcc
	s_nop 0
	v_cndmask_b32_e32 v11, v11, v17, vcc
	v_cndmask_b32_e32 v10, v10, v16, vcc
; %bb.17:                               ;   in Loop: Header=BB356_13 Depth=3
	s_andn2_saveexec_b64 s[6:7], s[8:9]
	s_or_b64 exec, exec, s[6:7]
	v_cmp_o_f32_e32 vcc, v12, v12
	v_cmp_o_f32_e64 s[6:7], v13, v13
	s_mov_b32 s29, s28
	s_and_b64 s[6:7], vcc, s[6:7]
	v_mov_b64_e32 v[16:17], s[28:29]
	s_and_saveexec_b64 s[38:39], s[6:7]
	s_cbranch_execz .LBB356_12
; %bb.18:                               ;   in Loop: Header=BB356_13 Depth=3
	v_cmp_class_f32_e64 s[6:7], v12, s48
	v_cmp_neq_f32_e32 vcc, v10, v12
	s_or_b64 s[6:7], s[6:7], vcc
	s_and_saveexec_b64 s[8:9], s[6:7]
	s_xor_b64 s[40:41], exec, s[8:9]
	s_cbranch_execz .LBB356_34
; %bb.19:                               ;   in Loop: Header=BB356_13 Depth=3
	v_pk_add_f32 v[12:13], v[12:13], v[10:11] neg_lo:[0,1] neg_hi:[0,1]
                                        ; implicit-def: $vgpr14
	s_nop 0
	v_and_b32_e32 v3, 0x7fffffff, v13
	v_lshrrev_b32_e32 v0, 23, v3
	v_and_b32_e32 v5, 0x7fffff, v3
	v_cmp_nlt_f32_e64 s[42:43], |v13|, s50
	v_add_u32_e32 v15, 0xffffff88, v0
	v_or_b32_e32 v7, 0x800000, v5
                                        ; implicit-def: $vgpr5
	s_and_saveexec_b64 s[6:7], s[42:43]
	s_xor_b64 s[44:45], exec, s[6:7]
	s_cbranch_execz .LBB356_21
; %bb.20:                               ;   in Loop: Header=BB356_13 Depth=3
	v_cmp_lt_u32_e32 vcc, 63, v15
	v_mad_u64_u32 v[16:17], s[10:11], v7, s52, 0
	s_nop 0
	v_cndmask_b32_e32 v0, 0, v23, vcc
	v_add_u32_e32 v0, v0, v15
	v_cmp_lt_u32_e64 s[6:7], 31, v0
	s_nop 1
	v_cndmask_b32_e64 v5, 0, v24, s[6:7]
	v_add_u32_e32 v0, v5, v0
	v_cmp_lt_u32_e64 s[8:9], 31, v0
	s_nop 1
	v_cndmask_b32_e64 v5, 0, v24, s[8:9]
	v_add_u32_e32 v5, v5, v0
	v_mov_b32_e32 v0, v17
	v_mad_u64_u32 v[34:35], s[10:11], v7, s53, v[0:1]
	v_mov_b32_e32 v0, v35
	v_mad_u64_u32 v[36:37], s[10:11], v7, s54, v[0:1]
	;; [unrolled: 2-line block ×6, first 2 shown]
	v_cndmask_b32_e32 v14, v42, v38, vcc
	v_cndmask_b32_e32 v0, v44, v40, vcc
	v_cndmask_b32_e32 v33, v45, v42, vcc
	v_cndmask_b32_e64 v17, v0, v14, s[6:7]
	v_cndmask_b32_e64 v0, v33, v0, s[6:7]
	v_cndmask_b32_e32 v33, v40, v36, vcc
	v_cndmask_b32_e64 v14, v14, v33, s[6:7]
	v_sub_u32_e32 v35, 32, v5
	v_cmp_eq_u32_e64 s[10:11], 0, v5
	v_cndmask_b32_e32 v5, v38, v34, vcc
	v_cndmask_b32_e64 v0, v0, v17, s[8:9]
	v_cndmask_b32_e64 v17, v17, v14, s[8:9]
	;; [unrolled: 1-line block ×3, first 2 shown]
	v_alignbit_b32 v37, v0, v17, v35
	v_cndmask_b32_e64 v14, v14, v33, s[8:9]
	v_cndmask_b32_e32 v16, v36, v16, vcc
	v_cndmask_b32_e64 v0, v37, v0, s[10:11]
	v_alignbit_b32 v34, v17, v14, v35
	v_cndmask_b32_e64 v5, v5, v16, s[6:7]
	v_cndmask_b32_e64 v17, v34, v17, s[10:11]
	v_bfe_u32 v38, v0, 29, 1
	v_cndmask_b32_e64 v5, v33, v5, s[8:9]
	v_alignbit_b32 v34, v0, v17, 30
	v_sub_u32_e32 v39, 0, v38
	v_alignbit_b32 v16, v14, v5, v35
	v_xor_b32_e32 v40, v34, v39
	v_cndmask_b32_e64 v14, v16, v14, s[10:11]
	v_alignbit_b32 v16, v17, v14, 30
	v_ffbh_u32_e32 v17, v40
	v_add_u32_e32 v17, 1, v17
	v_cmp_ne_u32_e32 vcc, v34, v39
	v_alignbit_b32 v5, v14, v5, 30
	v_xor_b32_e32 v16, v16, v39
	v_cndmask_b32_e32 v17, 33, v17, vcc
	v_sub_u32_e32 v33, 32, v17
	v_xor_b32_e32 v5, v5, v39
	v_alignbit_b32 v34, v40, v16, v33
	v_alignbit_b32 v5, v16, v5, v33
	;; [unrolled: 1-line block ×3, first 2 shown]
	v_ffbh_u32_e32 v16, v14
	v_min_u32_e32 v16, 32, v16
	v_lshrrev_b32_e32 v37, 29, v0
	v_sub_u32_e32 v33, 31, v16
	v_alignbit_b32 v5, v14, v5, v33
	v_lshlrev_b32_e32 v14, 31, v37
	v_or_b32_e32 v33, 0x33800000, v14
	v_add_lshl_u32 v16, v16, v17, 23
	v_lshrrev_b32_e32 v5, 9, v5
	v_sub_u32_e32 v16, v33, v16
	v_or_b32_e32 v5, v16, v5
	v_alignbit_b32 v16, v17, v34, 9
	v_or_b32_e32 v14, v16, v14
	v_xor_b32_e32 v14, 1.0, v14
	v_mul_f32_e32 v16, 0x3fc90fda, v14
	v_fma_f32 v17, v14, s60, -v16
	v_fmac_f32_e32 v17, 0x33a22168, v14
	v_fmac_f32_e32 v17, 0x3fc90fda, v5
	v_lshrrev_b32_e32 v0, 30, v0
	v_add_f32_e32 v14, v16, v17
	v_add_u32_e32 v5, v38, v0
.LBB356_21:                             ;   in Loop: Header=BB356_13 Depth=3
	s_or_saveexec_b64 s[6:7], s[44:45]
	v_mul_f32_e64 v0, |v13|, s61
	v_rndne_f32_e32 v16, v0
	s_xor_b64 exec, exec, s[6:7]
; %bb.22:                               ;   in Loop: Header=BB356_13 Depth=3
	v_cvt_i32_f32_e32 v5, v16
	v_fma_f32 v14, v16, s62, |v13|
	v_fmac_f32_e32 v14, 0xb3a22168, v16
	v_fmac_f32_e32 v14, 0xa7c234c4, v16
; %bb.23:                               ;   in Loop: Header=BB356_13 Depth=3
	s_or_b64 exec, exec, s[6:7]
                                        ; implicit-def: $vgpr0
                                        ; implicit-def: $vgpr17
	s_and_saveexec_b64 s[6:7], s[42:43]
	s_xor_b64 s[42:43], exec, s[6:7]
	s_cbranch_execz .LBB356_25
; %bb.24:                               ;   in Loop: Header=BB356_13 Depth=3
	v_cmp_lt_u32_e32 vcc, 63, v15
	v_mad_u64_u32 v[16:17], s[10:11], v7, s52, 0
	s_nop 0
	v_cndmask_b32_e32 v0, 0, v23, vcc
	v_add_u32_e32 v0, v0, v15
	v_cmp_lt_u32_e64 s[6:7], 31, v0
	s_nop 1
	v_cndmask_b32_e64 v15, 0, v24, s[6:7]
	v_add_u32_e32 v0, v15, v0
	v_cmp_lt_u32_e64 s[8:9], 31, v0
	s_nop 1
	v_cndmask_b32_e64 v15, 0, v24, s[8:9]
	v_add_u32_e32 v15, v15, v0
	v_mov_b32_e32 v0, v17
	v_mad_u64_u32 v[34:35], s[10:11], v7, s53, v[0:1]
	v_mov_b32_e32 v0, v35
	v_mad_u64_u32 v[36:37], s[10:11], v7, s54, v[0:1]
	v_mov_b32_e32 v0, v37
	v_mad_u64_u32 v[38:39], s[10:11], v7, s55, v[0:1]
	v_mov_b32_e32 v0, v39
	v_mad_u64_u32 v[40:41], s[10:11], v7, s56, v[0:1]
	v_mov_b32_e32 v0, v41
	v_mad_u64_u32 v[42:43], s[10:11], v7, s57, v[0:1]
	v_mov_b32_e32 v0, v43
	v_mad_u64_u32 v[44:45], s[10:11], v7, s58, v[0:1]
	v_cndmask_b32_e32 v17, v42, v38, vcc
	v_cndmask_b32_e32 v0, v44, v40, vcc
	;; [unrolled: 1-line block ×3, first 2 shown]
	v_cndmask_b32_e64 v7, v0, v17, s[6:7]
	v_cndmask_b32_e64 v0, v33, v0, s[6:7]
	v_cndmask_b32_e32 v33, v40, v36, vcc
	v_cndmask_b32_e64 v17, v17, v33, s[6:7]
	v_sub_u32_e32 v35, 32, v15
	v_cmp_eq_u32_e64 s[10:11], 0, v15
	v_cndmask_b32_e32 v15, v38, v34, vcc
	v_cndmask_b32_e64 v0, v0, v7, s[8:9]
	v_cndmask_b32_e64 v7, v7, v17, s[8:9]
	;; [unrolled: 1-line block ×3, first 2 shown]
	v_alignbit_b32 v37, v0, v7, v35
	v_cndmask_b32_e64 v17, v17, v33, s[8:9]
	v_cndmask_b32_e64 v0, v37, v0, s[10:11]
	v_alignbit_b32 v34, v7, v17, v35
	v_cndmask_b32_e32 v16, v36, v16, vcc
	v_cndmask_b32_e64 v7, v34, v7, s[10:11]
	v_bfe_u32 v38, v0, 29, 1
	v_cndmask_b32_e64 v15, v15, v16, s[6:7]
	v_alignbit_b32 v34, v0, v7, 30
	v_sub_u32_e32 v39, 0, v38
	v_cndmask_b32_e64 v15, v33, v15, s[8:9]
	v_xor_b32_e32 v40, v34, v39
	v_alignbit_b32 v16, v17, v15, v35
	v_cndmask_b32_e64 v16, v16, v17, s[10:11]
	v_ffbh_u32_e32 v17, v40
	v_add_u32_e32 v17, 1, v17
	v_cmp_ne_u32_e32 vcc, v34, v39
	v_alignbit_b32 v7, v7, v16, 30
	v_alignbit_b32 v15, v16, v15, 30
	v_cndmask_b32_e32 v17, 33, v17, vcc
	v_xor_b32_e32 v7, v7, v39
	v_sub_u32_e32 v33, 32, v17
	v_xor_b32_e32 v15, v15, v39
	v_alignbit_b32 v34, v40, v7, v33
	v_alignbit_b32 v7, v7, v15, v33
	;; [unrolled: 1-line block ×3, first 2 shown]
	v_ffbh_u32_e32 v16, v15
	v_min_u32_e32 v16, 32, v16
	v_lshrrev_b32_e32 v37, 29, v0
	v_sub_u32_e32 v33, 31, v16
	v_alignbit_b32 v7, v15, v7, v33
	v_lshlrev_b32_e32 v15, 31, v37
	v_or_b32_e32 v33, 0x33800000, v15
	v_add_lshl_u32 v16, v16, v17, 23
	v_lshrrev_b32_e32 v7, 9, v7
	v_sub_u32_e32 v16, v33, v16
	v_or_b32_e32 v7, v16, v7
	v_alignbit_b32 v16, v17, v34, 9
	v_or_b32_e32 v15, v16, v15
	v_xor_b32_e32 v15, 1.0, v15
	v_mul_f32_e32 v16, 0x3fc90fda, v15
	v_fma_f32 v17, v15, s60, -v16
	v_fmac_f32_e32 v17, 0x33a22168, v15
	v_fmac_f32_e32 v17, 0x3fc90fda, v7
	v_lshrrev_b32_e32 v0, 30, v0
	v_add_f32_e32 v17, v16, v17
	v_add_u32_e32 v0, v38, v0
                                        ; implicit-def: $vgpr16
	s_andn2_saveexec_b64 s[6:7], s[42:43]
	s_cbranch_execnz .LBB356_26
	s_branch .LBB356_27
.LBB356_25:                             ;   in Loop: Header=BB356_13 Depth=3
	s_andn2_saveexec_b64 s[6:7], s[42:43]
.LBB356_26:                             ;   in Loop: Header=BB356_13 Depth=3
	v_cvt_i32_f32_e32 v0, v16
	v_fma_f32 v17, v16, s62, |v13|
	v_fmac_f32_e32 v17, 0xb3a22168, v16
	v_fmac_f32_e32 v17, 0xa7c234c4, v16
.LBB356_27:                             ;   in Loop: Header=BB356_13 Depth=3
	s_or_b64 exec, exec, s[6:7]
	v_mul_f32_e32 v7, 0x3fb8aa3b, v12
	v_rndne_f32_e32 v15, v7
	v_sub_f32_e32 v16, v7, v15
	v_fma_f32 v7, v12, s63, -v7
	v_fmac_f32_e32 v7, 0x32a5705f, v12
	v_add_f32_e32 v7, v16, v7
	v_cvt_i32_f32_e32 v15, v15
	v_exp_f32_e32 v7, v7
	v_and_b32_e32 v33, 1, v0
	v_lshlrev_b32_e32 v0, 30, v0
	v_mov_b32_e32 v34, v14
	v_ldexp_f32 v7, v7, v15
	v_mul_f32_e32 v15, v17, v17
	v_fmamk_f32 v16, v15, 0xb94c1982, v19
	v_fmaak_f32 v35, v15, v16, 0xbe2aaa9d
	v_fmamk_f32 v16, v15, 0x37d75334, v20
	v_and_b32_e32 v0, 0x80000000, v0
	v_xor_b32_e32 v3, v3, v13
	v_pk_mul_f32 v[34:35], v[14:15], v[34:35]
	v_fmaak_f32 v16, v15, v16, 0x3d2aabf7
	v_xor_b32_e32 v0, v3, v0
	v_fmamk_f32 v3, v34, 0x37d75334, v20
	v_fmaak_f32 v16, v15, v16, 0xbf000004
	v_fmaak_f32 v3, v34, v3, 0x3d2aabf7
	v_fma_f32 v36, v15, v16, 1.0
	v_fmaak_f32 v16, v34, v3, 0xbf000004
	v_fmamk_f32 v3, v34, 0xb94c1982, v19
	v_fmaak_f32 v3, v34, v3, 0xbe2aaa9d
	v_cmp_ngt_f32_e32 vcc, s64, v12
	v_mul_f32_e32 v3, v34, v3
	v_fmac_f32_e32 v14, v14, v3
	v_cndmask_b32_e32 v7, 0, v7, vcc
	v_cmp_nlt_f32_e32 vcc, s65, v12
	v_mov_b32_e32 v3, v17
	v_pk_fma_f32 v[16:17], v[34:35], v[16:17], v[2:3]
	v_cndmask_b32_e32 v12, v25, v7, vcc
	v_lshlrev_b32_e32 v7, 30, v5
	v_and_b32_e32 v5, 1, v5
	v_cmp_eq_u32_e32 vcc, 0, v33
	v_and_b32_e32 v7, 0x80000000, v7
	s_nop 0
	v_cndmask_b32_e32 v3, v36, v17, vcc
	v_cmp_eq_u32_e32 vcc, 0, v5
	v_xor_b32_e32 v0, v0, v3
	s_nop 0
	v_cndmask_b32_e64 v5, -v14, v16, vcc
	v_xor_b32_e32 v5, v7, v5
	v_cmp_class_f32_e64 vcc, v13, s48
	s_nop 1
	v_cndmask_b32_e32 v15, v26, v0, vcc
	v_cndmask_b32_e32 v14, v26, v5, vcc
	v_pk_mul_f32 v[12:13], v[12:13], v[14:15] op_sel_hi:[0,1]
	v_max_f32_e64 v0, |v12|, |v13|
	v_cvt_f64_f32_e32 v[14:15], v0
	v_frexp_exp_i32_f64_e32 v3, v[14:15]
	v_sub_u32_e32 v5, 0, v3
	v_ldexp_f32 v7, |v12|, v5
	v_ldexp_f32 v5, |v13|, v5
	v_mul_f32_e32 v5, v5, v5
	v_fmac_f32_e32 v5, v7, v7
	v_sqrt_f32_e32 v5, v5
	v_cmp_eq_f32_e32 vcc, s66, v0
	v_add_f32_e32 v0, 1.0, v12
                                        ; implicit-def: $vgpr14
	v_ldexp_f32 v3, v5, v3
	v_cmp_ngt_f32_e64 s[6:7], 0.5, v3
	v_max_f32_e64 v3, |v0|, |v13|
	s_or_b64 s[6:7], vcc, s[6:7]
	s_and_saveexec_b64 s[8:9], s[6:7]
	s_xor_b64 s[8:9], exec, s[8:9]
	s_cbranch_execz .LBB356_29
; %bb.28:                               ;   in Loop: Header=BB356_13 Depth=3
	v_cvt_f64_f32_e32 v[14:15], v3
	v_frexp_exp_i32_f64_e32 v5, v[14:15]
	v_sub_u32_e32 v7, 0, v5
	v_ldexp_f32 v14, |v0|, v7
	v_ldexp_f32 v7, |v13|, v7
	v_mul_f32_e32 v7, v7, v7
	v_fmac_f32_e32 v7, v14, v14
	v_sqrt_f32_e32 v7, v7
	v_cmp_neq_f32_e32 vcc, s66, v3
	v_ldexp_f32 v5, v7, v5
	s_nop 0
	v_cndmask_b32_e32 v5, v25, v5, vcc
	v_cmp_gt_f32_e32 vcc, s51, v5
	s_nop 1
	v_cndmask_b32_e32 v7, 1.0, v27, vcc
	v_mul_f32_e32 v5, v5, v7
	v_log_f32_e32 v5, v5
	s_nop 0
	v_mul_f32_e32 v7, 0x3f317217, v5
	v_fma_f32 v14, v5, s67, -v7
	v_fmac_f32_e32 v14, 0x3377d1cf, v5
	v_add_f32_e32 v7, v7, v14
	v_cmp_lt_f32_e64 s[6:7], |v5|, s66
	s_nop 1
	v_cndmask_b32_e64 v5, v5, v7, s[6:7]
	v_cndmask_b32_e32 v7, 0, v28, vcc
	v_sub_f32_e32 v14, v5, v7
.LBB356_29:                             ;   in Loop: Header=BB356_13 Depth=3
	s_andn2_saveexec_b64 s[6:7], s[8:9]
	s_cbranch_execz .LBB356_33
; %bb.30:                               ;   in Loop: Header=BB356_13 Depth=3
	v_add_f32_e32 v14, 2.0, v12
	v_mov_b32_e32 v15, v13
	v_pk_mul_f32 v[14:15], v[12:13], v[14:15]
	s_nop 0
	v_add_f32_e32 v7, v14, v15
	v_cmp_neq_f32_e32 vcc, 0, v7
	s_and_saveexec_b64 s[8:9], vcc
	s_cbranch_execz .LBB356_32
; %bb.31:                               ;   in Loop: Header=BB356_13 Depth=3
	v_add_f32_e32 v5, 1.0, v7
	v_add_f32_e32 v12, -1.0, v5
	v_sub_f32_e32 v14, v12, v5
	v_add_f32_e32 v14, 1.0, v14
	v_sub_f32_e32 v12, v7, v12
	v_add_f32_e32 v12, v12, v14
	v_frexp_mant_f32_e32 v16, v5
	v_cvt_f64_f32_e32 v[14:15], v5
	v_frexp_exp_i32_f64_e32 v14, v[14:15]
	v_cmp_gt_f32_e32 vcc, s68, v16
	s_nop 1
	v_subbrev_co_u32_e32 v33, vcc, 0, v14, vcc
	v_sub_u32_e32 v14, 0, v33
	v_ldexp_f32 v5, v5, v14
	v_ldexp_f32 v12, v12, v14
	v_add_f32_e32 v14, -1.0, v5
	v_add_f32_e32 v15, 1.0, v14
	v_sub_f32_e32 v15, v5, v15
	v_add_f32_e32 v16, v12, v15
	v_add_f32_e32 v15, 1.0, v5
	v_add_f32_e32 v17, -1.0, v15
	v_sub_f32_e32 v5, v5, v17
	v_add_f32_e32 v5, v12, v5
	v_add_f32_e32 v12, v15, v5
	v_rcp_f32_e32 v38, v12
	v_sub_f32_e32 v15, v12, v15
	v_sub_f32_e32 v5, v5, v15
	v_add_f32_e32 v15, v14, v16
	v_sub_f32_e32 v14, v15, v14
	v_mul_f32_e32 v40, v15, v38
	v_sub_f32_e32 v39, v16, v14
	v_mul_f32_e32 v16, v12, v40
	v_fma_f32 v34, v40, v12, -v16
	v_fmac_f32_e32 v34, v40, v5
	v_add_f32_e32 v14, v16, v34
	v_sub_f32_e32 v17, v15, v14
	v_pk_add_f32 v[36:37], v[14:15], v[16:17] neg_lo:[0,1] neg_hi:[0,1]
	v_mov_b32_e32 v35, v14
	v_pk_add_f32 v[14:15], v[36:37], v[34:35] neg_lo:[0,1] neg_hi:[0,1]
	v_cmp_eq_f32_e32 vcc, s66, v7
	v_add_f32_e32 v15, v39, v15
	v_add_f32_e32 v14, v14, v15
	;; [unrolled: 1-line block ×3, first 2 shown]
	v_mul_f32_e32 v39, v38, v15
	v_mul_f32_e32 v16, v12, v39
	v_fma_f32 v34, v39, v12, -v16
	v_fmac_f32_e32 v34, v39, v5
	v_sub_f32_e32 v5, v17, v15
	v_add_f32_e32 v5, v14, v5
	v_add_f32_e32 v14, v16, v34
	v_sub_f32_e32 v17, v15, v14
	v_pk_add_f32 v[36:37], v[14:15], v[16:17] neg_lo:[0,1] neg_hi:[0,1]
	v_mov_b32_e32 v35, v14
	v_pk_add_f32 v[14:15], v[36:37], v[34:35] neg_lo:[0,1] neg_hi:[0,1]
	v_add_f32_e32 v12, v40, v39
	v_add_f32_e32 v5, v5, v15
	;; [unrolled: 1-line block ×4, first 2 shown]
	v_sub_f32_e32 v14, v12, v40
	v_mul_f32_e32 v5, v38, v5
	v_sub_f32_e32 v14, v39, v14
	v_add_f32_e32 v15, v14, v5
	v_add_f32_e32 v16, v12, v15
	v_cvt_f32_i32_e32 v14, v33
	v_mul_f32_e32 v34, v16, v16
	v_fmamk_f32 v5, v34, 0x3e9b6dac, v21
	v_sub_f32_e32 v12, v16, v12
	v_fmaak_f32 v5, v34, v5, 0x3f2aaada
	v_sub_f32_e32 v12, v15, v12
	v_mul_f32_e32 v15, v16, v34
	v_pk_mul_f32 v[34:35], v[14:15], v[4:5]
	v_ldexp_f32 v17, v16, 1
	v_fma_f32 v16, v14, s69, -v34
	v_fmac_f32_e32 v16, 0xb102e308, v14
	v_pk_add_f32 v[14:15], v[34:35], v[16:17]
	v_ldexp_f32 v12, v12, 1
	v_sub_f32_e32 v5, v15, v17
	v_sub_f32_e32 v5, v35, v5
	v_add_f32_e32 v37, v12, v5
	v_mov_b32_e32 v36, v34
	v_pk_add_f32 v[34:35], v[14:15], v[34:35] neg_lo:[0,1] neg_hi:[0,1]
	v_pk_add_f32 v[38:39], v[14:15], v[36:37]
	v_mov_b32_e32 v17, v14
	v_mov_b32_e32 v35, v39
	v_pk_add_f32 v[40:41], v[16:17], v[34:35] neg_lo:[0,1] neg_hi:[0,1]
	v_pk_add_f32 v[16:17], v[16:17], v[34:35]
	s_nop 0
	v_mov_b32_e32 v12, v17
	v_pk_add_f32 v[34:35], v[12:13], v[14:15] neg_lo:[0,1] neg_hi:[0,1]
	v_mov_b32_e32 v16, v39
	v_mov_b32_e32 v5, v34
	v_pk_add_f32 v[42:43], v[38:39], v[4:5] neg_lo:[0,1] neg_hi:[0,1]
	v_mov_b32_e32 v38, v15
	v_mov_b32_e32 v39, v34
	;; [unrolled: 1-line block ×3, first 2 shown]
	v_pk_add_f32 v[16:17], v[16:17], v[38:39] neg_lo:[0,1] neg_hi:[0,1]
	v_mov_b32_e32 v34, v37
	v_mov_b32_e32 v35, v14
	v_pk_add_f32 v[14:15], v[34:35], v[16:17] neg_lo:[0,1] neg_hi:[0,1]
	v_mov_b32_e32 v42, v40
	v_pk_add_f32 v[16:17], v[42:43], v[14:15]
	s_nop 0
	v_mov_b32_e32 v34, v17
	v_pk_add_f32 v[34:35], v[16:17], v[34:35]
	s_nop 0
	v_pk_add_f32 v[36:37], v[12:13], v[34:35]
	v_mov_b32_e32 v15, v34
	v_mov_b32_e32 v17, v36
	v_pk_add_f32 v[38:39], v[16:17], v[40:41] neg_lo:[0,1] neg_hi:[0,1]
	s_nop 0
	v_sub_f32_e32 v5, v16, v38
	v_pk_add_f32 v[14:15], v[14:15], v[38:39] neg_lo:[0,1] neg_hi:[0,1]
	v_sub_f32_e32 v5, v40, v5
	v_add_f32_e32 v5, v14, v5
	v_add_f32_e32 v5, v5, v15
	;; [unrolled: 1-line block ×3, first 2 shown]
	v_cndmask_b32_e32 v5, v5, v7, vcc
	v_cmp_ngt_f32_e32 vcc, -1.0, v7
	s_nop 1
	v_cndmask_b32_e32 v5, v26, v5, vcc
	v_cmp_neq_f32_e32 vcc, -1.0, v7
	s_nop 1
	v_cndmask_b32_e32 v5, v29, v5, vcc
	v_cmp_lt_f32_e64 vcc, |v7|, s59
	s_nop 1
	v_cndmask_b32_e32 v5, v5, v7, vcc
	v_mul_f32_e32 v12, 0.5, v5
.LBB356_32:                             ;   in Loop: Header=BB356_13 Depth=3
	s_or_b64 exec, exec, s[8:9]
	v_mov_b32_e32 v14, v12
.LBB356_33:                             ;   in Loop: Header=BB356_13 Depth=3
	s_or_b64 exec, exec, s[6:7]
	v_max_f32_e64 v12, |v13|, |v13|
	v_max_f32_e64 v15, |v0|, |v0|
	v_min_f32_e32 v12, v15, v12
	v_frexp_mant_f32_e32 v15, v3
	v_rcp_f32_e32 v15, v15
	v_frexp_exp_i32_f32_e32 v3, v3
	v_frexp_exp_i32_f32_e32 v16, v12
	v_frexp_mant_f32_e32 v12, v12
	v_mul_f32_e32 v12, v12, v15
	v_sub_u32_e32 v3, v16, v3
	v_ldexp_f32 v3, v12, v3
	v_mul_f32_e32 v12, v3, v3
	v_fmamk_f32 v15, v12, 0x3b2d2a58, v22
	v_fmaak_f32 v15, v12, v15, 0x3d29fb3f
	v_fmaak_f32 v15, v12, v15, 0xbd97d4d7
	;; [unrolled: 1-line block ×6, first 2 shown]
	v_mul_f32_e32 v12, v12, v15
	v_cmp_gt_i32_e64 s[6:7], 0, v0
	v_fmac_f32_e32 v3, v3, v12
	v_sub_f32_e32 v12, 0x3fc90fdb, v3
	v_cndmask_b32_e64 v7, 0, v32, s[6:7]
	v_cmp_gt_f32_e64 s[6:7], |v13|, |v0|
	v_cmp_gt_f32_e32 vcc, 0, v0
	v_cmp_class_f32_e64 s[8:9], v13, s70
	v_cndmask_b32_e64 v3, v3, v12, s[6:7]
	v_sub_f32_e32 v12, 0x40490fdb, v3
	v_cmp_class_f32_e64 s[10:11], v0, s70
	v_cndmask_b32_e32 v5, v30, v31, vcc
	v_cndmask_b32_e32 v3, v3, v12, vcc
	v_cmp_eq_f32_e32 vcc, 0, v13
	s_nop 1
	v_cndmask_b32_e32 v3, v3, v7, vcc
	s_and_b64 vcc, s[10:11], s[8:9]
	v_cndmask_b32_e32 v3, v3, v5, vcc
	v_cmp_o_f32_e32 vcc, v0, v13
	s_nop 1
	v_cndmask_b32_e32 v0, v26, v3, vcc
	v_bfi_b32 v15, s49, v0, v13
	v_pk_add_f32 v[12:13], v[10:11], v[14:15]
                                        ; implicit-def: $vgpr15
                                        ; implicit-def: $vgpr11
.LBB356_34:                             ;   in Loop: Header=BB356_13 Depth=3
	s_andn2_saveexec_b64 s[40:41], s[40:41]
	s_cbranch_execz .LBB356_11
; %bb.35:                               ;   in Loop: Header=BB356_13 Depth=3
	v_cmp_ngt_f32_e32 vcc, 0, v12
	s_and_saveexec_b64 s[42:43], vcc
	s_cbranch_execz .LBB356_10
; %bb.36:                               ;   in Loop: Header=BB356_13 Depth=3
	v_and_b32_e32 v3, 0x7fffffff, v13
	v_lshrrev_b32_e32 v0, 23, v3
	v_and_b32_e32 v5, 0x7fffff, v3
	v_cmp_nlt_f32_e64 s[44:45], |v13|, s50
	v_add_u32_e32 v16, 0xffffff88, v0
	v_or_b32_e32 v14, 0x800000, v5
                                        ; implicit-def: $vgpr7
                                        ; implicit-def: $vgpr5
	s_and_saveexec_b64 s[6:7], s[44:45]
	s_xor_b64 s[46:47], exec, s[6:7]
	s_cbranch_execz .LBB356_38
; %bb.37:                               ;   in Loop: Header=BB356_13 Depth=3
	v_cmp_lt_u32_e32 vcc, 63, v16
	v_mad_u64_u32 v[34:35], s[10:11], v14, s52, 0
	s_nop 0
	v_cndmask_b32_e32 v0, 0, v23, vcc
	v_add_u32_e32 v0, v0, v16
	v_cmp_lt_u32_e64 s[6:7], 31, v0
	s_nop 1
	v_cndmask_b32_e64 v5, 0, v24, s[6:7]
	v_add_u32_e32 v0, v5, v0
	v_cmp_lt_u32_e64 s[8:9], 31, v0
	s_nop 1
	v_cndmask_b32_e64 v5, 0, v24, s[8:9]
	v_add_u32_e32 v5, v5, v0
	v_mov_b32_e32 v0, v35
	v_mad_u64_u32 v[36:37], s[10:11], v14, s53, v[0:1]
	v_mov_b32_e32 v0, v37
	v_mad_u64_u32 v[38:39], s[10:11], v14, s54, v[0:1]
	;; [unrolled: 2-line block ×6, first 2 shown]
	v_cndmask_b32_e32 v7, v44, v40, vcc
	v_cndmask_b32_e32 v0, v46, v42, vcc
	;; [unrolled: 1-line block ×3, first 2 shown]
	v_cndmask_b32_e64 v10, v0, v7, s[6:7]
	v_cndmask_b32_e64 v0, v12, v0, s[6:7]
	v_cndmask_b32_e32 v12, v42, v38, vcc
	v_cndmask_b32_e64 v7, v7, v12, s[6:7]
	v_sub_u32_e32 v17, 32, v5
	v_cmp_eq_u32_e64 s[10:11], 0, v5
	v_cndmask_b32_e32 v5, v40, v36, vcc
	v_cndmask_b32_e64 v0, v0, v10, s[8:9]
	v_cndmask_b32_e64 v10, v10, v7, s[8:9]
	v_cndmask_b32_e64 v12, v12, v5, s[6:7]
	v_alignbit_b32 v33, v0, v10, v17
	v_cndmask_b32_e64 v7, v7, v12, s[8:9]
	v_cndmask_b32_e64 v0, v33, v0, s[10:11]
	v_alignbit_b32 v33, v10, v7, v17
	v_cndmask_b32_e32 v34, v38, v34, vcc
	v_cndmask_b32_e64 v10, v33, v10, s[10:11]
	v_bfe_u32 v36, v0, 29, 1
	v_cndmask_b32_e64 v5, v5, v34, s[6:7]
	v_alignbit_b32 v33, v0, v10, 30
	v_sub_u32_e32 v37, 0, v36
	v_cndmask_b32_e64 v5, v12, v5, s[8:9]
	v_xor_b32_e32 v39, v33, v37
	v_alignbit_b32 v12, v7, v5, v17
	v_cndmask_b32_e64 v7, v12, v7, s[10:11]
	v_ffbh_u32_e32 v12, v39
	v_add_u32_e32 v12, 1, v12
	v_cmp_ne_u32_e32 vcc, v33, v37
	v_alignbit_b32 v10, v10, v7, 30
	v_alignbit_b32 v5, v7, v5, 30
	v_cndmask_b32_e32 v12, 33, v12, vcc
	v_xor_b32_e32 v10, v10, v37
	v_sub_u32_e32 v17, 32, v12
	v_xor_b32_e32 v5, v5, v37
	v_alignbit_b32 v33, v39, v10, v17
	v_alignbit_b32 v5, v10, v5, v17
	;; [unrolled: 1-line block ×3, first 2 shown]
	v_ffbh_u32_e32 v10, v7
	v_min_u32_e32 v10, 32, v10
	v_lshrrev_b32_e32 v35, 29, v0
	v_sub_u32_e32 v17, 31, v10
	v_alignbit_b32 v5, v7, v5, v17
	v_lshlrev_b32_e32 v7, 31, v35
	v_or_b32_e32 v17, 0x33800000, v7
	v_add_lshl_u32 v10, v10, v12, 23
	v_lshrrev_b32_e32 v5, 9, v5
	v_sub_u32_e32 v10, v17, v10
	v_or_b32_e32 v5, v10, v5
	v_alignbit_b32 v10, v12, v33, 9
	v_or_b32_e32 v7, v10, v7
	v_xor_b32_e32 v7, 1.0, v7
	v_mul_f32_e32 v10, 0x3fc90fda, v7
	v_fma_f32 v12, v7, s60, -v10
	v_fmac_f32_e32 v12, 0x33a22168, v7
	v_fmac_f32_e32 v12, 0x3fc90fda, v5
	v_lshrrev_b32_e32 v0, 30, v0
	v_add_f32_e32 v5, v10, v12
	v_add_u32_e32 v7, v36, v0
.LBB356_38:                             ;   in Loop: Header=BB356_13 Depth=3
	s_or_saveexec_b64 s[6:7], s[46:47]
	v_mul_f32_e64 v0, |v13|, s61
	v_rndne_f32_e32 v0, v0
	s_xor_b64 exec, exec, s[6:7]
; %bb.39:                               ;   in Loop: Header=BB356_13 Depth=3
	v_cvt_i32_f32_e32 v7, v0
	v_fma_f32 v5, v0, s62, |v13|
	v_fmac_f32_e32 v5, 0xb3a22168, v0
	v_fmac_f32_e32 v5, 0xa7c234c4, v0
; %bb.40:                               ;   in Loop: Header=BB356_13 Depth=3
	s_or_b64 exec, exec, s[6:7]
                                        ; implicit-def: $vgpr10
                                        ; implicit-def: $vgpr12
	s_and_saveexec_b64 s[6:7], s[44:45]
	s_xor_b64 s[44:45], exec, s[6:7]
	s_cbranch_execz .LBB356_42
; %bb.41:                               ;   in Loop: Header=BB356_13 Depth=3
	v_cmp_lt_u32_e32 vcc, 63, v16
	s_nop 1
	v_cndmask_b32_e32 v0, 0, v23, vcc
	v_add_u32_e32 v0, v0, v16
	v_cmp_lt_u32_e64 s[6:7], 31, v0
	v_mad_u64_u32 v[16:17], s[10:11], v14, s52, 0
	s_nop 0
	v_cndmask_b32_e64 v10, 0, v24, s[6:7]
	v_add_u32_e32 v0, v10, v0
	v_cmp_lt_u32_e64 s[8:9], 31, v0
	s_nop 1
	v_cndmask_b32_e64 v10, 0, v24, s[8:9]
	v_add_u32_e32 v10, v10, v0
	v_mov_b32_e32 v0, v17
	v_mad_u64_u32 v[34:35], s[10:11], v14, s53, v[0:1]
	v_mov_b32_e32 v0, v35
	v_mad_u64_u32 v[36:37], s[10:11], v14, s54, v[0:1]
	v_mov_b32_e32 v0, v37
	v_mad_u64_u32 v[38:39], s[10:11], v14, s55, v[0:1]
	v_mov_b32_e32 v0, v39
	v_mad_u64_u32 v[40:41], s[10:11], v14, s56, v[0:1]
	v_mov_b32_e32 v0, v41
	v_mad_u64_u32 v[42:43], s[10:11], v14, s57, v[0:1]
	v_mov_b32_e32 v0, v43
	v_mad_u64_u32 v[44:45], s[10:11], v14, s58, v[0:1]
	v_cndmask_b32_e32 v12, v42, v38, vcc
	v_cndmask_b32_e32 v0, v44, v40, vcc
	;; [unrolled: 1-line block ×3, first 2 shown]
	v_cndmask_b32_e64 v14, v0, v12, s[6:7]
	v_cndmask_b32_e64 v0, v17, v0, s[6:7]
	v_cndmask_b32_e32 v17, v40, v36, vcc
	v_cndmask_b32_e64 v12, v12, v17, s[6:7]
	v_sub_u32_e32 v33, 32, v10
	v_cmp_eq_u32_e64 s[10:11], 0, v10
	v_cndmask_b32_e32 v10, v38, v34, vcc
	v_cndmask_b32_e64 v0, v0, v14, s[8:9]
	v_cndmask_b32_e64 v14, v14, v12, s[8:9]
	;; [unrolled: 1-line block ×3, first 2 shown]
	v_alignbit_b32 v35, v0, v14, v33
	v_cndmask_b32_e64 v12, v12, v17, s[8:9]
	v_cndmask_b32_e64 v0, v35, v0, s[10:11]
	v_alignbit_b32 v34, v14, v12, v33
	v_cndmask_b32_e32 v16, v36, v16, vcc
	v_cndmask_b32_e64 v14, v34, v14, s[10:11]
	v_bfe_u32 v37, v0, 29, 1
	v_cndmask_b32_e64 v10, v10, v16, s[6:7]
	v_alignbit_b32 v34, v0, v14, 30
	v_sub_u32_e32 v38, 0, v37
	v_cndmask_b32_e64 v10, v17, v10, s[8:9]
	v_xor_b32_e32 v39, v34, v38
	v_alignbit_b32 v16, v12, v10, v33
	v_cndmask_b32_e64 v12, v16, v12, s[10:11]
	v_ffbh_u32_e32 v16, v39
	v_add_u32_e32 v16, 1, v16
	v_cmp_ne_u32_e32 vcc, v34, v38
	v_alignbit_b32 v14, v14, v12, 30
	v_alignbit_b32 v10, v12, v10, 30
	v_cndmask_b32_e32 v16, 33, v16, vcc
	v_xor_b32_e32 v14, v14, v38
	v_sub_u32_e32 v17, 32, v16
	v_xor_b32_e32 v10, v10, v38
	v_alignbit_b32 v33, v39, v14, v17
	v_alignbit_b32 v10, v14, v10, v17
	;; [unrolled: 1-line block ×3, first 2 shown]
	v_ffbh_u32_e32 v14, v12
	v_min_u32_e32 v14, 32, v14
	v_lshrrev_b32_e32 v35, 29, v0
	v_sub_u32_e32 v17, 31, v14
	v_alignbit_b32 v10, v12, v10, v17
	v_lshlrev_b32_e32 v12, 31, v35
	v_or_b32_e32 v17, 0x33800000, v12
	v_add_lshl_u32 v14, v14, v16, 23
	v_lshrrev_b32_e32 v10, 9, v10
	v_sub_u32_e32 v14, v17, v14
	v_or_b32_e32 v10, v14, v10
	v_alignbit_b32 v14, v16, v33, 9
	v_or_b32_e32 v12, v14, v12
	v_xor_b32_e32 v12, 1.0, v12
	v_mul_f32_e32 v14, 0x3fc90fda, v12
	v_fma_f32 v16, v12, s60, -v14
	v_fmac_f32_e32 v16, 0x33a22168, v12
	v_fmac_f32_e32 v16, 0x3fc90fda, v10
	v_lshrrev_b32_e32 v0, 30, v0
	v_add_f32_e32 v12, v14, v16
	v_add_u32_e32 v10, v37, v0
                                        ; implicit-def: $vgpr0
	s_andn2_saveexec_b64 s[6:7], s[44:45]
	s_cbranch_execnz .LBB356_43
	s_branch .LBB356_44
.LBB356_42:                             ;   in Loop: Header=BB356_13 Depth=3
	s_andn2_saveexec_b64 s[6:7], s[44:45]
.LBB356_43:                             ;   in Loop: Header=BB356_13 Depth=3
	v_cvt_i32_f32_e32 v10, v0
	v_fma_f32 v12, v0, s62, |v13|
	v_fmac_f32_e32 v12, 0xb3a22168, v0
	v_fmac_f32_e32 v12, 0xa7c234c4, v0
.LBB356_44:                             ;   in Loop: Header=BB356_13 Depth=3
	s_or_b64 exec, exec, s[6:7]
	v_and_b32_e32 v14, 0x7fffffff, v11
	v_lshrrev_b32_e32 v0, 23, v14
	v_and_b32_e32 v16, 0x7fffff, v14
	v_cmp_nlt_f32_e64 s[44:45], |v11|, s50
	v_add_u32_e32 v34, 0xffffff88, v0
	v_or_b32_e32 v33, 0x800000, v16
                                        ; implicit-def: $vgpr17
                                        ; implicit-def: $vgpr16
	s_and_saveexec_b64 s[6:7], s[44:45]
	s_xor_b64 s[46:47], exec, s[6:7]
	s_cbranch_execz .LBB356_46
; %bb.45:                               ;   in Loop: Header=BB356_13 Depth=3
	v_cmp_lt_u32_e32 vcc, 63, v34
	s_nop 1
	v_cndmask_b32_e32 v0, 0, v23, vcc
	v_add_u32_e32 v0, v0, v34
	v_cmp_lt_u32_e64 s[6:7], 31, v0
	s_nop 1
	v_cndmask_b32_e64 v16, 0, v24, s[6:7]
	v_add_u32_e32 v0, v16, v0
	v_cmp_lt_u32_e64 s[8:9], 31, v0
	s_nop 1
	v_cndmask_b32_e64 v16, 0, v24, s[8:9]
	v_add_u32_e32 v35, v16, v0
	v_mad_u64_u32 v[16:17], s[10:11], v33, s52, 0
	v_mov_b32_e32 v0, v17
	v_mad_u64_u32 v[36:37], s[10:11], v33, s53, v[0:1]
	v_mov_b32_e32 v0, v37
	;; [unrolled: 2-line block ×6, first 2 shown]
	v_mad_u64_u32 v[46:47], s[10:11], v33, s58, v[0:1]
	v_cndmask_b32_e32 v17, v44, v40, vcc
	v_cndmask_b32_e32 v0, v46, v42, vcc
	;; [unrolled: 1-line block ×3, first 2 shown]
	v_cndmask_b32_e64 v37, v0, v17, s[6:7]
	v_cndmask_b32_e64 v0, v39, v0, s[6:7]
	v_cndmask_b32_e32 v39, v42, v38, vcc
	v_cndmask_b32_e64 v17, v17, v39, s[6:7]
	v_sub_u32_e32 v41, 32, v35
	v_cmp_eq_u32_e64 s[10:11], 0, v35
	v_cndmask_b32_e32 v35, v40, v36, vcc
	v_cndmask_b32_e64 v0, v0, v37, s[8:9]
	v_cndmask_b32_e64 v37, v37, v17, s[8:9]
	;; [unrolled: 1-line block ×3, first 2 shown]
	v_alignbit_b32 v42, v0, v37, v41
	v_cndmask_b32_e64 v17, v17, v36, s[8:9]
	v_cndmask_b32_e64 v0, v42, v0, s[10:11]
	v_alignbit_b32 v39, v37, v17, v41
	v_cndmask_b32_e64 v37, v39, v37, s[10:11]
	v_bfe_u32 v42, v0, 29, 1
	v_cndmask_b32_e32 v16, v38, v16, vcc
	v_alignbit_b32 v39, v0, v37, 30
	v_sub_u32_e32 v43, 0, v42
	v_cndmask_b32_e64 v16, v35, v16, s[6:7]
	v_xor_b32_e32 v44, v39, v43
	v_cndmask_b32_e64 v16, v36, v16, s[8:9]
	v_alignbit_b32 v35, v17, v16, v41
	v_ffbh_u32_e32 v36, v44
	v_cndmask_b32_e64 v17, v35, v17, s[10:11]
	v_add_u32_e32 v36, 1, v36
	v_cmp_ne_u32_e32 vcc, v39, v43
	v_alignbit_b32 v35, v37, v17, 30
	v_alignbit_b32 v16, v17, v16, 30
	v_cndmask_b32_e32 v36, 33, v36, vcc
	v_xor_b32_e32 v35, v35, v43
	v_sub_u32_e32 v37, 32, v36
	v_xor_b32_e32 v16, v16, v43
	v_alignbit_b32 v38, v44, v35, v37
	v_alignbit_b32 v16, v35, v16, v37
	;; [unrolled: 1-line block ×3, first 2 shown]
	v_ffbh_u32_e32 v35, v17
	v_min_u32_e32 v35, 32, v35
	v_lshrrev_b32_e32 v40, 29, v0
	v_sub_u32_e32 v37, 31, v35
	v_alignbit_b32 v16, v17, v16, v37
	v_lshlrev_b32_e32 v17, 31, v40
	v_or_b32_e32 v37, 0x33800000, v17
	v_add_lshl_u32 v35, v35, v36, 23
	v_lshrrev_b32_e32 v16, 9, v16
	v_sub_u32_e32 v35, v37, v35
	v_or_b32_e32 v16, v35, v16
	v_alignbit_b32 v35, v36, v38, 9
	v_or_b32_e32 v17, v35, v17
	v_xor_b32_e32 v17, 1.0, v17
	v_mul_f32_e32 v35, 0x3fc90fda, v17
	v_fma_f32 v36, v17, s60, -v35
	v_fmac_f32_e32 v36, 0x33a22168, v17
	v_fmac_f32_e32 v36, 0x3fc90fda, v16
	v_lshrrev_b32_e32 v0, 30, v0
	v_add_f32_e32 v16, v35, v36
	v_add_u32_e32 v17, v42, v0
.LBB356_46:                             ;   in Loop: Header=BB356_13 Depth=3
	s_or_saveexec_b64 s[6:7], s[46:47]
	v_mul_f32_e64 v0, |v11|, s61
	v_rndne_f32_e32 v36, v0
	s_xor_b64 exec, exec, s[6:7]
; %bb.47:                               ;   in Loop: Header=BB356_13 Depth=3
	v_cvt_i32_f32_e32 v17, v36
	v_fma_f32 v16, v36, s62, |v11|
	v_fmac_f32_e32 v16, 0xb3a22168, v36
	v_fmac_f32_e32 v16, 0xa7c234c4, v36
; %bb.48:                               ;   in Loop: Header=BB356_13 Depth=3
	s_or_b64 exec, exec, s[6:7]
                                        ; implicit-def: $vgpr0
                                        ; implicit-def: $vgpr35
	s_and_saveexec_b64 s[6:7], s[44:45]
	s_xor_b64 s[44:45], exec, s[6:7]
	s_cbranch_execz .LBB356_50
; %bb.49:                               ;   in Loop: Header=BB356_13 Depth=3
	v_cmp_lt_u32_e32 vcc, 63, v34
	s_nop 1
	v_cndmask_b32_e32 v0, 0, v23, vcc
	v_add_u32_e32 v0, v0, v34
	v_cmp_lt_u32_e64 s[6:7], 31, v0
	s_nop 1
	v_cndmask_b32_e64 v34, 0, v24, s[6:7]
	v_add_u32_e32 v0, v34, v0
	v_cmp_lt_u32_e64 s[8:9], 31, v0
	s_nop 1
	v_cndmask_b32_e64 v34, 0, v24, s[8:9]
	v_add_u32_e32 v48, v34, v0
	v_mad_u64_u32 v[34:35], s[10:11], v33, s52, 0
	v_mov_b32_e32 v0, v35
	v_mad_u64_u32 v[36:37], s[10:11], v33, s53, v[0:1]
	v_mov_b32_e32 v0, v37
	;; [unrolled: 2-line block ×6, first 2 shown]
	v_mad_u64_u32 v[46:47], s[10:11], v33, s58, v[0:1]
	v_cndmask_b32_e32 v35, v44, v40, vcc
	v_cndmask_b32_e32 v0, v46, v42, vcc
	;; [unrolled: 1-line block ×3, first 2 shown]
	v_cndmask_b32_e64 v33, v0, v35, s[6:7]
	v_cndmask_b32_e64 v0, v37, v0, s[6:7]
	v_cndmask_b32_e32 v37, v42, v38, vcc
	v_cndmask_b32_e64 v35, v35, v37, s[6:7]
	v_cndmask_b32_e32 v36, v40, v36, vcc
	v_cndmask_b32_e64 v0, v0, v33, s[8:9]
	v_cndmask_b32_e64 v33, v33, v35, s[8:9]
	v_sub_u32_e32 v39, 32, v48
	v_cndmask_b32_e64 v37, v37, v36, s[6:7]
	v_alignbit_b32 v41, v0, v33, v39
	v_cmp_eq_u32_e64 s[10:11], 0, v48
	v_cndmask_b32_e64 v35, v35, v37, s[8:9]
	v_alignbit_b32 v40, v33, v35, v39
	v_cndmask_b32_e64 v0, v41, v0, s[10:11]
	v_cndmask_b32_e32 v34, v38, v34, vcc
	v_cndmask_b32_e64 v33, v40, v33, s[10:11]
	v_bfe_u32 v42, v0, 29, 1
	v_cndmask_b32_e64 v34, v36, v34, s[6:7]
	v_alignbit_b32 v40, v0, v33, 30
	v_sub_u32_e32 v43, 0, v42
	v_cndmask_b32_e64 v34, v37, v34, s[8:9]
	v_xor_b32_e32 v44, v40, v43
	v_alignbit_b32 v36, v35, v34, v39
	v_cndmask_b32_e64 v35, v36, v35, s[10:11]
	v_ffbh_u32_e32 v36, v44
	v_add_u32_e32 v36, 1, v36
	v_cmp_ne_u32_e32 vcc, v40, v43
	v_alignbit_b32 v33, v33, v35, 30
	v_alignbit_b32 v34, v35, v34, 30
	v_cndmask_b32_e32 v36, 33, v36, vcc
	v_xor_b32_e32 v33, v33, v43
	v_sub_u32_e32 v37, 32, v36
	v_xor_b32_e32 v34, v34, v43
	v_alignbit_b32 v38, v44, v33, v37
	v_alignbit_b32 v33, v33, v34, v37
	;; [unrolled: 1-line block ×3, first 2 shown]
	v_ffbh_u32_e32 v35, v34
	v_min_u32_e32 v35, 32, v35
	v_lshrrev_b32_e32 v41, 29, v0
	v_sub_u32_e32 v37, 31, v35
	v_alignbit_b32 v33, v34, v33, v37
	v_lshlrev_b32_e32 v34, 31, v41
	v_or_b32_e32 v37, 0x33800000, v34
	v_add_lshl_u32 v35, v35, v36, 23
	v_lshrrev_b32_e32 v33, 9, v33
	v_sub_u32_e32 v35, v37, v35
	v_or_b32_e32 v33, v35, v33
	v_alignbit_b32 v35, v36, v38, 9
	v_or_b32_e32 v34, v35, v34
	v_xor_b32_e32 v34, 1.0, v34
	v_mul_f32_e32 v35, 0x3fc90fda, v34
	v_fma_f32 v36, v34, s60, -v35
	v_fmac_f32_e32 v36, 0x33a22168, v34
	v_fmac_f32_e32 v36, 0x3fc90fda, v33
	v_lshrrev_b32_e32 v0, 30, v0
	v_add_f32_e32 v35, v35, v36
	v_add_u32_e32 v0, v42, v0
                                        ; implicit-def: $vgpr36
	s_andn2_saveexec_b64 s[6:7], s[44:45]
	s_cbranch_execnz .LBB356_51
	s_branch .LBB356_52
.LBB356_50:                             ;   in Loop: Header=BB356_13 Depth=3
	s_andn2_saveexec_b64 s[6:7], s[44:45]
.LBB356_51:                             ;   in Loop: Header=BB356_13 Depth=3
	v_cvt_i32_f32_e32 v0, v36
	v_fma_f32 v35, v36, s62, |v11|
	v_fmac_f32_e32 v35, 0xb3a22168, v36
	v_fmac_f32_e32 v35, 0xa7c234c4, v36
.LBB356_52:                             ;   in Loop: Header=BB356_13 Depth=3
	s_or_b64 exec, exec, s[6:7]
	v_mul_f32_e32 v34, v5, v5
	v_fmamk_f32 v36, v34, 0xb94c1982, v19
	v_fmaak_f32 v36, v34, v36, 0xbe2aaa9d
	v_mul_f32_e32 v36, v34, v36
	v_fmac_f32_e32 v5, v5, v36
	v_fmamk_f32 v36, v34, 0x37d75334, v20
	v_fmaak_f32 v36, v34, v36, 0x3d2aabf7
	v_lshlrev_b32_e32 v33, 30, v7
	v_and_b32_e32 v7, 1, v7
	v_fmaak_f32 v36, v34, v36, 0xbf000004
	v_and_b32_e32 v33, 0x80000000, v33
	v_fma_f32 v34, v34, v36, 1.0
	v_cmp_eq_u32_e32 vcc, 0, v7
	v_xor_b32_e32 v3, v3, v15
	v_xor_b32_e32 v3, v3, v33
	v_cndmask_b32_e32 v5, v34, v5, vcc
	v_xor_b32_e32 v3, v3, v5
	v_mul_f32_e32 v5, v12, v12
	v_fmamk_f32 v7, v5, 0xb94c1982, v19
	v_fmaak_f32 v7, v5, v7, 0xbe2aaa9d
	v_mul_f32_e32 v7, v5, v7
	v_fmac_f32_e32 v12, v12, v7
	v_fmamk_f32 v7, v5, 0x37d75334, v20
	v_fmaak_f32 v7, v5, v7, 0x3d2aabf7
	v_fmaak_f32 v7, v5, v7, 0xbf000004
	v_fma_f32 v5, v5, v7, 1.0
	v_and_b32_e32 v7, 1, v10
	v_cmp_eq_u32_e64 s[6:7], 0, v7
	v_cmp_class_f32_e64 vcc, v13, s48
	v_lshlrev_b32_e32 v7, 30, v10
	v_cndmask_b32_e64 v5, -v12, v5, s[6:7]
	v_mul_f32_e32 v12, v16, v16
	v_fmamk_f32 v13, v12, 0xb94c1982, v19
	v_and_b32_e32 v7, 0x80000000, v7
	v_fmaak_f32 v13, v12, v13, 0xbe2aaa9d
	v_xor_b32_e32 v5, v7, v5
	v_mul_f32_e32 v13, v12, v13
	v_cndmask_b32_e32 v5, v26, v5, vcc
	v_fmac_f32_e32 v16, v16, v13
	v_fmamk_f32 v13, v12, 0x37d75334, v20
	v_cndmask_b32_e32 v3, v26, v3, vcc
	v_mul_f32_e32 v7, 0x7f800000, v5
	v_cmp_neq_f32_e32 vcc, 0, v5
	v_fmaak_f32 v13, v12, v13, 0x3d2aabf7
	v_and_b32_e32 v10, 1, v17
	v_cndmask_b32_e32 v5, 0, v7, vcc
	v_mul_f32_e32 v7, 0x7f800000, v3
	v_cmp_neq_f32_e32 vcc, 0, v3
	v_fmaak_f32 v13, v12, v13, 0xbf000004
	v_fma_f32 v12, v12, v13, 1.0
	v_cndmask_b32_e32 v3, 0, v7, vcc
	v_lshlrev_b32_e32 v7, 30, v17
	v_cmp_eq_u32_e32 vcc, 0, v10
	v_and_b32_e32 v7, 0x80000000, v7
	s_nop 0
	v_cndmask_b32_e32 v10, v12, v16, vcc
	v_xor_b32_e32 v12, v14, v11
	v_xor_b32_e32 v7, v12, v7
	;; [unrolled: 1-line block ×3, first 2 shown]
	v_mul_f32_e32 v10, v35, v35
	v_cmp_class_f32_e64 vcc, v11, s48
	v_fmamk_f32 v11, v10, 0xb94c1982, v19
	v_fmaak_f32 v11, v10, v11, 0xbe2aaa9d
	v_mul_f32_e32 v11, v10, v11
	v_fmac_f32_e32 v35, v35, v11
	v_fmamk_f32 v11, v10, 0x37d75334, v20
	v_fmaak_f32 v11, v10, v11, 0x3d2aabf7
	v_fmaak_f32 v11, v10, v11, 0xbf000004
	v_fma_f32 v10, v10, v11, 1.0
	v_and_b32_e32 v11, 1, v0
	v_cmp_eq_u32_e64 s[6:7], 0, v11
	v_lshlrev_b32_e32 v0, 30, v0
	v_and_b32_e32 v0, 0x80000000, v0
	v_cndmask_b32_e64 v10, -v35, v10, s[6:7]
	v_xor_b32_e32 v0, v0, v10
	v_cndmask_b32_e32 v0, v26, v0, vcc
	v_cndmask_b32_e32 v7, v26, v7, vcc
	v_mul_f32_e32 v10, 0x7f800000, v0
	v_cmp_neq_f32_e32 vcc, 0, v0
	s_nop 1
	v_cndmask_b32_e32 v0, 0, v10, vcc
	v_mul_f32_e32 v10, 0x7f800000, v7
	v_cmp_neq_f32_e32 vcc, 0, v7
	v_add_f32_e32 v5, v5, v0
	v_add_f32_e32 v12, -1.0, v5
	v_cndmask_b32_e32 v7, 0, v10, vcc
	v_add_f32_e32 v0, v3, v7
	v_max_f32_e64 v3, |v12|, |v0|
	v_cvt_f64_f32_e32 v[10:11], v3
	v_frexp_exp_i32_f64_e32 v5, v[10:11]
	v_sub_u32_e32 v7, 0, v5
	v_ldexp_f32 v10, |v12|, v7
	v_ldexp_f32 v7, |v0|, v7
	v_mul_f32_e32 v7, v7, v7
	v_fmac_f32_e32 v7, v10, v10
	v_sqrt_f32_e32 v7, v7
	v_cmp_eq_f32_e32 vcc, s66, v3
	v_add_f32_e32 v3, 1.0, v12
	v_ldexp_f32 v5, v7, v5
	v_cmp_ngt_f32_e64 s[6:7], 0.5, v5
	v_max_f32_e64 v7, |v3|, |v0|
	s_or_b64 s[6:7], vcc, s[6:7]
	s_and_saveexec_b64 s[8:9], s[6:7]
	s_xor_b64 s[8:9], exec, s[8:9]
	s_cbranch_execz .LBB356_54
; %bb.53:                               ;   in Loop: Header=BB356_13 Depth=3
	v_cvt_f64_f32_e32 v[10:11], v7
	v_frexp_exp_i32_f64_e32 v5, v[10:11]
	v_sub_u32_e32 v10, 0, v5
	v_ldexp_f32 v11, |v3|, v10
	v_ldexp_f32 v10, |v0|, v10
	v_mul_f32_e32 v10, v10, v10
	v_fmac_f32_e32 v10, v11, v11
	v_sqrt_f32_e32 v10, v10
	v_cmp_neq_f32_e32 vcc, s66, v7
	v_ldexp_f32 v5, v10, v5
	s_nop 0
	v_cndmask_b32_e32 v5, v25, v5, vcc
	v_cmp_gt_f32_e32 vcc, s51, v5
	s_nop 1
	v_cndmask_b32_e32 v10, 1.0, v27, vcc
	v_mul_f32_e32 v5, v5, v10
	v_log_f32_e32 v5, v5
	s_nop 0
	v_mul_f32_e32 v10, 0x3f317217, v5
	v_fma_f32 v11, v5, s67, -v10
	v_fmac_f32_e32 v11, 0x3377d1cf, v5
	v_add_f32_e32 v10, v10, v11
	v_cmp_lt_f32_e64 s[6:7], |v5|, s66
	s_nop 1
	v_cndmask_b32_e64 v5, v5, v10, s[6:7]
	v_cndmask_b32_e32 v10, 0, v28, vcc
	v_sub_f32_e32 v12, v5, v10
.LBB356_54:                             ;   in Loop: Header=BB356_13 Depth=3
	s_andn2_saveexec_b64 s[6:7], s[8:9]
	s_cbranch_execz .LBB356_9
; %bb.55:                               ;   in Loop: Header=BB356_13 Depth=3
	v_add_f32_e32 v5, 2.0, v12
	v_mul_f32_e32 v10, v12, v5
	v_fmac_f32_e32 v10, v0, v0
	v_cmp_neq_f32_e32 vcc, 0, v10
	s_and_saveexec_b64 s[8:9], vcc
	s_cbranch_execz .LBB356_8
; %bb.56:                               ;   in Loop: Header=BB356_13 Depth=3
	v_add_f32_e32 v5, 1.0, v10
	v_add_f32_e32 v11, -1.0, v5
	v_sub_f32_e32 v12, v11, v5
	v_add_f32_e32 v12, 1.0, v12
	v_sub_f32_e32 v11, v10, v11
	v_add_f32_e32 v11, v11, v12
	v_frexp_mant_f32_e32 v14, v5
	v_cvt_f64_f32_e32 v[12:13], v5
	v_frexp_exp_i32_f64_e32 v12, v[12:13]
	v_cmp_gt_f32_e32 vcc, s68, v14
	s_nop 1
	v_subbrev_co_u32_e32 v33, vcc, 0, v12, vcc
	v_sub_u32_e32 v12, 0, v33
	v_ldexp_f32 v5, v5, v12
	v_ldexp_f32 v11, v11, v12
	v_add_f32_e32 v12, -1.0, v5
	v_add_f32_e32 v13, 1.0, v12
	v_sub_f32_e32 v13, v5, v13
	v_add_f32_e32 v14, v11, v13
	v_add_f32_e32 v13, 1.0, v5
	v_add_f32_e32 v15, -1.0, v13
	v_sub_f32_e32 v5, v5, v15
	v_add_f32_e32 v5, v11, v5
	v_add_f32_e32 v11, v13, v5
	v_rcp_f32_e32 v36, v11
	v_sub_f32_e32 v13, v11, v13
	v_sub_f32_e32 v5, v5, v13
	v_add_f32_e32 v13, v12, v14
	v_sub_f32_e32 v12, v13, v12
	v_mul_f32_e32 v38, v13, v36
	v_sub_f32_e32 v37, v14, v12
	v_mul_f32_e32 v14, v11, v38
	v_fma_f32 v16, v38, v11, -v14
	v_fmac_f32_e32 v16, v38, v5
	v_add_f32_e32 v12, v14, v16
	v_sub_f32_e32 v15, v13, v12
	v_pk_add_f32 v[34:35], v[12:13], v[14:15] neg_lo:[0,1] neg_hi:[0,1]
	v_mov_b32_e32 v17, v12
	v_pk_add_f32 v[12:13], v[34:35], v[16:17] neg_lo:[0,1] neg_hi:[0,1]
	v_cmp_eq_f32_e32 vcc, s66, v10
	v_add_f32_e32 v13, v37, v13
	v_add_f32_e32 v12, v12, v13
	;; [unrolled: 1-line block ×3, first 2 shown]
	v_mul_f32_e32 v37, v36, v13
	v_mul_f32_e32 v14, v11, v37
	v_fma_f32 v16, v37, v11, -v14
	v_fmac_f32_e32 v16, v37, v5
	v_sub_f32_e32 v5, v15, v13
	v_add_f32_e32 v5, v12, v5
	v_add_f32_e32 v12, v14, v16
	v_sub_f32_e32 v15, v13, v12
	v_pk_add_f32 v[34:35], v[12:13], v[14:15] neg_lo:[0,1] neg_hi:[0,1]
	v_mov_b32_e32 v17, v12
	v_pk_add_f32 v[12:13], v[34:35], v[16:17] neg_lo:[0,1] neg_hi:[0,1]
	v_add_f32_e32 v11, v38, v37
	v_add_f32_e32 v5, v5, v13
	;; [unrolled: 1-line block ×4, first 2 shown]
	v_sub_f32_e32 v12, v11, v38
	v_mul_f32_e32 v5, v36, v5
	v_sub_f32_e32 v12, v37, v12
	v_add_f32_e32 v13, v12, v5
	v_add_f32_e32 v14, v11, v13
	v_cvt_f32_i32_e32 v12, v33
	v_mul_f32_e32 v16, v14, v14
	v_fmamk_f32 v5, v16, 0x3e9b6dac, v21
	v_sub_f32_e32 v11, v14, v11
	v_fmaak_f32 v5, v16, v5, 0x3f2aaada
	v_sub_f32_e32 v11, v13, v11
	v_mul_f32_e32 v13, v14, v16
	v_pk_mul_f32 v[16:17], v[12:13], v[4:5]
	v_ldexp_f32 v15, v14, 1
	v_fma_f32 v14, v12, s69, -v16
	v_fmac_f32_e32 v14, 0xb102e308, v12
	v_pk_add_f32 v[12:13], v[16:17], v[14:15]
	v_ldexp_f32 v11, v11, 1
	v_sub_f32_e32 v5, v13, v15
	v_sub_f32_e32 v5, v17, v5
	v_add_f32_e32 v35, v11, v5
	v_mov_b32_e32 v34, v16
	v_pk_add_f32 v[16:17], v[12:13], v[16:17] neg_lo:[0,1] neg_hi:[0,1]
	v_pk_add_f32 v[36:37], v[12:13], v[34:35]
	v_mov_b32_e32 v15, v12
	v_mov_b32_e32 v17, v37
	v_pk_add_f32 v[38:39], v[14:15], v[16:17] neg_lo:[0,1] neg_hi:[0,1]
	v_pk_add_f32 v[14:15], v[14:15], v[16:17]
	v_mov_b32_e32 v34, v35
	v_mov_b32_e32 v16, v15
	v_pk_add_f32 v[40:41], v[16:17], v[12:13] neg_lo:[0,1] neg_hi:[0,1]
	v_mov_b32_e32 v14, v37
	v_mov_b32_e32 v5, v40
	v_pk_add_f32 v[42:43], v[36:37], v[4:5] neg_lo:[0,1] neg_hi:[0,1]
	v_mov_b32_e32 v36, v13
	v_mov_b32_e32 v37, v40
	;; [unrolled: 1-line block ×3, first 2 shown]
	v_pk_add_f32 v[14:15], v[14:15], v[36:37] neg_lo:[0,1] neg_hi:[0,1]
	v_mov_b32_e32 v35, v12
	v_pk_add_f32 v[12:13], v[34:35], v[14:15] neg_lo:[0,1] neg_hi:[0,1]
	v_mov_b32_e32 v42, v38
	v_pk_add_f32 v[14:15], v[42:43], v[12:13]
	s_nop 0
	v_mov_b32_e32 v34, v15
	v_pk_add_f32 v[34:35], v[14:15], v[34:35]
	s_nop 0
	v_pk_add_f32 v[16:17], v[16:17], v[34:35]
	v_mov_b32_e32 v13, v34
	v_mov_b32_e32 v15, v16
	v_pk_add_f32 v[36:37], v[14:15], v[38:39] neg_lo:[0,1] neg_hi:[0,1]
	s_nop 0
	v_sub_f32_e32 v5, v14, v36
	v_pk_add_f32 v[12:13], v[12:13], v[36:37] neg_lo:[0,1] neg_hi:[0,1]
	v_sub_f32_e32 v5, v38, v5
	v_add_f32_e32 v5, v12, v5
	v_add_f32_e32 v5, v5, v13
	;; [unrolled: 1-line block ×3, first 2 shown]
	v_cndmask_b32_e32 v5, v5, v10, vcc
	v_cmp_ngt_f32_e32 vcc, -1.0, v10
	s_nop 1
	v_cndmask_b32_e32 v5, v26, v5, vcc
	v_cmp_neq_f32_e32 vcc, -1.0, v10
	s_nop 1
	v_cndmask_b32_e32 v5, v29, v5, vcc
	v_cmp_lt_f32_e64 vcc, |v10|, s59
	s_nop 1
	v_cndmask_b32_e32 v5, v5, v10, vcc
	v_mul_f32_e32 v12, 0.5, v5
	s_branch .LBB356_8
.LBB356_57:
	s_endpgm
	.section	.rodata,"a",@progbits
	.p2align	6, 0x0
	.amdhsa_kernel _ZN2at6native28tensor_kernel_scan_outer_dimIN3c107complexIfEEjZZZNS0_31launch_logcumsumexp_cuda_kernelERKNS_10TensorBaseES7_lENKUlvE_clEvENKUlvE2_clEvEUlS4_S4_E_EEvPT_PKSB_jjjSB_T1_
		.amdhsa_group_segment_fixed_size 0
		.amdhsa_private_segment_fixed_size 0
		.amdhsa_kernarg_size 304
		.amdhsa_user_sgpr_count 2
		.amdhsa_user_sgpr_dispatch_ptr 0
		.amdhsa_user_sgpr_queue_ptr 0
		.amdhsa_user_sgpr_kernarg_segment_ptr 1
		.amdhsa_user_sgpr_dispatch_id 0
		.amdhsa_user_sgpr_kernarg_preload_length 0
		.amdhsa_user_sgpr_kernarg_preload_offset 0
		.amdhsa_user_sgpr_private_segment_size 0
		.amdhsa_uses_dynamic_stack 0
		.amdhsa_enable_private_segment 0
		.amdhsa_system_sgpr_workgroup_id_x 1
		.amdhsa_system_sgpr_workgroup_id_y 1
		.amdhsa_system_sgpr_workgroup_id_z 0
		.amdhsa_system_sgpr_workgroup_info 0
		.amdhsa_system_vgpr_workitem_id 0
		.amdhsa_next_free_vgpr 49
		.amdhsa_next_free_sgpr 73
		.amdhsa_accum_offset 52
		.amdhsa_reserve_vcc 1
		.amdhsa_float_round_mode_32 0
		.amdhsa_float_round_mode_16_64 0
		.amdhsa_float_denorm_mode_32 3
		.amdhsa_float_denorm_mode_16_64 3
		.amdhsa_dx10_clamp 1
		.amdhsa_ieee_mode 1
		.amdhsa_fp16_overflow 0
		.amdhsa_tg_split 0
		.amdhsa_exception_fp_ieee_invalid_op 0
		.amdhsa_exception_fp_denorm_src 0
		.amdhsa_exception_fp_ieee_div_zero 0
		.amdhsa_exception_fp_ieee_overflow 0
		.amdhsa_exception_fp_ieee_underflow 0
		.amdhsa_exception_fp_ieee_inexact 0
		.amdhsa_exception_int_div_zero 0
	.end_amdhsa_kernel
	.section	.text._ZN2at6native28tensor_kernel_scan_outer_dimIN3c107complexIfEEjZZZNS0_31launch_logcumsumexp_cuda_kernelERKNS_10TensorBaseES7_lENKUlvE_clEvENKUlvE2_clEvEUlS4_S4_E_EEvPT_PKSB_jjjSB_T1_,"axG",@progbits,_ZN2at6native28tensor_kernel_scan_outer_dimIN3c107complexIfEEjZZZNS0_31launch_logcumsumexp_cuda_kernelERKNS_10TensorBaseES7_lENKUlvE_clEvENKUlvE2_clEvEUlS4_S4_E_EEvPT_PKSB_jjjSB_T1_,comdat
.Lfunc_end356:
	.size	_ZN2at6native28tensor_kernel_scan_outer_dimIN3c107complexIfEEjZZZNS0_31launch_logcumsumexp_cuda_kernelERKNS_10TensorBaseES7_lENKUlvE_clEvENKUlvE2_clEvEUlS4_S4_E_EEvPT_PKSB_jjjSB_T1_, .Lfunc_end356-_ZN2at6native28tensor_kernel_scan_outer_dimIN3c107complexIfEEjZZZNS0_31launch_logcumsumexp_cuda_kernelERKNS_10TensorBaseES7_lENKUlvE_clEvENKUlvE2_clEvEUlS4_S4_E_EEvPT_PKSB_jjjSB_T1_
                                        ; -- End function
	.section	.AMDGPU.csdata,"",@progbits
; Kernel info:
; codeLenInByte = 7508
; NumSgprs: 79
; NumVgprs: 49
; NumAgprs: 0
; TotalNumVgprs: 49
; ScratchSize: 0
; MemoryBound: 0
; FloatMode: 240
; IeeeMode: 1
; LDSByteSize: 0 bytes/workgroup (compile time only)
; SGPRBlocks: 9
; VGPRBlocks: 6
; NumSGPRsForWavesPerEU: 79
; NumVGPRsForWavesPerEU: 49
; AccumOffset: 52
; Occupancy: 8
; WaveLimiterHint : 0
; COMPUTE_PGM_RSRC2:SCRATCH_EN: 0
; COMPUTE_PGM_RSRC2:USER_SGPR: 2
; COMPUTE_PGM_RSRC2:TRAP_HANDLER: 0
; COMPUTE_PGM_RSRC2:TGID_X_EN: 1
; COMPUTE_PGM_RSRC2:TGID_Y_EN: 1
; COMPUTE_PGM_RSRC2:TGID_Z_EN: 0
; COMPUTE_PGM_RSRC2:TIDIG_COMP_CNT: 0
; COMPUTE_PGM_RSRC3_GFX90A:ACCUM_OFFSET: 12
; COMPUTE_PGM_RSRC3_GFX90A:TG_SPLIT: 0
	.section	.text._ZN2at6native28tensor_kernel_scan_outer_dimIN3c107complexIfEEmZZZNS0_31launch_logcumsumexp_cuda_kernelERKNS_10TensorBaseES7_lENKUlvE_clEvENKUlvE2_clEvEUlS4_S4_E_EEvPT_PKSB_jjjSB_T1_,"axG",@progbits,_ZN2at6native28tensor_kernel_scan_outer_dimIN3c107complexIfEEmZZZNS0_31launch_logcumsumexp_cuda_kernelERKNS_10TensorBaseES7_lENKUlvE_clEvENKUlvE2_clEvEUlS4_S4_E_EEvPT_PKSB_jjjSB_T1_,comdat
	.globl	_ZN2at6native28tensor_kernel_scan_outer_dimIN3c107complexIfEEmZZZNS0_31launch_logcumsumexp_cuda_kernelERKNS_10TensorBaseES7_lENKUlvE_clEvENKUlvE2_clEvEUlS4_S4_E_EEvPT_PKSB_jjjSB_T1_ ; -- Begin function _ZN2at6native28tensor_kernel_scan_outer_dimIN3c107complexIfEEmZZZNS0_31launch_logcumsumexp_cuda_kernelERKNS_10TensorBaseES7_lENKUlvE_clEvENKUlvE2_clEvEUlS4_S4_E_EEvPT_PKSB_jjjSB_T1_
	.p2align	8
	.type	_ZN2at6native28tensor_kernel_scan_outer_dimIN3c107complexIfEEmZZZNS0_31launch_logcumsumexp_cuda_kernelERKNS_10TensorBaseES7_lENKUlvE_clEvENKUlvE2_clEvEUlS4_S4_E_EEvPT_PKSB_jjjSB_T1_,@function
_ZN2at6native28tensor_kernel_scan_outer_dimIN3c107complexIfEEmZZZNS0_31launch_logcumsumexp_cuda_kernelERKNS_10TensorBaseES7_lENKUlvE_clEvENKUlvE2_clEvEUlS4_S4_E_EEvPT_PKSB_jjjSB_T1_: ; @_ZN2at6native28tensor_kernel_scan_outer_dimIN3c107complexIfEEmZZZNS0_31launch_logcumsumexp_cuda_kernelERKNS_10TensorBaseES7_lENKUlvE_clEvENKUlvE2_clEvEUlS4_S4_E_EEvPT_PKSB_jjjSB_T1_
; %bb.0:
	s_load_dwordx4 s[12:15], s[0:1], 0x10
	s_waitcnt lgkmcnt(0)
	s_cmp_ge_u32 s2, s12
	s_cbranch_scc1 .LBB357_57
; %bb.1:
	s_load_dword s15, s[0:1], 0x30
	s_load_dword s4, s[0:1], 0x3c
	s_load_dwordx4 s[16:19], s[0:1], 0x0
	s_load_dwordx2 s[20:21], s[0:1], 0x20
	s_add_u32 s22, s0, 48
	s_addc_u32 s23, s1, 0
	s_waitcnt lgkmcnt(0)
	s_and_b32 s33, s4, 0xffff
	s_cmp_lg_u32 s14, 0
	s_mul_i32 s3, s3, s33
	s_cselect_b64 s[8:9], -1, 0
	v_add_u32_e32 v18, s3, v0
	s_mov_b32 s5, 0
	s_mov_b32 s4, s13
	s_mul_hi_u32 s7, s14, s13
	s_mul_i32 s6, s14, s13
	v_cndmask_b32_e64 v0, 0, 1, s[8:9]
	v_cmp_gt_u32_e64 s[0:1], s13, v18
	s_lshl_b64 s[24:25], s[6:7], 3
	s_lshl_b64 s[26:27], s[4:5], 3
	v_cmp_ne_u32_e64 s[4:5], 1, v0
	v_mov_b32_e32 v1, 0
	s_mov_b32 s28, 0x7fc00000
	s_movk_i32 s3, 0x1f8
	s_brev_b32 s48, -2
	s_brev_b32 s49, 18
	s_mov_b32 s50, 0x800000
	s_mov_b32 s51, 0xfe5163ab
	;; [unrolled: 1-line block ×16, first 2 shown]
	v_mov_b32_e32 v19, 0x3c0881c4
	v_mov_b32_e32 v20, 0xbab64f3b
	v_mov_b32_e32 v2, 1.0
	s_mov_b32 s66, 0x3f317217
	s_mov_b32 s67, 0x3f2aaaab
	v_mov_b32_e32 v21, 0x3ecc95a3
	s_mov_b32 s68, 0x3f317218
	s_movk_i32 s69, 0x204
	v_mov_b32_e32 v22, 0xbc7a590c
	v_not_b32_e32 v23, 63
	v_not_b32_e32 v24, 31
	v_mov_b32_e32 v25, 0x7f800000
	v_mov_b32_e32 v26, 0x7fc00000
	;; [unrolled: 1-line block ×9, first 2 shown]
                                        ; implicit-def: $vgpr0
                                        ; implicit-def: $vgpr0
	;; [unrolled: 1-line block ×10, first 2 shown]
	s_branch .LBB357_3
.LBB357_2:                              ;   in Loop: Header=BB357_3 Depth=1
	s_or_b64 exec, exec, s[30:31]
	s_add_i32 s2, s2, s15
	s_cmp_ge_u32 s2, s12
	s_cbranch_scc1 .LBB357_57
.LBB357_3:                              ; =>This Loop Header: Depth=1
                                        ;     Child Loop BB357_6 Depth 2
                                        ;       Child Loop BB357_13 Depth 3
	s_and_saveexec_b64 s[30:31], s[0:1]
	s_cbranch_execz .LBB357_2
; %bb.4:                                ;   in Loop: Header=BB357_3 Depth=1
	s_load_dword s70, s[22:23], 0x4
	s_mul_i32 s6, s25, s2
	s_mul_hi_u32 s7, s24, s2
	s_mul_i32 s34, s24, s2
	s_add_i32 s35, s7, s6
	s_waitcnt lgkmcnt(0)
	s_mul_i32 s70, s70, s33
	s_mov_b64 s[36:37], 0
	v_mov_b32_e32 v6, v18
	s_branch .LBB357_6
.LBB357_5:                              ;   in Loop: Header=BB357_6 Depth=2
	v_add_u32_e32 v6, s70, v6
	v_cmp_le_u32_e32 vcc, s13, v6
	s_or_b64 s[36:37], vcc, s[36:37]
	s_andn2_b64 exec, exec, s[36:37]
	s_cbranch_execz .LBB357_2
.LBB357_6:                              ;   Parent Loop BB357_3 Depth=1
                                        ; =>  This Loop Header: Depth=2
                                        ;       Child Loop BB357_13 Depth 3
	s_and_b64 vcc, exec, s[4:5]
	s_cbranch_vccnz .LBB357_5
; %bb.7:                                ;   in Loop: Header=BB357_6 Depth=2
	v_mov_b32_e32 v7, v1
	v_lshl_add_u64 v[8:9], v[6:7], 3, s[34:35]
	v_mov_b64_e32 v[16:17], s[20:21]
	s_mov_b32 s71, s14
	s_branch .LBB357_13
.LBB357_8:                              ;   in Loop: Header=BB357_13 Depth=3
	s_or_b64 exec, exec, s[8:9]
.LBB357_9:                              ;   in Loop: Header=BB357_13 Depth=3
	s_or_b64 exec, exec, s[6:7]
	v_max_f32_e64 v11, |v0|, |v0|
	v_max_f32_e64 v13, |v3|, |v3|
	v_min_f32_e32 v11, v13, v11
	v_frexp_mant_f32_e32 v13, v7
	v_rcp_f32_e32 v13, v13
	v_frexp_exp_i32_f32_e32 v7, v7
	v_frexp_exp_i32_f32_e32 v14, v11
	v_frexp_mant_f32_e32 v11, v11
	v_mul_f32_e32 v11, v11, v13
	v_sub_u32_e32 v7, v14, v7
	v_ldexp_f32 v7, v11, v7
	v_mul_f32_e32 v11, v7, v7
	v_fmamk_f32 v13, v11, 0x3b2d2a58, v22
	v_fmaak_f32 v13, v11, v13, 0x3d29fb3f
	v_fmaak_f32 v13, v11, v13, 0xbd97d4d7
	;; [unrolled: 1-line block ×6, first 2 shown]
	v_mul_f32_e32 v11, v11, v13
	v_cmp_gt_i32_e64 s[6:7], 0, v3
	v_fmac_f32_e32 v7, v7, v11
	v_sub_f32_e32 v11, 0x3fc90fdb, v7
	v_cndmask_b32_e64 v10, 0, v32, s[6:7]
	v_cmp_gt_f32_e64 s[6:7], |v0|, |v3|
	v_cmp_gt_f32_e32 vcc, 0, v3
	v_cmp_class_f32_e64 s[8:9], v0, s69
	v_cndmask_b32_e64 v7, v7, v11, s[6:7]
	v_sub_f32_e32 v11, 0x40490fdb, v7
	v_cmp_class_f32_e64 s[10:11], v3, s69
	v_cndmask_b32_e32 v5, v30, v31, vcc
	v_cndmask_b32_e32 v7, v7, v11, vcc
	v_cmp_eq_f32_e32 vcc, 0, v0
	s_nop 1
	v_cndmask_b32_e32 v7, v7, v10, vcc
	s_and_b64 vcc, s[8:9], s[10:11]
	v_cndmask_b32_e32 v5, v7, v5, vcc
	v_cmp_o_f32_e32 vcc, v3, v0
	s_nop 1
	v_cndmask_b32_e32 v3, v26, v5, vcc
	v_bfi_b32 v13, s48, v3, v0
.LBB357_10:                             ;   in Loop: Header=BB357_13 Depth=3
	s_or_b64 exec, exec, s[42:43]
.LBB357_11:                             ;   in Loop: Header=BB357_13 Depth=3
	s_or_b64 exec, exec, s[40:41]
	v_mov_b64_e32 v[16:17], v[12:13]
.LBB357_12:                             ;   in Loop: Header=BB357_13 Depth=3
	s_or_b64 exec, exec, s[38:39]
	s_add_i32 s71, s71, -1
	v_lshl_add_u64 v[10:11], s[16:17], 0, v[8:9]
	s_cmp_eq_u32 s71, 0
	v_lshl_add_u64 v[8:9], v[8:9], 0, s[26:27]
	global_store_dwordx2 v[10:11], v[16:17], off
	s_cbranch_scc1 .LBB357_5
.LBB357_13:                             ;   Parent Loop BB357_3 Depth=1
                                        ;     Parent Loop BB357_6 Depth=2
                                        ; =>    This Inner Loop Header: Depth=3
	v_lshl_add_u64 v[10:11], s[18:19], 0, v[8:9]
	global_load_dwordx2 v[10:11], v[10:11], off
	s_waitcnt vmcnt(0)
	v_cmp_o_f32_e32 vcc, v10, v10
	v_cmp_o_f32_e64 s[6:7], v11, v11
	v_mov_b32_e32 v15, v11
	s_and_b64 s[8:9], vcc, s[6:7]
	v_mov_b64_e32 v[12:13], v[10:11]
	s_and_saveexec_b64 s[10:11], s[8:9]
; %bb.14:                               ;   in Loop: Header=BB357_13 Depth=3
	v_cmp_u_f32_e32 vcc, v16, v16
	v_cmp_u_f32_e64 s[6:7], v17, v17
	s_or_b64 s[6:7], vcc, s[6:7]
	v_cmp_lt_f32_e32 vcc, v16, v10
	s_or_b64 vcc, s[6:7], vcc
	s_nop 0
	v_cndmask_b32_e32 v15, v11, v17, vcc
	v_cndmask_b32_e32 v14, v10, v16, vcc
	v_mov_b64_e32 v[12:13], v[14:15]
; %bb.15:                               ;   in Loop: Header=BB357_13 Depth=3
	s_or_b64 exec, exec, s[10:11]
	s_and_saveexec_b64 s[6:7], s[8:9]
	s_xor_b64 s[8:9], exec, s[6:7]
; %bb.16:                               ;   in Loop: Header=BB357_13 Depth=3
	v_cmp_u_f32_e32 vcc, v16, v16
	v_cmp_u_f32_e64 s[6:7], v17, v17
	s_or_b64 s[6:7], vcc, s[6:7]
	v_cmp_ge_f32_e32 vcc, v16, v10
	s_or_b64 vcc, s[6:7], vcc
	s_nop 0
	v_cndmask_b32_e32 v11, v11, v17, vcc
	v_cndmask_b32_e32 v10, v10, v16, vcc
; %bb.17:                               ;   in Loop: Header=BB357_13 Depth=3
	s_andn2_saveexec_b64 s[6:7], s[8:9]
	s_or_b64 exec, exec, s[6:7]
	v_cmp_o_f32_e32 vcc, v12, v12
	v_cmp_o_f32_e64 s[6:7], v13, v13
	s_mov_b32 s29, s28
	s_and_b64 s[6:7], vcc, s[6:7]
	v_mov_b64_e32 v[16:17], s[28:29]
	s_and_saveexec_b64 s[38:39], s[6:7]
	s_cbranch_execz .LBB357_12
; %bb.18:                               ;   in Loop: Header=BB357_13 Depth=3
	v_cmp_class_f32_e64 s[6:7], v12, s3
	v_cmp_neq_f32_e32 vcc, v10, v12
	s_or_b64 s[6:7], s[6:7], vcc
	s_and_saveexec_b64 s[8:9], s[6:7]
	s_xor_b64 s[40:41], exec, s[8:9]
	s_cbranch_execz .LBB357_34
; %bb.19:                               ;   in Loop: Header=BB357_13 Depth=3
	v_pk_add_f32 v[12:13], v[12:13], v[10:11] neg_lo:[0,1] neg_hi:[0,1]
                                        ; implicit-def: $vgpr14
	s_nop 0
	v_and_b32_e32 v3, 0x7fffffff, v13
	v_lshrrev_b32_e32 v0, 23, v3
	v_and_b32_e32 v5, 0x7fffff, v3
	v_cmp_nlt_f32_e64 s[42:43], |v13|, s49
	v_add_u32_e32 v15, 0xffffff88, v0
	v_or_b32_e32 v7, 0x800000, v5
                                        ; implicit-def: $vgpr5
	s_and_saveexec_b64 s[6:7], s[42:43]
	s_xor_b64 s[44:45], exec, s[6:7]
	s_cbranch_execz .LBB357_21
; %bb.20:                               ;   in Loop: Header=BB357_13 Depth=3
	v_cmp_lt_u32_e32 vcc, 63, v15
	v_mad_u64_u32 v[16:17], s[10:11], v7, s51, 0
	s_nop 0
	v_cndmask_b32_e32 v0, 0, v23, vcc
	v_add_u32_e32 v0, v0, v15
	v_cmp_lt_u32_e64 s[6:7], 31, v0
	s_nop 1
	v_cndmask_b32_e64 v5, 0, v24, s[6:7]
	v_add_u32_e32 v0, v5, v0
	v_cmp_lt_u32_e64 s[8:9], 31, v0
	s_nop 1
	v_cndmask_b32_e64 v5, 0, v24, s[8:9]
	v_add_u32_e32 v5, v5, v0
	v_mov_b32_e32 v0, v17
	v_mad_u64_u32 v[34:35], s[10:11], v7, s52, v[0:1]
	v_mov_b32_e32 v0, v35
	v_mad_u64_u32 v[36:37], s[10:11], v7, s53, v[0:1]
	;; [unrolled: 2-line block ×6, first 2 shown]
	v_cndmask_b32_e32 v14, v42, v38, vcc
	v_cndmask_b32_e32 v0, v44, v40, vcc
	;; [unrolled: 1-line block ×3, first 2 shown]
	v_cndmask_b32_e64 v17, v0, v14, s[6:7]
	v_cndmask_b32_e64 v0, v33, v0, s[6:7]
	v_cndmask_b32_e32 v33, v40, v36, vcc
	v_cndmask_b32_e64 v14, v14, v33, s[6:7]
	v_sub_u32_e32 v35, 32, v5
	v_cmp_eq_u32_e64 s[10:11], 0, v5
	v_cndmask_b32_e32 v5, v38, v34, vcc
	v_cndmask_b32_e64 v0, v0, v17, s[8:9]
	v_cndmask_b32_e64 v17, v17, v14, s[8:9]
	;; [unrolled: 1-line block ×3, first 2 shown]
	v_alignbit_b32 v37, v0, v17, v35
	v_cndmask_b32_e64 v14, v14, v33, s[8:9]
	v_cndmask_b32_e32 v16, v36, v16, vcc
	v_cndmask_b32_e64 v0, v37, v0, s[10:11]
	v_alignbit_b32 v34, v17, v14, v35
	v_cndmask_b32_e64 v5, v5, v16, s[6:7]
	v_cndmask_b32_e64 v17, v34, v17, s[10:11]
	v_bfe_u32 v38, v0, 29, 1
	v_cndmask_b32_e64 v5, v33, v5, s[8:9]
	v_alignbit_b32 v34, v0, v17, 30
	v_sub_u32_e32 v39, 0, v38
	v_alignbit_b32 v16, v14, v5, v35
	v_xor_b32_e32 v40, v34, v39
	v_cndmask_b32_e64 v14, v16, v14, s[10:11]
	v_alignbit_b32 v16, v17, v14, 30
	v_ffbh_u32_e32 v17, v40
	v_add_u32_e32 v17, 1, v17
	v_cmp_ne_u32_e32 vcc, v34, v39
	v_alignbit_b32 v5, v14, v5, 30
	v_xor_b32_e32 v16, v16, v39
	v_cndmask_b32_e32 v17, 33, v17, vcc
	v_sub_u32_e32 v33, 32, v17
	v_xor_b32_e32 v5, v5, v39
	v_alignbit_b32 v34, v40, v16, v33
	v_alignbit_b32 v5, v16, v5, v33
	;; [unrolled: 1-line block ×3, first 2 shown]
	v_ffbh_u32_e32 v16, v14
	v_min_u32_e32 v16, 32, v16
	v_lshrrev_b32_e32 v37, 29, v0
	v_sub_u32_e32 v33, 31, v16
	v_alignbit_b32 v5, v14, v5, v33
	v_lshlrev_b32_e32 v14, 31, v37
	v_or_b32_e32 v33, 0x33800000, v14
	v_add_lshl_u32 v16, v16, v17, 23
	v_lshrrev_b32_e32 v5, 9, v5
	v_sub_u32_e32 v16, v33, v16
	v_or_b32_e32 v5, v16, v5
	v_alignbit_b32 v16, v17, v34, 9
	v_or_b32_e32 v14, v16, v14
	v_xor_b32_e32 v14, 1.0, v14
	v_mul_f32_e32 v16, 0x3fc90fda, v14
	v_fma_f32 v17, v14, s59, -v16
	v_fmac_f32_e32 v17, 0x33a22168, v14
	v_fmac_f32_e32 v17, 0x3fc90fda, v5
	v_lshrrev_b32_e32 v0, 30, v0
	v_add_f32_e32 v14, v16, v17
	v_add_u32_e32 v5, v38, v0
.LBB357_21:                             ;   in Loop: Header=BB357_13 Depth=3
	s_or_saveexec_b64 s[6:7], s[44:45]
	v_mul_f32_e64 v0, |v13|, s60
	v_rndne_f32_e32 v16, v0
	s_xor_b64 exec, exec, s[6:7]
; %bb.22:                               ;   in Loop: Header=BB357_13 Depth=3
	v_cvt_i32_f32_e32 v5, v16
	v_fma_f32 v14, v16, s61, |v13|
	v_fmac_f32_e32 v14, 0xb3a22168, v16
	v_fmac_f32_e32 v14, 0xa7c234c4, v16
; %bb.23:                               ;   in Loop: Header=BB357_13 Depth=3
	s_or_b64 exec, exec, s[6:7]
                                        ; implicit-def: $vgpr0
                                        ; implicit-def: $vgpr17
	s_and_saveexec_b64 s[6:7], s[42:43]
	s_xor_b64 s[42:43], exec, s[6:7]
	s_cbranch_execz .LBB357_25
; %bb.24:                               ;   in Loop: Header=BB357_13 Depth=3
	v_cmp_lt_u32_e32 vcc, 63, v15
	v_mad_u64_u32 v[16:17], s[10:11], v7, s51, 0
	s_nop 0
	v_cndmask_b32_e32 v0, 0, v23, vcc
	v_add_u32_e32 v0, v0, v15
	v_cmp_lt_u32_e64 s[6:7], 31, v0
	s_nop 1
	v_cndmask_b32_e64 v15, 0, v24, s[6:7]
	v_add_u32_e32 v0, v15, v0
	v_cmp_lt_u32_e64 s[8:9], 31, v0
	s_nop 1
	v_cndmask_b32_e64 v15, 0, v24, s[8:9]
	v_add_u32_e32 v15, v15, v0
	v_mov_b32_e32 v0, v17
	v_mad_u64_u32 v[34:35], s[10:11], v7, s52, v[0:1]
	v_mov_b32_e32 v0, v35
	v_mad_u64_u32 v[36:37], s[10:11], v7, s53, v[0:1]
	;; [unrolled: 2-line block ×6, first 2 shown]
	v_cndmask_b32_e32 v17, v42, v38, vcc
	v_cndmask_b32_e32 v0, v44, v40, vcc
	;; [unrolled: 1-line block ×3, first 2 shown]
	v_cndmask_b32_e64 v7, v0, v17, s[6:7]
	v_cndmask_b32_e64 v0, v33, v0, s[6:7]
	v_cndmask_b32_e32 v33, v40, v36, vcc
	v_cndmask_b32_e64 v17, v17, v33, s[6:7]
	v_sub_u32_e32 v35, 32, v15
	v_cmp_eq_u32_e64 s[10:11], 0, v15
	v_cndmask_b32_e32 v15, v38, v34, vcc
	v_cndmask_b32_e64 v0, v0, v7, s[8:9]
	v_cndmask_b32_e64 v7, v7, v17, s[8:9]
	;; [unrolled: 1-line block ×3, first 2 shown]
	v_alignbit_b32 v37, v0, v7, v35
	v_cndmask_b32_e64 v17, v17, v33, s[8:9]
	v_cndmask_b32_e64 v0, v37, v0, s[10:11]
	v_alignbit_b32 v34, v7, v17, v35
	v_cndmask_b32_e32 v16, v36, v16, vcc
	v_cndmask_b32_e64 v7, v34, v7, s[10:11]
	v_bfe_u32 v38, v0, 29, 1
	v_cndmask_b32_e64 v15, v15, v16, s[6:7]
	v_alignbit_b32 v34, v0, v7, 30
	v_sub_u32_e32 v39, 0, v38
	v_cndmask_b32_e64 v15, v33, v15, s[8:9]
	v_xor_b32_e32 v40, v34, v39
	v_alignbit_b32 v16, v17, v15, v35
	v_cndmask_b32_e64 v16, v16, v17, s[10:11]
	v_ffbh_u32_e32 v17, v40
	v_add_u32_e32 v17, 1, v17
	v_cmp_ne_u32_e32 vcc, v34, v39
	v_alignbit_b32 v7, v7, v16, 30
	v_alignbit_b32 v15, v16, v15, 30
	v_cndmask_b32_e32 v17, 33, v17, vcc
	v_xor_b32_e32 v7, v7, v39
	v_sub_u32_e32 v33, 32, v17
	v_xor_b32_e32 v15, v15, v39
	v_alignbit_b32 v34, v40, v7, v33
	v_alignbit_b32 v7, v7, v15, v33
	;; [unrolled: 1-line block ×3, first 2 shown]
	v_ffbh_u32_e32 v16, v15
	v_min_u32_e32 v16, 32, v16
	v_lshrrev_b32_e32 v37, 29, v0
	v_sub_u32_e32 v33, 31, v16
	v_alignbit_b32 v7, v15, v7, v33
	v_lshlrev_b32_e32 v15, 31, v37
	v_or_b32_e32 v33, 0x33800000, v15
	v_add_lshl_u32 v16, v16, v17, 23
	v_lshrrev_b32_e32 v7, 9, v7
	v_sub_u32_e32 v16, v33, v16
	v_or_b32_e32 v7, v16, v7
	v_alignbit_b32 v16, v17, v34, 9
	v_or_b32_e32 v15, v16, v15
	v_xor_b32_e32 v15, 1.0, v15
	v_mul_f32_e32 v16, 0x3fc90fda, v15
	v_fma_f32 v17, v15, s59, -v16
	v_fmac_f32_e32 v17, 0x33a22168, v15
	v_fmac_f32_e32 v17, 0x3fc90fda, v7
	v_lshrrev_b32_e32 v0, 30, v0
	v_add_f32_e32 v17, v16, v17
	v_add_u32_e32 v0, v38, v0
                                        ; implicit-def: $vgpr16
	s_andn2_saveexec_b64 s[6:7], s[42:43]
	s_cbranch_execnz .LBB357_26
	s_branch .LBB357_27
.LBB357_25:                             ;   in Loop: Header=BB357_13 Depth=3
	s_andn2_saveexec_b64 s[6:7], s[42:43]
.LBB357_26:                             ;   in Loop: Header=BB357_13 Depth=3
	v_cvt_i32_f32_e32 v0, v16
	v_fma_f32 v17, v16, s61, |v13|
	v_fmac_f32_e32 v17, 0xb3a22168, v16
	v_fmac_f32_e32 v17, 0xa7c234c4, v16
.LBB357_27:                             ;   in Loop: Header=BB357_13 Depth=3
	s_or_b64 exec, exec, s[6:7]
	v_mul_f32_e32 v7, 0x3fb8aa3b, v12
	v_rndne_f32_e32 v15, v7
	v_sub_f32_e32 v16, v7, v15
	v_fma_f32 v7, v12, s62, -v7
	v_fmac_f32_e32 v7, 0x32a5705f, v12
	v_add_f32_e32 v7, v16, v7
	v_cvt_i32_f32_e32 v15, v15
	v_exp_f32_e32 v7, v7
	v_and_b32_e32 v33, 1, v0
	v_lshlrev_b32_e32 v0, 30, v0
	v_mov_b32_e32 v34, v14
	v_ldexp_f32 v7, v7, v15
	v_mul_f32_e32 v15, v17, v17
	v_fmamk_f32 v16, v15, 0xb94c1982, v19
	v_fmaak_f32 v35, v15, v16, 0xbe2aaa9d
	v_fmamk_f32 v16, v15, 0x37d75334, v20
	v_and_b32_e32 v0, 0x80000000, v0
	v_xor_b32_e32 v3, v3, v13
	v_pk_mul_f32 v[34:35], v[14:15], v[34:35]
	v_fmaak_f32 v16, v15, v16, 0x3d2aabf7
	v_xor_b32_e32 v0, v3, v0
	v_fmamk_f32 v3, v34, 0x37d75334, v20
	v_fmaak_f32 v16, v15, v16, 0xbf000004
	v_fmaak_f32 v3, v34, v3, 0x3d2aabf7
	v_fma_f32 v36, v15, v16, 1.0
	v_fmaak_f32 v16, v34, v3, 0xbf000004
	v_fmamk_f32 v3, v34, 0xb94c1982, v19
	v_fmaak_f32 v3, v34, v3, 0xbe2aaa9d
	v_cmp_ngt_f32_e32 vcc, s63, v12
	v_mul_f32_e32 v3, v34, v3
	v_fmac_f32_e32 v14, v14, v3
	v_cndmask_b32_e32 v7, 0, v7, vcc
	v_cmp_nlt_f32_e32 vcc, s64, v12
	v_mov_b32_e32 v3, v17
	v_pk_fma_f32 v[16:17], v[34:35], v[16:17], v[2:3]
	v_cndmask_b32_e32 v12, v25, v7, vcc
	v_lshlrev_b32_e32 v7, 30, v5
	v_and_b32_e32 v5, 1, v5
	v_cmp_eq_u32_e32 vcc, 0, v33
	v_and_b32_e32 v7, 0x80000000, v7
	s_nop 0
	v_cndmask_b32_e32 v3, v36, v17, vcc
	v_cmp_eq_u32_e32 vcc, 0, v5
	v_xor_b32_e32 v0, v0, v3
	s_nop 0
	v_cndmask_b32_e64 v5, -v14, v16, vcc
	v_xor_b32_e32 v5, v7, v5
	v_cmp_class_f32_e64 vcc, v13, s3
	s_nop 1
	v_cndmask_b32_e32 v15, v26, v0, vcc
	v_cndmask_b32_e32 v14, v26, v5, vcc
	v_pk_mul_f32 v[12:13], v[12:13], v[14:15] op_sel_hi:[0,1]
	v_max_f32_e64 v0, |v12|, |v13|
	v_cvt_f64_f32_e32 v[14:15], v0
	v_frexp_exp_i32_f64_e32 v3, v[14:15]
	v_sub_u32_e32 v5, 0, v3
	v_ldexp_f32 v7, |v12|, v5
	v_ldexp_f32 v5, |v13|, v5
	v_mul_f32_e32 v5, v5, v5
	v_fmac_f32_e32 v5, v7, v7
	v_sqrt_f32_e32 v5, v5
	v_cmp_eq_f32_e32 vcc, s65, v0
	v_add_f32_e32 v0, 1.0, v12
                                        ; implicit-def: $vgpr14
	v_ldexp_f32 v3, v5, v3
	v_cmp_ngt_f32_e64 s[6:7], 0.5, v3
	v_max_f32_e64 v3, |v0|, |v13|
	s_or_b64 s[6:7], vcc, s[6:7]
	s_and_saveexec_b64 s[8:9], s[6:7]
	s_xor_b64 s[8:9], exec, s[8:9]
	s_cbranch_execz .LBB357_29
; %bb.28:                               ;   in Loop: Header=BB357_13 Depth=3
	v_cvt_f64_f32_e32 v[14:15], v3
	v_frexp_exp_i32_f64_e32 v5, v[14:15]
	v_sub_u32_e32 v7, 0, v5
	v_ldexp_f32 v14, |v0|, v7
	v_ldexp_f32 v7, |v13|, v7
	v_mul_f32_e32 v7, v7, v7
	v_fmac_f32_e32 v7, v14, v14
	v_sqrt_f32_e32 v7, v7
	v_cmp_neq_f32_e32 vcc, s65, v3
	v_ldexp_f32 v5, v7, v5
	s_nop 0
	v_cndmask_b32_e32 v5, v25, v5, vcc
	v_cmp_gt_f32_e32 vcc, s50, v5
	s_nop 1
	v_cndmask_b32_e32 v7, 1.0, v27, vcc
	v_mul_f32_e32 v5, v5, v7
	v_log_f32_e32 v5, v5
	s_nop 0
	v_mul_f32_e32 v7, 0x3f317217, v5
	v_fma_f32 v14, v5, s66, -v7
	v_fmac_f32_e32 v14, 0x3377d1cf, v5
	v_add_f32_e32 v7, v7, v14
	v_cmp_lt_f32_e64 s[6:7], |v5|, s65
	s_nop 1
	v_cndmask_b32_e64 v5, v5, v7, s[6:7]
	v_cndmask_b32_e32 v7, 0, v28, vcc
	v_sub_f32_e32 v14, v5, v7
.LBB357_29:                             ;   in Loop: Header=BB357_13 Depth=3
	s_andn2_saveexec_b64 s[6:7], s[8:9]
	s_cbranch_execz .LBB357_33
; %bb.30:                               ;   in Loop: Header=BB357_13 Depth=3
	v_add_f32_e32 v14, 2.0, v12
	v_mov_b32_e32 v15, v13
	v_pk_mul_f32 v[14:15], v[12:13], v[14:15]
	s_nop 0
	v_add_f32_e32 v7, v14, v15
	v_cmp_neq_f32_e32 vcc, 0, v7
	s_and_saveexec_b64 s[8:9], vcc
	s_cbranch_execz .LBB357_32
; %bb.31:                               ;   in Loop: Header=BB357_13 Depth=3
	v_add_f32_e32 v5, 1.0, v7
	v_add_f32_e32 v12, -1.0, v5
	v_sub_f32_e32 v14, v12, v5
	v_add_f32_e32 v14, 1.0, v14
	v_sub_f32_e32 v12, v7, v12
	v_add_f32_e32 v12, v12, v14
	v_frexp_mant_f32_e32 v16, v5
	v_cvt_f64_f32_e32 v[14:15], v5
	v_frexp_exp_i32_f64_e32 v14, v[14:15]
	v_cmp_gt_f32_e32 vcc, s67, v16
	s_nop 1
	v_subbrev_co_u32_e32 v33, vcc, 0, v14, vcc
	v_sub_u32_e32 v14, 0, v33
	v_ldexp_f32 v5, v5, v14
	v_ldexp_f32 v12, v12, v14
	v_add_f32_e32 v14, -1.0, v5
	v_add_f32_e32 v15, 1.0, v14
	v_sub_f32_e32 v15, v5, v15
	v_add_f32_e32 v16, v12, v15
	v_add_f32_e32 v15, 1.0, v5
	v_add_f32_e32 v17, -1.0, v15
	v_sub_f32_e32 v5, v5, v17
	v_add_f32_e32 v5, v12, v5
	v_add_f32_e32 v12, v15, v5
	v_rcp_f32_e32 v38, v12
	v_sub_f32_e32 v15, v12, v15
	v_sub_f32_e32 v5, v5, v15
	v_add_f32_e32 v15, v14, v16
	v_sub_f32_e32 v14, v15, v14
	v_mul_f32_e32 v40, v15, v38
	v_sub_f32_e32 v39, v16, v14
	v_mul_f32_e32 v16, v12, v40
	v_fma_f32 v34, v40, v12, -v16
	v_fmac_f32_e32 v34, v40, v5
	v_add_f32_e32 v14, v16, v34
	v_sub_f32_e32 v17, v15, v14
	v_pk_add_f32 v[36:37], v[14:15], v[16:17] neg_lo:[0,1] neg_hi:[0,1]
	v_mov_b32_e32 v35, v14
	v_pk_add_f32 v[14:15], v[36:37], v[34:35] neg_lo:[0,1] neg_hi:[0,1]
	v_cmp_eq_f32_e32 vcc, s65, v7
	v_add_f32_e32 v15, v39, v15
	v_add_f32_e32 v14, v14, v15
	;; [unrolled: 1-line block ×3, first 2 shown]
	v_mul_f32_e32 v39, v38, v15
	v_mul_f32_e32 v16, v12, v39
	v_fma_f32 v34, v39, v12, -v16
	v_fmac_f32_e32 v34, v39, v5
	v_sub_f32_e32 v5, v17, v15
	v_add_f32_e32 v5, v14, v5
	v_add_f32_e32 v14, v16, v34
	v_sub_f32_e32 v17, v15, v14
	v_pk_add_f32 v[36:37], v[14:15], v[16:17] neg_lo:[0,1] neg_hi:[0,1]
	v_mov_b32_e32 v35, v14
	v_pk_add_f32 v[14:15], v[36:37], v[34:35] neg_lo:[0,1] neg_hi:[0,1]
	v_add_f32_e32 v12, v40, v39
	v_add_f32_e32 v5, v5, v15
	;; [unrolled: 1-line block ×4, first 2 shown]
	v_sub_f32_e32 v14, v12, v40
	v_mul_f32_e32 v5, v38, v5
	v_sub_f32_e32 v14, v39, v14
	v_add_f32_e32 v15, v14, v5
	v_add_f32_e32 v16, v12, v15
	v_cvt_f32_i32_e32 v14, v33
	v_mul_f32_e32 v34, v16, v16
	v_fmamk_f32 v5, v34, 0x3e9b6dac, v21
	v_sub_f32_e32 v12, v16, v12
	v_fmaak_f32 v5, v34, v5, 0x3f2aaada
	v_sub_f32_e32 v12, v15, v12
	v_mul_f32_e32 v15, v16, v34
	v_pk_mul_f32 v[34:35], v[14:15], v[4:5]
	v_ldexp_f32 v17, v16, 1
	v_fma_f32 v16, v14, s68, -v34
	v_fmac_f32_e32 v16, 0xb102e308, v14
	v_pk_add_f32 v[14:15], v[34:35], v[16:17]
	v_ldexp_f32 v12, v12, 1
	v_sub_f32_e32 v5, v15, v17
	v_sub_f32_e32 v5, v35, v5
	v_add_f32_e32 v37, v12, v5
	v_mov_b32_e32 v36, v34
	v_pk_add_f32 v[34:35], v[14:15], v[34:35] neg_lo:[0,1] neg_hi:[0,1]
	v_pk_add_f32 v[38:39], v[14:15], v[36:37]
	v_mov_b32_e32 v17, v14
	v_mov_b32_e32 v35, v39
	v_pk_add_f32 v[40:41], v[16:17], v[34:35] neg_lo:[0,1] neg_hi:[0,1]
	v_pk_add_f32 v[16:17], v[16:17], v[34:35]
	s_nop 0
	v_mov_b32_e32 v12, v17
	v_pk_add_f32 v[34:35], v[12:13], v[14:15] neg_lo:[0,1] neg_hi:[0,1]
	v_mov_b32_e32 v16, v39
	v_mov_b32_e32 v5, v34
	v_pk_add_f32 v[42:43], v[38:39], v[4:5] neg_lo:[0,1] neg_hi:[0,1]
	v_mov_b32_e32 v38, v15
	v_mov_b32_e32 v39, v34
	v_mov_b32_e32 v41, v17
	v_pk_add_f32 v[16:17], v[16:17], v[38:39] neg_lo:[0,1] neg_hi:[0,1]
	v_mov_b32_e32 v34, v37
	v_mov_b32_e32 v35, v14
	v_pk_add_f32 v[14:15], v[34:35], v[16:17] neg_lo:[0,1] neg_hi:[0,1]
	v_mov_b32_e32 v42, v40
	v_pk_add_f32 v[16:17], v[42:43], v[14:15]
	s_nop 0
	v_mov_b32_e32 v34, v17
	v_pk_add_f32 v[34:35], v[16:17], v[34:35]
	s_nop 0
	v_pk_add_f32 v[36:37], v[12:13], v[34:35]
	v_mov_b32_e32 v15, v34
	v_mov_b32_e32 v17, v36
	v_pk_add_f32 v[38:39], v[16:17], v[40:41] neg_lo:[0,1] neg_hi:[0,1]
	s_nop 0
	v_sub_f32_e32 v5, v16, v38
	v_pk_add_f32 v[14:15], v[14:15], v[38:39] neg_lo:[0,1] neg_hi:[0,1]
	v_sub_f32_e32 v5, v40, v5
	v_add_f32_e32 v5, v14, v5
	v_add_f32_e32 v5, v5, v15
	;; [unrolled: 1-line block ×3, first 2 shown]
	v_cndmask_b32_e32 v5, v5, v7, vcc
	v_cmp_ngt_f32_e32 vcc, -1.0, v7
	s_nop 1
	v_cndmask_b32_e32 v5, v26, v5, vcc
	v_cmp_neq_f32_e32 vcc, -1.0, v7
	s_nop 1
	v_cndmask_b32_e32 v5, v29, v5, vcc
	v_cmp_lt_f32_e64 vcc, |v7|, s58
	s_nop 1
	v_cndmask_b32_e32 v5, v5, v7, vcc
	v_mul_f32_e32 v12, 0.5, v5
.LBB357_32:                             ;   in Loop: Header=BB357_13 Depth=3
	s_or_b64 exec, exec, s[8:9]
	v_mov_b32_e32 v14, v12
.LBB357_33:                             ;   in Loop: Header=BB357_13 Depth=3
	s_or_b64 exec, exec, s[6:7]
	v_max_f32_e64 v12, |v13|, |v13|
	v_max_f32_e64 v15, |v0|, |v0|
	v_min_f32_e32 v12, v15, v12
	v_frexp_mant_f32_e32 v15, v3
	v_rcp_f32_e32 v15, v15
	v_frexp_exp_i32_f32_e32 v3, v3
	v_frexp_exp_i32_f32_e32 v16, v12
	v_frexp_mant_f32_e32 v12, v12
	v_mul_f32_e32 v12, v12, v15
	v_sub_u32_e32 v3, v16, v3
	v_ldexp_f32 v3, v12, v3
	v_mul_f32_e32 v12, v3, v3
	v_fmamk_f32 v15, v12, 0x3b2d2a58, v22
	v_fmaak_f32 v15, v12, v15, 0x3d29fb3f
	v_fmaak_f32 v15, v12, v15, 0xbd97d4d7
	;; [unrolled: 1-line block ×6, first 2 shown]
	v_mul_f32_e32 v12, v12, v15
	v_cmp_gt_i32_e64 s[6:7], 0, v0
	v_fmac_f32_e32 v3, v3, v12
	v_sub_f32_e32 v12, 0x3fc90fdb, v3
	v_cndmask_b32_e64 v7, 0, v32, s[6:7]
	v_cmp_gt_f32_e64 s[6:7], |v13|, |v0|
	v_cmp_gt_f32_e32 vcc, 0, v0
	v_cmp_class_f32_e64 s[8:9], v13, s69
	v_cndmask_b32_e64 v3, v3, v12, s[6:7]
	v_sub_f32_e32 v12, 0x40490fdb, v3
	v_cmp_class_f32_e64 s[10:11], v0, s69
	v_cndmask_b32_e32 v5, v30, v31, vcc
	v_cndmask_b32_e32 v3, v3, v12, vcc
	v_cmp_eq_f32_e32 vcc, 0, v13
	s_nop 1
	v_cndmask_b32_e32 v3, v3, v7, vcc
	s_and_b64 vcc, s[10:11], s[8:9]
	v_cndmask_b32_e32 v3, v3, v5, vcc
	v_cmp_o_f32_e32 vcc, v0, v13
	s_nop 1
	v_cndmask_b32_e32 v0, v26, v3, vcc
	v_bfi_b32 v15, s48, v0, v13
	v_pk_add_f32 v[12:13], v[10:11], v[14:15]
                                        ; implicit-def: $vgpr15
                                        ; implicit-def: $vgpr11
.LBB357_34:                             ;   in Loop: Header=BB357_13 Depth=3
	s_andn2_saveexec_b64 s[40:41], s[40:41]
	s_cbranch_execz .LBB357_11
; %bb.35:                               ;   in Loop: Header=BB357_13 Depth=3
	v_cmp_ngt_f32_e32 vcc, 0, v12
	s_and_saveexec_b64 s[42:43], vcc
	s_cbranch_execz .LBB357_10
; %bb.36:                               ;   in Loop: Header=BB357_13 Depth=3
	v_and_b32_e32 v3, 0x7fffffff, v13
	v_lshrrev_b32_e32 v0, 23, v3
	v_and_b32_e32 v5, 0x7fffff, v3
	v_cmp_nlt_f32_e64 s[44:45], |v13|, s49
	v_add_u32_e32 v16, 0xffffff88, v0
	v_or_b32_e32 v14, 0x800000, v5
                                        ; implicit-def: $vgpr7
                                        ; implicit-def: $vgpr5
	s_and_saveexec_b64 s[6:7], s[44:45]
	s_xor_b64 s[46:47], exec, s[6:7]
	s_cbranch_execz .LBB357_38
; %bb.37:                               ;   in Loop: Header=BB357_13 Depth=3
	v_cmp_lt_u32_e32 vcc, 63, v16
	v_mad_u64_u32 v[34:35], s[10:11], v14, s51, 0
	s_nop 0
	v_cndmask_b32_e32 v0, 0, v23, vcc
	v_add_u32_e32 v0, v0, v16
	v_cmp_lt_u32_e64 s[6:7], 31, v0
	s_nop 1
	v_cndmask_b32_e64 v5, 0, v24, s[6:7]
	v_add_u32_e32 v0, v5, v0
	v_cmp_lt_u32_e64 s[8:9], 31, v0
	s_nop 1
	v_cndmask_b32_e64 v5, 0, v24, s[8:9]
	v_add_u32_e32 v5, v5, v0
	v_mov_b32_e32 v0, v35
	v_mad_u64_u32 v[36:37], s[10:11], v14, s52, v[0:1]
	v_mov_b32_e32 v0, v37
	v_mad_u64_u32 v[38:39], s[10:11], v14, s53, v[0:1]
	v_mov_b32_e32 v0, v39
	v_mad_u64_u32 v[40:41], s[10:11], v14, s54, v[0:1]
	v_mov_b32_e32 v0, v41
	v_mad_u64_u32 v[42:43], s[10:11], v14, s55, v[0:1]
	v_mov_b32_e32 v0, v43
	v_mad_u64_u32 v[44:45], s[10:11], v14, s56, v[0:1]
	v_mov_b32_e32 v0, v45
	v_mad_u64_u32 v[46:47], s[10:11], v14, s57, v[0:1]
	v_cndmask_b32_e32 v7, v44, v40, vcc
	v_cndmask_b32_e32 v0, v46, v42, vcc
	v_cndmask_b32_e32 v12, v47, v44, vcc
	v_cndmask_b32_e64 v10, v0, v7, s[6:7]
	v_cndmask_b32_e64 v0, v12, v0, s[6:7]
	v_cndmask_b32_e32 v12, v42, v38, vcc
	v_cndmask_b32_e64 v7, v7, v12, s[6:7]
	v_sub_u32_e32 v17, 32, v5
	v_cmp_eq_u32_e64 s[10:11], 0, v5
	v_cndmask_b32_e32 v5, v40, v36, vcc
	v_cndmask_b32_e64 v0, v0, v10, s[8:9]
	v_cndmask_b32_e64 v10, v10, v7, s[8:9]
	;; [unrolled: 1-line block ×3, first 2 shown]
	v_alignbit_b32 v33, v0, v10, v17
	v_cndmask_b32_e64 v7, v7, v12, s[8:9]
	v_cndmask_b32_e64 v0, v33, v0, s[10:11]
	v_alignbit_b32 v33, v10, v7, v17
	v_cndmask_b32_e32 v34, v38, v34, vcc
	v_cndmask_b32_e64 v10, v33, v10, s[10:11]
	v_bfe_u32 v36, v0, 29, 1
	v_cndmask_b32_e64 v5, v5, v34, s[6:7]
	v_alignbit_b32 v33, v0, v10, 30
	v_sub_u32_e32 v37, 0, v36
	v_cndmask_b32_e64 v5, v12, v5, s[8:9]
	v_xor_b32_e32 v39, v33, v37
	v_alignbit_b32 v12, v7, v5, v17
	v_cndmask_b32_e64 v7, v12, v7, s[10:11]
	v_ffbh_u32_e32 v12, v39
	v_add_u32_e32 v12, 1, v12
	v_cmp_ne_u32_e32 vcc, v33, v37
	v_alignbit_b32 v10, v10, v7, 30
	v_alignbit_b32 v5, v7, v5, 30
	v_cndmask_b32_e32 v12, 33, v12, vcc
	v_xor_b32_e32 v10, v10, v37
	v_sub_u32_e32 v17, 32, v12
	v_xor_b32_e32 v5, v5, v37
	v_alignbit_b32 v33, v39, v10, v17
	v_alignbit_b32 v5, v10, v5, v17
	;; [unrolled: 1-line block ×3, first 2 shown]
	v_ffbh_u32_e32 v10, v7
	v_min_u32_e32 v10, 32, v10
	v_lshrrev_b32_e32 v35, 29, v0
	v_sub_u32_e32 v17, 31, v10
	v_alignbit_b32 v5, v7, v5, v17
	v_lshlrev_b32_e32 v7, 31, v35
	v_or_b32_e32 v17, 0x33800000, v7
	v_add_lshl_u32 v10, v10, v12, 23
	v_lshrrev_b32_e32 v5, 9, v5
	v_sub_u32_e32 v10, v17, v10
	v_or_b32_e32 v5, v10, v5
	v_alignbit_b32 v10, v12, v33, 9
	v_or_b32_e32 v7, v10, v7
	v_xor_b32_e32 v7, 1.0, v7
	v_mul_f32_e32 v10, 0x3fc90fda, v7
	v_fma_f32 v12, v7, s59, -v10
	v_fmac_f32_e32 v12, 0x33a22168, v7
	v_fmac_f32_e32 v12, 0x3fc90fda, v5
	v_lshrrev_b32_e32 v0, 30, v0
	v_add_f32_e32 v5, v10, v12
	v_add_u32_e32 v7, v36, v0
.LBB357_38:                             ;   in Loop: Header=BB357_13 Depth=3
	s_or_saveexec_b64 s[6:7], s[46:47]
	v_mul_f32_e64 v0, |v13|, s60
	v_rndne_f32_e32 v0, v0
	s_xor_b64 exec, exec, s[6:7]
; %bb.39:                               ;   in Loop: Header=BB357_13 Depth=3
	v_cvt_i32_f32_e32 v7, v0
	v_fma_f32 v5, v0, s61, |v13|
	v_fmac_f32_e32 v5, 0xb3a22168, v0
	v_fmac_f32_e32 v5, 0xa7c234c4, v0
; %bb.40:                               ;   in Loop: Header=BB357_13 Depth=3
	s_or_b64 exec, exec, s[6:7]
                                        ; implicit-def: $vgpr10
                                        ; implicit-def: $vgpr12
	s_and_saveexec_b64 s[6:7], s[44:45]
	s_xor_b64 s[44:45], exec, s[6:7]
	s_cbranch_execz .LBB357_42
; %bb.41:                               ;   in Loop: Header=BB357_13 Depth=3
	v_cmp_lt_u32_e32 vcc, 63, v16
	s_nop 1
	v_cndmask_b32_e32 v0, 0, v23, vcc
	v_add_u32_e32 v0, v0, v16
	v_cmp_lt_u32_e64 s[6:7], 31, v0
	v_mad_u64_u32 v[16:17], s[10:11], v14, s51, 0
	s_nop 0
	v_cndmask_b32_e64 v10, 0, v24, s[6:7]
	v_add_u32_e32 v0, v10, v0
	v_cmp_lt_u32_e64 s[8:9], 31, v0
	s_nop 1
	v_cndmask_b32_e64 v10, 0, v24, s[8:9]
	v_add_u32_e32 v10, v10, v0
	v_mov_b32_e32 v0, v17
	v_mad_u64_u32 v[34:35], s[10:11], v14, s52, v[0:1]
	v_mov_b32_e32 v0, v35
	v_mad_u64_u32 v[36:37], s[10:11], v14, s53, v[0:1]
	;; [unrolled: 2-line block ×6, first 2 shown]
	v_cndmask_b32_e32 v12, v42, v38, vcc
	v_cndmask_b32_e32 v0, v44, v40, vcc
	;; [unrolled: 1-line block ×3, first 2 shown]
	v_cndmask_b32_e64 v14, v0, v12, s[6:7]
	v_cndmask_b32_e64 v0, v17, v0, s[6:7]
	v_cndmask_b32_e32 v17, v40, v36, vcc
	v_cndmask_b32_e64 v12, v12, v17, s[6:7]
	v_sub_u32_e32 v33, 32, v10
	v_cmp_eq_u32_e64 s[10:11], 0, v10
	v_cndmask_b32_e32 v10, v38, v34, vcc
	v_cndmask_b32_e64 v0, v0, v14, s[8:9]
	v_cndmask_b32_e64 v14, v14, v12, s[8:9]
	;; [unrolled: 1-line block ×3, first 2 shown]
	v_alignbit_b32 v35, v0, v14, v33
	v_cndmask_b32_e64 v12, v12, v17, s[8:9]
	v_cndmask_b32_e64 v0, v35, v0, s[10:11]
	v_alignbit_b32 v34, v14, v12, v33
	v_cndmask_b32_e32 v16, v36, v16, vcc
	v_cndmask_b32_e64 v14, v34, v14, s[10:11]
	v_bfe_u32 v37, v0, 29, 1
	v_cndmask_b32_e64 v10, v10, v16, s[6:7]
	v_alignbit_b32 v34, v0, v14, 30
	v_sub_u32_e32 v38, 0, v37
	v_cndmask_b32_e64 v10, v17, v10, s[8:9]
	v_xor_b32_e32 v39, v34, v38
	v_alignbit_b32 v16, v12, v10, v33
	v_cndmask_b32_e64 v12, v16, v12, s[10:11]
	v_ffbh_u32_e32 v16, v39
	v_add_u32_e32 v16, 1, v16
	v_cmp_ne_u32_e32 vcc, v34, v38
	v_alignbit_b32 v14, v14, v12, 30
	v_alignbit_b32 v10, v12, v10, 30
	v_cndmask_b32_e32 v16, 33, v16, vcc
	v_xor_b32_e32 v14, v14, v38
	v_sub_u32_e32 v17, 32, v16
	v_xor_b32_e32 v10, v10, v38
	v_alignbit_b32 v33, v39, v14, v17
	v_alignbit_b32 v10, v14, v10, v17
	v_alignbit_b32 v12, v33, v10, 9
	v_ffbh_u32_e32 v14, v12
	v_min_u32_e32 v14, 32, v14
	v_lshrrev_b32_e32 v35, 29, v0
	v_sub_u32_e32 v17, 31, v14
	v_alignbit_b32 v10, v12, v10, v17
	v_lshlrev_b32_e32 v12, 31, v35
	v_or_b32_e32 v17, 0x33800000, v12
	v_add_lshl_u32 v14, v14, v16, 23
	v_lshrrev_b32_e32 v10, 9, v10
	v_sub_u32_e32 v14, v17, v14
	v_or_b32_e32 v10, v14, v10
	v_alignbit_b32 v14, v16, v33, 9
	v_or_b32_e32 v12, v14, v12
	v_xor_b32_e32 v12, 1.0, v12
	v_mul_f32_e32 v14, 0x3fc90fda, v12
	v_fma_f32 v16, v12, s59, -v14
	v_fmac_f32_e32 v16, 0x33a22168, v12
	v_fmac_f32_e32 v16, 0x3fc90fda, v10
	v_lshrrev_b32_e32 v0, 30, v0
	v_add_f32_e32 v12, v14, v16
	v_add_u32_e32 v10, v37, v0
                                        ; implicit-def: $vgpr0
	s_andn2_saveexec_b64 s[6:7], s[44:45]
	s_cbranch_execnz .LBB357_43
	s_branch .LBB357_44
.LBB357_42:                             ;   in Loop: Header=BB357_13 Depth=3
	s_andn2_saveexec_b64 s[6:7], s[44:45]
.LBB357_43:                             ;   in Loop: Header=BB357_13 Depth=3
	v_cvt_i32_f32_e32 v10, v0
	v_fma_f32 v12, v0, s61, |v13|
	v_fmac_f32_e32 v12, 0xb3a22168, v0
	v_fmac_f32_e32 v12, 0xa7c234c4, v0
.LBB357_44:                             ;   in Loop: Header=BB357_13 Depth=3
	s_or_b64 exec, exec, s[6:7]
	v_and_b32_e32 v14, 0x7fffffff, v11
	v_lshrrev_b32_e32 v0, 23, v14
	v_and_b32_e32 v16, 0x7fffff, v14
	v_cmp_nlt_f32_e64 s[44:45], |v11|, s49
	v_add_u32_e32 v34, 0xffffff88, v0
	v_or_b32_e32 v33, 0x800000, v16
                                        ; implicit-def: $vgpr17
                                        ; implicit-def: $vgpr16
	s_and_saveexec_b64 s[6:7], s[44:45]
	s_xor_b64 s[46:47], exec, s[6:7]
	s_cbranch_execz .LBB357_46
; %bb.45:                               ;   in Loop: Header=BB357_13 Depth=3
	v_cmp_lt_u32_e32 vcc, 63, v34
	s_nop 1
	v_cndmask_b32_e32 v0, 0, v23, vcc
	v_add_u32_e32 v0, v0, v34
	v_cmp_lt_u32_e64 s[6:7], 31, v0
	s_nop 1
	v_cndmask_b32_e64 v16, 0, v24, s[6:7]
	v_add_u32_e32 v0, v16, v0
	v_cmp_lt_u32_e64 s[8:9], 31, v0
	s_nop 1
	v_cndmask_b32_e64 v16, 0, v24, s[8:9]
	v_add_u32_e32 v35, v16, v0
	v_mad_u64_u32 v[16:17], s[10:11], v33, s51, 0
	v_mov_b32_e32 v0, v17
	v_mad_u64_u32 v[36:37], s[10:11], v33, s52, v[0:1]
	v_mov_b32_e32 v0, v37
	;; [unrolled: 2-line block ×6, first 2 shown]
	v_mad_u64_u32 v[46:47], s[10:11], v33, s57, v[0:1]
	v_cndmask_b32_e32 v17, v44, v40, vcc
	v_cndmask_b32_e32 v0, v46, v42, vcc
	;; [unrolled: 1-line block ×3, first 2 shown]
	v_cndmask_b32_e64 v37, v0, v17, s[6:7]
	v_cndmask_b32_e64 v0, v39, v0, s[6:7]
	v_cndmask_b32_e32 v39, v42, v38, vcc
	v_cndmask_b32_e64 v17, v17, v39, s[6:7]
	v_sub_u32_e32 v41, 32, v35
	v_cmp_eq_u32_e64 s[10:11], 0, v35
	v_cndmask_b32_e32 v35, v40, v36, vcc
	v_cndmask_b32_e64 v0, v0, v37, s[8:9]
	v_cndmask_b32_e64 v37, v37, v17, s[8:9]
	;; [unrolled: 1-line block ×3, first 2 shown]
	v_alignbit_b32 v42, v0, v37, v41
	v_cndmask_b32_e64 v17, v17, v36, s[8:9]
	v_cndmask_b32_e64 v0, v42, v0, s[10:11]
	v_alignbit_b32 v39, v37, v17, v41
	v_cndmask_b32_e64 v37, v39, v37, s[10:11]
	v_bfe_u32 v42, v0, 29, 1
	v_cndmask_b32_e32 v16, v38, v16, vcc
	v_alignbit_b32 v39, v0, v37, 30
	v_sub_u32_e32 v43, 0, v42
	v_cndmask_b32_e64 v16, v35, v16, s[6:7]
	v_xor_b32_e32 v44, v39, v43
	v_cndmask_b32_e64 v16, v36, v16, s[8:9]
	v_alignbit_b32 v35, v17, v16, v41
	v_ffbh_u32_e32 v36, v44
	v_cndmask_b32_e64 v17, v35, v17, s[10:11]
	v_add_u32_e32 v36, 1, v36
	v_cmp_ne_u32_e32 vcc, v39, v43
	v_alignbit_b32 v35, v37, v17, 30
	v_alignbit_b32 v16, v17, v16, 30
	v_cndmask_b32_e32 v36, 33, v36, vcc
	v_xor_b32_e32 v35, v35, v43
	v_sub_u32_e32 v37, 32, v36
	v_xor_b32_e32 v16, v16, v43
	v_alignbit_b32 v38, v44, v35, v37
	v_alignbit_b32 v16, v35, v16, v37
	v_alignbit_b32 v17, v38, v16, 9
	v_ffbh_u32_e32 v35, v17
	v_min_u32_e32 v35, 32, v35
	v_lshrrev_b32_e32 v40, 29, v0
	v_sub_u32_e32 v37, 31, v35
	v_alignbit_b32 v16, v17, v16, v37
	v_lshlrev_b32_e32 v17, 31, v40
	v_or_b32_e32 v37, 0x33800000, v17
	v_add_lshl_u32 v35, v35, v36, 23
	v_lshrrev_b32_e32 v16, 9, v16
	v_sub_u32_e32 v35, v37, v35
	v_or_b32_e32 v16, v35, v16
	v_alignbit_b32 v35, v36, v38, 9
	v_or_b32_e32 v17, v35, v17
	v_xor_b32_e32 v17, 1.0, v17
	v_mul_f32_e32 v35, 0x3fc90fda, v17
	v_fma_f32 v36, v17, s59, -v35
	v_fmac_f32_e32 v36, 0x33a22168, v17
	v_fmac_f32_e32 v36, 0x3fc90fda, v16
	v_lshrrev_b32_e32 v0, 30, v0
	v_add_f32_e32 v16, v35, v36
	v_add_u32_e32 v17, v42, v0
.LBB357_46:                             ;   in Loop: Header=BB357_13 Depth=3
	s_or_saveexec_b64 s[6:7], s[46:47]
	v_mul_f32_e64 v0, |v11|, s60
	v_rndne_f32_e32 v36, v0
	s_xor_b64 exec, exec, s[6:7]
; %bb.47:                               ;   in Loop: Header=BB357_13 Depth=3
	v_cvt_i32_f32_e32 v17, v36
	v_fma_f32 v16, v36, s61, |v11|
	v_fmac_f32_e32 v16, 0xb3a22168, v36
	v_fmac_f32_e32 v16, 0xa7c234c4, v36
; %bb.48:                               ;   in Loop: Header=BB357_13 Depth=3
	s_or_b64 exec, exec, s[6:7]
                                        ; implicit-def: $vgpr0
                                        ; implicit-def: $vgpr35
	s_and_saveexec_b64 s[6:7], s[44:45]
	s_xor_b64 s[44:45], exec, s[6:7]
	s_cbranch_execz .LBB357_50
; %bb.49:                               ;   in Loop: Header=BB357_13 Depth=3
	v_cmp_lt_u32_e32 vcc, 63, v34
	s_nop 1
	v_cndmask_b32_e32 v0, 0, v23, vcc
	v_add_u32_e32 v0, v0, v34
	v_cmp_lt_u32_e64 s[6:7], 31, v0
	s_nop 1
	v_cndmask_b32_e64 v34, 0, v24, s[6:7]
	v_add_u32_e32 v0, v34, v0
	v_cmp_lt_u32_e64 s[8:9], 31, v0
	s_nop 1
	v_cndmask_b32_e64 v34, 0, v24, s[8:9]
	v_add_u32_e32 v48, v34, v0
	v_mad_u64_u32 v[34:35], s[10:11], v33, s51, 0
	v_mov_b32_e32 v0, v35
	v_mad_u64_u32 v[36:37], s[10:11], v33, s52, v[0:1]
	v_mov_b32_e32 v0, v37
	v_mad_u64_u32 v[38:39], s[10:11], v33, s53, v[0:1]
	v_mov_b32_e32 v0, v39
	v_mad_u64_u32 v[40:41], s[10:11], v33, s54, v[0:1]
	v_mov_b32_e32 v0, v41
	v_mad_u64_u32 v[42:43], s[10:11], v33, s55, v[0:1]
	v_mov_b32_e32 v0, v43
	v_mad_u64_u32 v[44:45], s[10:11], v33, s56, v[0:1]
	v_mov_b32_e32 v0, v45
	v_mad_u64_u32 v[46:47], s[10:11], v33, s57, v[0:1]
	v_cndmask_b32_e32 v35, v44, v40, vcc
	v_cndmask_b32_e32 v0, v46, v42, vcc
	v_cndmask_b32_e32 v37, v47, v44, vcc
	v_cndmask_b32_e64 v33, v0, v35, s[6:7]
	v_cndmask_b32_e64 v0, v37, v0, s[6:7]
	v_cndmask_b32_e32 v37, v42, v38, vcc
	v_cndmask_b32_e64 v35, v35, v37, s[6:7]
	v_cndmask_b32_e32 v36, v40, v36, vcc
	v_cndmask_b32_e64 v0, v0, v33, s[8:9]
	v_cndmask_b32_e64 v33, v33, v35, s[8:9]
	v_sub_u32_e32 v39, 32, v48
	v_cndmask_b32_e64 v37, v37, v36, s[6:7]
	v_alignbit_b32 v41, v0, v33, v39
	v_cmp_eq_u32_e64 s[10:11], 0, v48
	v_cndmask_b32_e64 v35, v35, v37, s[8:9]
	v_alignbit_b32 v40, v33, v35, v39
	v_cndmask_b32_e64 v0, v41, v0, s[10:11]
	v_cndmask_b32_e32 v34, v38, v34, vcc
	v_cndmask_b32_e64 v33, v40, v33, s[10:11]
	v_bfe_u32 v42, v0, 29, 1
	v_cndmask_b32_e64 v34, v36, v34, s[6:7]
	v_alignbit_b32 v40, v0, v33, 30
	v_sub_u32_e32 v43, 0, v42
	v_cndmask_b32_e64 v34, v37, v34, s[8:9]
	v_xor_b32_e32 v44, v40, v43
	v_alignbit_b32 v36, v35, v34, v39
	v_cndmask_b32_e64 v35, v36, v35, s[10:11]
	v_ffbh_u32_e32 v36, v44
	v_add_u32_e32 v36, 1, v36
	v_cmp_ne_u32_e32 vcc, v40, v43
	v_alignbit_b32 v33, v33, v35, 30
	v_alignbit_b32 v34, v35, v34, 30
	v_cndmask_b32_e32 v36, 33, v36, vcc
	v_xor_b32_e32 v33, v33, v43
	v_sub_u32_e32 v37, 32, v36
	v_xor_b32_e32 v34, v34, v43
	v_alignbit_b32 v38, v44, v33, v37
	v_alignbit_b32 v33, v33, v34, v37
	v_alignbit_b32 v34, v38, v33, 9
	v_ffbh_u32_e32 v35, v34
	v_min_u32_e32 v35, 32, v35
	v_lshrrev_b32_e32 v41, 29, v0
	v_sub_u32_e32 v37, 31, v35
	v_alignbit_b32 v33, v34, v33, v37
	v_lshlrev_b32_e32 v34, 31, v41
	v_or_b32_e32 v37, 0x33800000, v34
	v_add_lshl_u32 v35, v35, v36, 23
	v_lshrrev_b32_e32 v33, 9, v33
	v_sub_u32_e32 v35, v37, v35
	v_or_b32_e32 v33, v35, v33
	v_alignbit_b32 v35, v36, v38, 9
	v_or_b32_e32 v34, v35, v34
	v_xor_b32_e32 v34, 1.0, v34
	v_mul_f32_e32 v35, 0x3fc90fda, v34
	v_fma_f32 v36, v34, s59, -v35
	v_fmac_f32_e32 v36, 0x33a22168, v34
	v_fmac_f32_e32 v36, 0x3fc90fda, v33
	v_lshrrev_b32_e32 v0, 30, v0
	v_add_f32_e32 v35, v35, v36
	v_add_u32_e32 v0, v42, v0
                                        ; implicit-def: $vgpr36
	s_andn2_saveexec_b64 s[6:7], s[44:45]
	s_cbranch_execnz .LBB357_51
	s_branch .LBB357_52
.LBB357_50:                             ;   in Loop: Header=BB357_13 Depth=3
	s_andn2_saveexec_b64 s[6:7], s[44:45]
.LBB357_51:                             ;   in Loop: Header=BB357_13 Depth=3
	v_cvt_i32_f32_e32 v0, v36
	v_fma_f32 v35, v36, s61, |v11|
	v_fmac_f32_e32 v35, 0xb3a22168, v36
	v_fmac_f32_e32 v35, 0xa7c234c4, v36
.LBB357_52:                             ;   in Loop: Header=BB357_13 Depth=3
	s_or_b64 exec, exec, s[6:7]
	v_mul_f32_e32 v34, v5, v5
	v_fmamk_f32 v36, v34, 0xb94c1982, v19
	v_fmaak_f32 v36, v34, v36, 0xbe2aaa9d
	v_mul_f32_e32 v36, v34, v36
	v_fmac_f32_e32 v5, v5, v36
	v_fmamk_f32 v36, v34, 0x37d75334, v20
	v_fmaak_f32 v36, v34, v36, 0x3d2aabf7
	v_lshlrev_b32_e32 v33, 30, v7
	v_and_b32_e32 v7, 1, v7
	v_fmaak_f32 v36, v34, v36, 0xbf000004
	v_and_b32_e32 v33, 0x80000000, v33
	v_fma_f32 v34, v34, v36, 1.0
	v_cmp_eq_u32_e32 vcc, 0, v7
	v_xor_b32_e32 v3, v3, v15
	v_xor_b32_e32 v3, v3, v33
	v_cndmask_b32_e32 v5, v34, v5, vcc
	v_xor_b32_e32 v3, v3, v5
	v_mul_f32_e32 v5, v12, v12
	v_fmamk_f32 v7, v5, 0xb94c1982, v19
	v_fmaak_f32 v7, v5, v7, 0xbe2aaa9d
	v_mul_f32_e32 v7, v5, v7
	v_fmac_f32_e32 v12, v12, v7
	v_fmamk_f32 v7, v5, 0x37d75334, v20
	v_fmaak_f32 v7, v5, v7, 0x3d2aabf7
	v_fmaak_f32 v7, v5, v7, 0xbf000004
	v_fma_f32 v5, v5, v7, 1.0
	v_and_b32_e32 v7, 1, v10
	v_cmp_eq_u32_e64 s[6:7], 0, v7
	v_cmp_class_f32_e64 vcc, v13, s3
	v_lshlrev_b32_e32 v7, 30, v10
	v_cndmask_b32_e64 v5, -v12, v5, s[6:7]
	v_mul_f32_e32 v12, v16, v16
	v_fmamk_f32 v13, v12, 0xb94c1982, v19
	v_and_b32_e32 v7, 0x80000000, v7
	v_fmaak_f32 v13, v12, v13, 0xbe2aaa9d
	v_xor_b32_e32 v5, v7, v5
	v_mul_f32_e32 v13, v12, v13
	v_cndmask_b32_e32 v5, v26, v5, vcc
	v_fmac_f32_e32 v16, v16, v13
	v_fmamk_f32 v13, v12, 0x37d75334, v20
	v_cndmask_b32_e32 v3, v26, v3, vcc
	v_mul_f32_e32 v7, 0x7f800000, v5
	v_cmp_neq_f32_e32 vcc, 0, v5
	v_fmaak_f32 v13, v12, v13, 0x3d2aabf7
	v_and_b32_e32 v10, 1, v17
	v_cndmask_b32_e32 v5, 0, v7, vcc
	v_mul_f32_e32 v7, 0x7f800000, v3
	v_cmp_neq_f32_e32 vcc, 0, v3
	v_fmaak_f32 v13, v12, v13, 0xbf000004
	v_fma_f32 v12, v12, v13, 1.0
	v_cndmask_b32_e32 v3, 0, v7, vcc
	v_lshlrev_b32_e32 v7, 30, v17
	v_cmp_eq_u32_e32 vcc, 0, v10
	v_and_b32_e32 v7, 0x80000000, v7
	s_nop 0
	v_cndmask_b32_e32 v10, v12, v16, vcc
	v_xor_b32_e32 v12, v14, v11
	v_xor_b32_e32 v7, v12, v7
	;; [unrolled: 1-line block ×3, first 2 shown]
	v_mul_f32_e32 v10, v35, v35
	v_cmp_class_f32_e64 vcc, v11, s3
	v_fmamk_f32 v11, v10, 0xb94c1982, v19
	v_fmaak_f32 v11, v10, v11, 0xbe2aaa9d
	v_mul_f32_e32 v11, v10, v11
	v_fmac_f32_e32 v35, v35, v11
	v_fmamk_f32 v11, v10, 0x37d75334, v20
	v_fmaak_f32 v11, v10, v11, 0x3d2aabf7
	v_fmaak_f32 v11, v10, v11, 0xbf000004
	v_fma_f32 v10, v10, v11, 1.0
	v_and_b32_e32 v11, 1, v0
	v_cmp_eq_u32_e64 s[6:7], 0, v11
	v_lshlrev_b32_e32 v0, 30, v0
	v_and_b32_e32 v0, 0x80000000, v0
	v_cndmask_b32_e64 v10, -v35, v10, s[6:7]
	v_xor_b32_e32 v0, v0, v10
	v_cndmask_b32_e32 v0, v26, v0, vcc
	v_cndmask_b32_e32 v7, v26, v7, vcc
	v_mul_f32_e32 v10, 0x7f800000, v0
	v_cmp_neq_f32_e32 vcc, 0, v0
	s_nop 1
	v_cndmask_b32_e32 v0, 0, v10, vcc
	v_mul_f32_e32 v10, 0x7f800000, v7
	v_cmp_neq_f32_e32 vcc, 0, v7
	v_add_f32_e32 v5, v5, v0
	v_add_f32_e32 v12, -1.0, v5
	v_cndmask_b32_e32 v7, 0, v10, vcc
	v_add_f32_e32 v0, v3, v7
	v_max_f32_e64 v3, |v12|, |v0|
	v_cvt_f64_f32_e32 v[10:11], v3
	v_frexp_exp_i32_f64_e32 v5, v[10:11]
	v_sub_u32_e32 v7, 0, v5
	v_ldexp_f32 v10, |v12|, v7
	v_ldexp_f32 v7, |v0|, v7
	v_mul_f32_e32 v7, v7, v7
	v_fmac_f32_e32 v7, v10, v10
	v_sqrt_f32_e32 v7, v7
	v_cmp_eq_f32_e32 vcc, s65, v3
	v_add_f32_e32 v3, 1.0, v12
	v_ldexp_f32 v5, v7, v5
	v_cmp_ngt_f32_e64 s[6:7], 0.5, v5
	v_max_f32_e64 v7, |v3|, |v0|
	s_or_b64 s[6:7], vcc, s[6:7]
	s_and_saveexec_b64 s[8:9], s[6:7]
	s_xor_b64 s[8:9], exec, s[8:9]
	s_cbranch_execz .LBB357_54
; %bb.53:                               ;   in Loop: Header=BB357_13 Depth=3
	v_cvt_f64_f32_e32 v[10:11], v7
	v_frexp_exp_i32_f64_e32 v5, v[10:11]
	v_sub_u32_e32 v10, 0, v5
	v_ldexp_f32 v11, |v3|, v10
	v_ldexp_f32 v10, |v0|, v10
	v_mul_f32_e32 v10, v10, v10
	v_fmac_f32_e32 v10, v11, v11
	v_sqrt_f32_e32 v10, v10
	v_cmp_neq_f32_e32 vcc, s65, v7
	v_ldexp_f32 v5, v10, v5
	s_nop 0
	v_cndmask_b32_e32 v5, v25, v5, vcc
	v_cmp_gt_f32_e32 vcc, s50, v5
	s_nop 1
	v_cndmask_b32_e32 v10, 1.0, v27, vcc
	v_mul_f32_e32 v5, v5, v10
	v_log_f32_e32 v5, v5
	s_nop 0
	v_mul_f32_e32 v10, 0x3f317217, v5
	v_fma_f32 v11, v5, s66, -v10
	v_fmac_f32_e32 v11, 0x3377d1cf, v5
	v_add_f32_e32 v10, v10, v11
	v_cmp_lt_f32_e64 s[6:7], |v5|, s65
	s_nop 1
	v_cndmask_b32_e64 v5, v5, v10, s[6:7]
	v_cndmask_b32_e32 v10, 0, v28, vcc
	v_sub_f32_e32 v12, v5, v10
.LBB357_54:                             ;   in Loop: Header=BB357_13 Depth=3
	s_andn2_saveexec_b64 s[6:7], s[8:9]
	s_cbranch_execz .LBB357_9
; %bb.55:                               ;   in Loop: Header=BB357_13 Depth=3
	v_add_f32_e32 v5, 2.0, v12
	v_mul_f32_e32 v10, v12, v5
	v_fmac_f32_e32 v10, v0, v0
	v_cmp_neq_f32_e32 vcc, 0, v10
	s_and_saveexec_b64 s[8:9], vcc
	s_cbranch_execz .LBB357_8
; %bb.56:                               ;   in Loop: Header=BB357_13 Depth=3
	v_add_f32_e32 v5, 1.0, v10
	v_add_f32_e32 v11, -1.0, v5
	v_sub_f32_e32 v12, v11, v5
	v_add_f32_e32 v12, 1.0, v12
	v_sub_f32_e32 v11, v10, v11
	v_add_f32_e32 v11, v11, v12
	v_frexp_mant_f32_e32 v14, v5
	v_cvt_f64_f32_e32 v[12:13], v5
	v_frexp_exp_i32_f64_e32 v12, v[12:13]
	v_cmp_gt_f32_e32 vcc, s67, v14
	s_nop 1
	v_subbrev_co_u32_e32 v33, vcc, 0, v12, vcc
	v_sub_u32_e32 v12, 0, v33
	v_ldexp_f32 v5, v5, v12
	v_ldexp_f32 v11, v11, v12
	v_add_f32_e32 v12, -1.0, v5
	v_add_f32_e32 v13, 1.0, v12
	v_sub_f32_e32 v13, v5, v13
	v_add_f32_e32 v14, v11, v13
	v_add_f32_e32 v13, 1.0, v5
	v_add_f32_e32 v15, -1.0, v13
	v_sub_f32_e32 v5, v5, v15
	v_add_f32_e32 v5, v11, v5
	v_add_f32_e32 v11, v13, v5
	v_rcp_f32_e32 v36, v11
	v_sub_f32_e32 v13, v11, v13
	v_sub_f32_e32 v5, v5, v13
	v_add_f32_e32 v13, v12, v14
	v_sub_f32_e32 v12, v13, v12
	v_mul_f32_e32 v38, v13, v36
	v_sub_f32_e32 v37, v14, v12
	v_mul_f32_e32 v14, v11, v38
	v_fma_f32 v16, v38, v11, -v14
	v_fmac_f32_e32 v16, v38, v5
	v_add_f32_e32 v12, v14, v16
	v_sub_f32_e32 v15, v13, v12
	v_pk_add_f32 v[34:35], v[12:13], v[14:15] neg_lo:[0,1] neg_hi:[0,1]
	v_mov_b32_e32 v17, v12
	v_pk_add_f32 v[12:13], v[34:35], v[16:17] neg_lo:[0,1] neg_hi:[0,1]
	v_cmp_eq_f32_e32 vcc, s65, v10
	v_add_f32_e32 v13, v37, v13
	v_add_f32_e32 v12, v12, v13
	v_add_f32_e32 v13, v15, v12
	v_mul_f32_e32 v37, v36, v13
	v_mul_f32_e32 v14, v11, v37
	v_fma_f32 v16, v37, v11, -v14
	v_fmac_f32_e32 v16, v37, v5
	v_sub_f32_e32 v5, v15, v13
	v_add_f32_e32 v5, v12, v5
	v_add_f32_e32 v12, v14, v16
	v_sub_f32_e32 v15, v13, v12
	v_pk_add_f32 v[34:35], v[12:13], v[14:15] neg_lo:[0,1] neg_hi:[0,1]
	v_mov_b32_e32 v17, v12
	v_pk_add_f32 v[12:13], v[34:35], v[16:17] neg_lo:[0,1] neg_hi:[0,1]
	v_add_f32_e32 v11, v38, v37
	v_add_f32_e32 v5, v5, v13
	;; [unrolled: 1-line block ×4, first 2 shown]
	v_sub_f32_e32 v12, v11, v38
	v_mul_f32_e32 v5, v36, v5
	v_sub_f32_e32 v12, v37, v12
	v_add_f32_e32 v13, v12, v5
	v_add_f32_e32 v14, v11, v13
	v_cvt_f32_i32_e32 v12, v33
	v_mul_f32_e32 v16, v14, v14
	v_fmamk_f32 v5, v16, 0x3e9b6dac, v21
	v_sub_f32_e32 v11, v14, v11
	v_fmaak_f32 v5, v16, v5, 0x3f2aaada
	v_sub_f32_e32 v11, v13, v11
	v_mul_f32_e32 v13, v14, v16
	v_pk_mul_f32 v[16:17], v[12:13], v[4:5]
	v_ldexp_f32 v15, v14, 1
	v_fma_f32 v14, v12, s68, -v16
	v_fmac_f32_e32 v14, 0xb102e308, v12
	v_pk_add_f32 v[12:13], v[16:17], v[14:15]
	v_ldexp_f32 v11, v11, 1
	v_sub_f32_e32 v5, v13, v15
	v_sub_f32_e32 v5, v17, v5
	v_add_f32_e32 v35, v11, v5
	v_mov_b32_e32 v34, v16
	v_pk_add_f32 v[16:17], v[12:13], v[16:17] neg_lo:[0,1] neg_hi:[0,1]
	v_pk_add_f32 v[36:37], v[12:13], v[34:35]
	v_mov_b32_e32 v15, v12
	v_mov_b32_e32 v17, v37
	v_pk_add_f32 v[38:39], v[14:15], v[16:17] neg_lo:[0,1] neg_hi:[0,1]
	v_pk_add_f32 v[14:15], v[14:15], v[16:17]
	v_mov_b32_e32 v34, v35
	v_mov_b32_e32 v16, v15
	v_pk_add_f32 v[40:41], v[16:17], v[12:13] neg_lo:[0,1] neg_hi:[0,1]
	v_mov_b32_e32 v14, v37
	v_mov_b32_e32 v5, v40
	v_pk_add_f32 v[42:43], v[36:37], v[4:5] neg_lo:[0,1] neg_hi:[0,1]
	v_mov_b32_e32 v36, v13
	v_mov_b32_e32 v37, v40
	;; [unrolled: 1-line block ×3, first 2 shown]
	v_pk_add_f32 v[14:15], v[14:15], v[36:37] neg_lo:[0,1] neg_hi:[0,1]
	v_mov_b32_e32 v35, v12
	v_pk_add_f32 v[12:13], v[34:35], v[14:15] neg_lo:[0,1] neg_hi:[0,1]
	v_mov_b32_e32 v42, v38
	v_pk_add_f32 v[14:15], v[42:43], v[12:13]
	s_nop 0
	v_mov_b32_e32 v34, v15
	v_pk_add_f32 v[34:35], v[14:15], v[34:35]
	s_nop 0
	v_pk_add_f32 v[16:17], v[16:17], v[34:35]
	v_mov_b32_e32 v13, v34
	v_mov_b32_e32 v15, v16
	v_pk_add_f32 v[36:37], v[14:15], v[38:39] neg_lo:[0,1] neg_hi:[0,1]
	s_nop 0
	v_sub_f32_e32 v5, v14, v36
	v_pk_add_f32 v[12:13], v[12:13], v[36:37] neg_lo:[0,1] neg_hi:[0,1]
	v_sub_f32_e32 v5, v38, v5
	v_add_f32_e32 v5, v12, v5
	v_add_f32_e32 v5, v5, v13
	;; [unrolled: 1-line block ×3, first 2 shown]
	v_cndmask_b32_e32 v5, v5, v10, vcc
	v_cmp_ngt_f32_e32 vcc, -1.0, v10
	s_nop 1
	v_cndmask_b32_e32 v5, v26, v5, vcc
	v_cmp_neq_f32_e32 vcc, -1.0, v10
	s_nop 1
	v_cndmask_b32_e32 v5, v29, v5, vcc
	v_cmp_lt_f32_e64 vcc, |v10|, s58
	s_nop 1
	v_cndmask_b32_e32 v5, v5, v10, vcc
	v_mul_f32_e32 v12, 0.5, v5
	s_branch .LBB357_8
.LBB357_57:
	s_endpgm
	.section	.rodata,"a",@progbits
	.p2align	6, 0x0
	.amdhsa_kernel _ZN2at6native28tensor_kernel_scan_outer_dimIN3c107complexIfEEmZZZNS0_31launch_logcumsumexp_cuda_kernelERKNS_10TensorBaseES7_lENKUlvE_clEvENKUlvE2_clEvEUlS4_S4_E_EEvPT_PKSB_jjjSB_T1_
		.amdhsa_group_segment_fixed_size 0
		.amdhsa_private_segment_fixed_size 0
		.amdhsa_kernarg_size 304
		.amdhsa_user_sgpr_count 2
		.amdhsa_user_sgpr_dispatch_ptr 0
		.amdhsa_user_sgpr_queue_ptr 0
		.amdhsa_user_sgpr_kernarg_segment_ptr 1
		.amdhsa_user_sgpr_dispatch_id 0
		.amdhsa_user_sgpr_kernarg_preload_length 0
		.amdhsa_user_sgpr_kernarg_preload_offset 0
		.amdhsa_user_sgpr_private_segment_size 0
		.amdhsa_uses_dynamic_stack 0
		.amdhsa_enable_private_segment 0
		.amdhsa_system_sgpr_workgroup_id_x 1
		.amdhsa_system_sgpr_workgroup_id_y 1
		.amdhsa_system_sgpr_workgroup_id_z 0
		.amdhsa_system_sgpr_workgroup_info 0
		.amdhsa_system_vgpr_workitem_id 0
		.amdhsa_next_free_vgpr 49
		.amdhsa_next_free_sgpr 72
		.amdhsa_accum_offset 52
		.amdhsa_reserve_vcc 1
		.amdhsa_float_round_mode_32 0
		.amdhsa_float_round_mode_16_64 0
		.amdhsa_float_denorm_mode_32 3
		.amdhsa_float_denorm_mode_16_64 3
		.amdhsa_dx10_clamp 1
		.amdhsa_ieee_mode 1
		.amdhsa_fp16_overflow 0
		.amdhsa_tg_split 0
		.amdhsa_exception_fp_ieee_invalid_op 0
		.amdhsa_exception_fp_denorm_src 0
		.amdhsa_exception_fp_ieee_div_zero 0
		.amdhsa_exception_fp_ieee_overflow 0
		.amdhsa_exception_fp_ieee_underflow 0
		.amdhsa_exception_fp_ieee_inexact 0
		.amdhsa_exception_int_div_zero 0
	.end_amdhsa_kernel
	.section	.text._ZN2at6native28tensor_kernel_scan_outer_dimIN3c107complexIfEEmZZZNS0_31launch_logcumsumexp_cuda_kernelERKNS_10TensorBaseES7_lENKUlvE_clEvENKUlvE2_clEvEUlS4_S4_E_EEvPT_PKSB_jjjSB_T1_,"axG",@progbits,_ZN2at6native28tensor_kernel_scan_outer_dimIN3c107complexIfEEmZZZNS0_31launch_logcumsumexp_cuda_kernelERKNS_10TensorBaseES7_lENKUlvE_clEvENKUlvE2_clEvEUlS4_S4_E_EEvPT_PKSB_jjjSB_T1_,comdat
.Lfunc_end357:
	.size	_ZN2at6native28tensor_kernel_scan_outer_dimIN3c107complexIfEEmZZZNS0_31launch_logcumsumexp_cuda_kernelERKNS_10TensorBaseES7_lENKUlvE_clEvENKUlvE2_clEvEUlS4_S4_E_EEvPT_PKSB_jjjSB_T1_, .Lfunc_end357-_ZN2at6native28tensor_kernel_scan_outer_dimIN3c107complexIfEEmZZZNS0_31launch_logcumsumexp_cuda_kernelERKNS_10TensorBaseES7_lENKUlvE_clEvENKUlvE2_clEvEUlS4_S4_E_EEvPT_PKSB_jjjSB_T1_
                                        ; -- End function
	.section	.AMDGPU.csdata,"",@progbits
; Kernel info:
; codeLenInByte = 7508
; NumSgprs: 78
; NumVgprs: 49
; NumAgprs: 0
; TotalNumVgprs: 49
; ScratchSize: 0
; MemoryBound: 0
; FloatMode: 240
; IeeeMode: 1
; LDSByteSize: 0 bytes/workgroup (compile time only)
; SGPRBlocks: 9
; VGPRBlocks: 6
; NumSGPRsForWavesPerEU: 78
; NumVGPRsForWavesPerEU: 49
; AccumOffset: 52
; Occupancy: 8
; WaveLimiterHint : 0
; COMPUTE_PGM_RSRC2:SCRATCH_EN: 0
; COMPUTE_PGM_RSRC2:USER_SGPR: 2
; COMPUTE_PGM_RSRC2:TRAP_HANDLER: 0
; COMPUTE_PGM_RSRC2:TGID_X_EN: 1
; COMPUTE_PGM_RSRC2:TGID_Y_EN: 1
; COMPUTE_PGM_RSRC2:TGID_Z_EN: 0
; COMPUTE_PGM_RSRC2:TIDIG_COMP_CNT: 0
; COMPUTE_PGM_RSRC3_GFX90A:ACCUM_OFFSET: 12
; COMPUTE_PGM_RSRC3_GFX90A:TG_SPLIT: 0
	.section	.text._ZN7rocprim17ROCPRIM_400000_NS6detail31init_lookback_scan_state_kernelINS1_19lookback_scan_stateIN3c104HalfELb0ELb1EEENS1_16block_id_wrapperIjLb0EEEEEvT_jT0_jPNS9_10value_typeE,"axG",@progbits,_ZN7rocprim17ROCPRIM_400000_NS6detail31init_lookback_scan_state_kernelINS1_19lookback_scan_stateIN3c104HalfELb0ELb1EEENS1_16block_id_wrapperIjLb0EEEEEvT_jT0_jPNS9_10value_typeE,comdat
	.protected	_ZN7rocprim17ROCPRIM_400000_NS6detail31init_lookback_scan_state_kernelINS1_19lookback_scan_stateIN3c104HalfELb0ELb1EEENS1_16block_id_wrapperIjLb0EEEEEvT_jT0_jPNS9_10value_typeE ; -- Begin function _ZN7rocprim17ROCPRIM_400000_NS6detail31init_lookback_scan_state_kernelINS1_19lookback_scan_stateIN3c104HalfELb0ELb1EEENS1_16block_id_wrapperIjLb0EEEEEvT_jT0_jPNS9_10value_typeE
	.globl	_ZN7rocprim17ROCPRIM_400000_NS6detail31init_lookback_scan_state_kernelINS1_19lookback_scan_stateIN3c104HalfELb0ELb1EEENS1_16block_id_wrapperIjLb0EEEEEvT_jT0_jPNS9_10value_typeE
	.p2align	8
	.type	_ZN7rocprim17ROCPRIM_400000_NS6detail31init_lookback_scan_state_kernelINS1_19lookback_scan_stateIN3c104HalfELb0ELb1EEENS1_16block_id_wrapperIjLb0EEEEEvT_jT0_jPNS9_10value_typeE,@function
_ZN7rocprim17ROCPRIM_400000_NS6detail31init_lookback_scan_state_kernelINS1_19lookback_scan_stateIN3c104HalfELb0ELb1EEENS1_16block_id_wrapperIjLb0EEEEEvT_jT0_jPNS9_10value_typeE: ; @_ZN7rocprim17ROCPRIM_400000_NS6detail31init_lookback_scan_state_kernelINS1_19lookback_scan_stateIN3c104HalfELb0ELb1EEENS1_16block_id_wrapperIjLb0EEEEEvT_jT0_jPNS9_10value_typeE
; %bb.0:
	s_load_dword s3, s[0:1], 0x2c
	s_load_dwordx2 s[6:7], s[0:1], 0x18
	s_load_dwordx2 s[4:5], s[0:1], 0x0
	s_load_dword s8, s[0:1], 0x8
	s_waitcnt lgkmcnt(0)
	s_and_b32 s3, s3, 0xffff
	s_mul_i32 s2, s2, s3
	s_cmp_eq_u64 s[6:7], 0
	v_add_u32_e32 v0, s2, v0
	s_cbranch_scc1 .LBB358_6
; %bb.1:
	s_load_dword s2, s[0:1], 0x10
	s_mov_b32 s3, 0
	s_waitcnt lgkmcnt(0)
	s_cmp_lt_u32 s2, s8
	s_cselect_b32 s0, s2, 0
	v_cmp_eq_u32_e32 vcc, s0, v0
	s_and_saveexec_b64 s[0:1], vcc
	s_cbranch_execz .LBB358_5
; %bb.2:
	s_add_i32 s2, s2, 64
	s_lshl_b64 s[2:3], s[2:3], 2
	s_add_u32 s2, s4, s2
	s_addc_u32 s3, s5, s3
	v_mov_b32_e32 v2, 0
	global_load_dword v1, v2, s[2:3] sc1
	s_waitcnt vmcnt(0)
	v_and_b32_e32 v3, 0xff0000, v1
	v_cmp_ne_u32_e32 vcc, 0, v3
	s_cbranch_vccnz .LBB358_4
.LBB358_3:                              ; =>This Inner Loop Header: Depth=1
	global_load_dword v1, v2, s[2:3] sc1
	s_waitcnt vmcnt(0)
	v_and_b32_e32 v3, 0xff0000, v1
	v_cmp_eq_u32_e32 vcc, 0, v3
	s_cbranch_vccnz .LBB358_3
.LBB358_4:
	v_mov_b32_e32 v2, 0
	global_store_short v2, v1, s[6:7]
.LBB358_5:
	s_or_b64 exec, exec, s[0:1]
.LBB358_6:
	v_cmp_gt_u32_e32 vcc, s8, v0
	s_and_saveexec_b64 s[0:1], vcc
	s_cbranch_execnz .LBB358_9
; %bb.7:
	s_or_b64 exec, exec, s[0:1]
	v_cmp_gt_u32_e32 vcc, 64, v0
	s_and_saveexec_b64 s[0:1], vcc
	s_cbranch_execnz .LBB358_10
.LBB358_8:
	s_endpgm
.LBB358_9:
	v_add_u32_e32 v2, 64, v0
	v_mov_b32_e32 v3, 0
	v_lshl_add_u64 v[4:5], v[2:3], 2, s[4:5]
	global_store_dword v[4:5], v3, off
	s_or_b64 exec, exec, s[0:1]
	v_cmp_gt_u32_e32 vcc, 64, v0
	s_and_saveexec_b64 s[0:1], vcc
	s_cbranch_execz .LBB358_8
.LBB358_10:
	v_mov_b32_e32 v1, 0
	v_lshl_add_u64 v[0:1], v[0:1], 2, s[4:5]
	v_mov_b32_e32 v2, 0xff0000
	global_store_dword v[0:1], v2, off
	s_endpgm
	.section	.rodata,"a",@progbits
	.p2align	6, 0x0
	.amdhsa_kernel _ZN7rocprim17ROCPRIM_400000_NS6detail31init_lookback_scan_state_kernelINS1_19lookback_scan_stateIN3c104HalfELb0ELb1EEENS1_16block_id_wrapperIjLb0EEEEEvT_jT0_jPNS9_10value_typeE
		.amdhsa_group_segment_fixed_size 0
		.amdhsa_private_segment_fixed_size 0
		.amdhsa_kernarg_size 288
		.amdhsa_user_sgpr_count 2
		.amdhsa_user_sgpr_dispatch_ptr 0
		.amdhsa_user_sgpr_queue_ptr 0
		.amdhsa_user_sgpr_kernarg_segment_ptr 1
		.amdhsa_user_sgpr_dispatch_id 0
		.amdhsa_user_sgpr_kernarg_preload_length 0
		.amdhsa_user_sgpr_kernarg_preload_offset 0
		.amdhsa_user_sgpr_private_segment_size 0
		.amdhsa_uses_dynamic_stack 0
		.amdhsa_enable_private_segment 0
		.amdhsa_system_sgpr_workgroup_id_x 1
		.amdhsa_system_sgpr_workgroup_id_y 0
		.amdhsa_system_sgpr_workgroup_id_z 0
		.amdhsa_system_sgpr_workgroup_info 0
		.amdhsa_system_vgpr_workitem_id 0
		.amdhsa_next_free_vgpr 6
		.amdhsa_next_free_sgpr 9
		.amdhsa_accum_offset 8
		.amdhsa_reserve_vcc 1
		.amdhsa_float_round_mode_32 0
		.amdhsa_float_round_mode_16_64 0
		.amdhsa_float_denorm_mode_32 3
		.amdhsa_float_denorm_mode_16_64 3
		.amdhsa_dx10_clamp 1
		.amdhsa_ieee_mode 1
		.amdhsa_fp16_overflow 0
		.amdhsa_tg_split 0
		.amdhsa_exception_fp_ieee_invalid_op 0
		.amdhsa_exception_fp_denorm_src 0
		.amdhsa_exception_fp_ieee_div_zero 0
		.amdhsa_exception_fp_ieee_overflow 0
		.amdhsa_exception_fp_ieee_underflow 0
		.amdhsa_exception_fp_ieee_inexact 0
		.amdhsa_exception_int_div_zero 0
	.end_amdhsa_kernel
	.section	.text._ZN7rocprim17ROCPRIM_400000_NS6detail31init_lookback_scan_state_kernelINS1_19lookback_scan_stateIN3c104HalfELb0ELb1EEENS1_16block_id_wrapperIjLb0EEEEEvT_jT0_jPNS9_10value_typeE,"axG",@progbits,_ZN7rocprim17ROCPRIM_400000_NS6detail31init_lookback_scan_state_kernelINS1_19lookback_scan_stateIN3c104HalfELb0ELb1EEENS1_16block_id_wrapperIjLb0EEEEEvT_jT0_jPNS9_10value_typeE,comdat
.Lfunc_end358:
	.size	_ZN7rocprim17ROCPRIM_400000_NS6detail31init_lookback_scan_state_kernelINS1_19lookback_scan_stateIN3c104HalfELb0ELb1EEENS1_16block_id_wrapperIjLb0EEEEEvT_jT0_jPNS9_10value_typeE, .Lfunc_end358-_ZN7rocprim17ROCPRIM_400000_NS6detail31init_lookback_scan_state_kernelINS1_19lookback_scan_stateIN3c104HalfELb0ELb1EEENS1_16block_id_wrapperIjLb0EEEEEvT_jT0_jPNS9_10value_typeE
                                        ; -- End function
	.section	.AMDGPU.csdata,"",@progbits
; Kernel info:
; codeLenInByte = 292
; NumSgprs: 15
; NumVgprs: 6
; NumAgprs: 0
; TotalNumVgprs: 6
; ScratchSize: 0
; MemoryBound: 0
; FloatMode: 240
; IeeeMode: 1
; LDSByteSize: 0 bytes/workgroup (compile time only)
; SGPRBlocks: 1
; VGPRBlocks: 0
; NumSGPRsForWavesPerEU: 15
; NumVGPRsForWavesPerEU: 6
; AccumOffset: 8
; Occupancy: 8
; WaveLimiterHint : 0
; COMPUTE_PGM_RSRC2:SCRATCH_EN: 0
; COMPUTE_PGM_RSRC2:USER_SGPR: 2
; COMPUTE_PGM_RSRC2:TRAP_HANDLER: 0
; COMPUTE_PGM_RSRC2:TGID_X_EN: 1
; COMPUTE_PGM_RSRC2:TGID_Y_EN: 0
; COMPUTE_PGM_RSRC2:TGID_Z_EN: 0
; COMPUTE_PGM_RSRC2:TIDIG_COMP_CNT: 0
; COMPUTE_PGM_RSRC3_GFX90A:ACCUM_OFFSET: 1
; COMPUTE_PGM_RSRC3_GFX90A:TG_SPLIT: 0
	.section	.text._ZN7rocprim17ROCPRIM_400000_NS6detail17trampoline_kernelINS0_14default_configENS1_20scan_config_selectorIN3c104HalfEEEZZNS1_9scan_implILNS1_25lookback_scan_determinismE0ELb0ELb0ES3_PKS6_PS6_S6_ZZZN2at6native31launch_logcumsumexp_cuda_kernelERKNSD_10TensorBaseESH_lENKUlvE_clEvENKUlvE3_clEvEUlS6_S6_E_S6_EEDaPvRmT3_T4_T5_mT6_P12ihipStream_tbENKUlT_T0_E_clISt17integral_constantIbLb0EESY_EEDaST_SU_EUlST_E_NS1_11comp_targetILNS1_3genE0ELNS1_11target_archE4294967295ELNS1_3gpuE0ELNS1_3repE0EEENS1_30default_config_static_selectorELNS0_4arch9wavefront6targetE1EEEvT1_,"axG",@progbits,_ZN7rocprim17ROCPRIM_400000_NS6detail17trampoline_kernelINS0_14default_configENS1_20scan_config_selectorIN3c104HalfEEEZZNS1_9scan_implILNS1_25lookback_scan_determinismE0ELb0ELb0ES3_PKS6_PS6_S6_ZZZN2at6native31launch_logcumsumexp_cuda_kernelERKNSD_10TensorBaseESH_lENKUlvE_clEvENKUlvE3_clEvEUlS6_S6_E_S6_EEDaPvRmT3_T4_T5_mT6_P12ihipStream_tbENKUlT_T0_E_clISt17integral_constantIbLb0EESY_EEDaST_SU_EUlST_E_NS1_11comp_targetILNS1_3genE0ELNS1_11target_archE4294967295ELNS1_3gpuE0ELNS1_3repE0EEENS1_30default_config_static_selectorELNS0_4arch9wavefront6targetE1EEEvT1_,comdat
	.globl	_ZN7rocprim17ROCPRIM_400000_NS6detail17trampoline_kernelINS0_14default_configENS1_20scan_config_selectorIN3c104HalfEEEZZNS1_9scan_implILNS1_25lookback_scan_determinismE0ELb0ELb0ES3_PKS6_PS6_S6_ZZZN2at6native31launch_logcumsumexp_cuda_kernelERKNSD_10TensorBaseESH_lENKUlvE_clEvENKUlvE3_clEvEUlS6_S6_E_S6_EEDaPvRmT3_T4_T5_mT6_P12ihipStream_tbENKUlT_T0_E_clISt17integral_constantIbLb0EESY_EEDaST_SU_EUlST_E_NS1_11comp_targetILNS1_3genE0ELNS1_11target_archE4294967295ELNS1_3gpuE0ELNS1_3repE0EEENS1_30default_config_static_selectorELNS0_4arch9wavefront6targetE1EEEvT1_ ; -- Begin function _ZN7rocprim17ROCPRIM_400000_NS6detail17trampoline_kernelINS0_14default_configENS1_20scan_config_selectorIN3c104HalfEEEZZNS1_9scan_implILNS1_25lookback_scan_determinismE0ELb0ELb0ES3_PKS6_PS6_S6_ZZZN2at6native31launch_logcumsumexp_cuda_kernelERKNSD_10TensorBaseESH_lENKUlvE_clEvENKUlvE3_clEvEUlS6_S6_E_S6_EEDaPvRmT3_T4_T5_mT6_P12ihipStream_tbENKUlT_T0_E_clISt17integral_constantIbLb0EESY_EEDaST_SU_EUlST_E_NS1_11comp_targetILNS1_3genE0ELNS1_11target_archE4294967295ELNS1_3gpuE0ELNS1_3repE0EEENS1_30default_config_static_selectorELNS0_4arch9wavefront6targetE1EEEvT1_
	.p2align	8
	.type	_ZN7rocprim17ROCPRIM_400000_NS6detail17trampoline_kernelINS0_14default_configENS1_20scan_config_selectorIN3c104HalfEEEZZNS1_9scan_implILNS1_25lookback_scan_determinismE0ELb0ELb0ES3_PKS6_PS6_S6_ZZZN2at6native31launch_logcumsumexp_cuda_kernelERKNSD_10TensorBaseESH_lENKUlvE_clEvENKUlvE3_clEvEUlS6_S6_E_S6_EEDaPvRmT3_T4_T5_mT6_P12ihipStream_tbENKUlT_T0_E_clISt17integral_constantIbLb0EESY_EEDaST_SU_EUlST_E_NS1_11comp_targetILNS1_3genE0ELNS1_11target_archE4294967295ELNS1_3gpuE0ELNS1_3repE0EEENS1_30default_config_static_selectorELNS0_4arch9wavefront6targetE1EEEvT1_,@function
_ZN7rocprim17ROCPRIM_400000_NS6detail17trampoline_kernelINS0_14default_configENS1_20scan_config_selectorIN3c104HalfEEEZZNS1_9scan_implILNS1_25lookback_scan_determinismE0ELb0ELb0ES3_PKS6_PS6_S6_ZZZN2at6native31launch_logcumsumexp_cuda_kernelERKNSD_10TensorBaseESH_lENKUlvE_clEvENKUlvE3_clEvEUlS6_S6_E_S6_EEDaPvRmT3_T4_T5_mT6_P12ihipStream_tbENKUlT_T0_E_clISt17integral_constantIbLb0EESY_EEDaST_SU_EUlST_E_NS1_11comp_targetILNS1_3genE0ELNS1_11target_archE4294967295ELNS1_3gpuE0ELNS1_3repE0EEENS1_30default_config_static_selectorELNS0_4arch9wavefront6targetE1EEEvT1_: ; @_ZN7rocprim17ROCPRIM_400000_NS6detail17trampoline_kernelINS0_14default_configENS1_20scan_config_selectorIN3c104HalfEEEZZNS1_9scan_implILNS1_25lookback_scan_determinismE0ELb0ELb0ES3_PKS6_PS6_S6_ZZZN2at6native31launch_logcumsumexp_cuda_kernelERKNSD_10TensorBaseESH_lENKUlvE_clEvENKUlvE3_clEvEUlS6_S6_E_S6_EEDaPvRmT3_T4_T5_mT6_P12ihipStream_tbENKUlT_T0_E_clISt17integral_constantIbLb0EESY_EEDaST_SU_EUlST_E_NS1_11comp_targetILNS1_3genE0ELNS1_11target_archE4294967295ELNS1_3gpuE0ELNS1_3repE0EEENS1_30default_config_static_selectorELNS0_4arch9wavefront6targetE1EEEvT1_
; %bb.0:
	.section	.rodata,"a",@progbits
	.p2align	6, 0x0
	.amdhsa_kernel _ZN7rocprim17ROCPRIM_400000_NS6detail17trampoline_kernelINS0_14default_configENS1_20scan_config_selectorIN3c104HalfEEEZZNS1_9scan_implILNS1_25lookback_scan_determinismE0ELb0ELb0ES3_PKS6_PS6_S6_ZZZN2at6native31launch_logcumsumexp_cuda_kernelERKNSD_10TensorBaseESH_lENKUlvE_clEvENKUlvE3_clEvEUlS6_S6_E_S6_EEDaPvRmT3_T4_T5_mT6_P12ihipStream_tbENKUlT_T0_E_clISt17integral_constantIbLb0EESY_EEDaST_SU_EUlST_E_NS1_11comp_targetILNS1_3genE0ELNS1_11target_archE4294967295ELNS1_3gpuE0ELNS1_3repE0EEENS1_30default_config_static_selectorELNS0_4arch9wavefront6targetE1EEEvT1_
		.amdhsa_group_segment_fixed_size 0
		.amdhsa_private_segment_fixed_size 0
		.amdhsa_kernarg_size 96
		.amdhsa_user_sgpr_count 2
		.amdhsa_user_sgpr_dispatch_ptr 0
		.amdhsa_user_sgpr_queue_ptr 0
		.amdhsa_user_sgpr_kernarg_segment_ptr 1
		.amdhsa_user_sgpr_dispatch_id 0
		.amdhsa_user_sgpr_kernarg_preload_length 0
		.amdhsa_user_sgpr_kernarg_preload_offset 0
		.amdhsa_user_sgpr_private_segment_size 0
		.amdhsa_uses_dynamic_stack 0
		.amdhsa_enable_private_segment 0
		.amdhsa_system_sgpr_workgroup_id_x 1
		.amdhsa_system_sgpr_workgroup_id_y 0
		.amdhsa_system_sgpr_workgroup_id_z 0
		.amdhsa_system_sgpr_workgroup_info 0
		.amdhsa_system_vgpr_workitem_id 0
		.amdhsa_next_free_vgpr 1
		.amdhsa_next_free_sgpr 0
		.amdhsa_accum_offset 4
		.amdhsa_reserve_vcc 0
		.amdhsa_float_round_mode_32 0
		.amdhsa_float_round_mode_16_64 0
		.amdhsa_float_denorm_mode_32 3
		.amdhsa_float_denorm_mode_16_64 3
		.amdhsa_dx10_clamp 1
		.amdhsa_ieee_mode 1
		.amdhsa_fp16_overflow 0
		.amdhsa_tg_split 0
		.amdhsa_exception_fp_ieee_invalid_op 0
		.amdhsa_exception_fp_denorm_src 0
		.amdhsa_exception_fp_ieee_div_zero 0
		.amdhsa_exception_fp_ieee_overflow 0
		.amdhsa_exception_fp_ieee_underflow 0
		.amdhsa_exception_fp_ieee_inexact 0
		.amdhsa_exception_int_div_zero 0
	.end_amdhsa_kernel
	.section	.text._ZN7rocprim17ROCPRIM_400000_NS6detail17trampoline_kernelINS0_14default_configENS1_20scan_config_selectorIN3c104HalfEEEZZNS1_9scan_implILNS1_25lookback_scan_determinismE0ELb0ELb0ES3_PKS6_PS6_S6_ZZZN2at6native31launch_logcumsumexp_cuda_kernelERKNSD_10TensorBaseESH_lENKUlvE_clEvENKUlvE3_clEvEUlS6_S6_E_S6_EEDaPvRmT3_T4_T5_mT6_P12ihipStream_tbENKUlT_T0_E_clISt17integral_constantIbLb0EESY_EEDaST_SU_EUlST_E_NS1_11comp_targetILNS1_3genE0ELNS1_11target_archE4294967295ELNS1_3gpuE0ELNS1_3repE0EEENS1_30default_config_static_selectorELNS0_4arch9wavefront6targetE1EEEvT1_,"axG",@progbits,_ZN7rocprim17ROCPRIM_400000_NS6detail17trampoline_kernelINS0_14default_configENS1_20scan_config_selectorIN3c104HalfEEEZZNS1_9scan_implILNS1_25lookback_scan_determinismE0ELb0ELb0ES3_PKS6_PS6_S6_ZZZN2at6native31launch_logcumsumexp_cuda_kernelERKNSD_10TensorBaseESH_lENKUlvE_clEvENKUlvE3_clEvEUlS6_S6_E_S6_EEDaPvRmT3_T4_T5_mT6_P12ihipStream_tbENKUlT_T0_E_clISt17integral_constantIbLb0EESY_EEDaST_SU_EUlST_E_NS1_11comp_targetILNS1_3genE0ELNS1_11target_archE4294967295ELNS1_3gpuE0ELNS1_3repE0EEENS1_30default_config_static_selectorELNS0_4arch9wavefront6targetE1EEEvT1_,comdat
.Lfunc_end359:
	.size	_ZN7rocprim17ROCPRIM_400000_NS6detail17trampoline_kernelINS0_14default_configENS1_20scan_config_selectorIN3c104HalfEEEZZNS1_9scan_implILNS1_25lookback_scan_determinismE0ELb0ELb0ES3_PKS6_PS6_S6_ZZZN2at6native31launch_logcumsumexp_cuda_kernelERKNSD_10TensorBaseESH_lENKUlvE_clEvENKUlvE3_clEvEUlS6_S6_E_S6_EEDaPvRmT3_T4_T5_mT6_P12ihipStream_tbENKUlT_T0_E_clISt17integral_constantIbLb0EESY_EEDaST_SU_EUlST_E_NS1_11comp_targetILNS1_3genE0ELNS1_11target_archE4294967295ELNS1_3gpuE0ELNS1_3repE0EEENS1_30default_config_static_selectorELNS0_4arch9wavefront6targetE1EEEvT1_, .Lfunc_end359-_ZN7rocprim17ROCPRIM_400000_NS6detail17trampoline_kernelINS0_14default_configENS1_20scan_config_selectorIN3c104HalfEEEZZNS1_9scan_implILNS1_25lookback_scan_determinismE0ELb0ELb0ES3_PKS6_PS6_S6_ZZZN2at6native31launch_logcumsumexp_cuda_kernelERKNSD_10TensorBaseESH_lENKUlvE_clEvENKUlvE3_clEvEUlS6_S6_E_S6_EEDaPvRmT3_T4_T5_mT6_P12ihipStream_tbENKUlT_T0_E_clISt17integral_constantIbLb0EESY_EEDaST_SU_EUlST_E_NS1_11comp_targetILNS1_3genE0ELNS1_11target_archE4294967295ELNS1_3gpuE0ELNS1_3repE0EEENS1_30default_config_static_selectorELNS0_4arch9wavefront6targetE1EEEvT1_
                                        ; -- End function
	.section	.AMDGPU.csdata,"",@progbits
; Kernel info:
; codeLenInByte = 0
; NumSgprs: 6
; NumVgprs: 0
; NumAgprs: 0
; TotalNumVgprs: 0
; ScratchSize: 0
; MemoryBound: 0
; FloatMode: 240
; IeeeMode: 1
; LDSByteSize: 0 bytes/workgroup (compile time only)
; SGPRBlocks: 0
; VGPRBlocks: 0
; NumSGPRsForWavesPerEU: 6
; NumVGPRsForWavesPerEU: 1
; AccumOffset: 4
; Occupancy: 8
; WaveLimiterHint : 0
; COMPUTE_PGM_RSRC2:SCRATCH_EN: 0
; COMPUTE_PGM_RSRC2:USER_SGPR: 2
; COMPUTE_PGM_RSRC2:TRAP_HANDLER: 0
; COMPUTE_PGM_RSRC2:TGID_X_EN: 1
; COMPUTE_PGM_RSRC2:TGID_Y_EN: 0
; COMPUTE_PGM_RSRC2:TGID_Z_EN: 0
; COMPUTE_PGM_RSRC2:TIDIG_COMP_CNT: 0
; COMPUTE_PGM_RSRC3_GFX90A:ACCUM_OFFSET: 0
; COMPUTE_PGM_RSRC3_GFX90A:TG_SPLIT: 0
	.text
	.p2align	2                               ; -- Begin function _ZZZN7rocprim17ROCPRIM_400000_NS6detail9scan_implILNS1_25lookback_scan_determinismE0ELb0ELb0ENS0_14default_configEPKN3c104HalfEPS6_S6_ZZZN2at6native31launch_logcumsumexp_cuda_kernelERKNSA_10TensorBaseESE_lENKUlvE_clEvENKUlvE3_clEvEUlS6_S6_E_S6_EEDaPvRmT3_T4_T5_mT6_P12ihipStream_tbENKUlT_T0_E_clISt17integral_constantIbLb0EESV_EEDaSQ_SR_ENKUlSQ_E_clINS1_13target_configIS4_NS1_20scan_config_selectorIS6_EENS1_11comp_targetILNS1_3genE5ELNS1_11target_archE942ELNS1_3gpuE9ELNS1_3repE0EEELNS0_4arch9wavefront6targetE1EEEEEDaSQ_
	.type	_ZZZN7rocprim17ROCPRIM_400000_NS6detail9scan_implILNS1_25lookback_scan_determinismE0ELb0ELb0ENS0_14default_configEPKN3c104HalfEPS6_S6_ZZZN2at6native31launch_logcumsumexp_cuda_kernelERKNSA_10TensorBaseESE_lENKUlvE_clEvENKUlvE3_clEvEUlS6_S6_E_S6_EEDaPvRmT3_T4_T5_mT6_P12ihipStream_tbENKUlT_T0_E_clISt17integral_constantIbLb0EESV_EEDaSQ_SR_ENKUlSQ_E_clINS1_13target_configIS4_NS1_20scan_config_selectorIS6_EENS1_11comp_targetILNS1_3genE5ELNS1_11target_archE942ELNS1_3gpuE9ELNS1_3repE0EEELNS0_4arch9wavefront6targetE1EEEEEDaSQ_,@function
_ZZZN7rocprim17ROCPRIM_400000_NS6detail9scan_implILNS1_25lookback_scan_determinismE0ELb0ELb0ENS0_14default_configEPKN3c104HalfEPS6_S6_ZZZN2at6native31launch_logcumsumexp_cuda_kernelERKNSA_10TensorBaseESE_lENKUlvE_clEvENKUlvE3_clEvEUlS6_S6_E_S6_EEDaPvRmT3_T4_T5_mT6_P12ihipStream_tbENKUlT_T0_E_clISt17integral_constantIbLb0EESV_EEDaSQ_SR_ENKUlSQ_E_clINS1_13target_configIS4_NS1_20scan_config_selectorIS6_EENS1_11comp_targetILNS1_3genE5ELNS1_11target_archE942ELNS1_3gpuE9ELNS1_3repE0EEELNS0_4arch9wavefront6targetE1EEEEEDaSQ_: ; @_ZZZN7rocprim17ROCPRIM_400000_NS6detail9scan_implILNS1_25lookback_scan_determinismE0ELb0ELb0ENS0_14default_configEPKN3c104HalfEPS6_S6_ZZZN2at6native31launch_logcumsumexp_cuda_kernelERKNSA_10TensorBaseESE_lENKUlvE_clEvENKUlvE3_clEvEUlS6_S6_E_S6_EEDaPvRmT3_T4_T5_mT6_P12ihipStream_tbENKUlT_T0_E_clISt17integral_constantIbLb0EESV_EEDaSQ_SR_ENKUlSQ_E_clINS1_13target_configIS4_NS1_20scan_config_selectorIS6_EENS1_11comp_targetILNS1_3genE5ELNS1_11target_archE942ELNS1_3gpuE9ELNS1_3repE0EEELNS0_4arch9wavefront6targetE1EEEEEDaSQ_
; %bb.0:
	s_waitcnt vmcnt(0) expcnt(0) lgkmcnt(0)
	s_or_saveexec_b64 s[0:1], -1
	scratch_store_dword off, v40, s32       ; 4-byte Folded Spill
	s_mov_b64 exec, s[0:1]
	v_writelane_b32 v40, s30, 0
	s_nop 1
	v_writelane_b32 v40, s31, 1
	flat_load_dwordx4 v[10:13], v[0:1]
	flat_load_dwordx3 v[28:30], v[0:1] offset:40
	flat_load_dwordx4 v[14:17], v[0:1] offset:16
	flat_load_dwordx4 v[2:5], v[0:1] offset:56
	;; [unrolled: 1-line block ×3, first 2 shown]
	s_movk_i32 s0, 0x1800
	s_mov_b32 s59, 0
	v_and_b32_e32 v0, 0x3ff, v31
	s_mul_i32 s58, s12, 0x1800
	s_waitcnt vmcnt(0) lgkmcnt(0)
	v_lshl_add_u64 v[10:11], v[12:13], 1, v[10:11]
	v_add_u32_e32 v1, -1, v30
	v_mul_lo_u32 v20, v1, s0
	v_sub_co_u32_e32 v30, vcc, v16, v20
	v_cmp_ne_u32_e64 s[0:1], s12, v1
	v_lshl_add_u64 v[18:19], s[58:59], 1, v[10:11]
	v_subbrev_co_u32_e32 v31, vcc, 0, v17, vcc
	v_lshlrev_b32_e32 v10, 1, v0
	s_and_saveexec_b64 s[2:3], s[0:1]
	s_xor_b64 s[2:3], exec, s[2:3]
	s_cbranch_execz .LBB360_2
; %bb.1:
	v_mov_b32_e32 v11, 0
	v_lshl_add_u64 v[16:17], v[18:19], 0, v[10:11]
	v_add_co_u32_e32 v18, vcc, 0x1000, v16
	flat_load_ushort v1, v[16:17]
	flat_load_ushort v11, v[16:17] offset:512
	flat_load_ushort v20, v[16:17] offset:1024
	;; [unrolled: 1-line block ×7, first 2 shown]
	v_addc_co_u32_e32 v19, vcc, 0, v17, vcc
	v_add_co_u32_e32 v16, vcc, 0x2000, v16
	flat_load_ushort v26, v[18:19]
	flat_load_ushort v27, v[18:19] offset:512
	flat_load_ushort v32, v[18:19] offset:1024
	;; [unrolled: 1-line block ×7, first 2 shown]
	v_addc_co_u32_e32 v17, vcc, 0, v17, vcc
	flat_load_ushort v18, v[16:17]
	flat_load_ushort v19, v[16:17] offset:512
	flat_load_ushort v38, v[16:17] offset:1024
	;; [unrolled: 1-line block ×7, first 2 shown]
	s_waitcnt vmcnt(0) lgkmcnt(0)
	ds_write_b16 v10, v1
	ds_write_b16 v10, v11 offset:512
	ds_write_b16 v10, v20 offset:1024
	;; [unrolled: 1-line block ×23, first 2 shown]
	s_waitcnt lgkmcnt(0)
	s_barrier
                                        ; implicit-def: $vgpr18_vgpr19
.LBB360_2:
	s_andn2_saveexec_b64 s[2:3], s[2:3]
	s_cbranch_execz .LBB360_52
; %bb.3:
	flat_load_ushort v1, v[18:19]
	v_cmp_lt_u32_e32 vcc, v0, v30
	s_waitcnt vmcnt(0) lgkmcnt(0)
	v_mov_b32_e32 v16, v1
	s_and_saveexec_b64 s[4:5], vcc
	s_cbranch_execz .LBB360_5
; %bb.4:
	v_mov_b32_e32 v11, 0
	v_lshl_add_u64 v[16:17], v[18:19], 0, v[10:11]
	flat_load_ushort v16, v[16:17]
.LBB360_5:
	s_or_b64 exec, exec, s[4:5]
	v_add_u32_e32 v11, 0x100, v0
	v_cmp_lt_u32_e32 vcc, v11, v30
	v_mov_b32_e32 v17, v1
	s_and_saveexec_b64 s[4:5], vcc
	s_cbranch_execz .LBB360_7
; %bb.6:
	v_mov_b32_e32 v11, 0
	v_lshl_add_u64 v[20:21], v[18:19], 0, v[10:11]
	flat_load_ushort v17, v[20:21] offset:512
.LBB360_7:
	s_or_b64 exec, exec, s[4:5]
	v_add_u32_e32 v11, 0x200, v0
	v_cmp_lt_u32_e32 vcc, v11, v30
	v_mov_b32_e32 v20, v1
	s_and_saveexec_b64 s[4:5], vcc
	s_cbranch_execz .LBB360_9
; %bb.8:
	v_mov_b32_e32 v11, 0
	v_lshl_add_u64 v[20:21], v[18:19], 0, v[10:11]
	flat_load_ushort v20, v[20:21] offset:1024
.LBB360_9:
	;; [unrolled: 11-line block ×3, first 2 shown]
	s_or_b64 exec, exec, s[4:5]
	v_or_b32_e32 v11, 0x400, v0
	v_cmp_lt_u32_e32 vcc, v11, v30
	v_mov_b32_e32 v22, v1
	s_and_saveexec_b64 s[4:5], vcc
	s_cbranch_execz .LBB360_13
; %bb.12:
	v_mov_b32_e32 v11, 0
	v_lshl_add_u64 v[22:23], v[18:19], 0, v[10:11]
	flat_load_ushort v22, v[22:23] offset:2048
.LBB360_13:
	s_or_b64 exec, exec, s[4:5]
	v_add_u32_e32 v11, 0x500, v0
	v_cmp_lt_u32_e32 vcc, v11, v30
	v_mov_b32_e32 v23, v1
	s_and_saveexec_b64 s[4:5], vcc
	s_cbranch_execz .LBB360_15
; %bb.14:
	v_mov_b32_e32 v11, 0
	v_lshl_add_u64 v[24:25], v[18:19], 0, v[10:11]
	flat_load_ushort v23, v[24:25] offset:2560
.LBB360_15:
	s_or_b64 exec, exec, s[4:5]
	v_add_u32_e32 v11, 0x600, v0
	;; [unrolled: 11-line block ×3, first 2 shown]
	v_cmp_lt_u32_e32 vcc, v11, v30
	v_mov_b32_e32 v11, v1
	s_and_saveexec_b64 s[4:5], vcc
	s_cbranch_execz .LBB360_19
; %bb.18:
	v_mov_b32_e32 v11, 0
	v_lshl_add_u64 v[26:27], v[18:19], 0, v[10:11]
	flat_load_ushort v11, v[26:27] offset:3584
.LBB360_19:
	s_or_b64 exec, exec, s[4:5]
	v_or_b32_e32 v26, 0x800, v0
	v_cmp_lt_u32_e32 vcc, v26, v30
	v_mov_b32_e32 v25, v1
	s_and_saveexec_b64 s[4:5], vcc
	s_cbranch_execz .LBB360_21
; %bb.20:
	v_lshlrev_b32_e32 v26, 1, v26
	v_mov_b32_e32 v27, 0
	v_lshl_add_u64 v[26:27], v[18:19], 0, v[26:27]
	flat_load_ushort v25, v[26:27]
.LBB360_21:
	s_or_b64 exec, exec, s[4:5]
	v_add_u32_e32 v27, 0x900, v0
	v_cmp_lt_u32_e32 vcc, v27, v30
	v_mov_b32_e32 v26, v1
	s_and_saveexec_b64 s[4:5], vcc
	s_cbranch_execz .LBB360_23
; %bb.22:
	v_lshlrev_b32_e32 v26, 1, v27
	v_mov_b32_e32 v27, 0
	v_lshl_add_u64 v[26:27], v[18:19], 0, v[26:27]
	flat_load_ushort v26, v[26:27]
.LBB360_23:
	s_or_b64 exec, exec, s[4:5]
	v_add_u32_e32 v32, 0xa00, v0
	v_cmp_lt_u32_e32 vcc, v32, v30
	v_mov_b32_e32 v27, v1
	s_and_saveexec_b64 s[4:5], vcc
	s_cbranch_execz .LBB360_25
; %bb.24:
	v_lshlrev_b32_e32 v32, 1, v32
	v_mov_b32_e32 v33, 0
	v_lshl_add_u64 v[32:33], v[18:19], 0, v[32:33]
	flat_load_ushort v27, v[32:33]
.LBB360_25:
	s_or_b64 exec, exec, s[4:5]
	v_add_u32_e32 v33, 0xb00, v0
	v_cmp_lt_u32_e32 vcc, v33, v30
	v_mov_b32_e32 v32, v1
	s_and_saveexec_b64 s[4:5], vcc
	s_cbranch_execz .LBB360_27
; %bb.26:
	v_lshlrev_b32_e32 v32, 1, v33
	v_mov_b32_e32 v33, 0
	v_lshl_add_u64 v[32:33], v[18:19], 0, v[32:33]
	flat_load_ushort v32, v[32:33]
.LBB360_27:
	s_or_b64 exec, exec, s[4:5]
	v_or_b32_e32 v34, 0xc00, v0
	v_cmp_lt_u32_e32 vcc, v34, v30
	v_mov_b32_e32 v33, v1
	s_and_saveexec_b64 s[4:5], vcc
	s_cbranch_execz .LBB360_29
; %bb.28:
	v_lshlrev_b32_e32 v34, 1, v34
	v_mov_b32_e32 v35, 0
	v_lshl_add_u64 v[34:35], v[18:19], 0, v[34:35]
	flat_load_ushort v33, v[34:35]
.LBB360_29:
	s_or_b64 exec, exec, s[4:5]
	v_add_u32_e32 v35, 0xd00, v0
	v_cmp_lt_u32_e32 vcc, v35, v30
	v_mov_b32_e32 v34, v1
	s_and_saveexec_b64 s[4:5], vcc
	s_cbranch_execz .LBB360_31
; %bb.30:
	v_lshlrev_b32_e32 v34, 1, v35
	v_mov_b32_e32 v35, 0
	v_lshl_add_u64 v[34:35], v[18:19], 0, v[34:35]
	flat_load_ushort v34, v[34:35]
.LBB360_31:
	s_or_b64 exec, exec, s[4:5]
	v_add_u32_e32 v36, 0xe00, v0
	v_cmp_lt_u32_e32 vcc, v36, v30
	v_mov_b32_e32 v35, v1
	s_and_saveexec_b64 s[4:5], vcc
	s_cbranch_execz .LBB360_33
; %bb.32:
	v_lshlrev_b32_e32 v36, 1, v36
	v_mov_b32_e32 v37, 0
	v_lshl_add_u64 v[36:37], v[18:19], 0, v[36:37]
	flat_load_ushort v35, v[36:37]
.LBB360_33:
	s_or_b64 exec, exec, s[4:5]
	v_add_u32_e32 v37, 0xf00, v0
	v_cmp_lt_u32_e32 vcc, v37, v30
	v_mov_b32_e32 v36, v1
	s_and_saveexec_b64 s[4:5], vcc
	s_cbranch_execz .LBB360_35
; %bb.34:
	v_lshlrev_b32_e32 v36, 1, v37
	v_mov_b32_e32 v37, 0
	v_lshl_add_u64 v[36:37], v[18:19], 0, v[36:37]
	flat_load_ushort v36, v[36:37]
.LBB360_35:
	;; [unrolled: 48-line block ×3, first 2 shown]
	s_or_b64 exec, exec, s[4:5]
	v_or_b32_e32 v50, 0x1400, v0
	v_cmp_lt_u32_e32 vcc, v50, v30
	v_mov_b32_e32 v49, v1
	s_and_saveexec_b64 s[4:5], vcc
	s_cbranch_execz .LBB360_45
; %bb.44:
	v_lshlrev_b32_e32 v50, 1, v50
	v_mov_b32_e32 v51, 0
	v_lshl_add_u64 v[50:51], v[18:19], 0, v[50:51]
	flat_load_ushort v49, v[50:51]
.LBB360_45:
	s_or_b64 exec, exec, s[4:5]
	v_add_u32_e32 v51, 0x1500, v0
	v_cmp_lt_u32_e32 vcc, v51, v30
	v_mov_b32_e32 v50, v1
	s_and_saveexec_b64 s[4:5], vcc
	s_cbranch_execz .LBB360_47
; %bb.46:
	v_lshlrev_b32_e32 v50, 1, v51
	v_mov_b32_e32 v51, 0
	v_lshl_add_u64 v[50:51], v[18:19], 0, v[50:51]
	flat_load_ushort v50, v[50:51]
.LBB360_47:
	s_or_b64 exec, exec, s[4:5]
	v_add_u32_e32 v52, 0x1600, v0
	;; [unrolled: 12-line block ×3, first 2 shown]
	v_cmp_lt_u32_e32 vcc, v52, v30
	s_and_saveexec_b64 s[4:5], vcc
	s_cbranch_execz .LBB360_51
; %bb.50:
	v_lshlrev_b32_e32 v52, 1, v52
	v_mov_b32_e32 v53, 0
	v_lshl_add_u64 v[18:19], v[18:19], 0, v[52:53]
	flat_load_ushort v1, v[18:19]
.LBB360_51:
	s_or_b64 exec, exec, s[4:5]
	s_waitcnt vmcnt(0) lgkmcnt(0)
	ds_write_b16 v10, v16
	ds_write_b16 v10, v17 offset:512
	ds_write_b16 v10, v20 offset:1024
	;; [unrolled: 1-line block ×23, first 2 shown]
	s_waitcnt lgkmcnt(0)
	s_barrier
.LBB360_52:
	s_or_b64 exec, exec, s[2:3]
	v_mul_u32_u24_e32 v48, 24, v0
	v_lshlrev_b32_e32 v1, 1, v48
	ds_read_b128 v[24:27], v1
	ds_read_b128 v[20:23], v1 offset:16
	ds_read_b128 v[16:19], v1 offset:32
	s_cmp_lg_u32 s12, 0
	s_waitcnt lgkmcnt(0)
	v_cvt_f32_f16_sdwa v11, v24 dst_sel:DWORD dst_unused:UNUSED_PAD src0_sel:WORD_1
	v_cmp_u_f16_sdwa s[2:3], v24, v24 src0_sel:WORD_1 src1_sel:WORD_1
	s_barrier
	s_cbranch_scc0 .LBB360_263
; %bb.53:
	v_cvt_f32_f16_e32 v87, v24
	v_cmp_u_f16_e64 s[50:51], v24, v24
	s_movk_i32 s6, 0x1f8
	v_min_f32_e32 v32, v87, v11
	v_max_f32_e32 v33, v87, v11
	v_cndmask_b32_e64 v32, v32, v87, s[50:51]
	v_cndmask_b32_e64 v33, v33, v87, s[50:51]
	;; [unrolled: 1-line block ×4, first 2 shown]
	v_cmp_neq_f32_e32 vcc, v36, v35
	v_cmp_class_f32_e64 s[4:5], v36, s6
	s_or_b64 s[8:9], vcc, s[4:5]
	v_mov_b32_e32 v34, v87
	v_mov_b32_e32 v33, v24
	;; [unrolled: 1-line block ×3, first 2 shown]
	s_and_saveexec_b64 s[4:5], s[8:9]
	s_cbranch_execz .LBB360_55
; %bb.54:
	v_sub_f32_e32 v32, v36, v35
	s_mov_b32 s7, 0x3fb8aa3b
	v_mul_f32_e32 v33, 0x3fb8aa3b, v32
	v_fma_f32 v34, v32, s7, -v33
	v_rndne_f32_e32 v36, v33
	v_fmamk_f32 v34, v32, 0x32a5705f, v34
	v_sub_f32_e32 v33, v33, v36
	v_add_f32_e32 v33, v33, v34
	v_exp_f32_e32 v33, v33
	v_cvt_i32_f32_e32 v34, v36
	s_mov_b32 s7, 0xc2ce8ed0
	v_cmp_ngt_f32_e32 vcc, s7, v32
	s_mov_b32 s7, 0x42b17218
	v_ldexp_f32 v33, v33, v34
	v_cndmask_b32_e32 v33, 0, v33, vcc
	v_mov_b32_e32 v34, 0x7f800000
	v_cmp_nlt_f32_e32 vcc, s7, v32
	s_mov_b32 s7, 0x3f2aaaab
	s_mov_b32 s8, 0x7f800000
	v_cndmask_b32_e32 v49, v34, v33, vcc
	v_add_f32_e32 v34, 1.0, v49
	v_add_f32_e32 v32, -1.0, v34
	v_sub_f32_e32 v33, v32, v34
	v_add_f32_e32 v33, 1.0, v33
	v_sub_f32_e32 v32, v49, v32
	v_add_f32_e32 v36, v32, v33
	v_frexp_mant_f32_e32 v37, v34
	v_cvt_f64_f32_e32 v[32:33], v34
	v_frexp_exp_i32_f64_e32 v32, v[32:33]
	v_cmp_gt_f32_e32 vcc, s7, v37
	s_mov_b32 s7, 0x3f317218
	s_nop 0
	v_subbrev_co_u32_e32 v52, vcc, 0, v32, vcc
	v_sub_u32_e32 v32, 0, v52
	v_ldexp_f32 v33, v34, v32
	v_add_f32_e32 v34, -1.0, v33
	v_add_f32_e32 v37, 1.0, v33
	v_ldexp_f32 v32, v36, v32
	v_add_f32_e32 v36, 1.0, v34
	v_add_f32_e32 v38, -1.0, v37
	v_sub_f32_e32 v36, v33, v36
	v_sub_f32_e32 v33, v33, v38
	v_add_f32_e32 v36, v32, v36
	v_add_f32_e32 v32, v32, v33
	;; [unrolled: 1-line block ×3, first 2 shown]
	v_rcp_f32_e32 v55, v53
	v_sub_f32_e32 v33, v37, v53
	v_add_f32_e32 v54, v32, v33
	v_add_f32_e32 v33, v34, v36
	v_sub_f32_e32 v32, v34, v33
	v_mul_f32_e32 v64, v33, v55
	v_add_f32_e32 v34, v36, v32
	v_mul_f32_e32 v36, v53, v64
	v_fma_f32 v38, v64, v53, -v36
	v_fmac_f32_e32 v38, v64, v54
	v_add_f32_e32 v32, v36, v38
	v_sub_f32_e32 v37, v33, v32
	v_pk_add_f32 v[50:51], v[32:33], v[36:37] neg_lo:[0,1] neg_hi:[0,1]
	v_mov_b32_e32 v39, v32
	v_pk_add_f32 v[32:33], v[50:51], v[38:39] neg_lo:[0,1] neg_hi:[0,1]
	v_cmp_eq_f32_e32 vcc, s8, v49
	v_add_f32_e32 v33, v34, v33
	v_add_f32_e32 v32, v32, v33
	;; [unrolled: 1-line block ×3, first 2 shown]
	v_mul_f32_e32 v34, v55, v33
	v_mul_f32_e32 v36, v53, v34
	v_fma_f32 v38, v34, v53, -v36
	v_fmac_f32_e32 v38, v34, v54
	v_sub_f32_e32 v37, v37, v33
	v_add_f32_e32 v53, v32, v37
	v_add_f32_e32 v32, v36, v38
	v_sub_f32_e32 v37, v33, v32
	v_pk_add_f32 v[50:51], v[32:33], v[36:37] neg_lo:[0,1] neg_hi:[0,1]
	v_mov_b32_e32 v39, v32
	v_pk_add_f32 v[32:33], v[50:51], v[38:39] neg_lo:[0,1] neg_hi:[0,1]
	v_cvt_f32_i32_e32 v36, v52
	v_add_f32_e32 v33, v53, v33
	v_add_f32_e32 v32, v32, v33
	;; [unrolled: 1-line block ×4, first 2 shown]
	v_sub_f32_e32 v33, v37, v64
	v_mul_f32_e32 v32, v55, v32
	v_sub_f32_e32 v33, v34, v33
	v_add_f32_e32 v32, v33, v32
	v_add_f32_e32 v34, v37, v32
	v_mul_f32_e32 v38, v34, v34
	v_mov_b32_e32 v33, 0x3ecc95a3
	v_sub_f32_e32 v37, v34, v37
	v_fmac_f32_e32 v33, 0x3e9b6dac, v38
	v_sub_f32_e32 v32, v32, v37
	v_fmaak_f32 v33, v38, v33, 0x3f2aaada
	v_ldexp_f32 v50, v32, 1
	v_mul_f32_e32 v37, v34, v38
	v_mov_b32_e32 v32, 0x3f317218
	v_pk_mul_f32 v[32:33], v[36:37], v[32:33]
	v_ldexp_f32 v39, v34, 1
	v_fma_f32 v34, v36, s7, -v32
	v_fmamk_f32 v38, v36, 0xb102e308, v34
	v_pk_add_f32 v[36:37], v[32:33], v[38:39]
	s_mov_b32 s7, 0x33800000
	v_sub_f32_e32 v34, v37, v39
	v_sub_f32_e32 v34, v33, v34
	v_add_f32_e32 v51, v50, v34
	v_mov_b32_e32 v50, v32
	v_pk_add_f32 v[32:33], v[36:37], v[32:33] neg_lo:[0,1] neg_hi:[0,1]
	v_pk_add_f32 v[52:53], v[36:37], v[50:51]
	v_mov_b32_e32 v39, v36
	v_mov_b32_e32 v33, v53
	v_pk_add_f32 v[54:55], v[38:39], v[32:33] neg_lo:[0,1] neg_hi:[0,1]
	v_pk_add_f32 v[32:33], v[38:39], v[32:33]
	v_cmp_lt_f32_e64 s[8:9], |v49|, s7
	v_mov_b32_e32 v34, v33
	v_pk_add_f32 v[38:39], v[34:35], v[36:37] neg_lo:[0,1] neg_hi:[0,1]
	v_mov_b32_e32 v32, v53
	v_mov_b32_e32 v39, v38
	v_pk_add_f32 v[64:65], v[52:53], v[38:39] neg_lo:[0,1] neg_hi:[0,1]
	v_mov_b32_e32 v52, v37
	v_mov_b32_e32 v53, v38
	;; [unrolled: 1-line block ×3, first 2 shown]
	v_pk_add_f32 v[32:33], v[32:33], v[52:53] neg_lo:[0,1] neg_hi:[0,1]
	v_mov_b32_e32 v38, v51
	v_mov_b32_e32 v39, v36
	v_pk_add_f32 v[32:33], v[38:39], v[32:33] neg_lo:[0,1] neg_hi:[0,1]
	v_mov_b32_e32 v64, v54
	v_pk_add_f32 v[36:37], v[64:65], v[32:33]
	s_or_b64 vcc, vcc, s[8:9]
	v_mov_b32_e32 v38, v37
	v_pk_add_f32 v[38:39], v[36:37], v[38:39]
	s_nop 0
	v_pk_add_f32 v[50:51], v[34:35], v[38:39]
	v_mov_b32_e32 v33, v38
	v_mov_b32_e32 v37, v50
	v_pk_add_f32 v[52:53], v[36:37], v[54:55] neg_lo:[0,1] neg_hi:[0,1]
	s_nop 0
	v_sub_f32_e32 v34, v36, v52
	v_pk_add_f32 v[32:33], v[32:33], v[52:53] neg_lo:[0,1] neg_hi:[0,1]
	v_sub_f32_e32 v34, v54, v34
	v_add_f32_e32 v32, v32, v34
	v_add_f32_e32 v32, v32, v33
	v_add_f32_e32 v32, v50, v32
	v_cndmask_b32_e32 v32, v32, v49, vcc
	v_add_f32_e32 v32, v35, v32
	v_cvt_f16_f32_e32 v33, v32
	v_cvt_f32_f16_e32 v34, v33
	v_mov_b32_e32 v32, v33
.LBB360_55:
	s_or_b64 exec, exec, s[4:5]
	v_cvt_f32_f16_e32 v49, v25
	v_max_f32_e32 v35, v34, v34
	v_cmp_u_f16_e32 vcc, v33, v33
	v_cmp_u_f16_e64 s[4:5], v25, v25
	v_min_f32_e32 v36, v35, v49
	v_max_f32_e32 v35, v35, v49
	v_cndmask_b32_e32 v36, v36, v34, vcc
	v_cndmask_b32_e32 v35, v35, v34, vcc
	v_cndmask_b32_e64 v36, v36, v49, s[4:5]
	v_cndmask_b32_e64 v35, v35, v49, s[4:5]
	v_cmp_neq_f32_e32 vcc, v36, v35
	v_cmp_class_f32_e64 s[6:7], v36, s6
	s_or_b64 s[8:9], vcc, s[6:7]
	s_and_saveexec_b64 s[6:7], s[8:9]
	s_cbranch_execz .LBB360_57
; %bb.56:
	v_sub_f32_e32 v32, v36, v35
	s_mov_b32 s8, 0x3fb8aa3b
	v_mul_f32_e32 v33, 0x3fb8aa3b, v32
	v_fma_f32 v34, v32, s8, -v33
	v_rndne_f32_e32 v36, v33
	v_fmamk_f32 v34, v32, 0x32a5705f, v34
	v_sub_f32_e32 v33, v33, v36
	v_add_f32_e32 v33, v33, v34
	v_exp_f32_e32 v33, v33
	v_cvt_i32_f32_e32 v34, v36
	s_mov_b32 s8, 0xc2ce8ed0
	v_cmp_ngt_f32_e32 vcc, s8, v32
	s_mov_b32 s8, 0x42b17218
	v_ldexp_f32 v33, v33, v34
	v_cndmask_b32_e32 v33, 0, v33, vcc
	v_mov_b32_e32 v34, 0x7f800000
	v_cmp_nlt_f32_e32 vcc, s8, v32
	s_mov_b32 s8, 0x3f2aaaab
	s_mov_b32 s9, 0x7f800000
	v_cndmask_b32_e32 v66, v34, v33, vcc
	v_add_f32_e32 v34, 1.0, v66
	v_add_f32_e32 v32, -1.0, v34
	v_sub_f32_e32 v33, v32, v34
	v_add_f32_e32 v33, 1.0, v33
	v_sub_f32_e32 v32, v66, v32
	v_add_f32_e32 v36, v32, v33
	v_frexp_mant_f32_e32 v37, v34
	v_cvt_f64_f32_e32 v[32:33], v34
	v_frexp_exp_i32_f64_e32 v32, v[32:33]
	v_cmp_gt_f32_e32 vcc, s8, v37
	s_mov_b32 s8, 0x3f317218
	s_nop 0
	v_subbrev_co_u32_e32 v52, vcc, 0, v32, vcc
	v_sub_u32_e32 v32, 0, v52
	v_ldexp_f32 v33, v34, v32
	v_add_f32_e32 v34, -1.0, v33
	v_add_f32_e32 v37, 1.0, v33
	v_ldexp_f32 v32, v36, v32
	v_add_f32_e32 v36, 1.0, v34
	v_add_f32_e32 v38, -1.0, v37
	v_sub_f32_e32 v36, v33, v36
	v_sub_f32_e32 v33, v33, v38
	v_add_f32_e32 v36, v32, v36
	v_add_f32_e32 v32, v32, v33
	;; [unrolled: 1-line block ×3, first 2 shown]
	v_rcp_f32_e32 v55, v53
	v_sub_f32_e32 v33, v37, v53
	v_add_f32_e32 v54, v32, v33
	v_add_f32_e32 v33, v34, v36
	v_sub_f32_e32 v32, v34, v33
	v_mul_f32_e32 v64, v33, v55
	v_add_f32_e32 v34, v36, v32
	v_mul_f32_e32 v36, v53, v64
	v_fma_f32 v38, v64, v53, -v36
	v_fmac_f32_e32 v38, v64, v54
	v_add_f32_e32 v32, v36, v38
	v_sub_f32_e32 v37, v33, v32
	v_pk_add_f32 v[50:51], v[32:33], v[36:37] neg_lo:[0,1] neg_hi:[0,1]
	v_mov_b32_e32 v39, v32
	v_pk_add_f32 v[32:33], v[50:51], v[38:39] neg_lo:[0,1] neg_hi:[0,1]
	v_cmp_eq_f32_e32 vcc, s9, v66
	v_add_f32_e32 v33, v34, v33
	v_add_f32_e32 v32, v32, v33
	;; [unrolled: 1-line block ×3, first 2 shown]
	v_mul_f32_e32 v34, v55, v33
	v_mul_f32_e32 v36, v53, v34
	v_fma_f32 v38, v34, v53, -v36
	v_fmac_f32_e32 v38, v34, v54
	v_sub_f32_e32 v37, v37, v33
	v_add_f32_e32 v53, v32, v37
	v_add_f32_e32 v32, v36, v38
	v_sub_f32_e32 v37, v33, v32
	v_pk_add_f32 v[50:51], v[32:33], v[36:37] neg_lo:[0,1] neg_hi:[0,1]
	v_mov_b32_e32 v39, v32
	v_pk_add_f32 v[32:33], v[50:51], v[38:39] neg_lo:[0,1] neg_hi:[0,1]
	v_cvt_f32_i32_e32 v36, v52
	v_add_f32_e32 v33, v53, v33
	v_add_f32_e32 v32, v32, v33
	;; [unrolled: 1-line block ×4, first 2 shown]
	v_sub_f32_e32 v33, v37, v64
	v_mul_f32_e32 v32, v55, v32
	v_sub_f32_e32 v33, v34, v33
	v_add_f32_e32 v32, v33, v32
	v_add_f32_e32 v34, v37, v32
	v_mul_f32_e32 v38, v34, v34
	v_mov_b32_e32 v33, 0x3ecc95a3
	v_sub_f32_e32 v37, v34, v37
	v_fmac_f32_e32 v33, 0x3e9b6dac, v38
	v_sub_f32_e32 v32, v32, v37
	v_fmaak_f32 v33, v38, v33, 0x3f2aaada
	v_ldexp_f32 v50, v32, 1
	v_mul_f32_e32 v37, v34, v38
	v_mov_b32_e32 v32, 0x3f317218
	v_pk_mul_f32 v[32:33], v[36:37], v[32:33]
	v_ldexp_f32 v39, v34, 1
	v_fma_f32 v34, v36, s8, -v32
	v_fmamk_f32 v38, v36, 0xb102e308, v34
	v_pk_add_f32 v[36:37], v[32:33], v[38:39]
	s_mov_b32 s8, 0x33800000
	v_sub_f32_e32 v34, v37, v39
	v_sub_f32_e32 v34, v33, v34
	v_add_f32_e32 v51, v50, v34
	v_mov_b32_e32 v50, v32
	v_pk_add_f32 v[32:33], v[36:37], v[32:33] neg_lo:[0,1] neg_hi:[0,1]
	v_pk_add_f32 v[52:53], v[36:37], v[50:51]
	v_mov_b32_e32 v39, v36
	v_mov_b32_e32 v33, v53
	v_pk_add_f32 v[54:55], v[38:39], v[32:33] neg_lo:[0,1] neg_hi:[0,1]
	v_pk_add_f32 v[32:33], v[38:39], v[32:33]
	v_cmp_lt_f32_e64 s[8:9], |v66|, s8
	v_mov_b32_e32 v34, v33
	v_pk_add_f32 v[38:39], v[34:35], v[36:37] neg_lo:[0,1] neg_hi:[0,1]
	v_mov_b32_e32 v32, v53
	v_mov_b32_e32 v39, v38
	v_pk_add_f32 v[64:65], v[52:53], v[38:39] neg_lo:[0,1] neg_hi:[0,1]
	v_mov_b32_e32 v52, v37
	v_mov_b32_e32 v53, v38
	;; [unrolled: 1-line block ×3, first 2 shown]
	v_pk_add_f32 v[32:33], v[32:33], v[52:53] neg_lo:[0,1] neg_hi:[0,1]
	v_mov_b32_e32 v38, v51
	v_mov_b32_e32 v39, v36
	v_pk_add_f32 v[32:33], v[38:39], v[32:33] neg_lo:[0,1] neg_hi:[0,1]
	v_mov_b32_e32 v64, v54
	v_pk_add_f32 v[36:37], v[64:65], v[32:33]
	s_or_b64 vcc, vcc, s[8:9]
	v_mov_b32_e32 v38, v37
	v_pk_add_f32 v[38:39], v[36:37], v[38:39]
	s_nop 0
	v_pk_add_f32 v[50:51], v[34:35], v[38:39]
	v_mov_b32_e32 v33, v38
	v_mov_b32_e32 v37, v50
	v_pk_add_f32 v[52:53], v[36:37], v[54:55] neg_lo:[0,1] neg_hi:[0,1]
	s_nop 0
	v_sub_f32_e32 v34, v36, v52
	v_pk_add_f32 v[32:33], v[32:33], v[52:53] neg_lo:[0,1] neg_hi:[0,1]
	v_sub_f32_e32 v34, v54, v34
	v_add_f32_e32 v32, v32, v34
	v_add_f32_e32 v32, v32, v33
	;; [unrolled: 1-line block ×3, first 2 shown]
	v_cndmask_b32_e32 v32, v32, v66, vcc
	v_add_f32_e32 v32, v35, v32
	v_cvt_f16_f32_e32 v33, v32
	v_cvt_f32_f16_e32 v34, v33
	v_mov_b32_e32 v32, v33
.LBB360_57:
	s_or_b64 exec, exec, s[6:7]
	v_cvt_f32_f16_sdwa v50, v25 dst_sel:DWORD dst_unused:UNUSED_PAD src0_sel:WORD_1
	v_max_f32_e32 v35, v34, v34
	v_cmp_u_f16_e32 vcc, v33, v33
	v_cmp_u_f16_sdwa s[6:7], v25, v25 src0_sel:WORD_1 src1_sel:WORD_1
	v_min_f32_e32 v36, v35, v50
	v_max_f32_e32 v35, v35, v50
	v_cndmask_b32_e32 v36, v36, v34, vcc
	v_cndmask_b32_e32 v35, v35, v34, vcc
	v_cndmask_b32_e64 v36, v36, v50, s[6:7]
	v_cndmask_b32_e64 v35, v35, v50, s[6:7]
	s_movk_i32 s10, 0x1f8
	v_cmp_neq_f32_e32 vcc, v36, v35
	v_cmp_class_f32_e64 s[8:9], v36, s10
	s_or_b64 s[14:15], vcc, s[8:9]
	s_and_saveexec_b64 s[8:9], s[14:15]
	s_cbranch_execz .LBB360_59
; %bb.58:
	v_sub_f32_e32 v32, v36, v35
	s_mov_b32 s11, 0x3fb8aa3b
	v_mul_f32_e32 v33, 0x3fb8aa3b, v32
	v_fma_f32 v34, v32, s11, -v33
	v_rndne_f32_e32 v36, v33
	v_fmamk_f32 v34, v32, 0x32a5705f, v34
	v_sub_f32_e32 v33, v33, v36
	v_add_f32_e32 v33, v33, v34
	v_exp_f32_e32 v33, v33
	v_cvt_i32_f32_e32 v34, v36
	s_mov_b32 s11, 0xc2ce8ed0
	v_cmp_ngt_f32_e32 vcc, s11, v32
	s_mov_b32 s11, 0x42b17218
	v_ldexp_f32 v33, v33, v34
	v_cndmask_b32_e32 v33, 0, v33, vcc
	v_mov_b32_e32 v34, 0x7f800000
	v_cmp_nlt_f32_e32 vcc, s11, v32
	s_mov_b32 s11, 0x3f2aaaab
	s_mov_b32 s13, 0x7f800000
	v_cndmask_b32_e32 v51, v34, v33, vcc
	v_add_f32_e32 v34, 1.0, v51
	v_add_f32_e32 v32, -1.0, v34
	v_sub_f32_e32 v33, v32, v34
	v_add_f32_e32 v33, 1.0, v33
	v_sub_f32_e32 v32, v51, v32
	v_add_f32_e32 v36, v32, v33
	v_frexp_mant_f32_e32 v37, v34
	v_cvt_f64_f32_e32 v[32:33], v34
	v_frexp_exp_i32_f64_e32 v32, v[32:33]
	v_cmp_gt_f32_e32 vcc, s11, v37
	s_mov_b32 s11, 0x3f317218
	s_nop 0
	v_subbrev_co_u32_e32 v54, vcc, 0, v32, vcc
	v_sub_u32_e32 v32, 0, v54
	v_ldexp_f32 v33, v34, v32
	v_add_f32_e32 v34, -1.0, v33
	v_add_f32_e32 v37, 1.0, v33
	v_ldexp_f32 v32, v36, v32
	v_add_f32_e32 v36, 1.0, v34
	v_add_f32_e32 v38, -1.0, v37
	v_sub_f32_e32 v36, v33, v36
	v_sub_f32_e32 v33, v33, v38
	v_add_f32_e32 v36, v32, v36
	v_add_f32_e32 v32, v32, v33
	;; [unrolled: 1-line block ×3, first 2 shown]
	v_rcp_f32_e32 v65, v55
	v_sub_f32_e32 v33, v37, v55
	v_add_f32_e32 v64, v32, v33
	v_add_f32_e32 v33, v34, v36
	v_sub_f32_e32 v32, v34, v33
	v_mul_f32_e32 v66, v33, v65
	v_add_f32_e32 v34, v36, v32
	v_mul_f32_e32 v36, v55, v66
	v_fma_f32 v38, v66, v55, -v36
	v_fmac_f32_e32 v38, v66, v64
	v_add_f32_e32 v32, v36, v38
	v_sub_f32_e32 v37, v33, v32
	v_pk_add_f32 v[52:53], v[32:33], v[36:37] neg_lo:[0,1] neg_hi:[0,1]
	v_mov_b32_e32 v39, v32
	v_pk_add_f32 v[32:33], v[52:53], v[38:39] neg_lo:[0,1] neg_hi:[0,1]
	v_cmp_eq_f32_e32 vcc, s13, v51
	v_add_f32_e32 v33, v34, v33
	v_add_f32_e32 v32, v32, v33
	;; [unrolled: 1-line block ×3, first 2 shown]
	v_mul_f32_e32 v34, v65, v33
	v_mul_f32_e32 v36, v55, v34
	v_fma_f32 v38, v34, v55, -v36
	v_fmac_f32_e32 v38, v34, v64
	v_sub_f32_e32 v37, v37, v33
	v_add_f32_e32 v55, v32, v37
	v_add_f32_e32 v32, v36, v38
	v_sub_f32_e32 v37, v33, v32
	v_pk_add_f32 v[52:53], v[32:33], v[36:37] neg_lo:[0,1] neg_hi:[0,1]
	v_mov_b32_e32 v39, v32
	v_pk_add_f32 v[32:33], v[52:53], v[38:39] neg_lo:[0,1] neg_hi:[0,1]
	v_cvt_f32_i32_e32 v36, v54
	v_add_f32_e32 v33, v55, v33
	v_add_f32_e32 v32, v32, v33
	;; [unrolled: 1-line block ×4, first 2 shown]
	v_sub_f32_e32 v33, v37, v66
	v_mul_f32_e32 v32, v65, v32
	v_sub_f32_e32 v33, v34, v33
	v_add_f32_e32 v32, v33, v32
	v_add_f32_e32 v34, v37, v32
	v_mul_f32_e32 v38, v34, v34
	v_mov_b32_e32 v33, 0x3ecc95a3
	v_sub_f32_e32 v37, v34, v37
	v_fmac_f32_e32 v33, 0x3e9b6dac, v38
	v_sub_f32_e32 v32, v32, v37
	v_fmaak_f32 v33, v38, v33, 0x3f2aaada
	v_ldexp_f32 v52, v32, 1
	v_mul_f32_e32 v37, v34, v38
	v_mov_b32_e32 v32, 0x3f317218
	v_pk_mul_f32 v[32:33], v[36:37], v[32:33]
	v_ldexp_f32 v39, v34, 1
	v_fma_f32 v34, v36, s11, -v32
	v_fmamk_f32 v38, v36, 0xb102e308, v34
	v_pk_add_f32 v[36:37], v[32:33], v[38:39]
	s_mov_b32 s11, 0x33800000
	v_sub_f32_e32 v34, v37, v39
	v_sub_f32_e32 v34, v33, v34
	v_add_f32_e32 v53, v52, v34
	v_mov_b32_e32 v52, v32
	v_pk_add_f32 v[32:33], v[36:37], v[32:33] neg_lo:[0,1] neg_hi:[0,1]
	v_pk_add_f32 v[54:55], v[36:37], v[52:53]
	v_mov_b32_e32 v39, v36
	v_mov_b32_e32 v33, v55
	v_pk_add_f32 v[64:65], v[38:39], v[32:33] neg_lo:[0,1] neg_hi:[0,1]
	v_pk_add_f32 v[32:33], v[38:39], v[32:33]
	v_cmp_lt_f32_e64 s[14:15], |v51|, s11
	v_mov_b32_e32 v34, v33
	v_pk_add_f32 v[38:39], v[34:35], v[36:37] neg_lo:[0,1] neg_hi:[0,1]
	v_mov_b32_e32 v32, v55
	v_mov_b32_e32 v39, v38
	v_pk_add_f32 v[66:67], v[54:55], v[38:39] neg_lo:[0,1] neg_hi:[0,1]
	v_mov_b32_e32 v54, v37
	v_mov_b32_e32 v55, v38
	;; [unrolled: 1-line block ×3, first 2 shown]
	v_pk_add_f32 v[32:33], v[32:33], v[54:55] neg_lo:[0,1] neg_hi:[0,1]
	v_mov_b32_e32 v38, v53
	v_mov_b32_e32 v39, v36
	v_pk_add_f32 v[32:33], v[38:39], v[32:33] neg_lo:[0,1] neg_hi:[0,1]
	v_mov_b32_e32 v66, v64
	v_pk_add_f32 v[36:37], v[66:67], v[32:33]
	s_or_b64 vcc, vcc, s[14:15]
	v_mov_b32_e32 v38, v37
	v_pk_add_f32 v[38:39], v[36:37], v[38:39]
	s_nop 0
	v_pk_add_f32 v[52:53], v[34:35], v[38:39]
	v_mov_b32_e32 v33, v38
	v_mov_b32_e32 v37, v52
	v_pk_add_f32 v[54:55], v[36:37], v[64:65] neg_lo:[0,1] neg_hi:[0,1]
	s_nop 0
	v_sub_f32_e32 v34, v36, v54
	v_pk_add_f32 v[32:33], v[32:33], v[54:55] neg_lo:[0,1] neg_hi:[0,1]
	v_sub_f32_e32 v34, v64, v34
	v_add_f32_e32 v32, v32, v34
	v_add_f32_e32 v32, v32, v33
	;; [unrolled: 1-line block ×3, first 2 shown]
	v_cndmask_b32_e32 v32, v32, v51, vcc
	v_add_f32_e32 v32, v35, v32
	v_cvt_f16_f32_e32 v33, v32
	v_cvt_f32_f16_e32 v34, v33
	v_mov_b32_e32 v32, v33
.LBB360_59:
	s_or_b64 exec, exec, s[8:9]
	v_cvt_f32_f16_e32 v51, v26
	v_max_f32_e32 v35, v34, v34
	v_cmp_u_f16_e32 vcc, v33, v33
	v_cmp_u_f16_e64 s[8:9], v26, v26
	v_min_f32_e32 v36, v35, v51
	v_max_f32_e32 v35, v35, v51
	v_cndmask_b32_e32 v36, v36, v34, vcc
	v_cndmask_b32_e32 v35, v35, v34, vcc
	v_cndmask_b32_e64 v36, v36, v51, s[8:9]
	v_cndmask_b32_e64 v35, v35, v51, s[8:9]
	v_cmp_neq_f32_e32 vcc, v36, v35
	v_cmp_class_f32_e64 s[10:11], v36, s10
	s_or_b64 s[14:15], vcc, s[10:11]
	s_and_saveexec_b64 s[10:11], s[14:15]
	s_cbranch_execz .LBB360_61
; %bb.60:
	v_sub_f32_e32 v32, v36, v35
	s_mov_b32 s13, 0x3fb8aa3b
	v_mul_f32_e32 v33, 0x3fb8aa3b, v32
	v_fma_f32 v34, v32, s13, -v33
	v_rndne_f32_e32 v36, v33
	v_fmamk_f32 v34, v32, 0x32a5705f, v34
	v_sub_f32_e32 v33, v33, v36
	v_add_f32_e32 v33, v33, v34
	v_exp_f32_e32 v33, v33
	v_cvt_i32_f32_e32 v34, v36
	s_mov_b32 s13, 0xc2ce8ed0
	v_cmp_ngt_f32_e32 vcc, s13, v32
	s_mov_b32 s13, 0x42b17218
	v_ldexp_f32 v33, v33, v34
	v_cndmask_b32_e32 v33, 0, v33, vcc
	v_mov_b32_e32 v34, 0x7f800000
	v_cmp_nlt_f32_e32 vcc, s13, v32
	s_mov_b32 s13, 0x3f2aaaab
	s_mov_b32 s14, 0x7f800000
	v_cndmask_b32_e32 v68, v34, v33, vcc
	v_add_f32_e32 v34, 1.0, v68
	v_add_f32_e32 v32, -1.0, v34
	v_sub_f32_e32 v33, v32, v34
	v_add_f32_e32 v33, 1.0, v33
	v_sub_f32_e32 v32, v68, v32
	v_add_f32_e32 v36, v32, v33
	v_frexp_mant_f32_e32 v37, v34
	v_cvt_f64_f32_e32 v[32:33], v34
	v_frexp_exp_i32_f64_e32 v32, v[32:33]
	v_cmp_gt_f32_e32 vcc, s13, v37
	s_mov_b32 s13, 0x3f317218
	s_nop 0
	v_subbrev_co_u32_e32 v54, vcc, 0, v32, vcc
	v_sub_u32_e32 v32, 0, v54
	v_ldexp_f32 v33, v34, v32
	v_add_f32_e32 v34, -1.0, v33
	v_add_f32_e32 v37, 1.0, v33
	v_ldexp_f32 v32, v36, v32
	v_add_f32_e32 v36, 1.0, v34
	v_add_f32_e32 v38, -1.0, v37
	v_sub_f32_e32 v36, v33, v36
	v_sub_f32_e32 v33, v33, v38
	v_add_f32_e32 v36, v32, v36
	v_add_f32_e32 v32, v32, v33
	;; [unrolled: 1-line block ×3, first 2 shown]
	v_rcp_f32_e32 v65, v55
	v_sub_f32_e32 v33, v37, v55
	v_add_f32_e32 v64, v32, v33
	v_add_f32_e32 v33, v34, v36
	v_sub_f32_e32 v32, v34, v33
	v_mul_f32_e32 v66, v33, v65
	v_add_f32_e32 v34, v36, v32
	v_mul_f32_e32 v36, v55, v66
	v_fma_f32 v38, v66, v55, -v36
	v_fmac_f32_e32 v38, v66, v64
	v_add_f32_e32 v32, v36, v38
	v_sub_f32_e32 v37, v33, v32
	v_pk_add_f32 v[52:53], v[32:33], v[36:37] neg_lo:[0,1] neg_hi:[0,1]
	v_mov_b32_e32 v39, v32
	v_pk_add_f32 v[32:33], v[52:53], v[38:39] neg_lo:[0,1] neg_hi:[0,1]
	v_cmp_eq_f32_e32 vcc, s14, v68
	v_add_f32_e32 v33, v34, v33
	v_add_f32_e32 v32, v32, v33
	;; [unrolled: 1-line block ×3, first 2 shown]
	v_mul_f32_e32 v34, v65, v33
	v_mul_f32_e32 v36, v55, v34
	v_fma_f32 v38, v34, v55, -v36
	v_fmac_f32_e32 v38, v34, v64
	v_sub_f32_e32 v37, v37, v33
	v_add_f32_e32 v55, v32, v37
	v_add_f32_e32 v32, v36, v38
	v_sub_f32_e32 v37, v33, v32
	v_pk_add_f32 v[52:53], v[32:33], v[36:37] neg_lo:[0,1] neg_hi:[0,1]
	v_mov_b32_e32 v39, v32
	v_pk_add_f32 v[32:33], v[52:53], v[38:39] neg_lo:[0,1] neg_hi:[0,1]
	v_cvt_f32_i32_e32 v36, v54
	v_add_f32_e32 v33, v55, v33
	v_add_f32_e32 v32, v32, v33
	;; [unrolled: 1-line block ×4, first 2 shown]
	v_sub_f32_e32 v33, v37, v66
	v_mul_f32_e32 v32, v65, v32
	v_sub_f32_e32 v33, v34, v33
	v_add_f32_e32 v32, v33, v32
	v_add_f32_e32 v34, v37, v32
	v_mul_f32_e32 v38, v34, v34
	v_mov_b32_e32 v33, 0x3ecc95a3
	v_sub_f32_e32 v37, v34, v37
	v_fmac_f32_e32 v33, 0x3e9b6dac, v38
	v_sub_f32_e32 v32, v32, v37
	v_fmaak_f32 v33, v38, v33, 0x3f2aaada
	v_ldexp_f32 v52, v32, 1
	v_mul_f32_e32 v37, v34, v38
	v_mov_b32_e32 v32, 0x3f317218
	v_pk_mul_f32 v[32:33], v[36:37], v[32:33]
	v_ldexp_f32 v39, v34, 1
	v_fma_f32 v34, v36, s13, -v32
	v_fmamk_f32 v38, v36, 0xb102e308, v34
	v_pk_add_f32 v[36:37], v[32:33], v[38:39]
	s_mov_b32 s13, 0x33800000
	v_sub_f32_e32 v34, v37, v39
	v_sub_f32_e32 v34, v33, v34
	v_add_f32_e32 v53, v52, v34
	v_mov_b32_e32 v52, v32
	v_pk_add_f32 v[32:33], v[36:37], v[32:33] neg_lo:[0,1] neg_hi:[0,1]
	v_pk_add_f32 v[54:55], v[36:37], v[52:53]
	v_mov_b32_e32 v39, v36
	v_mov_b32_e32 v33, v55
	v_pk_add_f32 v[64:65], v[38:39], v[32:33] neg_lo:[0,1] neg_hi:[0,1]
	v_pk_add_f32 v[32:33], v[38:39], v[32:33]
	v_cmp_lt_f32_e64 s[14:15], |v68|, s13
	v_mov_b32_e32 v34, v33
	v_pk_add_f32 v[38:39], v[34:35], v[36:37] neg_lo:[0,1] neg_hi:[0,1]
	v_mov_b32_e32 v32, v55
	v_mov_b32_e32 v39, v38
	v_pk_add_f32 v[66:67], v[54:55], v[38:39] neg_lo:[0,1] neg_hi:[0,1]
	v_mov_b32_e32 v54, v37
	v_mov_b32_e32 v55, v38
	;; [unrolled: 1-line block ×3, first 2 shown]
	v_pk_add_f32 v[32:33], v[32:33], v[54:55] neg_lo:[0,1] neg_hi:[0,1]
	v_mov_b32_e32 v38, v53
	v_mov_b32_e32 v39, v36
	v_pk_add_f32 v[32:33], v[38:39], v[32:33] neg_lo:[0,1] neg_hi:[0,1]
	v_mov_b32_e32 v66, v64
	v_pk_add_f32 v[36:37], v[66:67], v[32:33]
	s_or_b64 vcc, vcc, s[14:15]
	v_mov_b32_e32 v38, v37
	v_pk_add_f32 v[38:39], v[36:37], v[38:39]
	s_nop 0
	v_pk_add_f32 v[52:53], v[34:35], v[38:39]
	v_mov_b32_e32 v33, v38
	v_mov_b32_e32 v37, v52
	v_pk_add_f32 v[54:55], v[36:37], v[64:65] neg_lo:[0,1] neg_hi:[0,1]
	s_nop 0
	v_sub_f32_e32 v34, v36, v54
	v_pk_add_f32 v[32:33], v[32:33], v[54:55] neg_lo:[0,1] neg_hi:[0,1]
	v_sub_f32_e32 v34, v64, v34
	v_add_f32_e32 v32, v32, v34
	v_add_f32_e32 v32, v32, v33
	;; [unrolled: 1-line block ×3, first 2 shown]
	v_cndmask_b32_e32 v32, v32, v68, vcc
	v_add_f32_e32 v32, v35, v32
	v_cvt_f16_f32_e32 v33, v32
	v_cvt_f32_f16_e32 v34, v33
	v_mov_b32_e32 v32, v33
.LBB360_61:
	s_or_b64 exec, exec, s[10:11]
	v_cvt_f32_f16_sdwa v52, v26 dst_sel:DWORD dst_unused:UNUSED_PAD src0_sel:WORD_1
	v_max_f32_e32 v35, v34, v34
	v_cmp_u_f16_e32 vcc, v33, v33
	v_cmp_u_f16_sdwa s[10:11], v26, v26 src0_sel:WORD_1 src1_sel:WORD_1
	v_min_f32_e32 v36, v35, v52
	v_max_f32_e32 v35, v35, v52
	v_cndmask_b32_e32 v36, v36, v34, vcc
	v_cndmask_b32_e32 v35, v35, v34, vcc
	v_cndmask_b32_e64 v36, v36, v52, s[10:11]
	v_cndmask_b32_e64 v35, v35, v52, s[10:11]
	s_movk_i32 s13, 0x1f8
	v_cmp_neq_f32_e32 vcc, v36, v35
	v_cmp_class_f32_e64 s[14:15], v36, s13
	s_or_b64 s[16:17], vcc, s[14:15]
	s_and_saveexec_b64 s[14:15], s[16:17]
	s_cbranch_execz .LBB360_63
; %bb.62:
	v_sub_f32_e32 v32, v36, v35
	s_mov_b32 s16, 0x3fb8aa3b
	v_mul_f32_e32 v33, 0x3fb8aa3b, v32
	v_fma_f32 v34, v32, s16, -v33
	v_rndne_f32_e32 v36, v33
	v_fmamk_f32 v34, v32, 0x32a5705f, v34
	v_sub_f32_e32 v33, v33, v36
	v_add_f32_e32 v33, v33, v34
	v_exp_f32_e32 v33, v33
	v_cvt_i32_f32_e32 v34, v36
	s_mov_b32 s16, 0xc2ce8ed0
	v_cmp_ngt_f32_e32 vcc, s16, v32
	s_mov_b32 s16, 0x42b17218
	v_ldexp_f32 v33, v33, v34
	v_cndmask_b32_e32 v33, 0, v33, vcc
	v_mov_b32_e32 v34, 0x7f800000
	v_cmp_nlt_f32_e32 vcc, s16, v32
	s_mov_b32 s16, 0x3f2aaaab
	s_mov_b32 s17, 0x7f800000
	v_cndmask_b32_e32 v53, v34, v33, vcc
	v_add_f32_e32 v34, 1.0, v53
	v_add_f32_e32 v32, -1.0, v34
	v_sub_f32_e32 v33, v32, v34
	v_add_f32_e32 v33, 1.0, v33
	v_sub_f32_e32 v32, v53, v32
	v_add_f32_e32 v36, v32, v33
	v_frexp_mant_f32_e32 v37, v34
	v_cvt_f64_f32_e32 v[32:33], v34
	v_frexp_exp_i32_f64_e32 v32, v[32:33]
	v_cmp_gt_f32_e32 vcc, s16, v37
	s_mov_b32 s16, 0x3f317218
	s_nop 0
	v_subbrev_co_u32_e32 v64, vcc, 0, v32, vcc
	v_sub_u32_e32 v32, 0, v64
	v_ldexp_f32 v33, v34, v32
	v_add_f32_e32 v34, -1.0, v33
	v_add_f32_e32 v37, 1.0, v33
	v_ldexp_f32 v32, v36, v32
	v_add_f32_e32 v36, 1.0, v34
	v_add_f32_e32 v38, -1.0, v37
	v_sub_f32_e32 v36, v33, v36
	v_sub_f32_e32 v33, v33, v38
	v_add_f32_e32 v36, v32, v36
	v_add_f32_e32 v32, v32, v33
	;; [unrolled: 1-line block ×3, first 2 shown]
	v_rcp_f32_e32 v67, v65
	v_sub_f32_e32 v33, v37, v65
	v_add_f32_e32 v66, v32, v33
	v_add_f32_e32 v33, v34, v36
	v_sub_f32_e32 v32, v34, v33
	v_mul_f32_e32 v68, v33, v67
	v_add_f32_e32 v34, v36, v32
	v_mul_f32_e32 v36, v65, v68
	v_fma_f32 v38, v68, v65, -v36
	v_fmac_f32_e32 v38, v68, v66
	v_add_f32_e32 v32, v36, v38
	v_sub_f32_e32 v37, v33, v32
	v_pk_add_f32 v[54:55], v[32:33], v[36:37] neg_lo:[0,1] neg_hi:[0,1]
	v_mov_b32_e32 v39, v32
	v_pk_add_f32 v[32:33], v[54:55], v[38:39] neg_lo:[0,1] neg_hi:[0,1]
	v_cmp_eq_f32_e32 vcc, s17, v53
	v_add_f32_e32 v33, v34, v33
	v_add_f32_e32 v32, v32, v33
	;; [unrolled: 1-line block ×3, first 2 shown]
	v_mul_f32_e32 v34, v67, v33
	v_mul_f32_e32 v36, v65, v34
	v_fma_f32 v38, v34, v65, -v36
	v_fmac_f32_e32 v38, v34, v66
	v_sub_f32_e32 v37, v37, v33
	v_add_f32_e32 v65, v32, v37
	v_add_f32_e32 v32, v36, v38
	v_sub_f32_e32 v37, v33, v32
	v_pk_add_f32 v[54:55], v[32:33], v[36:37] neg_lo:[0,1] neg_hi:[0,1]
	v_mov_b32_e32 v39, v32
	v_pk_add_f32 v[32:33], v[54:55], v[38:39] neg_lo:[0,1] neg_hi:[0,1]
	v_cvt_f32_i32_e32 v36, v64
	v_add_f32_e32 v33, v65, v33
	v_add_f32_e32 v32, v32, v33
	;; [unrolled: 1-line block ×4, first 2 shown]
	v_sub_f32_e32 v33, v37, v68
	v_mul_f32_e32 v32, v67, v32
	v_sub_f32_e32 v33, v34, v33
	v_add_f32_e32 v32, v33, v32
	v_add_f32_e32 v34, v37, v32
	v_mul_f32_e32 v38, v34, v34
	v_mov_b32_e32 v33, 0x3ecc95a3
	v_sub_f32_e32 v37, v34, v37
	v_fmac_f32_e32 v33, 0x3e9b6dac, v38
	v_sub_f32_e32 v32, v32, v37
	v_fmaak_f32 v33, v38, v33, 0x3f2aaada
	v_ldexp_f32 v54, v32, 1
	v_mul_f32_e32 v37, v34, v38
	v_mov_b32_e32 v32, 0x3f317218
	v_pk_mul_f32 v[32:33], v[36:37], v[32:33]
	v_ldexp_f32 v39, v34, 1
	v_fma_f32 v34, v36, s16, -v32
	v_fmamk_f32 v38, v36, 0xb102e308, v34
	v_pk_add_f32 v[36:37], v[32:33], v[38:39]
	s_mov_b32 s16, 0x33800000
	v_sub_f32_e32 v34, v37, v39
	v_sub_f32_e32 v34, v33, v34
	v_add_f32_e32 v55, v54, v34
	v_mov_b32_e32 v54, v32
	v_pk_add_f32 v[32:33], v[36:37], v[32:33] neg_lo:[0,1] neg_hi:[0,1]
	v_pk_add_f32 v[64:65], v[36:37], v[54:55]
	v_mov_b32_e32 v39, v36
	v_mov_b32_e32 v33, v65
	v_pk_add_f32 v[66:67], v[38:39], v[32:33] neg_lo:[0,1] neg_hi:[0,1]
	v_pk_add_f32 v[32:33], v[38:39], v[32:33]
	v_cmp_lt_f32_e64 s[16:17], |v53|, s16
	v_mov_b32_e32 v34, v33
	v_pk_add_f32 v[38:39], v[34:35], v[36:37] neg_lo:[0,1] neg_hi:[0,1]
	v_mov_b32_e32 v32, v65
	v_mov_b32_e32 v39, v38
	v_pk_add_f32 v[68:69], v[64:65], v[38:39] neg_lo:[0,1] neg_hi:[0,1]
	v_mov_b32_e32 v64, v37
	v_mov_b32_e32 v65, v38
	;; [unrolled: 1-line block ×3, first 2 shown]
	v_pk_add_f32 v[32:33], v[32:33], v[64:65] neg_lo:[0,1] neg_hi:[0,1]
	v_mov_b32_e32 v38, v55
	v_mov_b32_e32 v39, v36
	v_pk_add_f32 v[32:33], v[38:39], v[32:33] neg_lo:[0,1] neg_hi:[0,1]
	v_mov_b32_e32 v68, v66
	v_pk_add_f32 v[36:37], v[68:69], v[32:33]
	s_or_b64 vcc, vcc, s[16:17]
	v_mov_b32_e32 v38, v37
	v_pk_add_f32 v[38:39], v[36:37], v[38:39]
	s_nop 0
	v_pk_add_f32 v[54:55], v[34:35], v[38:39]
	v_mov_b32_e32 v33, v38
	v_mov_b32_e32 v37, v54
	v_pk_add_f32 v[64:65], v[36:37], v[66:67] neg_lo:[0,1] neg_hi:[0,1]
	s_nop 0
	v_sub_f32_e32 v34, v36, v64
	v_pk_add_f32 v[32:33], v[32:33], v[64:65] neg_lo:[0,1] neg_hi:[0,1]
	v_sub_f32_e32 v34, v66, v34
	v_add_f32_e32 v32, v32, v34
	v_add_f32_e32 v32, v32, v33
	;; [unrolled: 1-line block ×3, first 2 shown]
	v_cndmask_b32_e32 v32, v32, v53, vcc
	v_add_f32_e32 v32, v35, v32
	v_cvt_f16_f32_e32 v33, v32
	v_cvt_f32_f16_e32 v34, v33
	v_mov_b32_e32 v32, v33
.LBB360_63:
	s_or_b64 exec, exec, s[14:15]
	v_cvt_f32_f16_e32 v53, v27
	v_max_f32_e32 v35, v34, v34
	v_cmp_u_f16_e32 vcc, v33, v33
	v_cmp_u_f16_e64 s[54:55], v27, v27
	v_min_f32_e32 v36, v35, v53
	v_max_f32_e32 v35, v35, v53
	v_cndmask_b32_e32 v36, v36, v34, vcc
	v_cndmask_b32_e32 v35, v35, v34, vcc
	v_cndmask_b32_e64 v36, v36, v53, s[54:55]
	v_cndmask_b32_e64 v35, v35, v53, s[54:55]
	v_cmp_neq_f32_e32 vcc, v36, v35
	v_cmp_class_f32_e64 s[14:15], v36, s13
	s_or_b64 s[16:17], vcc, s[14:15]
	s_and_saveexec_b64 s[14:15], s[16:17]
	s_cbranch_execz .LBB360_65
; %bb.64:
	v_sub_f32_e32 v32, v36, v35
	s_mov_b32 s13, 0x3fb8aa3b
	v_mul_f32_e32 v33, 0x3fb8aa3b, v32
	v_fma_f32 v34, v32, s13, -v33
	v_rndne_f32_e32 v36, v33
	v_fmamk_f32 v34, v32, 0x32a5705f, v34
	v_sub_f32_e32 v33, v33, v36
	v_add_f32_e32 v33, v33, v34
	v_exp_f32_e32 v33, v33
	v_cvt_i32_f32_e32 v34, v36
	s_mov_b32 s13, 0xc2ce8ed0
	v_cmp_ngt_f32_e32 vcc, s13, v32
	s_mov_b32 s13, 0x42b17218
	v_ldexp_f32 v33, v33, v34
	v_cndmask_b32_e32 v33, 0, v33, vcc
	v_mov_b32_e32 v34, 0x7f800000
	v_cmp_nlt_f32_e32 vcc, s13, v32
	s_mov_b32 s13, 0x3f2aaaab
	s_mov_b32 s16, 0x7f800000
	v_cndmask_b32_e32 v70, v34, v33, vcc
	v_add_f32_e32 v34, 1.0, v70
	v_add_f32_e32 v32, -1.0, v34
	v_sub_f32_e32 v33, v32, v34
	v_add_f32_e32 v33, 1.0, v33
	v_sub_f32_e32 v32, v70, v32
	v_add_f32_e32 v36, v32, v33
	v_frexp_mant_f32_e32 v37, v34
	v_cvt_f64_f32_e32 v[32:33], v34
	v_frexp_exp_i32_f64_e32 v32, v[32:33]
	v_cmp_gt_f32_e32 vcc, s13, v37
	s_mov_b32 s13, 0x3f317218
	s_nop 0
	v_subbrev_co_u32_e32 v64, vcc, 0, v32, vcc
	v_sub_u32_e32 v32, 0, v64
	v_ldexp_f32 v33, v34, v32
	v_add_f32_e32 v34, -1.0, v33
	v_add_f32_e32 v37, 1.0, v33
	v_ldexp_f32 v32, v36, v32
	v_add_f32_e32 v36, 1.0, v34
	v_add_f32_e32 v38, -1.0, v37
	v_sub_f32_e32 v36, v33, v36
	v_sub_f32_e32 v33, v33, v38
	v_add_f32_e32 v36, v32, v36
	v_add_f32_e32 v32, v32, v33
	;; [unrolled: 1-line block ×3, first 2 shown]
	v_rcp_f32_e32 v67, v65
	v_sub_f32_e32 v33, v37, v65
	v_add_f32_e32 v66, v32, v33
	v_add_f32_e32 v33, v34, v36
	v_sub_f32_e32 v32, v34, v33
	v_mul_f32_e32 v68, v33, v67
	v_add_f32_e32 v34, v36, v32
	v_mul_f32_e32 v36, v65, v68
	v_fma_f32 v38, v68, v65, -v36
	v_fmac_f32_e32 v38, v68, v66
	v_add_f32_e32 v32, v36, v38
	v_sub_f32_e32 v37, v33, v32
	v_pk_add_f32 v[54:55], v[32:33], v[36:37] neg_lo:[0,1] neg_hi:[0,1]
	v_mov_b32_e32 v39, v32
	v_pk_add_f32 v[32:33], v[54:55], v[38:39] neg_lo:[0,1] neg_hi:[0,1]
	v_cmp_eq_f32_e32 vcc, s16, v70
	v_add_f32_e32 v33, v34, v33
	v_add_f32_e32 v32, v32, v33
	v_add_f32_e32 v33, v37, v32
	v_mul_f32_e32 v34, v67, v33
	v_mul_f32_e32 v36, v65, v34
	v_fma_f32 v38, v34, v65, -v36
	v_fmac_f32_e32 v38, v34, v66
	v_sub_f32_e32 v37, v37, v33
	v_add_f32_e32 v65, v32, v37
	v_add_f32_e32 v32, v36, v38
	v_sub_f32_e32 v37, v33, v32
	v_pk_add_f32 v[54:55], v[32:33], v[36:37] neg_lo:[0,1] neg_hi:[0,1]
	v_mov_b32_e32 v39, v32
	v_pk_add_f32 v[32:33], v[54:55], v[38:39] neg_lo:[0,1] neg_hi:[0,1]
	v_cvt_f32_i32_e32 v36, v64
	v_add_f32_e32 v33, v65, v33
	v_add_f32_e32 v32, v32, v33
	;; [unrolled: 1-line block ×4, first 2 shown]
	v_sub_f32_e32 v33, v37, v68
	v_mul_f32_e32 v32, v67, v32
	v_sub_f32_e32 v33, v34, v33
	v_add_f32_e32 v32, v33, v32
	v_add_f32_e32 v34, v37, v32
	v_mul_f32_e32 v38, v34, v34
	v_mov_b32_e32 v33, 0x3ecc95a3
	v_sub_f32_e32 v37, v34, v37
	v_fmac_f32_e32 v33, 0x3e9b6dac, v38
	v_sub_f32_e32 v32, v32, v37
	v_fmaak_f32 v33, v38, v33, 0x3f2aaada
	v_ldexp_f32 v54, v32, 1
	v_mul_f32_e32 v37, v34, v38
	v_mov_b32_e32 v32, 0x3f317218
	v_pk_mul_f32 v[32:33], v[36:37], v[32:33]
	v_ldexp_f32 v39, v34, 1
	v_fma_f32 v34, v36, s13, -v32
	v_fmamk_f32 v38, v36, 0xb102e308, v34
	v_pk_add_f32 v[36:37], v[32:33], v[38:39]
	s_mov_b32 s13, 0x33800000
	v_sub_f32_e32 v34, v37, v39
	v_sub_f32_e32 v34, v33, v34
	v_add_f32_e32 v55, v54, v34
	v_mov_b32_e32 v54, v32
	v_pk_add_f32 v[32:33], v[36:37], v[32:33] neg_lo:[0,1] neg_hi:[0,1]
	v_pk_add_f32 v[64:65], v[36:37], v[54:55]
	v_mov_b32_e32 v39, v36
	v_mov_b32_e32 v33, v65
	v_pk_add_f32 v[66:67], v[38:39], v[32:33] neg_lo:[0,1] neg_hi:[0,1]
	v_pk_add_f32 v[32:33], v[38:39], v[32:33]
	v_cmp_lt_f32_e64 s[16:17], |v70|, s13
	v_mov_b32_e32 v34, v33
	v_pk_add_f32 v[38:39], v[34:35], v[36:37] neg_lo:[0,1] neg_hi:[0,1]
	v_mov_b32_e32 v32, v65
	v_mov_b32_e32 v39, v38
	v_pk_add_f32 v[68:69], v[64:65], v[38:39] neg_lo:[0,1] neg_hi:[0,1]
	v_mov_b32_e32 v64, v37
	v_mov_b32_e32 v65, v38
	;; [unrolled: 1-line block ×3, first 2 shown]
	v_pk_add_f32 v[32:33], v[32:33], v[64:65] neg_lo:[0,1] neg_hi:[0,1]
	v_mov_b32_e32 v38, v55
	v_mov_b32_e32 v39, v36
	v_pk_add_f32 v[32:33], v[38:39], v[32:33] neg_lo:[0,1] neg_hi:[0,1]
	v_mov_b32_e32 v68, v66
	v_pk_add_f32 v[36:37], v[68:69], v[32:33]
	s_or_b64 vcc, vcc, s[16:17]
	v_mov_b32_e32 v38, v37
	v_pk_add_f32 v[38:39], v[36:37], v[38:39]
	s_nop 0
	v_pk_add_f32 v[54:55], v[34:35], v[38:39]
	v_mov_b32_e32 v33, v38
	v_mov_b32_e32 v37, v54
	v_pk_add_f32 v[64:65], v[36:37], v[66:67] neg_lo:[0,1] neg_hi:[0,1]
	s_nop 0
	v_sub_f32_e32 v34, v36, v64
	v_pk_add_f32 v[32:33], v[32:33], v[64:65] neg_lo:[0,1] neg_hi:[0,1]
	v_sub_f32_e32 v34, v66, v34
	v_add_f32_e32 v32, v32, v34
	v_add_f32_e32 v32, v32, v33
	;; [unrolled: 1-line block ×3, first 2 shown]
	v_cndmask_b32_e32 v32, v32, v70, vcc
	v_add_f32_e32 v32, v35, v32
	v_cvt_f16_f32_e32 v33, v32
	v_cvt_f32_f16_e32 v34, v33
	v_mov_b32_e32 v32, v33
.LBB360_65:
	s_or_b64 exec, exec, s[14:15]
	v_cvt_f32_f16_sdwa v54, v27 dst_sel:DWORD dst_unused:UNUSED_PAD src0_sel:WORD_1
	v_max_f32_e32 v35, v34, v34
	v_cmp_u_f16_e32 vcc, v33, v33
	v_cmp_u_f16_sdwa s[14:15], v27, v27 src0_sel:WORD_1 src1_sel:WORD_1
	v_min_f32_e32 v36, v35, v54
	v_max_f32_e32 v35, v35, v54
	v_cndmask_b32_e32 v36, v36, v34, vcc
	v_cndmask_b32_e32 v35, v35, v34, vcc
	v_cndmask_b32_e64 v36, v36, v54, s[14:15]
	v_cndmask_b32_e64 v35, v35, v54, s[14:15]
	s_movk_i32 s13, 0x1f8
	v_cmp_neq_f32_e32 vcc, v36, v35
	v_cmp_class_f32_e64 s[16:17], v36, s13
	s_or_b64 s[18:19], vcc, s[16:17]
	s_and_saveexec_b64 s[16:17], s[18:19]
	s_cbranch_execz .LBB360_67
; %bb.66:
	v_sub_f32_e32 v32, v36, v35
	s_mov_b32 s18, 0x3fb8aa3b
	v_mul_f32_e32 v33, 0x3fb8aa3b, v32
	v_fma_f32 v34, v32, s18, -v33
	v_rndne_f32_e32 v36, v33
	v_fmamk_f32 v34, v32, 0x32a5705f, v34
	v_sub_f32_e32 v33, v33, v36
	v_add_f32_e32 v33, v33, v34
	v_exp_f32_e32 v33, v33
	v_cvt_i32_f32_e32 v34, v36
	s_mov_b32 s18, 0xc2ce8ed0
	v_cmp_ngt_f32_e32 vcc, s18, v32
	s_mov_b32 s18, 0x42b17218
	v_ldexp_f32 v33, v33, v34
	v_cndmask_b32_e32 v33, 0, v33, vcc
	v_mov_b32_e32 v34, 0x7f800000
	v_cmp_nlt_f32_e32 vcc, s18, v32
	s_mov_b32 s18, 0x3f2aaaab
	s_mov_b32 s19, 0x7f800000
	v_cndmask_b32_e32 v55, v34, v33, vcc
	v_add_f32_e32 v34, 1.0, v55
	v_add_f32_e32 v32, -1.0, v34
	v_sub_f32_e32 v33, v32, v34
	v_add_f32_e32 v33, 1.0, v33
	v_sub_f32_e32 v32, v55, v32
	v_add_f32_e32 v36, v32, v33
	v_frexp_mant_f32_e32 v37, v34
	v_cvt_f64_f32_e32 v[32:33], v34
	v_frexp_exp_i32_f64_e32 v32, v[32:33]
	v_cmp_gt_f32_e32 vcc, s18, v37
	s_mov_b32 s18, 0x3f317218
	s_nop 0
	v_subbrev_co_u32_e32 v66, vcc, 0, v32, vcc
	v_sub_u32_e32 v32, 0, v66
	v_ldexp_f32 v33, v34, v32
	v_add_f32_e32 v34, -1.0, v33
	v_add_f32_e32 v37, 1.0, v33
	v_ldexp_f32 v32, v36, v32
	v_add_f32_e32 v36, 1.0, v34
	v_add_f32_e32 v38, -1.0, v37
	v_sub_f32_e32 v36, v33, v36
	v_sub_f32_e32 v33, v33, v38
	v_add_f32_e32 v36, v32, v36
	v_add_f32_e32 v32, v32, v33
	;; [unrolled: 1-line block ×3, first 2 shown]
	v_rcp_f32_e32 v69, v67
	v_sub_f32_e32 v33, v37, v67
	v_add_f32_e32 v68, v32, v33
	v_add_f32_e32 v33, v34, v36
	v_sub_f32_e32 v32, v34, v33
	v_mul_f32_e32 v70, v33, v69
	v_add_f32_e32 v34, v36, v32
	v_mul_f32_e32 v36, v67, v70
	v_fma_f32 v38, v70, v67, -v36
	v_fmac_f32_e32 v38, v70, v68
	v_add_f32_e32 v32, v36, v38
	v_sub_f32_e32 v37, v33, v32
	v_pk_add_f32 v[64:65], v[32:33], v[36:37] neg_lo:[0,1] neg_hi:[0,1]
	v_mov_b32_e32 v39, v32
	v_pk_add_f32 v[32:33], v[64:65], v[38:39] neg_lo:[0,1] neg_hi:[0,1]
	v_cmp_eq_f32_e32 vcc, s19, v55
	v_add_f32_e32 v33, v34, v33
	v_add_f32_e32 v32, v32, v33
	;; [unrolled: 1-line block ×3, first 2 shown]
	v_mul_f32_e32 v34, v69, v33
	v_mul_f32_e32 v36, v67, v34
	v_fma_f32 v38, v34, v67, -v36
	v_fmac_f32_e32 v38, v34, v68
	v_sub_f32_e32 v37, v37, v33
	v_add_f32_e32 v67, v32, v37
	v_add_f32_e32 v32, v36, v38
	v_sub_f32_e32 v37, v33, v32
	v_pk_add_f32 v[64:65], v[32:33], v[36:37] neg_lo:[0,1] neg_hi:[0,1]
	v_mov_b32_e32 v39, v32
	v_pk_add_f32 v[32:33], v[64:65], v[38:39] neg_lo:[0,1] neg_hi:[0,1]
	v_cvt_f32_i32_e32 v36, v66
	v_add_f32_e32 v33, v67, v33
	v_add_f32_e32 v32, v32, v33
	;; [unrolled: 1-line block ×4, first 2 shown]
	v_sub_f32_e32 v33, v37, v70
	v_mul_f32_e32 v32, v69, v32
	v_sub_f32_e32 v33, v34, v33
	v_add_f32_e32 v32, v33, v32
	v_add_f32_e32 v34, v37, v32
	v_mul_f32_e32 v38, v34, v34
	v_mov_b32_e32 v33, 0x3ecc95a3
	v_sub_f32_e32 v37, v34, v37
	v_fmac_f32_e32 v33, 0x3e9b6dac, v38
	v_sub_f32_e32 v32, v32, v37
	v_fmaak_f32 v33, v38, v33, 0x3f2aaada
	v_ldexp_f32 v64, v32, 1
	v_mul_f32_e32 v37, v34, v38
	v_mov_b32_e32 v32, 0x3f317218
	v_pk_mul_f32 v[32:33], v[36:37], v[32:33]
	v_ldexp_f32 v39, v34, 1
	v_fma_f32 v34, v36, s18, -v32
	v_fmamk_f32 v38, v36, 0xb102e308, v34
	v_pk_add_f32 v[36:37], v[32:33], v[38:39]
	s_mov_b32 s18, 0x33800000
	v_sub_f32_e32 v34, v37, v39
	v_sub_f32_e32 v34, v33, v34
	v_add_f32_e32 v65, v64, v34
	v_mov_b32_e32 v64, v32
	v_pk_add_f32 v[32:33], v[36:37], v[32:33] neg_lo:[0,1] neg_hi:[0,1]
	v_pk_add_f32 v[66:67], v[36:37], v[64:65]
	v_mov_b32_e32 v39, v36
	v_mov_b32_e32 v33, v67
	v_pk_add_f32 v[68:69], v[38:39], v[32:33] neg_lo:[0,1] neg_hi:[0,1]
	v_pk_add_f32 v[32:33], v[38:39], v[32:33]
	v_cmp_lt_f32_e64 s[18:19], |v55|, s18
	v_mov_b32_e32 v34, v33
	v_pk_add_f32 v[38:39], v[34:35], v[36:37] neg_lo:[0,1] neg_hi:[0,1]
	v_mov_b32_e32 v32, v67
	v_mov_b32_e32 v39, v38
	v_pk_add_f32 v[70:71], v[66:67], v[38:39] neg_lo:[0,1] neg_hi:[0,1]
	v_mov_b32_e32 v66, v37
	v_mov_b32_e32 v67, v38
	;; [unrolled: 1-line block ×3, first 2 shown]
	v_pk_add_f32 v[32:33], v[32:33], v[66:67] neg_lo:[0,1] neg_hi:[0,1]
	v_mov_b32_e32 v38, v65
	v_mov_b32_e32 v39, v36
	v_pk_add_f32 v[32:33], v[38:39], v[32:33] neg_lo:[0,1] neg_hi:[0,1]
	v_mov_b32_e32 v70, v68
	v_pk_add_f32 v[36:37], v[70:71], v[32:33]
	s_or_b64 vcc, vcc, s[18:19]
	v_mov_b32_e32 v38, v37
	v_pk_add_f32 v[38:39], v[36:37], v[38:39]
	s_nop 0
	v_pk_add_f32 v[64:65], v[34:35], v[38:39]
	v_mov_b32_e32 v33, v38
	v_mov_b32_e32 v37, v64
	v_pk_add_f32 v[66:67], v[36:37], v[68:69] neg_lo:[0,1] neg_hi:[0,1]
	s_nop 0
	v_sub_f32_e32 v34, v36, v66
	v_pk_add_f32 v[32:33], v[32:33], v[66:67] neg_lo:[0,1] neg_hi:[0,1]
	v_sub_f32_e32 v34, v68, v34
	v_add_f32_e32 v32, v32, v34
	v_add_f32_e32 v32, v32, v33
	v_add_f32_e32 v32, v64, v32
	v_cndmask_b32_e32 v32, v32, v55, vcc
	v_add_f32_e32 v32, v35, v32
	v_cvt_f16_f32_e32 v33, v32
	v_cvt_f32_f16_e32 v34, v33
	v_mov_b32_e32 v32, v33
.LBB360_67:
	s_or_b64 exec, exec, s[16:17]
	v_cvt_f32_f16_e32 v55, v20
	v_max_f32_e32 v35, v34, v34
	v_cmp_u_f16_e32 vcc, v33, v33
	v_cmp_u_f16_e64 s[16:17], v20, v20
	v_min_f32_e32 v36, v35, v55
	v_max_f32_e32 v35, v35, v55
	v_cndmask_b32_e32 v36, v36, v34, vcc
	v_cndmask_b32_e32 v35, v35, v34, vcc
	v_cndmask_b32_e64 v36, v36, v55, s[16:17]
	v_cndmask_b32_e64 v35, v35, v55, s[16:17]
	v_cmp_neq_f32_e32 vcc, v36, v35
	v_cmp_class_f32_e64 s[18:19], v36, s13
	s_or_b64 s[20:21], vcc, s[18:19]
	s_and_saveexec_b64 s[18:19], s[20:21]
	s_cbranch_execz .LBB360_69
; %bb.68:
	v_sub_f32_e32 v32, v36, v35
	s_mov_b32 s13, 0x3fb8aa3b
	v_mul_f32_e32 v33, 0x3fb8aa3b, v32
	v_fma_f32 v34, v32, s13, -v33
	v_rndne_f32_e32 v36, v33
	v_fmamk_f32 v34, v32, 0x32a5705f, v34
	v_sub_f32_e32 v33, v33, v36
	v_add_f32_e32 v33, v33, v34
	v_exp_f32_e32 v33, v33
	v_cvt_i32_f32_e32 v34, v36
	s_mov_b32 s13, 0xc2ce8ed0
	v_cmp_ngt_f32_e32 vcc, s13, v32
	s_mov_b32 s13, 0x42b17218
	v_ldexp_f32 v33, v33, v34
	v_cndmask_b32_e32 v33, 0, v33, vcc
	v_mov_b32_e32 v34, 0x7f800000
	v_cmp_nlt_f32_e32 vcc, s13, v32
	s_mov_b32 s13, 0x3f2aaaab
	s_mov_b32 s20, 0x7f800000
	v_cndmask_b32_e32 v80, v34, v33, vcc
	v_add_f32_e32 v34, 1.0, v80
	v_add_f32_e32 v32, -1.0, v34
	v_sub_f32_e32 v33, v32, v34
	v_add_f32_e32 v33, 1.0, v33
	v_sub_f32_e32 v32, v80, v32
	v_add_f32_e32 v36, v32, v33
	v_frexp_mant_f32_e32 v37, v34
	v_cvt_f64_f32_e32 v[32:33], v34
	v_frexp_exp_i32_f64_e32 v32, v[32:33]
	v_cmp_gt_f32_e32 vcc, s13, v37
	s_mov_b32 s13, 0x3f317218
	s_nop 0
	v_subbrev_co_u32_e32 v66, vcc, 0, v32, vcc
	v_sub_u32_e32 v32, 0, v66
	v_ldexp_f32 v33, v34, v32
	v_add_f32_e32 v34, -1.0, v33
	v_add_f32_e32 v37, 1.0, v33
	v_ldexp_f32 v32, v36, v32
	v_add_f32_e32 v36, 1.0, v34
	v_add_f32_e32 v38, -1.0, v37
	v_sub_f32_e32 v36, v33, v36
	v_sub_f32_e32 v33, v33, v38
	v_add_f32_e32 v36, v32, v36
	v_add_f32_e32 v32, v32, v33
	v_add_f32_e32 v67, v37, v32
	v_rcp_f32_e32 v69, v67
	v_sub_f32_e32 v33, v37, v67
	v_add_f32_e32 v68, v32, v33
	v_add_f32_e32 v33, v34, v36
	v_sub_f32_e32 v32, v34, v33
	v_mul_f32_e32 v70, v33, v69
	v_add_f32_e32 v34, v36, v32
	v_mul_f32_e32 v36, v67, v70
	v_fma_f32 v38, v70, v67, -v36
	v_fmac_f32_e32 v38, v70, v68
	v_add_f32_e32 v32, v36, v38
	v_sub_f32_e32 v37, v33, v32
	v_pk_add_f32 v[64:65], v[32:33], v[36:37] neg_lo:[0,1] neg_hi:[0,1]
	v_mov_b32_e32 v39, v32
	v_pk_add_f32 v[32:33], v[64:65], v[38:39] neg_lo:[0,1] neg_hi:[0,1]
	v_cmp_eq_f32_e32 vcc, s20, v80
	v_add_f32_e32 v33, v34, v33
	v_add_f32_e32 v32, v32, v33
	;; [unrolled: 1-line block ×3, first 2 shown]
	v_mul_f32_e32 v34, v69, v33
	v_mul_f32_e32 v36, v67, v34
	v_fma_f32 v38, v34, v67, -v36
	v_fmac_f32_e32 v38, v34, v68
	v_sub_f32_e32 v37, v37, v33
	v_add_f32_e32 v67, v32, v37
	v_add_f32_e32 v32, v36, v38
	v_sub_f32_e32 v37, v33, v32
	v_pk_add_f32 v[64:65], v[32:33], v[36:37] neg_lo:[0,1] neg_hi:[0,1]
	v_mov_b32_e32 v39, v32
	v_pk_add_f32 v[32:33], v[64:65], v[38:39] neg_lo:[0,1] neg_hi:[0,1]
	v_cvt_f32_i32_e32 v36, v66
	v_add_f32_e32 v33, v67, v33
	v_add_f32_e32 v32, v32, v33
	;; [unrolled: 1-line block ×4, first 2 shown]
	v_sub_f32_e32 v33, v37, v70
	v_mul_f32_e32 v32, v69, v32
	v_sub_f32_e32 v33, v34, v33
	v_add_f32_e32 v32, v33, v32
	v_add_f32_e32 v34, v37, v32
	v_mul_f32_e32 v38, v34, v34
	v_mov_b32_e32 v33, 0x3ecc95a3
	v_sub_f32_e32 v37, v34, v37
	v_fmac_f32_e32 v33, 0x3e9b6dac, v38
	v_sub_f32_e32 v32, v32, v37
	v_fmaak_f32 v33, v38, v33, 0x3f2aaada
	v_ldexp_f32 v64, v32, 1
	v_mul_f32_e32 v37, v34, v38
	v_mov_b32_e32 v32, 0x3f317218
	v_pk_mul_f32 v[32:33], v[36:37], v[32:33]
	v_ldexp_f32 v39, v34, 1
	v_fma_f32 v34, v36, s13, -v32
	v_fmamk_f32 v38, v36, 0xb102e308, v34
	v_pk_add_f32 v[36:37], v[32:33], v[38:39]
	s_mov_b32 s13, 0x33800000
	v_sub_f32_e32 v34, v37, v39
	v_sub_f32_e32 v34, v33, v34
	v_add_f32_e32 v65, v64, v34
	v_mov_b32_e32 v64, v32
	v_pk_add_f32 v[32:33], v[36:37], v[32:33] neg_lo:[0,1] neg_hi:[0,1]
	v_pk_add_f32 v[66:67], v[36:37], v[64:65]
	v_mov_b32_e32 v39, v36
	v_mov_b32_e32 v33, v67
	v_pk_add_f32 v[68:69], v[38:39], v[32:33] neg_lo:[0,1] neg_hi:[0,1]
	v_pk_add_f32 v[32:33], v[38:39], v[32:33]
	v_cmp_lt_f32_e64 s[20:21], |v80|, s13
	v_mov_b32_e32 v34, v33
	v_pk_add_f32 v[38:39], v[34:35], v[36:37] neg_lo:[0,1] neg_hi:[0,1]
	v_mov_b32_e32 v32, v67
	v_mov_b32_e32 v39, v38
	v_pk_add_f32 v[70:71], v[66:67], v[38:39] neg_lo:[0,1] neg_hi:[0,1]
	v_mov_b32_e32 v66, v37
	v_mov_b32_e32 v67, v38
	;; [unrolled: 1-line block ×3, first 2 shown]
	v_pk_add_f32 v[32:33], v[32:33], v[66:67] neg_lo:[0,1] neg_hi:[0,1]
	v_mov_b32_e32 v38, v65
	v_mov_b32_e32 v39, v36
	v_pk_add_f32 v[32:33], v[38:39], v[32:33] neg_lo:[0,1] neg_hi:[0,1]
	v_mov_b32_e32 v70, v68
	v_pk_add_f32 v[36:37], v[70:71], v[32:33]
	s_or_b64 vcc, vcc, s[20:21]
	v_mov_b32_e32 v38, v37
	v_pk_add_f32 v[38:39], v[36:37], v[38:39]
	s_nop 0
	v_pk_add_f32 v[64:65], v[34:35], v[38:39]
	v_mov_b32_e32 v33, v38
	v_mov_b32_e32 v37, v64
	v_pk_add_f32 v[66:67], v[36:37], v[68:69] neg_lo:[0,1] neg_hi:[0,1]
	s_nop 0
	v_sub_f32_e32 v34, v36, v66
	v_pk_add_f32 v[32:33], v[32:33], v[66:67] neg_lo:[0,1] neg_hi:[0,1]
	v_sub_f32_e32 v34, v68, v34
	v_add_f32_e32 v32, v32, v34
	v_add_f32_e32 v32, v32, v33
	;; [unrolled: 1-line block ×3, first 2 shown]
	v_cndmask_b32_e32 v32, v32, v80, vcc
	v_add_f32_e32 v32, v35, v32
	v_cvt_f16_f32_e32 v33, v32
	v_cvt_f32_f16_e32 v34, v33
	v_mov_b32_e32 v32, v33
.LBB360_69:
	s_or_b64 exec, exec, s[18:19]
	v_cvt_f32_f16_sdwa v64, v20 dst_sel:DWORD dst_unused:UNUSED_PAD src0_sel:WORD_1
	v_max_f32_e32 v35, v34, v34
	v_cmp_u_f16_e32 vcc, v33, v33
	v_cmp_u_f16_sdwa s[18:19], v20, v20 src0_sel:WORD_1 src1_sel:WORD_1
	v_min_f32_e32 v36, v35, v64
	v_max_f32_e32 v35, v35, v64
	v_cndmask_b32_e32 v36, v36, v34, vcc
	v_cndmask_b32_e32 v35, v35, v34, vcc
	v_cndmask_b32_e64 v36, v36, v64, s[18:19]
	v_cndmask_b32_e64 v35, v35, v64, s[18:19]
	s_movk_i32 s13, 0x1f8
	v_cmp_neq_f32_e32 vcc, v36, v35
	v_cmp_class_f32_e64 s[20:21], v36, s13
	s_or_b64 s[22:23], vcc, s[20:21]
	s_and_saveexec_b64 s[20:21], s[22:23]
	s_cbranch_execz .LBB360_71
; %bb.70:
	v_sub_f32_e32 v32, v36, v35
	s_mov_b32 s22, 0x3fb8aa3b
	v_mul_f32_e32 v33, 0x3fb8aa3b, v32
	v_fma_f32 v34, v32, s22, -v33
	v_rndne_f32_e32 v36, v33
	v_fmamk_f32 v34, v32, 0x32a5705f, v34
	v_sub_f32_e32 v33, v33, v36
	v_add_f32_e32 v33, v33, v34
	v_exp_f32_e32 v33, v33
	v_cvt_i32_f32_e32 v34, v36
	s_mov_b32 s22, 0xc2ce8ed0
	v_cmp_ngt_f32_e32 vcc, s22, v32
	s_mov_b32 s22, 0x42b17218
	v_ldexp_f32 v33, v33, v34
	v_cndmask_b32_e32 v33, 0, v33, vcc
	v_mov_b32_e32 v34, 0x7f800000
	v_cmp_nlt_f32_e32 vcc, s22, v32
	s_mov_b32 s22, 0x3f2aaaab
	s_mov_b32 s23, 0x7f800000
	v_cndmask_b32_e32 v65, v34, v33, vcc
	v_add_f32_e32 v34, 1.0, v65
	v_add_f32_e32 v32, -1.0, v34
	v_sub_f32_e32 v33, v32, v34
	v_add_f32_e32 v33, 1.0, v33
	v_sub_f32_e32 v32, v65, v32
	v_add_f32_e32 v36, v32, v33
	v_frexp_mant_f32_e32 v37, v34
	v_cvt_f64_f32_e32 v[32:33], v34
	v_frexp_exp_i32_f64_e32 v32, v[32:33]
	v_cmp_gt_f32_e32 vcc, s22, v37
	s_mov_b32 s22, 0x3f317218
	s_nop 0
	v_subbrev_co_u32_e32 v68, vcc, 0, v32, vcc
	v_sub_u32_e32 v32, 0, v68
	v_ldexp_f32 v33, v34, v32
	v_add_f32_e32 v34, -1.0, v33
	v_add_f32_e32 v37, 1.0, v33
	v_ldexp_f32 v32, v36, v32
	v_add_f32_e32 v36, 1.0, v34
	v_add_f32_e32 v38, -1.0, v37
	v_sub_f32_e32 v36, v33, v36
	v_sub_f32_e32 v33, v33, v38
	v_add_f32_e32 v36, v32, v36
	v_add_f32_e32 v32, v32, v33
	;; [unrolled: 1-line block ×3, first 2 shown]
	v_rcp_f32_e32 v71, v69
	v_sub_f32_e32 v33, v37, v69
	v_add_f32_e32 v70, v32, v33
	v_add_f32_e32 v33, v34, v36
	v_sub_f32_e32 v32, v34, v33
	v_mul_f32_e32 v80, v33, v71
	v_add_f32_e32 v34, v36, v32
	v_mul_f32_e32 v36, v69, v80
	v_fma_f32 v38, v80, v69, -v36
	v_fmac_f32_e32 v38, v80, v70
	v_add_f32_e32 v32, v36, v38
	v_sub_f32_e32 v37, v33, v32
	v_pk_add_f32 v[66:67], v[32:33], v[36:37] neg_lo:[0,1] neg_hi:[0,1]
	v_mov_b32_e32 v39, v32
	v_pk_add_f32 v[32:33], v[66:67], v[38:39] neg_lo:[0,1] neg_hi:[0,1]
	v_cmp_eq_f32_e32 vcc, s23, v65
	v_add_f32_e32 v33, v34, v33
	v_add_f32_e32 v32, v32, v33
	;; [unrolled: 1-line block ×3, first 2 shown]
	v_mul_f32_e32 v34, v71, v33
	v_mul_f32_e32 v36, v69, v34
	v_fma_f32 v38, v34, v69, -v36
	v_fmac_f32_e32 v38, v34, v70
	v_sub_f32_e32 v37, v37, v33
	v_add_f32_e32 v69, v32, v37
	v_add_f32_e32 v32, v36, v38
	v_sub_f32_e32 v37, v33, v32
	v_pk_add_f32 v[66:67], v[32:33], v[36:37] neg_lo:[0,1] neg_hi:[0,1]
	v_mov_b32_e32 v39, v32
	v_pk_add_f32 v[32:33], v[66:67], v[38:39] neg_lo:[0,1] neg_hi:[0,1]
	v_cvt_f32_i32_e32 v36, v68
	v_add_f32_e32 v33, v69, v33
	v_add_f32_e32 v32, v32, v33
	;; [unrolled: 1-line block ×4, first 2 shown]
	v_sub_f32_e32 v33, v37, v80
	v_mul_f32_e32 v32, v71, v32
	v_sub_f32_e32 v33, v34, v33
	v_add_f32_e32 v32, v33, v32
	v_add_f32_e32 v34, v37, v32
	v_mul_f32_e32 v38, v34, v34
	v_mov_b32_e32 v33, 0x3ecc95a3
	v_sub_f32_e32 v37, v34, v37
	v_fmac_f32_e32 v33, 0x3e9b6dac, v38
	v_sub_f32_e32 v32, v32, v37
	v_fmaak_f32 v33, v38, v33, 0x3f2aaada
	v_ldexp_f32 v66, v32, 1
	v_mul_f32_e32 v37, v34, v38
	v_mov_b32_e32 v32, 0x3f317218
	v_pk_mul_f32 v[32:33], v[36:37], v[32:33]
	v_ldexp_f32 v39, v34, 1
	v_fma_f32 v34, v36, s22, -v32
	v_fmamk_f32 v38, v36, 0xb102e308, v34
	v_pk_add_f32 v[36:37], v[32:33], v[38:39]
	s_mov_b32 s22, 0x33800000
	v_sub_f32_e32 v34, v37, v39
	v_sub_f32_e32 v34, v33, v34
	v_add_f32_e32 v67, v66, v34
	v_mov_b32_e32 v66, v32
	v_pk_add_f32 v[32:33], v[36:37], v[32:33] neg_lo:[0,1] neg_hi:[0,1]
	v_pk_add_f32 v[68:69], v[36:37], v[66:67]
	v_mov_b32_e32 v39, v36
	v_mov_b32_e32 v33, v69
	v_pk_add_f32 v[70:71], v[38:39], v[32:33] neg_lo:[0,1] neg_hi:[0,1]
	v_pk_add_f32 v[32:33], v[38:39], v[32:33]
	v_cmp_lt_f32_e64 s[22:23], |v65|, s22
	v_mov_b32_e32 v34, v33
	v_pk_add_f32 v[38:39], v[34:35], v[36:37] neg_lo:[0,1] neg_hi:[0,1]
	v_mov_b32_e32 v32, v69
	v_mov_b32_e32 v39, v38
	v_pk_add_f32 v[80:81], v[68:69], v[38:39] neg_lo:[0,1] neg_hi:[0,1]
	v_mov_b32_e32 v68, v37
	v_mov_b32_e32 v69, v38
	;; [unrolled: 1-line block ×3, first 2 shown]
	v_pk_add_f32 v[32:33], v[32:33], v[68:69] neg_lo:[0,1] neg_hi:[0,1]
	v_mov_b32_e32 v38, v67
	v_mov_b32_e32 v39, v36
	v_pk_add_f32 v[32:33], v[38:39], v[32:33] neg_lo:[0,1] neg_hi:[0,1]
	v_mov_b32_e32 v80, v70
	v_pk_add_f32 v[36:37], v[80:81], v[32:33]
	s_or_b64 vcc, vcc, s[22:23]
	v_mov_b32_e32 v38, v37
	v_pk_add_f32 v[38:39], v[36:37], v[38:39]
	s_nop 0
	v_pk_add_f32 v[66:67], v[34:35], v[38:39]
	v_mov_b32_e32 v33, v38
	v_mov_b32_e32 v37, v66
	v_pk_add_f32 v[68:69], v[36:37], v[70:71] neg_lo:[0,1] neg_hi:[0,1]
	s_nop 0
	v_sub_f32_e32 v34, v36, v68
	v_pk_add_f32 v[32:33], v[32:33], v[68:69] neg_lo:[0,1] neg_hi:[0,1]
	v_sub_f32_e32 v34, v70, v34
	v_add_f32_e32 v32, v32, v34
	v_add_f32_e32 v32, v32, v33
	;; [unrolled: 1-line block ×3, first 2 shown]
	v_cndmask_b32_e32 v32, v32, v65, vcc
	v_add_f32_e32 v32, v35, v32
	v_cvt_f16_f32_e32 v33, v32
	v_cvt_f32_f16_e32 v34, v33
	v_mov_b32_e32 v32, v33
.LBB360_71:
	s_or_b64 exec, exec, s[20:21]
	v_cvt_f32_f16_e32 v65, v21
	v_max_f32_e32 v35, v34, v34
	v_cmp_u_f16_e32 vcc, v33, v33
	v_cmp_u_f16_e64 s[20:21], v21, v21
	v_min_f32_e32 v36, v35, v65
	v_max_f32_e32 v35, v35, v65
	v_cndmask_b32_e32 v36, v36, v34, vcc
	v_cndmask_b32_e32 v35, v35, v34, vcc
	v_cndmask_b32_e64 v36, v36, v65, s[20:21]
	v_cndmask_b32_e64 v35, v35, v65, s[20:21]
	v_cmp_neq_f32_e32 vcc, v36, v35
	v_cmp_class_f32_e64 s[22:23], v36, s13
	s_or_b64 s[24:25], vcc, s[22:23]
	s_and_saveexec_b64 s[22:23], s[24:25]
	s_cbranch_execz .LBB360_73
; %bb.72:
	v_sub_f32_e32 v32, v36, v35
	s_mov_b32 s13, 0x3fb8aa3b
	v_mul_f32_e32 v33, 0x3fb8aa3b, v32
	v_fma_f32 v34, v32, s13, -v33
	v_rndne_f32_e32 v36, v33
	v_fmamk_f32 v34, v32, 0x32a5705f, v34
	v_sub_f32_e32 v33, v33, v36
	v_add_f32_e32 v33, v33, v34
	v_exp_f32_e32 v33, v33
	v_cvt_i32_f32_e32 v34, v36
	s_mov_b32 s13, 0xc2ce8ed0
	v_cmp_ngt_f32_e32 vcc, s13, v32
	s_mov_b32 s13, 0x42b17218
	v_ldexp_f32 v33, v33, v34
	v_cndmask_b32_e32 v33, 0, v33, vcc
	v_mov_b32_e32 v34, 0x7f800000
	v_cmp_nlt_f32_e32 vcc, s13, v32
	s_mov_b32 s13, 0x3f2aaaab
	s_mov_b32 s24, 0x7f800000
	v_cndmask_b32_e32 v82, v34, v33, vcc
	v_add_f32_e32 v34, 1.0, v82
	v_add_f32_e32 v32, -1.0, v34
	v_sub_f32_e32 v33, v32, v34
	v_add_f32_e32 v33, 1.0, v33
	v_sub_f32_e32 v32, v82, v32
	v_add_f32_e32 v36, v32, v33
	v_frexp_mant_f32_e32 v37, v34
	v_cvt_f64_f32_e32 v[32:33], v34
	v_frexp_exp_i32_f64_e32 v32, v[32:33]
	v_cmp_gt_f32_e32 vcc, s13, v37
	s_mov_b32 s13, 0x3f317218
	s_nop 0
	v_subbrev_co_u32_e32 v68, vcc, 0, v32, vcc
	v_sub_u32_e32 v32, 0, v68
	v_ldexp_f32 v33, v34, v32
	v_add_f32_e32 v34, -1.0, v33
	v_add_f32_e32 v37, 1.0, v33
	v_ldexp_f32 v32, v36, v32
	v_add_f32_e32 v36, 1.0, v34
	v_add_f32_e32 v38, -1.0, v37
	v_sub_f32_e32 v36, v33, v36
	v_sub_f32_e32 v33, v33, v38
	v_add_f32_e32 v36, v32, v36
	v_add_f32_e32 v32, v32, v33
	;; [unrolled: 1-line block ×3, first 2 shown]
	v_rcp_f32_e32 v71, v69
	v_sub_f32_e32 v33, v37, v69
	v_add_f32_e32 v70, v32, v33
	v_add_f32_e32 v33, v34, v36
	v_sub_f32_e32 v32, v34, v33
	v_mul_f32_e32 v80, v33, v71
	v_add_f32_e32 v34, v36, v32
	v_mul_f32_e32 v36, v69, v80
	v_fma_f32 v38, v80, v69, -v36
	v_fmac_f32_e32 v38, v80, v70
	v_add_f32_e32 v32, v36, v38
	v_sub_f32_e32 v37, v33, v32
	v_pk_add_f32 v[66:67], v[32:33], v[36:37] neg_lo:[0,1] neg_hi:[0,1]
	v_mov_b32_e32 v39, v32
	v_pk_add_f32 v[32:33], v[66:67], v[38:39] neg_lo:[0,1] neg_hi:[0,1]
	v_cmp_eq_f32_e32 vcc, s24, v82
	v_add_f32_e32 v33, v34, v33
	v_add_f32_e32 v32, v32, v33
	;; [unrolled: 1-line block ×3, first 2 shown]
	v_mul_f32_e32 v34, v71, v33
	v_mul_f32_e32 v36, v69, v34
	v_fma_f32 v38, v34, v69, -v36
	v_fmac_f32_e32 v38, v34, v70
	v_sub_f32_e32 v37, v37, v33
	v_add_f32_e32 v69, v32, v37
	v_add_f32_e32 v32, v36, v38
	v_sub_f32_e32 v37, v33, v32
	v_pk_add_f32 v[66:67], v[32:33], v[36:37] neg_lo:[0,1] neg_hi:[0,1]
	v_mov_b32_e32 v39, v32
	v_pk_add_f32 v[32:33], v[66:67], v[38:39] neg_lo:[0,1] neg_hi:[0,1]
	v_cvt_f32_i32_e32 v36, v68
	v_add_f32_e32 v33, v69, v33
	v_add_f32_e32 v32, v32, v33
	;; [unrolled: 1-line block ×4, first 2 shown]
	v_sub_f32_e32 v33, v37, v80
	v_mul_f32_e32 v32, v71, v32
	v_sub_f32_e32 v33, v34, v33
	v_add_f32_e32 v32, v33, v32
	v_add_f32_e32 v34, v37, v32
	v_mul_f32_e32 v38, v34, v34
	v_mov_b32_e32 v33, 0x3ecc95a3
	v_sub_f32_e32 v37, v34, v37
	v_fmac_f32_e32 v33, 0x3e9b6dac, v38
	v_sub_f32_e32 v32, v32, v37
	v_fmaak_f32 v33, v38, v33, 0x3f2aaada
	v_ldexp_f32 v66, v32, 1
	v_mul_f32_e32 v37, v34, v38
	v_mov_b32_e32 v32, 0x3f317218
	v_pk_mul_f32 v[32:33], v[36:37], v[32:33]
	v_ldexp_f32 v39, v34, 1
	v_fma_f32 v34, v36, s13, -v32
	v_fmamk_f32 v38, v36, 0xb102e308, v34
	v_pk_add_f32 v[36:37], v[32:33], v[38:39]
	s_mov_b32 s13, 0x33800000
	v_sub_f32_e32 v34, v37, v39
	v_sub_f32_e32 v34, v33, v34
	v_add_f32_e32 v67, v66, v34
	v_mov_b32_e32 v66, v32
	v_pk_add_f32 v[32:33], v[36:37], v[32:33] neg_lo:[0,1] neg_hi:[0,1]
	v_pk_add_f32 v[68:69], v[36:37], v[66:67]
	v_mov_b32_e32 v39, v36
	v_mov_b32_e32 v33, v69
	v_pk_add_f32 v[70:71], v[38:39], v[32:33] neg_lo:[0,1] neg_hi:[0,1]
	v_pk_add_f32 v[32:33], v[38:39], v[32:33]
	v_cmp_lt_f32_e64 s[24:25], |v82|, s13
	v_mov_b32_e32 v34, v33
	v_pk_add_f32 v[38:39], v[34:35], v[36:37] neg_lo:[0,1] neg_hi:[0,1]
	v_mov_b32_e32 v32, v69
	v_mov_b32_e32 v39, v38
	v_pk_add_f32 v[80:81], v[68:69], v[38:39] neg_lo:[0,1] neg_hi:[0,1]
	v_mov_b32_e32 v68, v37
	v_mov_b32_e32 v69, v38
	;; [unrolled: 1-line block ×3, first 2 shown]
	v_pk_add_f32 v[32:33], v[32:33], v[68:69] neg_lo:[0,1] neg_hi:[0,1]
	v_mov_b32_e32 v38, v67
	v_mov_b32_e32 v39, v36
	v_pk_add_f32 v[32:33], v[38:39], v[32:33] neg_lo:[0,1] neg_hi:[0,1]
	v_mov_b32_e32 v80, v70
	v_pk_add_f32 v[36:37], v[80:81], v[32:33]
	s_or_b64 vcc, vcc, s[24:25]
	v_mov_b32_e32 v38, v37
	v_pk_add_f32 v[38:39], v[36:37], v[38:39]
	s_nop 0
	v_pk_add_f32 v[66:67], v[34:35], v[38:39]
	v_mov_b32_e32 v33, v38
	v_mov_b32_e32 v37, v66
	v_pk_add_f32 v[68:69], v[36:37], v[70:71] neg_lo:[0,1] neg_hi:[0,1]
	s_nop 0
	v_sub_f32_e32 v34, v36, v68
	v_pk_add_f32 v[32:33], v[32:33], v[68:69] neg_lo:[0,1] neg_hi:[0,1]
	v_sub_f32_e32 v34, v70, v34
	v_add_f32_e32 v32, v32, v34
	v_add_f32_e32 v32, v32, v33
	;; [unrolled: 1-line block ×3, first 2 shown]
	v_cndmask_b32_e32 v32, v32, v82, vcc
	v_add_f32_e32 v32, v35, v32
	v_cvt_f16_f32_e32 v33, v32
	v_cvt_f32_f16_e32 v34, v33
	v_mov_b32_e32 v32, v33
.LBB360_73:
	s_or_b64 exec, exec, s[22:23]
	v_cvt_f32_f16_sdwa v66, v21 dst_sel:DWORD dst_unused:UNUSED_PAD src0_sel:WORD_1
	v_max_f32_e32 v35, v34, v34
	v_cmp_u_f16_e32 vcc, v33, v33
	v_cmp_u_f16_sdwa s[22:23], v21, v21 src0_sel:WORD_1 src1_sel:WORD_1
	v_min_f32_e32 v36, v35, v66
	v_max_f32_e32 v35, v35, v66
	v_cndmask_b32_e32 v36, v36, v34, vcc
	v_cndmask_b32_e32 v35, v35, v34, vcc
	v_cndmask_b32_e64 v36, v36, v66, s[22:23]
	v_cndmask_b32_e64 v35, v35, v66, s[22:23]
	s_movk_i32 s13, 0x1f8
	v_cmp_neq_f32_e32 vcc, v36, v35
	v_cmp_class_f32_e64 s[24:25], v36, s13
	s_or_b64 s[26:27], vcc, s[24:25]
	s_and_saveexec_b64 s[24:25], s[26:27]
	s_cbranch_execz .LBB360_75
; %bb.74:
	v_sub_f32_e32 v32, v36, v35
	s_mov_b32 s26, 0x3fb8aa3b
	v_mul_f32_e32 v33, 0x3fb8aa3b, v32
	v_fma_f32 v34, v32, s26, -v33
	v_rndne_f32_e32 v36, v33
	v_fmamk_f32 v34, v32, 0x32a5705f, v34
	v_sub_f32_e32 v33, v33, v36
	v_add_f32_e32 v33, v33, v34
	v_exp_f32_e32 v33, v33
	v_cvt_i32_f32_e32 v34, v36
	s_mov_b32 s26, 0xc2ce8ed0
	v_cmp_ngt_f32_e32 vcc, s26, v32
	s_mov_b32 s26, 0x42b17218
	v_ldexp_f32 v33, v33, v34
	v_cndmask_b32_e32 v33, 0, v33, vcc
	v_mov_b32_e32 v34, 0x7f800000
	v_cmp_nlt_f32_e32 vcc, s26, v32
	s_mov_b32 s26, 0x3f2aaaab
	s_mov_b32 s27, 0x7f800000
	v_cndmask_b32_e32 v67, v34, v33, vcc
	v_add_f32_e32 v34, 1.0, v67
	v_add_f32_e32 v32, -1.0, v34
	v_sub_f32_e32 v33, v32, v34
	v_add_f32_e32 v33, 1.0, v33
	v_sub_f32_e32 v32, v67, v32
	v_add_f32_e32 v36, v32, v33
	v_frexp_mant_f32_e32 v37, v34
	v_cvt_f64_f32_e32 v[32:33], v34
	v_frexp_exp_i32_f64_e32 v32, v[32:33]
	v_cmp_gt_f32_e32 vcc, s26, v37
	s_mov_b32 s26, 0x3f317218
	s_nop 0
	v_subbrev_co_u32_e32 v70, vcc, 0, v32, vcc
	v_sub_u32_e32 v32, 0, v70
	v_ldexp_f32 v33, v34, v32
	v_add_f32_e32 v34, -1.0, v33
	v_add_f32_e32 v37, 1.0, v33
	v_ldexp_f32 v32, v36, v32
	v_add_f32_e32 v36, 1.0, v34
	v_add_f32_e32 v38, -1.0, v37
	v_sub_f32_e32 v36, v33, v36
	v_sub_f32_e32 v33, v33, v38
	v_add_f32_e32 v36, v32, v36
	v_add_f32_e32 v32, v32, v33
	v_add_f32_e32 v71, v37, v32
	v_rcp_f32_e32 v81, v71
	v_sub_f32_e32 v33, v37, v71
	v_add_f32_e32 v80, v32, v33
	v_add_f32_e32 v33, v34, v36
	v_sub_f32_e32 v32, v34, v33
	v_mul_f32_e32 v82, v33, v81
	v_add_f32_e32 v34, v36, v32
	v_mul_f32_e32 v36, v71, v82
	v_fma_f32 v38, v82, v71, -v36
	v_fmac_f32_e32 v38, v82, v80
	v_add_f32_e32 v32, v36, v38
	v_sub_f32_e32 v37, v33, v32
	v_pk_add_f32 v[68:69], v[32:33], v[36:37] neg_lo:[0,1] neg_hi:[0,1]
	v_mov_b32_e32 v39, v32
	v_pk_add_f32 v[32:33], v[68:69], v[38:39] neg_lo:[0,1] neg_hi:[0,1]
	v_cmp_eq_f32_e32 vcc, s27, v67
	v_add_f32_e32 v33, v34, v33
	v_add_f32_e32 v32, v32, v33
	;; [unrolled: 1-line block ×3, first 2 shown]
	v_mul_f32_e32 v34, v81, v33
	v_mul_f32_e32 v36, v71, v34
	v_fma_f32 v38, v34, v71, -v36
	v_fmac_f32_e32 v38, v34, v80
	v_sub_f32_e32 v37, v37, v33
	v_add_f32_e32 v71, v32, v37
	v_add_f32_e32 v32, v36, v38
	v_sub_f32_e32 v37, v33, v32
	v_pk_add_f32 v[68:69], v[32:33], v[36:37] neg_lo:[0,1] neg_hi:[0,1]
	v_mov_b32_e32 v39, v32
	v_pk_add_f32 v[32:33], v[68:69], v[38:39] neg_lo:[0,1] neg_hi:[0,1]
	v_cvt_f32_i32_e32 v36, v70
	v_add_f32_e32 v33, v71, v33
	v_add_f32_e32 v32, v32, v33
	;; [unrolled: 1-line block ×4, first 2 shown]
	v_sub_f32_e32 v33, v37, v82
	v_mul_f32_e32 v32, v81, v32
	v_sub_f32_e32 v33, v34, v33
	v_add_f32_e32 v32, v33, v32
	v_add_f32_e32 v34, v37, v32
	v_mul_f32_e32 v38, v34, v34
	v_mov_b32_e32 v33, 0x3ecc95a3
	v_sub_f32_e32 v37, v34, v37
	v_fmac_f32_e32 v33, 0x3e9b6dac, v38
	v_sub_f32_e32 v32, v32, v37
	v_fmaak_f32 v33, v38, v33, 0x3f2aaada
	v_ldexp_f32 v68, v32, 1
	v_mul_f32_e32 v37, v34, v38
	v_mov_b32_e32 v32, 0x3f317218
	v_pk_mul_f32 v[32:33], v[36:37], v[32:33]
	v_ldexp_f32 v39, v34, 1
	v_fma_f32 v34, v36, s26, -v32
	v_fmamk_f32 v38, v36, 0xb102e308, v34
	v_pk_add_f32 v[36:37], v[32:33], v[38:39]
	s_mov_b32 s26, 0x33800000
	v_sub_f32_e32 v34, v37, v39
	v_sub_f32_e32 v34, v33, v34
	v_add_f32_e32 v69, v68, v34
	v_mov_b32_e32 v68, v32
	v_pk_add_f32 v[32:33], v[36:37], v[32:33] neg_lo:[0,1] neg_hi:[0,1]
	v_pk_add_f32 v[70:71], v[36:37], v[68:69]
	v_mov_b32_e32 v39, v36
	v_mov_b32_e32 v33, v71
	v_pk_add_f32 v[80:81], v[38:39], v[32:33] neg_lo:[0,1] neg_hi:[0,1]
	v_pk_add_f32 v[32:33], v[38:39], v[32:33]
	v_cmp_lt_f32_e64 s[26:27], |v67|, s26
	v_mov_b32_e32 v34, v33
	v_pk_add_f32 v[38:39], v[34:35], v[36:37] neg_lo:[0,1] neg_hi:[0,1]
	v_mov_b32_e32 v32, v71
	v_mov_b32_e32 v39, v38
	v_pk_add_f32 v[82:83], v[70:71], v[38:39] neg_lo:[0,1] neg_hi:[0,1]
	v_mov_b32_e32 v70, v37
	v_mov_b32_e32 v71, v38
	;; [unrolled: 1-line block ×3, first 2 shown]
	v_pk_add_f32 v[32:33], v[32:33], v[70:71] neg_lo:[0,1] neg_hi:[0,1]
	v_mov_b32_e32 v38, v69
	v_mov_b32_e32 v39, v36
	v_pk_add_f32 v[32:33], v[38:39], v[32:33] neg_lo:[0,1] neg_hi:[0,1]
	v_mov_b32_e32 v82, v80
	v_pk_add_f32 v[36:37], v[82:83], v[32:33]
	s_or_b64 vcc, vcc, s[26:27]
	v_mov_b32_e32 v38, v37
	v_pk_add_f32 v[38:39], v[36:37], v[38:39]
	s_nop 0
	v_pk_add_f32 v[68:69], v[34:35], v[38:39]
	v_mov_b32_e32 v33, v38
	v_mov_b32_e32 v37, v68
	v_pk_add_f32 v[70:71], v[36:37], v[80:81] neg_lo:[0,1] neg_hi:[0,1]
	s_nop 0
	v_sub_f32_e32 v34, v36, v70
	v_pk_add_f32 v[32:33], v[32:33], v[70:71] neg_lo:[0,1] neg_hi:[0,1]
	v_sub_f32_e32 v34, v80, v34
	v_add_f32_e32 v32, v32, v34
	v_add_f32_e32 v32, v32, v33
	;; [unrolled: 1-line block ×3, first 2 shown]
	v_cndmask_b32_e32 v32, v32, v67, vcc
	v_add_f32_e32 v32, v35, v32
	v_cvt_f16_f32_e32 v33, v32
	v_cvt_f32_f16_e32 v34, v33
	v_mov_b32_e32 v32, v33
.LBB360_75:
	s_or_b64 exec, exec, s[24:25]
	v_cvt_f32_f16_e32 v67, v22
	v_max_f32_e32 v35, v34, v34
	v_cmp_u_f16_e32 vcc, v33, v33
	v_cmp_u_f16_e64 s[24:25], v22, v22
	v_min_f32_e32 v36, v35, v67
	v_max_f32_e32 v35, v35, v67
	v_cndmask_b32_e32 v36, v36, v34, vcc
	v_cndmask_b32_e32 v35, v35, v34, vcc
	v_cndmask_b32_e64 v36, v36, v67, s[24:25]
	v_cndmask_b32_e64 v35, v35, v67, s[24:25]
	v_cmp_neq_f32_e32 vcc, v36, v35
	v_cmp_class_f32_e64 s[26:27], v36, s13
	s_or_b64 s[28:29], vcc, s[26:27]
	s_and_saveexec_b64 s[26:27], s[28:29]
	s_cbranch_execz .LBB360_77
; %bb.76:
	v_sub_f32_e32 v32, v36, v35
	s_mov_b32 s13, 0x3fb8aa3b
	v_mul_f32_e32 v33, 0x3fb8aa3b, v32
	v_fma_f32 v34, v32, s13, -v33
	v_rndne_f32_e32 v36, v33
	v_fmamk_f32 v34, v32, 0x32a5705f, v34
	v_sub_f32_e32 v33, v33, v36
	v_add_f32_e32 v33, v33, v34
	v_exp_f32_e32 v33, v33
	v_cvt_i32_f32_e32 v34, v36
	s_mov_b32 s13, 0xc2ce8ed0
	v_cmp_ngt_f32_e32 vcc, s13, v32
	s_mov_b32 s13, 0x42b17218
	v_ldexp_f32 v33, v33, v34
	v_cndmask_b32_e32 v33, 0, v33, vcc
	v_mov_b32_e32 v34, 0x7f800000
	v_cmp_nlt_f32_e32 vcc, s13, v32
	s_mov_b32 s13, 0x3f2aaaab
	s_mov_b32 s28, 0x7f800000
	v_cndmask_b32_e32 v84, v34, v33, vcc
	v_add_f32_e32 v34, 1.0, v84
	v_add_f32_e32 v32, -1.0, v34
	v_sub_f32_e32 v33, v32, v34
	v_add_f32_e32 v33, 1.0, v33
	v_sub_f32_e32 v32, v84, v32
	v_add_f32_e32 v36, v32, v33
	v_frexp_mant_f32_e32 v37, v34
	v_cvt_f64_f32_e32 v[32:33], v34
	v_frexp_exp_i32_f64_e32 v32, v[32:33]
	v_cmp_gt_f32_e32 vcc, s13, v37
	s_mov_b32 s13, 0x3f317218
	s_nop 0
	v_subbrev_co_u32_e32 v70, vcc, 0, v32, vcc
	v_sub_u32_e32 v32, 0, v70
	v_ldexp_f32 v33, v34, v32
	v_add_f32_e32 v34, -1.0, v33
	v_add_f32_e32 v37, 1.0, v33
	v_ldexp_f32 v32, v36, v32
	v_add_f32_e32 v36, 1.0, v34
	v_add_f32_e32 v38, -1.0, v37
	v_sub_f32_e32 v36, v33, v36
	v_sub_f32_e32 v33, v33, v38
	v_add_f32_e32 v36, v32, v36
	v_add_f32_e32 v32, v32, v33
	;; [unrolled: 1-line block ×3, first 2 shown]
	v_rcp_f32_e32 v81, v71
	v_sub_f32_e32 v33, v37, v71
	v_add_f32_e32 v80, v32, v33
	v_add_f32_e32 v33, v34, v36
	v_sub_f32_e32 v32, v34, v33
	v_mul_f32_e32 v82, v33, v81
	v_add_f32_e32 v34, v36, v32
	v_mul_f32_e32 v36, v71, v82
	v_fma_f32 v38, v82, v71, -v36
	v_fmac_f32_e32 v38, v82, v80
	v_add_f32_e32 v32, v36, v38
	v_sub_f32_e32 v37, v33, v32
	v_pk_add_f32 v[68:69], v[32:33], v[36:37] neg_lo:[0,1] neg_hi:[0,1]
	v_mov_b32_e32 v39, v32
	v_pk_add_f32 v[32:33], v[68:69], v[38:39] neg_lo:[0,1] neg_hi:[0,1]
	v_cmp_eq_f32_e32 vcc, s28, v84
	v_add_f32_e32 v33, v34, v33
	v_add_f32_e32 v32, v32, v33
	;; [unrolled: 1-line block ×3, first 2 shown]
	v_mul_f32_e32 v34, v81, v33
	v_mul_f32_e32 v36, v71, v34
	v_fma_f32 v38, v34, v71, -v36
	v_fmac_f32_e32 v38, v34, v80
	v_sub_f32_e32 v37, v37, v33
	v_add_f32_e32 v71, v32, v37
	v_add_f32_e32 v32, v36, v38
	v_sub_f32_e32 v37, v33, v32
	v_pk_add_f32 v[68:69], v[32:33], v[36:37] neg_lo:[0,1] neg_hi:[0,1]
	v_mov_b32_e32 v39, v32
	v_pk_add_f32 v[32:33], v[68:69], v[38:39] neg_lo:[0,1] neg_hi:[0,1]
	v_cvt_f32_i32_e32 v36, v70
	v_add_f32_e32 v33, v71, v33
	v_add_f32_e32 v32, v32, v33
	;; [unrolled: 1-line block ×4, first 2 shown]
	v_sub_f32_e32 v33, v37, v82
	v_mul_f32_e32 v32, v81, v32
	v_sub_f32_e32 v33, v34, v33
	v_add_f32_e32 v32, v33, v32
	v_add_f32_e32 v34, v37, v32
	v_mul_f32_e32 v38, v34, v34
	v_mov_b32_e32 v33, 0x3ecc95a3
	v_sub_f32_e32 v37, v34, v37
	v_fmac_f32_e32 v33, 0x3e9b6dac, v38
	v_sub_f32_e32 v32, v32, v37
	v_fmaak_f32 v33, v38, v33, 0x3f2aaada
	v_ldexp_f32 v68, v32, 1
	v_mul_f32_e32 v37, v34, v38
	v_mov_b32_e32 v32, 0x3f317218
	v_pk_mul_f32 v[32:33], v[36:37], v[32:33]
	v_ldexp_f32 v39, v34, 1
	v_fma_f32 v34, v36, s13, -v32
	v_fmamk_f32 v38, v36, 0xb102e308, v34
	v_pk_add_f32 v[36:37], v[32:33], v[38:39]
	s_mov_b32 s13, 0x33800000
	v_sub_f32_e32 v34, v37, v39
	v_sub_f32_e32 v34, v33, v34
	v_add_f32_e32 v69, v68, v34
	v_mov_b32_e32 v68, v32
	v_pk_add_f32 v[32:33], v[36:37], v[32:33] neg_lo:[0,1] neg_hi:[0,1]
	v_pk_add_f32 v[70:71], v[36:37], v[68:69]
	v_mov_b32_e32 v39, v36
	v_mov_b32_e32 v33, v71
	v_pk_add_f32 v[80:81], v[38:39], v[32:33] neg_lo:[0,1] neg_hi:[0,1]
	v_pk_add_f32 v[32:33], v[38:39], v[32:33]
	v_cmp_lt_f32_e64 s[28:29], |v84|, s13
	v_mov_b32_e32 v34, v33
	v_pk_add_f32 v[38:39], v[34:35], v[36:37] neg_lo:[0,1] neg_hi:[0,1]
	v_mov_b32_e32 v32, v71
	v_mov_b32_e32 v39, v38
	v_pk_add_f32 v[82:83], v[70:71], v[38:39] neg_lo:[0,1] neg_hi:[0,1]
	v_mov_b32_e32 v70, v37
	v_mov_b32_e32 v71, v38
	;; [unrolled: 1-line block ×3, first 2 shown]
	v_pk_add_f32 v[32:33], v[32:33], v[70:71] neg_lo:[0,1] neg_hi:[0,1]
	v_mov_b32_e32 v38, v69
	v_mov_b32_e32 v39, v36
	v_pk_add_f32 v[32:33], v[38:39], v[32:33] neg_lo:[0,1] neg_hi:[0,1]
	v_mov_b32_e32 v82, v80
	v_pk_add_f32 v[36:37], v[82:83], v[32:33]
	s_or_b64 vcc, vcc, s[28:29]
	v_mov_b32_e32 v38, v37
	v_pk_add_f32 v[38:39], v[36:37], v[38:39]
	s_nop 0
	v_pk_add_f32 v[68:69], v[34:35], v[38:39]
	v_mov_b32_e32 v33, v38
	v_mov_b32_e32 v37, v68
	v_pk_add_f32 v[70:71], v[36:37], v[80:81] neg_lo:[0,1] neg_hi:[0,1]
	s_nop 0
	v_sub_f32_e32 v34, v36, v70
	v_pk_add_f32 v[32:33], v[32:33], v[70:71] neg_lo:[0,1] neg_hi:[0,1]
	v_sub_f32_e32 v34, v80, v34
	v_add_f32_e32 v32, v32, v34
	v_add_f32_e32 v32, v32, v33
	v_add_f32_e32 v32, v68, v32
	v_cndmask_b32_e32 v32, v32, v84, vcc
	v_add_f32_e32 v32, v35, v32
	v_cvt_f16_f32_e32 v33, v32
	v_cvt_f32_f16_e32 v34, v33
	v_mov_b32_e32 v32, v33
.LBB360_77:
	s_or_b64 exec, exec, s[26:27]
	v_cvt_f32_f16_sdwa v68, v22 dst_sel:DWORD dst_unused:UNUSED_PAD src0_sel:WORD_1
	v_max_f32_e32 v35, v34, v34
	v_cmp_u_f16_e32 vcc, v33, v33
	v_cmp_u_f16_sdwa s[26:27], v22, v22 src0_sel:WORD_1 src1_sel:WORD_1
	v_min_f32_e32 v36, v35, v68
	v_max_f32_e32 v35, v35, v68
	v_cndmask_b32_e32 v36, v36, v34, vcc
	v_cndmask_b32_e32 v35, v35, v34, vcc
	v_cndmask_b32_e64 v36, v36, v68, s[26:27]
	v_cndmask_b32_e64 v35, v35, v68, s[26:27]
	s_movk_i32 s13, 0x1f8
	v_cmp_neq_f32_e32 vcc, v36, v35
	v_cmp_class_f32_e64 s[28:29], v36, s13
	s_or_b64 vcc, vcc, s[28:29]
	s_and_saveexec_b64 s[28:29], vcc
	s_cbranch_execz .LBB360_79
; %bb.78:
	v_sub_f32_e32 v32, v36, v35
	s_mov_b32 s30, 0x3fb8aa3b
	v_mul_f32_e32 v33, 0x3fb8aa3b, v32
	v_fma_f32 v34, v32, s30, -v33
	v_rndne_f32_e32 v36, v33
	v_fmamk_f32 v34, v32, 0x32a5705f, v34
	v_sub_f32_e32 v33, v33, v36
	v_add_f32_e32 v33, v33, v34
	v_exp_f32_e32 v33, v33
	v_cvt_i32_f32_e32 v34, v36
	s_mov_b32 s30, 0xc2ce8ed0
	v_cmp_ngt_f32_e32 vcc, s30, v32
	s_mov_b32 s30, 0x42b17218
	v_ldexp_f32 v33, v33, v34
	v_cndmask_b32_e32 v33, 0, v33, vcc
	v_mov_b32_e32 v34, 0x7f800000
	v_cmp_nlt_f32_e32 vcc, s30, v32
	s_mov_b32 s30, 0x3f2aaaab
	s_mov_b32 s31, 0x7f800000
	v_cndmask_b32_e32 v69, v34, v33, vcc
	v_add_f32_e32 v34, 1.0, v69
	v_add_f32_e32 v32, -1.0, v34
	v_sub_f32_e32 v33, v32, v34
	v_add_f32_e32 v33, 1.0, v33
	v_sub_f32_e32 v32, v69, v32
	v_add_f32_e32 v36, v32, v33
	v_frexp_mant_f32_e32 v37, v34
	v_cvt_f64_f32_e32 v[32:33], v34
	v_frexp_exp_i32_f64_e32 v32, v[32:33]
	v_cmp_gt_f32_e32 vcc, s30, v37
	s_mov_b32 s30, 0x3f317218
	s_nop 0
	v_subbrev_co_u32_e32 v80, vcc, 0, v32, vcc
	v_sub_u32_e32 v32, 0, v80
	v_ldexp_f32 v33, v34, v32
	v_add_f32_e32 v34, -1.0, v33
	v_add_f32_e32 v37, 1.0, v33
	v_ldexp_f32 v32, v36, v32
	v_add_f32_e32 v36, 1.0, v34
	v_add_f32_e32 v38, -1.0, v37
	v_sub_f32_e32 v36, v33, v36
	v_sub_f32_e32 v33, v33, v38
	v_add_f32_e32 v36, v32, v36
	v_add_f32_e32 v32, v32, v33
	v_add_f32_e32 v81, v37, v32
	v_rcp_f32_e32 v83, v81
	v_sub_f32_e32 v33, v37, v81
	v_add_f32_e32 v82, v32, v33
	v_add_f32_e32 v33, v34, v36
	v_sub_f32_e32 v32, v34, v33
	v_mul_f32_e32 v84, v33, v83
	v_add_f32_e32 v34, v36, v32
	v_mul_f32_e32 v36, v81, v84
	v_fma_f32 v38, v84, v81, -v36
	v_fmac_f32_e32 v38, v84, v82
	v_add_f32_e32 v32, v36, v38
	v_sub_f32_e32 v37, v33, v32
	v_pk_add_f32 v[70:71], v[32:33], v[36:37] neg_lo:[0,1] neg_hi:[0,1]
	v_mov_b32_e32 v39, v32
	v_pk_add_f32 v[32:33], v[70:71], v[38:39] neg_lo:[0,1] neg_hi:[0,1]
	v_cmp_eq_f32_e32 vcc, s31, v69
	v_add_f32_e32 v33, v34, v33
	v_add_f32_e32 v32, v32, v33
	;; [unrolled: 1-line block ×3, first 2 shown]
	v_mul_f32_e32 v34, v83, v33
	v_mul_f32_e32 v36, v81, v34
	v_fma_f32 v38, v34, v81, -v36
	v_fmac_f32_e32 v38, v34, v82
	v_sub_f32_e32 v37, v37, v33
	v_add_f32_e32 v81, v32, v37
	v_add_f32_e32 v32, v36, v38
	v_sub_f32_e32 v37, v33, v32
	v_pk_add_f32 v[70:71], v[32:33], v[36:37] neg_lo:[0,1] neg_hi:[0,1]
	v_mov_b32_e32 v39, v32
	v_pk_add_f32 v[32:33], v[70:71], v[38:39] neg_lo:[0,1] neg_hi:[0,1]
	v_cvt_f32_i32_e32 v36, v80
	v_add_f32_e32 v33, v81, v33
	v_add_f32_e32 v32, v32, v33
	;; [unrolled: 1-line block ×4, first 2 shown]
	v_sub_f32_e32 v33, v37, v84
	v_mul_f32_e32 v32, v83, v32
	v_sub_f32_e32 v33, v34, v33
	v_add_f32_e32 v32, v33, v32
	v_add_f32_e32 v34, v37, v32
	v_mul_f32_e32 v38, v34, v34
	v_mov_b32_e32 v33, 0x3ecc95a3
	v_sub_f32_e32 v37, v34, v37
	v_fmac_f32_e32 v33, 0x3e9b6dac, v38
	v_sub_f32_e32 v32, v32, v37
	v_fmaak_f32 v33, v38, v33, 0x3f2aaada
	v_ldexp_f32 v70, v32, 1
	v_mul_f32_e32 v37, v34, v38
	v_mov_b32_e32 v32, 0x3f317218
	v_pk_mul_f32 v[32:33], v[36:37], v[32:33]
	v_ldexp_f32 v39, v34, 1
	v_fma_f32 v34, v36, s30, -v32
	v_fmamk_f32 v38, v36, 0xb102e308, v34
	v_pk_add_f32 v[36:37], v[32:33], v[38:39]
	s_mov_b32 s30, 0x33800000
	v_sub_f32_e32 v34, v37, v39
	v_sub_f32_e32 v34, v33, v34
	v_add_f32_e32 v71, v70, v34
	v_mov_b32_e32 v70, v32
	v_pk_add_f32 v[32:33], v[36:37], v[32:33] neg_lo:[0,1] neg_hi:[0,1]
	v_pk_add_f32 v[80:81], v[36:37], v[70:71]
	v_mov_b32_e32 v39, v36
	v_mov_b32_e32 v33, v81
	v_pk_add_f32 v[82:83], v[38:39], v[32:33] neg_lo:[0,1] neg_hi:[0,1]
	v_pk_add_f32 v[32:33], v[38:39], v[32:33]
	v_cmp_lt_f32_e64 s[30:31], |v69|, s30
	v_mov_b32_e32 v34, v33
	v_pk_add_f32 v[38:39], v[34:35], v[36:37] neg_lo:[0,1] neg_hi:[0,1]
	v_mov_b32_e32 v32, v81
	v_mov_b32_e32 v39, v38
	v_pk_add_f32 v[84:85], v[80:81], v[38:39] neg_lo:[0,1] neg_hi:[0,1]
	v_mov_b32_e32 v80, v37
	v_mov_b32_e32 v81, v38
	;; [unrolled: 1-line block ×3, first 2 shown]
	v_pk_add_f32 v[32:33], v[32:33], v[80:81] neg_lo:[0,1] neg_hi:[0,1]
	v_mov_b32_e32 v38, v71
	v_mov_b32_e32 v39, v36
	v_pk_add_f32 v[32:33], v[38:39], v[32:33] neg_lo:[0,1] neg_hi:[0,1]
	v_mov_b32_e32 v84, v82
	v_pk_add_f32 v[36:37], v[84:85], v[32:33]
	s_or_b64 vcc, vcc, s[30:31]
	v_mov_b32_e32 v38, v37
	v_pk_add_f32 v[38:39], v[36:37], v[38:39]
	s_nop 0
	v_pk_add_f32 v[70:71], v[34:35], v[38:39]
	v_mov_b32_e32 v33, v38
	v_mov_b32_e32 v37, v70
	v_pk_add_f32 v[80:81], v[36:37], v[82:83] neg_lo:[0,1] neg_hi:[0,1]
	s_nop 0
	v_sub_f32_e32 v34, v36, v80
	v_pk_add_f32 v[32:33], v[32:33], v[80:81] neg_lo:[0,1] neg_hi:[0,1]
	v_sub_f32_e32 v34, v82, v34
	v_add_f32_e32 v32, v32, v34
	v_add_f32_e32 v32, v32, v33
	;; [unrolled: 1-line block ×3, first 2 shown]
	v_cndmask_b32_e32 v32, v32, v69, vcc
	v_add_f32_e32 v32, v35, v32
	v_cvt_f16_f32_e32 v33, v32
	v_cvt_f32_f16_e32 v34, v33
	v_mov_b32_e32 v32, v33
.LBB360_79:
	s_or_b64 exec, exec, s[28:29]
	v_cvt_f32_f16_e32 v69, v23
	v_max_f32_e32 v35, v34, v34
	v_cmp_u_f16_e32 vcc, v33, v33
	v_cmp_u_f16_e64 s[28:29], v23, v23
	v_min_f32_e32 v36, v35, v69
	v_max_f32_e32 v35, v35, v69
	v_cndmask_b32_e32 v36, v36, v34, vcc
	v_cndmask_b32_e32 v35, v35, v34, vcc
	v_cndmask_b32_e64 v36, v36, v69, s[28:29]
	v_cndmask_b32_e64 v35, v35, v69, s[28:29]
	v_cmp_neq_f32_e32 vcc, v36, v35
	v_cmp_class_f32_e64 s[30:31], v36, s13
	s_or_b64 vcc, vcc, s[30:31]
	s_and_saveexec_b64 s[30:31], vcc
	s_cbranch_execz .LBB360_81
; %bb.80:
	v_sub_f32_e32 v32, v36, v35
	s_mov_b32 s13, 0x3fb8aa3b
	v_mul_f32_e32 v33, 0x3fb8aa3b, v32
	v_fma_f32 v34, v32, s13, -v33
	v_rndne_f32_e32 v36, v33
	v_fmamk_f32 v34, v32, 0x32a5705f, v34
	v_sub_f32_e32 v33, v33, v36
	v_add_f32_e32 v33, v33, v34
	v_exp_f32_e32 v33, v33
	v_cvt_i32_f32_e32 v34, v36
	s_mov_b32 s13, 0xc2ce8ed0
	v_cmp_ngt_f32_e32 vcc, s13, v32
	s_mov_b32 s13, 0x42b17218
	v_ldexp_f32 v33, v33, v34
	v_cndmask_b32_e32 v33, 0, v33, vcc
	v_mov_b32_e32 v34, 0x7f800000
	v_cmp_nlt_f32_e32 vcc, s13, v32
	s_mov_b32 s13, 0x3f2aaaab
	s_mov_b32 s34, 0x7f800000
	v_cndmask_b32_e32 v86, v34, v33, vcc
	v_add_f32_e32 v34, 1.0, v86
	v_add_f32_e32 v32, -1.0, v34
	v_sub_f32_e32 v33, v32, v34
	v_add_f32_e32 v33, 1.0, v33
	v_sub_f32_e32 v32, v86, v32
	v_add_f32_e32 v36, v32, v33
	v_frexp_mant_f32_e32 v37, v34
	v_cvt_f64_f32_e32 v[32:33], v34
	v_frexp_exp_i32_f64_e32 v32, v[32:33]
	v_cmp_gt_f32_e32 vcc, s13, v37
	s_mov_b32 s13, 0x3f317218
	s_nop 0
	v_subbrev_co_u32_e32 v80, vcc, 0, v32, vcc
	v_sub_u32_e32 v32, 0, v80
	v_ldexp_f32 v33, v34, v32
	v_add_f32_e32 v34, -1.0, v33
	v_add_f32_e32 v37, 1.0, v33
	v_ldexp_f32 v32, v36, v32
	v_add_f32_e32 v36, 1.0, v34
	v_add_f32_e32 v38, -1.0, v37
	v_sub_f32_e32 v36, v33, v36
	v_sub_f32_e32 v33, v33, v38
	v_add_f32_e32 v36, v32, v36
	v_add_f32_e32 v32, v32, v33
	;; [unrolled: 1-line block ×3, first 2 shown]
	v_rcp_f32_e32 v83, v81
	v_sub_f32_e32 v33, v37, v81
	v_add_f32_e32 v82, v32, v33
	v_add_f32_e32 v33, v34, v36
	v_sub_f32_e32 v32, v34, v33
	v_mul_f32_e32 v84, v33, v83
	v_add_f32_e32 v34, v36, v32
	v_mul_f32_e32 v36, v81, v84
	v_fma_f32 v38, v84, v81, -v36
	v_fmac_f32_e32 v38, v84, v82
	v_add_f32_e32 v32, v36, v38
	v_sub_f32_e32 v37, v33, v32
	v_pk_add_f32 v[70:71], v[32:33], v[36:37] neg_lo:[0,1] neg_hi:[0,1]
	v_mov_b32_e32 v39, v32
	v_pk_add_f32 v[32:33], v[70:71], v[38:39] neg_lo:[0,1] neg_hi:[0,1]
	v_cmp_eq_f32_e32 vcc, s34, v86
	v_add_f32_e32 v33, v34, v33
	v_add_f32_e32 v32, v32, v33
	;; [unrolled: 1-line block ×3, first 2 shown]
	v_mul_f32_e32 v34, v83, v33
	v_mul_f32_e32 v36, v81, v34
	v_fma_f32 v38, v34, v81, -v36
	v_fmac_f32_e32 v38, v34, v82
	v_sub_f32_e32 v37, v37, v33
	v_add_f32_e32 v81, v32, v37
	v_add_f32_e32 v32, v36, v38
	v_sub_f32_e32 v37, v33, v32
	v_pk_add_f32 v[70:71], v[32:33], v[36:37] neg_lo:[0,1] neg_hi:[0,1]
	v_mov_b32_e32 v39, v32
	v_pk_add_f32 v[32:33], v[70:71], v[38:39] neg_lo:[0,1] neg_hi:[0,1]
	v_cvt_f32_i32_e32 v36, v80
	v_add_f32_e32 v33, v81, v33
	v_add_f32_e32 v32, v32, v33
	;; [unrolled: 1-line block ×4, first 2 shown]
	v_sub_f32_e32 v33, v37, v84
	v_mul_f32_e32 v32, v83, v32
	v_sub_f32_e32 v33, v34, v33
	v_add_f32_e32 v32, v33, v32
	v_add_f32_e32 v34, v37, v32
	v_mul_f32_e32 v38, v34, v34
	v_mov_b32_e32 v33, 0x3ecc95a3
	v_sub_f32_e32 v37, v34, v37
	v_fmac_f32_e32 v33, 0x3e9b6dac, v38
	v_sub_f32_e32 v32, v32, v37
	v_fmaak_f32 v33, v38, v33, 0x3f2aaada
	v_ldexp_f32 v70, v32, 1
	v_mul_f32_e32 v37, v34, v38
	v_mov_b32_e32 v32, 0x3f317218
	v_pk_mul_f32 v[32:33], v[36:37], v[32:33]
	v_ldexp_f32 v39, v34, 1
	v_fma_f32 v34, v36, s13, -v32
	v_fmamk_f32 v38, v36, 0xb102e308, v34
	v_pk_add_f32 v[36:37], v[32:33], v[38:39]
	s_mov_b32 s13, 0x33800000
	v_sub_f32_e32 v34, v37, v39
	v_sub_f32_e32 v34, v33, v34
	v_add_f32_e32 v71, v70, v34
	v_mov_b32_e32 v70, v32
	v_pk_add_f32 v[32:33], v[36:37], v[32:33] neg_lo:[0,1] neg_hi:[0,1]
	v_pk_add_f32 v[80:81], v[36:37], v[70:71]
	v_mov_b32_e32 v39, v36
	v_mov_b32_e32 v33, v81
	v_pk_add_f32 v[82:83], v[38:39], v[32:33] neg_lo:[0,1] neg_hi:[0,1]
	v_pk_add_f32 v[32:33], v[38:39], v[32:33]
	v_cmp_lt_f32_e64 s[34:35], |v86|, s13
	v_mov_b32_e32 v34, v33
	v_pk_add_f32 v[38:39], v[34:35], v[36:37] neg_lo:[0,1] neg_hi:[0,1]
	v_mov_b32_e32 v32, v81
	v_mov_b32_e32 v39, v38
	v_pk_add_f32 v[84:85], v[80:81], v[38:39] neg_lo:[0,1] neg_hi:[0,1]
	v_mov_b32_e32 v80, v37
	v_mov_b32_e32 v81, v38
	v_mov_b32_e32 v83, v33
	v_pk_add_f32 v[32:33], v[32:33], v[80:81] neg_lo:[0,1] neg_hi:[0,1]
	v_mov_b32_e32 v38, v71
	v_mov_b32_e32 v39, v36
	v_pk_add_f32 v[32:33], v[38:39], v[32:33] neg_lo:[0,1] neg_hi:[0,1]
	v_mov_b32_e32 v84, v82
	v_pk_add_f32 v[36:37], v[84:85], v[32:33]
	s_or_b64 vcc, vcc, s[34:35]
	v_mov_b32_e32 v38, v37
	v_pk_add_f32 v[38:39], v[36:37], v[38:39]
	s_nop 0
	v_pk_add_f32 v[70:71], v[34:35], v[38:39]
	v_mov_b32_e32 v33, v38
	v_mov_b32_e32 v37, v70
	v_pk_add_f32 v[80:81], v[36:37], v[82:83] neg_lo:[0,1] neg_hi:[0,1]
	s_nop 0
	v_sub_f32_e32 v34, v36, v80
	v_pk_add_f32 v[32:33], v[32:33], v[80:81] neg_lo:[0,1] neg_hi:[0,1]
	v_sub_f32_e32 v34, v82, v34
	v_add_f32_e32 v32, v32, v34
	v_add_f32_e32 v32, v32, v33
	;; [unrolled: 1-line block ×3, first 2 shown]
	v_cndmask_b32_e32 v32, v32, v86, vcc
	v_add_f32_e32 v32, v35, v32
	v_cvt_f16_f32_e32 v33, v32
	v_cvt_f32_f16_e32 v34, v33
	v_mov_b32_e32 v32, v33
.LBB360_81:
	s_or_b64 exec, exec, s[30:31]
	v_cvt_f32_f16_sdwa v70, v23 dst_sel:DWORD dst_unused:UNUSED_PAD src0_sel:WORD_1
	v_max_f32_e32 v35, v34, v34
	v_cmp_u_f16_e32 vcc, v33, v33
	v_cmp_u_f16_sdwa s[30:31], v23, v23 src0_sel:WORD_1 src1_sel:WORD_1
	v_min_f32_e32 v36, v35, v70
	v_max_f32_e32 v35, v35, v70
	v_cndmask_b32_e32 v36, v36, v34, vcc
	v_cndmask_b32_e32 v35, v35, v34, vcc
	v_cndmask_b32_e64 v36, v36, v70, s[30:31]
	v_cndmask_b32_e64 v35, v35, v70, s[30:31]
	s_movk_i32 s13, 0x1f8
	v_cmp_neq_f32_e32 vcc, v36, v35
	v_cmp_class_f32_e64 s[34:35], v36, s13
	s_or_b64 vcc, vcc, s[34:35]
	s_and_saveexec_b64 s[34:35], vcc
	s_cbranch_execz .LBB360_83
; %bb.82:
	v_sub_f32_e32 v32, v36, v35
	s_mov_b32 s36, 0x3fb8aa3b
	v_mul_f32_e32 v33, 0x3fb8aa3b, v32
	v_fma_f32 v34, v32, s36, -v33
	v_rndne_f32_e32 v36, v33
	v_fmamk_f32 v34, v32, 0x32a5705f, v34
	v_sub_f32_e32 v33, v33, v36
	v_add_f32_e32 v33, v33, v34
	v_exp_f32_e32 v33, v33
	v_cvt_i32_f32_e32 v34, v36
	s_mov_b32 s36, 0xc2ce8ed0
	v_cmp_ngt_f32_e32 vcc, s36, v32
	s_mov_b32 s36, 0x42b17218
	v_ldexp_f32 v33, v33, v34
	v_cndmask_b32_e32 v33, 0, v33, vcc
	v_mov_b32_e32 v34, 0x7f800000
	v_cmp_nlt_f32_e32 vcc, s36, v32
	s_mov_b32 s36, 0x3f2aaaab
	s_mov_b32 s37, 0x7f800000
	v_cndmask_b32_e32 v71, v34, v33, vcc
	v_add_f32_e32 v34, 1.0, v71
	v_add_f32_e32 v32, -1.0, v34
	v_sub_f32_e32 v33, v32, v34
	v_add_f32_e32 v33, 1.0, v33
	v_sub_f32_e32 v32, v71, v32
	v_add_f32_e32 v36, v32, v33
	v_frexp_mant_f32_e32 v37, v34
	v_cvt_f64_f32_e32 v[32:33], v34
	v_frexp_exp_i32_f64_e32 v32, v[32:33]
	v_cmp_gt_f32_e32 vcc, s36, v37
	s_mov_b32 s36, 0x3f317218
	s_nop 0
	v_subbrev_co_u32_e32 v82, vcc, 0, v32, vcc
	v_sub_u32_e32 v32, 0, v82
	v_ldexp_f32 v33, v34, v32
	v_add_f32_e32 v34, -1.0, v33
	v_add_f32_e32 v37, 1.0, v33
	v_ldexp_f32 v32, v36, v32
	v_add_f32_e32 v36, 1.0, v34
	v_add_f32_e32 v38, -1.0, v37
	v_sub_f32_e32 v36, v33, v36
	v_sub_f32_e32 v33, v33, v38
	v_add_f32_e32 v36, v32, v36
	v_add_f32_e32 v32, v32, v33
	v_add_f32_e32 v83, v37, v32
	v_rcp_f32_e32 v85, v83
	v_sub_f32_e32 v33, v37, v83
	v_add_f32_e32 v84, v32, v33
	v_add_f32_e32 v33, v34, v36
	v_sub_f32_e32 v32, v34, v33
	v_mul_f32_e32 v86, v33, v85
	v_add_f32_e32 v34, v36, v32
	v_mul_f32_e32 v36, v83, v86
	v_fma_f32 v38, v86, v83, -v36
	v_fmac_f32_e32 v38, v86, v84
	v_add_f32_e32 v32, v36, v38
	v_sub_f32_e32 v37, v33, v32
	v_pk_add_f32 v[80:81], v[32:33], v[36:37] neg_lo:[0,1] neg_hi:[0,1]
	v_mov_b32_e32 v39, v32
	v_pk_add_f32 v[32:33], v[80:81], v[38:39] neg_lo:[0,1] neg_hi:[0,1]
	v_cmp_eq_f32_e32 vcc, s37, v71
	v_add_f32_e32 v33, v34, v33
	v_add_f32_e32 v32, v32, v33
	v_add_f32_e32 v33, v37, v32
	v_mul_f32_e32 v34, v85, v33
	v_mul_f32_e32 v36, v83, v34
	v_fma_f32 v38, v34, v83, -v36
	v_fmac_f32_e32 v38, v34, v84
	v_sub_f32_e32 v37, v37, v33
	v_add_f32_e32 v83, v32, v37
	v_add_f32_e32 v32, v36, v38
	v_sub_f32_e32 v37, v33, v32
	v_pk_add_f32 v[80:81], v[32:33], v[36:37] neg_lo:[0,1] neg_hi:[0,1]
	v_mov_b32_e32 v39, v32
	v_pk_add_f32 v[32:33], v[80:81], v[38:39] neg_lo:[0,1] neg_hi:[0,1]
	v_cvt_f32_i32_e32 v36, v82
	v_add_f32_e32 v33, v83, v33
	v_add_f32_e32 v32, v32, v33
	;; [unrolled: 1-line block ×4, first 2 shown]
	v_sub_f32_e32 v33, v37, v86
	v_mul_f32_e32 v32, v85, v32
	v_sub_f32_e32 v33, v34, v33
	v_add_f32_e32 v32, v33, v32
	v_add_f32_e32 v34, v37, v32
	v_mul_f32_e32 v38, v34, v34
	v_mov_b32_e32 v33, 0x3ecc95a3
	v_sub_f32_e32 v37, v34, v37
	v_fmac_f32_e32 v33, 0x3e9b6dac, v38
	v_sub_f32_e32 v32, v32, v37
	v_fmaak_f32 v33, v38, v33, 0x3f2aaada
	v_ldexp_f32 v80, v32, 1
	v_mul_f32_e32 v37, v34, v38
	v_mov_b32_e32 v32, 0x3f317218
	v_pk_mul_f32 v[32:33], v[36:37], v[32:33]
	v_ldexp_f32 v39, v34, 1
	v_fma_f32 v34, v36, s36, -v32
	v_fmamk_f32 v38, v36, 0xb102e308, v34
	v_pk_add_f32 v[36:37], v[32:33], v[38:39]
	s_mov_b32 s36, 0x33800000
	v_sub_f32_e32 v34, v37, v39
	v_sub_f32_e32 v34, v33, v34
	v_add_f32_e32 v81, v80, v34
	v_mov_b32_e32 v80, v32
	v_pk_add_f32 v[32:33], v[36:37], v[32:33] neg_lo:[0,1] neg_hi:[0,1]
	v_pk_add_f32 v[82:83], v[36:37], v[80:81]
	v_mov_b32_e32 v39, v36
	v_mov_b32_e32 v33, v83
	v_pk_add_f32 v[84:85], v[38:39], v[32:33] neg_lo:[0,1] neg_hi:[0,1]
	v_pk_add_f32 v[32:33], v[38:39], v[32:33]
	v_cmp_lt_f32_e64 s[36:37], |v71|, s36
	v_mov_b32_e32 v34, v33
	v_pk_add_f32 v[38:39], v[34:35], v[36:37] neg_lo:[0,1] neg_hi:[0,1]
	v_mov_b32_e32 v32, v83
	v_mov_b32_e32 v39, v38
	v_pk_add_f32 v[96:97], v[82:83], v[38:39] neg_lo:[0,1] neg_hi:[0,1]
	v_mov_b32_e32 v82, v37
	v_mov_b32_e32 v83, v38
	;; [unrolled: 1-line block ×3, first 2 shown]
	v_pk_add_f32 v[32:33], v[32:33], v[82:83] neg_lo:[0,1] neg_hi:[0,1]
	v_mov_b32_e32 v38, v81
	v_mov_b32_e32 v39, v36
	v_pk_add_f32 v[32:33], v[38:39], v[32:33] neg_lo:[0,1] neg_hi:[0,1]
	v_mov_b32_e32 v96, v84
	v_pk_add_f32 v[36:37], v[96:97], v[32:33]
	s_or_b64 vcc, vcc, s[36:37]
	v_mov_b32_e32 v38, v37
	v_pk_add_f32 v[38:39], v[36:37], v[38:39]
	s_nop 0
	v_pk_add_f32 v[80:81], v[34:35], v[38:39]
	v_mov_b32_e32 v33, v38
	v_mov_b32_e32 v37, v80
	v_pk_add_f32 v[82:83], v[36:37], v[84:85] neg_lo:[0,1] neg_hi:[0,1]
	s_nop 0
	v_sub_f32_e32 v34, v36, v82
	v_pk_add_f32 v[32:33], v[32:33], v[82:83] neg_lo:[0,1] neg_hi:[0,1]
	v_sub_f32_e32 v34, v84, v34
	v_add_f32_e32 v32, v32, v34
	v_add_f32_e32 v32, v32, v33
	;; [unrolled: 1-line block ×3, first 2 shown]
	v_cndmask_b32_e32 v32, v32, v71, vcc
	v_add_f32_e32 v32, v35, v32
	v_cvt_f16_f32_e32 v33, v32
	v_cvt_f32_f16_e32 v34, v33
	v_mov_b32_e32 v32, v33
.LBB360_83:
	s_or_b64 exec, exec, s[34:35]
	v_cvt_f32_f16_e32 v71, v16
	v_max_f32_e32 v35, v34, v34
	v_cmp_u_f16_e32 vcc, v33, v33
	v_cmp_u_f16_e64 s[34:35], v16, v16
	v_min_f32_e32 v36, v35, v71
	v_max_f32_e32 v35, v35, v71
	v_cndmask_b32_e32 v36, v36, v34, vcc
	v_cndmask_b32_e32 v35, v35, v34, vcc
	v_cndmask_b32_e64 v36, v36, v71, s[34:35]
	v_cndmask_b32_e64 v35, v35, v71, s[34:35]
	v_cmp_neq_f32_e32 vcc, v36, v35
	v_cmp_class_f32_e64 s[36:37], v36, s13
	s_or_b64 vcc, vcc, s[36:37]
	s_and_saveexec_b64 s[36:37], vcc
	s_cbranch_execz .LBB360_85
; %bb.84:
	v_sub_f32_e32 v32, v36, v35
	s_mov_b32 s13, 0x3fb8aa3b
	v_mul_f32_e32 v33, 0x3fb8aa3b, v32
	v_fma_f32 v34, v32, s13, -v33
	v_rndne_f32_e32 v36, v33
	v_fmamk_f32 v34, v32, 0x32a5705f, v34
	v_sub_f32_e32 v33, v33, v36
	v_add_f32_e32 v33, v33, v34
	v_exp_f32_e32 v33, v33
	v_cvt_i32_f32_e32 v34, v36
	s_mov_b32 s13, 0xc2ce8ed0
	v_cmp_ngt_f32_e32 vcc, s13, v32
	s_mov_b32 s13, 0x42b17218
	v_ldexp_f32 v33, v33, v34
	v_cndmask_b32_e32 v33, 0, v33, vcc
	v_mov_b32_e32 v34, 0x7f800000
	v_cmp_nlt_f32_e32 vcc, s13, v32
	s_mov_b32 s13, 0x3f2aaaab
	s_mov_b32 s38, 0x7f800000
	v_cndmask_b32_e32 v86, v34, v33, vcc
	v_add_f32_e32 v34, 1.0, v86
	v_add_f32_e32 v32, -1.0, v34
	v_sub_f32_e32 v33, v32, v34
	v_add_f32_e32 v33, 1.0, v33
	v_sub_f32_e32 v32, v86, v32
	v_add_f32_e32 v36, v32, v33
	v_frexp_mant_f32_e32 v37, v34
	v_cvt_f64_f32_e32 v[32:33], v34
	v_frexp_exp_i32_f64_e32 v32, v[32:33]
	v_cmp_gt_f32_e32 vcc, s13, v37
	s_mov_b32 s13, 0x3f317218
	s_nop 0
	v_subbrev_co_u32_e32 v82, vcc, 0, v32, vcc
	v_sub_u32_e32 v32, 0, v82
	v_ldexp_f32 v33, v34, v32
	v_add_f32_e32 v34, -1.0, v33
	v_add_f32_e32 v37, 1.0, v33
	v_ldexp_f32 v32, v36, v32
	v_add_f32_e32 v36, 1.0, v34
	v_add_f32_e32 v38, -1.0, v37
	v_sub_f32_e32 v36, v33, v36
	v_sub_f32_e32 v33, v33, v38
	v_add_f32_e32 v36, v32, v36
	v_add_f32_e32 v32, v32, v33
	v_add_f32_e32 v83, v37, v32
	v_rcp_f32_e32 v85, v83
	v_sub_f32_e32 v33, v37, v83
	v_add_f32_e32 v84, v32, v33
	v_add_f32_e32 v33, v34, v36
	v_sub_f32_e32 v32, v34, v33
	v_mul_f32_e32 v96, v33, v85
	v_add_f32_e32 v34, v36, v32
	v_mul_f32_e32 v36, v83, v96
	v_fma_f32 v38, v96, v83, -v36
	v_fmac_f32_e32 v38, v96, v84
	v_add_f32_e32 v32, v36, v38
	v_sub_f32_e32 v37, v33, v32
	v_pk_add_f32 v[80:81], v[32:33], v[36:37] neg_lo:[0,1] neg_hi:[0,1]
	v_mov_b32_e32 v39, v32
	v_pk_add_f32 v[32:33], v[80:81], v[38:39] neg_lo:[0,1] neg_hi:[0,1]
	v_cmp_eq_f32_e32 vcc, s38, v86
	v_add_f32_e32 v33, v34, v33
	v_add_f32_e32 v32, v32, v33
	;; [unrolled: 1-line block ×3, first 2 shown]
	v_mul_f32_e32 v34, v85, v33
	v_mul_f32_e32 v36, v83, v34
	v_fma_f32 v38, v34, v83, -v36
	v_fmac_f32_e32 v38, v34, v84
	v_sub_f32_e32 v37, v37, v33
	v_add_f32_e32 v83, v32, v37
	v_add_f32_e32 v32, v36, v38
	v_sub_f32_e32 v37, v33, v32
	v_pk_add_f32 v[80:81], v[32:33], v[36:37] neg_lo:[0,1] neg_hi:[0,1]
	v_mov_b32_e32 v39, v32
	v_pk_add_f32 v[32:33], v[80:81], v[38:39] neg_lo:[0,1] neg_hi:[0,1]
	v_cvt_f32_i32_e32 v36, v82
	v_add_f32_e32 v33, v83, v33
	v_add_f32_e32 v32, v32, v33
	v_add_f32_e32 v32, v37, v32
	v_add_f32_e32 v37, v96, v34
	v_sub_f32_e32 v33, v37, v96
	v_mul_f32_e32 v32, v85, v32
	v_sub_f32_e32 v33, v34, v33
	v_add_f32_e32 v32, v33, v32
	v_add_f32_e32 v34, v37, v32
	v_mul_f32_e32 v38, v34, v34
	v_mov_b32_e32 v33, 0x3ecc95a3
	v_sub_f32_e32 v37, v34, v37
	v_fmac_f32_e32 v33, 0x3e9b6dac, v38
	v_sub_f32_e32 v32, v32, v37
	v_fmaak_f32 v33, v38, v33, 0x3f2aaada
	v_ldexp_f32 v80, v32, 1
	v_mul_f32_e32 v37, v34, v38
	v_mov_b32_e32 v32, 0x3f317218
	v_pk_mul_f32 v[32:33], v[36:37], v[32:33]
	v_ldexp_f32 v39, v34, 1
	v_fma_f32 v34, v36, s13, -v32
	v_fmamk_f32 v38, v36, 0xb102e308, v34
	v_pk_add_f32 v[36:37], v[32:33], v[38:39]
	s_mov_b32 s13, 0x33800000
	v_sub_f32_e32 v34, v37, v39
	v_sub_f32_e32 v34, v33, v34
	v_add_f32_e32 v81, v80, v34
	v_mov_b32_e32 v80, v32
	v_pk_add_f32 v[32:33], v[36:37], v[32:33] neg_lo:[0,1] neg_hi:[0,1]
	v_pk_add_f32 v[82:83], v[36:37], v[80:81]
	v_mov_b32_e32 v39, v36
	v_mov_b32_e32 v33, v83
	v_pk_add_f32 v[84:85], v[38:39], v[32:33] neg_lo:[0,1] neg_hi:[0,1]
	v_pk_add_f32 v[32:33], v[38:39], v[32:33]
	v_cmp_lt_f32_e64 s[38:39], |v86|, s13
	v_mov_b32_e32 v34, v33
	v_pk_add_f32 v[38:39], v[34:35], v[36:37] neg_lo:[0,1] neg_hi:[0,1]
	v_mov_b32_e32 v32, v83
	v_mov_b32_e32 v39, v38
	v_pk_add_f32 v[96:97], v[82:83], v[38:39] neg_lo:[0,1] neg_hi:[0,1]
	v_mov_b32_e32 v82, v37
	v_mov_b32_e32 v83, v38
	;; [unrolled: 1-line block ×3, first 2 shown]
	v_pk_add_f32 v[32:33], v[32:33], v[82:83] neg_lo:[0,1] neg_hi:[0,1]
	v_mov_b32_e32 v38, v81
	v_mov_b32_e32 v39, v36
	v_pk_add_f32 v[32:33], v[38:39], v[32:33] neg_lo:[0,1] neg_hi:[0,1]
	v_mov_b32_e32 v96, v84
	v_pk_add_f32 v[36:37], v[96:97], v[32:33]
	s_or_b64 vcc, vcc, s[38:39]
	v_mov_b32_e32 v38, v37
	v_pk_add_f32 v[38:39], v[36:37], v[38:39]
	s_nop 0
	v_pk_add_f32 v[80:81], v[34:35], v[38:39]
	v_mov_b32_e32 v33, v38
	v_mov_b32_e32 v37, v80
	v_pk_add_f32 v[82:83], v[36:37], v[84:85] neg_lo:[0,1] neg_hi:[0,1]
	s_nop 0
	v_sub_f32_e32 v34, v36, v82
	v_pk_add_f32 v[32:33], v[32:33], v[82:83] neg_lo:[0,1] neg_hi:[0,1]
	v_sub_f32_e32 v34, v84, v34
	v_add_f32_e32 v32, v32, v34
	v_add_f32_e32 v32, v32, v33
	;; [unrolled: 1-line block ×3, first 2 shown]
	v_cndmask_b32_e32 v32, v32, v86, vcc
	v_add_f32_e32 v32, v35, v32
	v_cvt_f16_f32_e32 v33, v32
	v_cvt_f32_f16_e32 v34, v33
	v_mov_b32_e32 v32, v33
.LBB360_85:
	s_or_b64 exec, exec, s[36:37]
	v_cvt_f32_f16_sdwa v80, v16 dst_sel:DWORD dst_unused:UNUSED_PAD src0_sel:WORD_1
	v_max_f32_e32 v35, v34, v34
	v_cmp_u_f16_e32 vcc, v33, v33
	v_cmp_u_f16_sdwa s[36:37], v16, v16 src0_sel:WORD_1 src1_sel:WORD_1
	v_min_f32_e32 v36, v35, v80
	v_max_f32_e32 v35, v35, v80
	v_cndmask_b32_e32 v36, v36, v34, vcc
	v_cndmask_b32_e32 v35, v35, v34, vcc
	v_cndmask_b32_e64 v36, v36, v80, s[36:37]
	v_cndmask_b32_e64 v35, v35, v80, s[36:37]
	s_movk_i32 s13, 0x1f8
	v_cmp_neq_f32_e32 vcc, v36, v35
	v_cmp_class_f32_e64 s[38:39], v36, s13
	s_or_b64 vcc, vcc, s[38:39]
	s_and_saveexec_b64 s[38:39], vcc
	s_cbranch_execz .LBB360_87
; %bb.86:
	v_sub_f32_e32 v32, v36, v35
	s_mov_b32 s40, 0x3fb8aa3b
	v_mul_f32_e32 v33, 0x3fb8aa3b, v32
	v_fma_f32 v34, v32, s40, -v33
	v_rndne_f32_e32 v36, v33
	v_fmamk_f32 v34, v32, 0x32a5705f, v34
	v_sub_f32_e32 v33, v33, v36
	v_add_f32_e32 v33, v33, v34
	v_exp_f32_e32 v33, v33
	v_cvt_i32_f32_e32 v34, v36
	s_mov_b32 s40, 0xc2ce8ed0
	v_cmp_ngt_f32_e32 vcc, s40, v32
	s_mov_b32 s40, 0x42b17218
	v_ldexp_f32 v33, v33, v34
	v_cndmask_b32_e32 v33, 0, v33, vcc
	v_mov_b32_e32 v34, 0x7f800000
	v_cmp_nlt_f32_e32 vcc, s40, v32
	s_mov_b32 s40, 0x3f2aaaab
	s_mov_b32 s41, 0x7f800000
	v_cndmask_b32_e32 v81, v34, v33, vcc
	v_add_f32_e32 v34, 1.0, v81
	v_add_f32_e32 v32, -1.0, v34
	v_sub_f32_e32 v33, v32, v34
	v_add_f32_e32 v33, 1.0, v33
	v_sub_f32_e32 v32, v81, v32
	v_add_f32_e32 v36, v32, v33
	v_frexp_mant_f32_e32 v37, v34
	v_cvt_f64_f32_e32 v[32:33], v34
	v_frexp_exp_i32_f64_e32 v32, v[32:33]
	v_cmp_gt_f32_e32 vcc, s40, v37
	s_mov_b32 s40, 0x3f317218
	s_nop 0
	v_subbrev_co_u32_e32 v84, vcc, 0, v32, vcc
	v_sub_u32_e32 v32, 0, v84
	v_ldexp_f32 v33, v34, v32
	v_add_f32_e32 v34, -1.0, v33
	v_add_f32_e32 v37, 1.0, v33
	v_ldexp_f32 v32, v36, v32
	v_add_f32_e32 v36, 1.0, v34
	v_add_f32_e32 v38, -1.0, v37
	v_sub_f32_e32 v36, v33, v36
	v_sub_f32_e32 v33, v33, v38
	v_add_f32_e32 v36, v32, v36
	v_add_f32_e32 v32, v32, v33
	;; [unrolled: 1-line block ×3, first 2 shown]
	v_rcp_f32_e32 v96, v85
	v_sub_f32_e32 v33, v37, v85
	v_add_f32_e32 v86, v32, v33
	v_add_f32_e32 v33, v34, v36
	v_sub_f32_e32 v32, v34, v33
	v_mul_f32_e32 v97, v33, v96
	v_add_f32_e32 v34, v36, v32
	v_mul_f32_e32 v36, v85, v97
	v_fma_f32 v38, v97, v85, -v36
	v_fmac_f32_e32 v38, v97, v86
	v_add_f32_e32 v32, v36, v38
	v_sub_f32_e32 v37, v33, v32
	v_pk_add_f32 v[82:83], v[32:33], v[36:37] neg_lo:[0,1] neg_hi:[0,1]
	v_mov_b32_e32 v39, v32
	v_pk_add_f32 v[32:33], v[82:83], v[38:39] neg_lo:[0,1] neg_hi:[0,1]
	v_cmp_eq_f32_e32 vcc, s41, v81
	v_add_f32_e32 v33, v34, v33
	v_add_f32_e32 v32, v32, v33
	;; [unrolled: 1-line block ×3, first 2 shown]
	v_mul_f32_e32 v34, v96, v33
	v_mul_f32_e32 v36, v85, v34
	v_fma_f32 v38, v34, v85, -v36
	v_fmac_f32_e32 v38, v34, v86
	v_sub_f32_e32 v37, v37, v33
	v_add_f32_e32 v85, v32, v37
	v_add_f32_e32 v32, v36, v38
	v_sub_f32_e32 v37, v33, v32
	v_pk_add_f32 v[82:83], v[32:33], v[36:37] neg_lo:[0,1] neg_hi:[0,1]
	v_mov_b32_e32 v39, v32
	v_pk_add_f32 v[32:33], v[82:83], v[38:39] neg_lo:[0,1] neg_hi:[0,1]
	v_cvt_f32_i32_e32 v36, v84
	v_add_f32_e32 v33, v85, v33
	v_add_f32_e32 v32, v32, v33
	v_add_f32_e32 v32, v37, v32
	v_add_f32_e32 v37, v97, v34
	v_sub_f32_e32 v33, v37, v97
	v_mul_f32_e32 v32, v96, v32
	v_sub_f32_e32 v33, v34, v33
	v_add_f32_e32 v32, v33, v32
	v_add_f32_e32 v34, v37, v32
	v_mul_f32_e32 v38, v34, v34
	v_mov_b32_e32 v33, 0x3ecc95a3
	v_sub_f32_e32 v37, v34, v37
	v_fmac_f32_e32 v33, 0x3e9b6dac, v38
	v_sub_f32_e32 v32, v32, v37
	v_fmaak_f32 v33, v38, v33, 0x3f2aaada
	v_ldexp_f32 v82, v32, 1
	v_mul_f32_e32 v37, v34, v38
	v_mov_b32_e32 v32, 0x3f317218
	v_pk_mul_f32 v[32:33], v[36:37], v[32:33]
	v_ldexp_f32 v39, v34, 1
	v_fma_f32 v34, v36, s40, -v32
	v_fmamk_f32 v38, v36, 0xb102e308, v34
	v_pk_add_f32 v[36:37], v[32:33], v[38:39]
	s_mov_b32 s40, 0x33800000
	v_sub_f32_e32 v34, v37, v39
	v_sub_f32_e32 v34, v33, v34
	v_add_f32_e32 v83, v82, v34
	v_mov_b32_e32 v82, v32
	v_pk_add_f32 v[32:33], v[36:37], v[32:33] neg_lo:[0,1] neg_hi:[0,1]
	v_pk_add_f32 v[84:85], v[36:37], v[82:83]
	v_mov_b32_e32 v39, v36
	v_mov_b32_e32 v33, v85
	v_pk_add_f32 v[96:97], v[38:39], v[32:33] neg_lo:[0,1] neg_hi:[0,1]
	v_pk_add_f32 v[32:33], v[38:39], v[32:33]
	v_cmp_lt_f32_e64 s[40:41], |v81|, s40
	v_mov_b32_e32 v34, v33
	v_pk_add_f32 v[38:39], v[34:35], v[36:37] neg_lo:[0,1] neg_hi:[0,1]
	v_mov_b32_e32 v32, v85
	v_mov_b32_e32 v39, v38
	v_pk_add_f32 v[98:99], v[84:85], v[38:39] neg_lo:[0,1] neg_hi:[0,1]
	v_mov_b32_e32 v84, v37
	v_mov_b32_e32 v85, v38
	;; [unrolled: 1-line block ×3, first 2 shown]
	v_pk_add_f32 v[32:33], v[32:33], v[84:85] neg_lo:[0,1] neg_hi:[0,1]
	v_mov_b32_e32 v38, v83
	v_mov_b32_e32 v39, v36
	v_pk_add_f32 v[32:33], v[38:39], v[32:33] neg_lo:[0,1] neg_hi:[0,1]
	v_mov_b32_e32 v98, v96
	v_pk_add_f32 v[36:37], v[98:99], v[32:33]
	s_or_b64 vcc, vcc, s[40:41]
	v_mov_b32_e32 v38, v37
	v_pk_add_f32 v[38:39], v[36:37], v[38:39]
	s_nop 0
	v_pk_add_f32 v[82:83], v[34:35], v[38:39]
	v_mov_b32_e32 v33, v38
	v_mov_b32_e32 v37, v82
	v_pk_add_f32 v[84:85], v[36:37], v[96:97] neg_lo:[0,1] neg_hi:[0,1]
	s_nop 0
	v_sub_f32_e32 v34, v36, v84
	v_pk_add_f32 v[32:33], v[32:33], v[84:85] neg_lo:[0,1] neg_hi:[0,1]
	v_sub_f32_e32 v34, v96, v34
	v_add_f32_e32 v32, v32, v34
	v_add_f32_e32 v32, v32, v33
	;; [unrolled: 1-line block ×3, first 2 shown]
	v_cndmask_b32_e32 v32, v32, v81, vcc
	v_add_f32_e32 v32, v35, v32
	v_cvt_f16_f32_e32 v33, v32
	v_cvt_f32_f16_e32 v34, v33
	v_mov_b32_e32 v32, v33
.LBB360_87:
	s_or_b64 exec, exec, s[38:39]
	v_cvt_f32_f16_e32 v81, v17
	v_max_f32_e32 v35, v34, v34
	v_cmp_u_f16_e32 vcc, v33, v33
	v_cmp_u_f16_e64 s[38:39], v17, v17
	v_min_f32_e32 v36, v35, v81
	v_max_f32_e32 v35, v35, v81
	v_cndmask_b32_e32 v36, v36, v34, vcc
	v_cndmask_b32_e32 v35, v35, v34, vcc
	v_cndmask_b32_e64 v36, v36, v81, s[38:39]
	v_cndmask_b32_e64 v35, v35, v81, s[38:39]
	v_cmp_neq_f32_e32 vcc, v36, v35
	v_cmp_class_f32_e64 s[40:41], v36, s13
	s_or_b64 vcc, vcc, s[40:41]
	s_and_saveexec_b64 s[40:41], vcc
	s_cbranch_execz .LBB360_89
; %bb.88:
	v_sub_f32_e32 v32, v36, v35
	s_mov_b32 s13, 0x3fb8aa3b
	v_mul_f32_e32 v33, 0x3fb8aa3b, v32
	v_fma_f32 v34, v32, s13, -v33
	v_rndne_f32_e32 v36, v33
	v_fmamk_f32 v34, v32, 0x32a5705f, v34
	v_sub_f32_e32 v33, v33, v36
	v_add_f32_e32 v33, v33, v34
	v_exp_f32_e32 v33, v33
	v_cvt_i32_f32_e32 v34, v36
	s_mov_b32 s13, 0xc2ce8ed0
	v_cmp_ngt_f32_e32 vcc, s13, v32
	s_mov_b32 s13, 0x42b17218
	v_ldexp_f32 v33, v33, v34
	v_cndmask_b32_e32 v33, 0, v33, vcc
	v_mov_b32_e32 v34, 0x7f800000
	v_cmp_nlt_f32_e32 vcc, s13, v32
	s_mov_b32 s13, 0x3f2aaaab
	s_mov_b32 s42, 0x7f800000
	v_cndmask_b32_e32 v86, v34, v33, vcc
	v_add_f32_e32 v34, 1.0, v86
	v_add_f32_e32 v32, -1.0, v34
	v_sub_f32_e32 v33, v32, v34
	v_add_f32_e32 v33, 1.0, v33
	v_sub_f32_e32 v32, v86, v32
	v_add_f32_e32 v36, v32, v33
	v_frexp_mant_f32_e32 v37, v34
	v_cvt_f64_f32_e32 v[32:33], v34
	v_frexp_exp_i32_f64_e32 v32, v[32:33]
	v_cmp_gt_f32_e32 vcc, s13, v37
	s_mov_b32 s13, 0x3f317218
	s_nop 0
	v_subbrev_co_u32_e32 v84, vcc, 0, v32, vcc
	v_sub_u32_e32 v32, 0, v84
	v_ldexp_f32 v33, v34, v32
	v_add_f32_e32 v34, -1.0, v33
	v_add_f32_e32 v37, 1.0, v33
	v_ldexp_f32 v32, v36, v32
	v_add_f32_e32 v36, 1.0, v34
	v_add_f32_e32 v38, -1.0, v37
	v_sub_f32_e32 v36, v33, v36
	v_sub_f32_e32 v33, v33, v38
	v_add_f32_e32 v36, v32, v36
	v_add_f32_e32 v32, v32, v33
	;; [unrolled: 1-line block ×3, first 2 shown]
	v_rcp_f32_e32 v97, v85
	v_sub_f32_e32 v33, v37, v85
	v_add_f32_e32 v96, v32, v33
	v_add_f32_e32 v33, v34, v36
	v_sub_f32_e32 v32, v34, v33
	v_mul_f32_e32 v98, v33, v97
	v_add_f32_e32 v34, v36, v32
	v_mul_f32_e32 v36, v85, v98
	v_fma_f32 v38, v98, v85, -v36
	v_fmac_f32_e32 v38, v98, v96
	v_add_f32_e32 v32, v36, v38
	v_sub_f32_e32 v37, v33, v32
	v_pk_add_f32 v[82:83], v[32:33], v[36:37] neg_lo:[0,1] neg_hi:[0,1]
	v_mov_b32_e32 v39, v32
	v_pk_add_f32 v[32:33], v[82:83], v[38:39] neg_lo:[0,1] neg_hi:[0,1]
	v_cmp_eq_f32_e32 vcc, s42, v86
	v_add_f32_e32 v33, v34, v33
	v_add_f32_e32 v32, v32, v33
	;; [unrolled: 1-line block ×3, first 2 shown]
	v_mul_f32_e32 v34, v97, v33
	v_mul_f32_e32 v36, v85, v34
	v_fma_f32 v38, v34, v85, -v36
	v_fmac_f32_e32 v38, v34, v96
	v_sub_f32_e32 v37, v37, v33
	v_add_f32_e32 v85, v32, v37
	v_add_f32_e32 v32, v36, v38
	v_sub_f32_e32 v37, v33, v32
	v_pk_add_f32 v[82:83], v[32:33], v[36:37] neg_lo:[0,1] neg_hi:[0,1]
	v_mov_b32_e32 v39, v32
	v_pk_add_f32 v[32:33], v[82:83], v[38:39] neg_lo:[0,1] neg_hi:[0,1]
	v_cvt_f32_i32_e32 v36, v84
	v_add_f32_e32 v33, v85, v33
	v_add_f32_e32 v32, v32, v33
	;; [unrolled: 1-line block ×4, first 2 shown]
	v_sub_f32_e32 v33, v37, v98
	v_mul_f32_e32 v32, v97, v32
	v_sub_f32_e32 v33, v34, v33
	v_add_f32_e32 v32, v33, v32
	v_add_f32_e32 v34, v37, v32
	v_mul_f32_e32 v38, v34, v34
	v_mov_b32_e32 v33, 0x3ecc95a3
	v_sub_f32_e32 v37, v34, v37
	v_fmac_f32_e32 v33, 0x3e9b6dac, v38
	v_sub_f32_e32 v32, v32, v37
	v_fmaak_f32 v33, v38, v33, 0x3f2aaada
	v_ldexp_f32 v82, v32, 1
	v_mul_f32_e32 v37, v34, v38
	v_mov_b32_e32 v32, 0x3f317218
	v_pk_mul_f32 v[32:33], v[36:37], v[32:33]
	v_ldexp_f32 v39, v34, 1
	v_fma_f32 v34, v36, s13, -v32
	v_fmamk_f32 v38, v36, 0xb102e308, v34
	v_pk_add_f32 v[36:37], v[32:33], v[38:39]
	s_mov_b32 s13, 0x33800000
	v_sub_f32_e32 v34, v37, v39
	v_sub_f32_e32 v34, v33, v34
	v_add_f32_e32 v83, v82, v34
	v_mov_b32_e32 v82, v32
	v_pk_add_f32 v[32:33], v[36:37], v[32:33] neg_lo:[0,1] neg_hi:[0,1]
	v_pk_add_f32 v[84:85], v[36:37], v[82:83]
	v_mov_b32_e32 v39, v36
	v_mov_b32_e32 v33, v85
	v_pk_add_f32 v[96:97], v[38:39], v[32:33] neg_lo:[0,1] neg_hi:[0,1]
	v_pk_add_f32 v[32:33], v[38:39], v[32:33]
	v_cmp_lt_f32_e64 s[42:43], |v86|, s13
	v_mov_b32_e32 v34, v33
	v_pk_add_f32 v[38:39], v[34:35], v[36:37] neg_lo:[0,1] neg_hi:[0,1]
	v_mov_b32_e32 v32, v85
	v_mov_b32_e32 v39, v38
	v_pk_add_f32 v[98:99], v[84:85], v[38:39] neg_lo:[0,1] neg_hi:[0,1]
	v_mov_b32_e32 v84, v37
	v_mov_b32_e32 v85, v38
	;; [unrolled: 1-line block ×3, first 2 shown]
	v_pk_add_f32 v[32:33], v[32:33], v[84:85] neg_lo:[0,1] neg_hi:[0,1]
	v_mov_b32_e32 v38, v83
	v_mov_b32_e32 v39, v36
	v_pk_add_f32 v[32:33], v[38:39], v[32:33] neg_lo:[0,1] neg_hi:[0,1]
	v_mov_b32_e32 v98, v96
	v_pk_add_f32 v[36:37], v[98:99], v[32:33]
	s_or_b64 vcc, vcc, s[42:43]
	v_mov_b32_e32 v38, v37
	v_pk_add_f32 v[38:39], v[36:37], v[38:39]
	s_nop 0
	v_pk_add_f32 v[82:83], v[34:35], v[38:39]
	v_mov_b32_e32 v33, v38
	v_mov_b32_e32 v37, v82
	v_pk_add_f32 v[84:85], v[36:37], v[96:97] neg_lo:[0,1] neg_hi:[0,1]
	s_nop 0
	v_sub_f32_e32 v34, v36, v84
	v_pk_add_f32 v[32:33], v[32:33], v[84:85] neg_lo:[0,1] neg_hi:[0,1]
	v_sub_f32_e32 v34, v96, v34
	v_add_f32_e32 v32, v32, v34
	v_add_f32_e32 v32, v32, v33
	;; [unrolled: 1-line block ×3, first 2 shown]
	v_cndmask_b32_e32 v32, v32, v86, vcc
	v_add_f32_e32 v32, v35, v32
	v_cvt_f16_f32_e32 v33, v32
	v_cvt_f32_f16_e32 v34, v33
	v_mov_b32_e32 v32, v33
.LBB360_89:
	s_or_b64 exec, exec, s[40:41]
	v_cvt_f32_f16_sdwa v82, v17 dst_sel:DWORD dst_unused:UNUSED_PAD src0_sel:WORD_1
	v_max_f32_e32 v35, v34, v34
	v_cmp_u_f16_e32 vcc, v33, v33
	v_cmp_u_f16_sdwa s[40:41], v17, v17 src0_sel:WORD_1 src1_sel:WORD_1
	v_min_f32_e32 v36, v35, v82
	v_max_f32_e32 v35, v35, v82
	v_cndmask_b32_e32 v36, v36, v34, vcc
	v_cndmask_b32_e32 v35, v35, v34, vcc
	v_cndmask_b32_e64 v36, v36, v82, s[40:41]
	v_cndmask_b32_e64 v35, v35, v82, s[40:41]
	s_movk_i32 s13, 0x1f8
	v_cmp_neq_f32_e32 vcc, v36, v35
	v_cmp_class_f32_e64 s[42:43], v36, s13
	s_or_b64 vcc, vcc, s[42:43]
	s_and_saveexec_b64 s[42:43], vcc
	s_cbranch_execz .LBB360_91
; %bb.90:
	v_sub_f32_e32 v32, v36, v35
	s_mov_b32 s44, 0x3fb8aa3b
	v_mul_f32_e32 v33, 0x3fb8aa3b, v32
	v_fma_f32 v34, v32, s44, -v33
	v_rndne_f32_e32 v36, v33
	v_fmamk_f32 v34, v32, 0x32a5705f, v34
	v_sub_f32_e32 v33, v33, v36
	v_add_f32_e32 v33, v33, v34
	v_exp_f32_e32 v33, v33
	v_cvt_i32_f32_e32 v34, v36
	s_mov_b32 s44, 0xc2ce8ed0
	v_cmp_ngt_f32_e32 vcc, s44, v32
	s_mov_b32 s44, 0x42b17218
	v_ldexp_f32 v33, v33, v34
	v_cndmask_b32_e32 v33, 0, v33, vcc
	v_mov_b32_e32 v34, 0x7f800000
	v_cmp_nlt_f32_e32 vcc, s44, v32
	s_mov_b32 s44, 0x3f2aaaab
	s_mov_b32 s45, 0x7f800000
	v_cndmask_b32_e32 v83, v34, v33, vcc
	v_add_f32_e32 v34, 1.0, v83
	v_add_f32_e32 v32, -1.0, v34
	v_sub_f32_e32 v33, v32, v34
	v_add_f32_e32 v33, 1.0, v33
	v_sub_f32_e32 v32, v83, v32
	v_add_f32_e32 v36, v32, v33
	v_frexp_mant_f32_e32 v37, v34
	v_cvt_f64_f32_e32 v[32:33], v34
	v_frexp_exp_i32_f64_e32 v32, v[32:33]
	v_cmp_gt_f32_e32 vcc, s44, v37
	s_mov_b32 s44, 0x3f317218
	s_nop 0
	v_subbrev_co_u32_e32 v86, vcc, 0, v32, vcc
	v_sub_u32_e32 v32, 0, v86
	v_ldexp_f32 v33, v34, v32
	v_add_f32_e32 v34, -1.0, v33
	v_add_f32_e32 v37, 1.0, v33
	v_ldexp_f32 v32, v36, v32
	v_add_f32_e32 v36, 1.0, v34
	v_add_f32_e32 v38, -1.0, v37
	v_sub_f32_e32 v36, v33, v36
	v_sub_f32_e32 v33, v33, v38
	v_add_f32_e32 v36, v32, v36
	v_add_f32_e32 v32, v32, v33
	;; [unrolled: 1-line block ×3, first 2 shown]
	v_rcp_f32_e32 v98, v96
	v_sub_f32_e32 v33, v37, v96
	v_add_f32_e32 v97, v32, v33
	v_add_f32_e32 v33, v34, v36
	v_sub_f32_e32 v32, v34, v33
	v_mul_f32_e32 v99, v33, v98
	v_add_f32_e32 v34, v36, v32
	v_mul_f32_e32 v36, v96, v99
	v_fma_f32 v38, v99, v96, -v36
	v_fmac_f32_e32 v38, v99, v97
	v_add_f32_e32 v32, v36, v38
	v_sub_f32_e32 v37, v33, v32
	v_pk_add_f32 v[84:85], v[32:33], v[36:37] neg_lo:[0,1] neg_hi:[0,1]
	v_mov_b32_e32 v39, v32
	v_pk_add_f32 v[32:33], v[84:85], v[38:39] neg_lo:[0,1] neg_hi:[0,1]
	v_cmp_eq_f32_e32 vcc, s45, v83
	v_add_f32_e32 v33, v34, v33
	v_add_f32_e32 v32, v32, v33
	;; [unrolled: 1-line block ×3, first 2 shown]
	v_mul_f32_e32 v34, v98, v33
	v_mul_f32_e32 v36, v96, v34
	v_fma_f32 v38, v34, v96, -v36
	v_fmac_f32_e32 v38, v34, v97
	v_sub_f32_e32 v37, v37, v33
	v_add_f32_e32 v96, v32, v37
	v_add_f32_e32 v32, v36, v38
	v_sub_f32_e32 v37, v33, v32
	v_pk_add_f32 v[84:85], v[32:33], v[36:37] neg_lo:[0,1] neg_hi:[0,1]
	v_mov_b32_e32 v39, v32
	v_pk_add_f32 v[32:33], v[84:85], v[38:39] neg_lo:[0,1] neg_hi:[0,1]
	v_cvt_f32_i32_e32 v36, v86
	v_add_f32_e32 v33, v96, v33
	v_add_f32_e32 v32, v32, v33
	;; [unrolled: 1-line block ×4, first 2 shown]
	v_sub_f32_e32 v33, v37, v99
	v_mul_f32_e32 v32, v98, v32
	v_sub_f32_e32 v33, v34, v33
	v_add_f32_e32 v32, v33, v32
	v_add_f32_e32 v34, v37, v32
	v_mul_f32_e32 v38, v34, v34
	v_mov_b32_e32 v33, 0x3ecc95a3
	v_sub_f32_e32 v37, v34, v37
	v_fmac_f32_e32 v33, 0x3e9b6dac, v38
	v_sub_f32_e32 v32, v32, v37
	v_fmaak_f32 v33, v38, v33, 0x3f2aaada
	v_ldexp_f32 v84, v32, 1
	v_mul_f32_e32 v37, v34, v38
	v_mov_b32_e32 v32, 0x3f317218
	v_pk_mul_f32 v[32:33], v[36:37], v[32:33]
	v_ldexp_f32 v39, v34, 1
	v_fma_f32 v34, v36, s44, -v32
	v_fmamk_f32 v38, v36, 0xb102e308, v34
	v_pk_add_f32 v[36:37], v[32:33], v[38:39]
	s_mov_b32 s44, 0x33800000
	v_sub_f32_e32 v34, v37, v39
	v_sub_f32_e32 v34, v33, v34
	v_add_f32_e32 v85, v84, v34
	v_mov_b32_e32 v84, v32
	v_pk_add_f32 v[32:33], v[36:37], v[32:33] neg_lo:[0,1] neg_hi:[0,1]
	v_pk_add_f32 v[96:97], v[36:37], v[84:85]
	v_mov_b32_e32 v39, v36
	v_mov_b32_e32 v33, v97
	v_pk_add_f32 v[98:99], v[38:39], v[32:33] neg_lo:[0,1] neg_hi:[0,1]
	v_pk_add_f32 v[32:33], v[38:39], v[32:33]
	v_cmp_lt_f32_e64 s[44:45], |v83|, s44
	v_mov_b32_e32 v34, v33
	v_pk_add_f32 v[38:39], v[34:35], v[36:37] neg_lo:[0,1] neg_hi:[0,1]
	v_mov_b32_e32 v32, v97
	v_mov_b32_e32 v39, v38
	v_pk_add_f32 v[100:101], v[96:97], v[38:39] neg_lo:[0,1] neg_hi:[0,1]
	v_mov_b32_e32 v96, v37
	v_mov_b32_e32 v97, v38
	;; [unrolled: 1-line block ×3, first 2 shown]
	v_pk_add_f32 v[32:33], v[32:33], v[96:97] neg_lo:[0,1] neg_hi:[0,1]
	v_mov_b32_e32 v38, v85
	v_mov_b32_e32 v39, v36
	v_pk_add_f32 v[32:33], v[38:39], v[32:33] neg_lo:[0,1] neg_hi:[0,1]
	v_mov_b32_e32 v100, v98
	v_pk_add_f32 v[36:37], v[100:101], v[32:33]
	s_or_b64 vcc, vcc, s[44:45]
	v_mov_b32_e32 v38, v37
	v_pk_add_f32 v[38:39], v[36:37], v[38:39]
	s_nop 0
	v_pk_add_f32 v[84:85], v[34:35], v[38:39]
	v_mov_b32_e32 v33, v38
	v_mov_b32_e32 v37, v84
	v_pk_add_f32 v[96:97], v[36:37], v[98:99] neg_lo:[0,1] neg_hi:[0,1]
	s_nop 0
	v_sub_f32_e32 v34, v36, v96
	v_pk_add_f32 v[32:33], v[32:33], v[96:97] neg_lo:[0,1] neg_hi:[0,1]
	v_sub_f32_e32 v34, v98, v34
	v_add_f32_e32 v32, v32, v34
	v_add_f32_e32 v32, v32, v33
	;; [unrolled: 1-line block ×3, first 2 shown]
	v_cndmask_b32_e32 v32, v32, v83, vcc
	v_add_f32_e32 v32, v35, v32
	v_cvt_f16_f32_e32 v33, v32
	v_cvt_f32_f16_e32 v34, v33
	v_mov_b32_e32 v32, v33
.LBB360_91:
	s_or_b64 exec, exec, s[42:43]
	v_cvt_f32_f16_e32 v83, v18
	v_max_f32_e32 v35, v34, v34
	v_cmp_u_f16_e32 vcc, v33, v33
	v_cmp_u_f16_e64 s[42:43], v18, v18
	v_min_f32_e32 v36, v35, v83
	v_max_f32_e32 v35, v35, v83
	v_cndmask_b32_e32 v36, v36, v34, vcc
	v_cndmask_b32_e32 v35, v35, v34, vcc
	v_cndmask_b32_e64 v36, v36, v83, s[42:43]
	v_cndmask_b32_e64 v35, v35, v83, s[42:43]
	v_cmp_neq_f32_e32 vcc, v36, v35
	v_cmp_class_f32_e64 s[44:45], v36, s13
	s_or_b64 vcc, vcc, s[44:45]
	s_and_saveexec_b64 s[44:45], vcc
	s_cbranch_execz .LBB360_93
; %bb.92:
	v_sub_f32_e32 v32, v36, v35
	s_mov_b32 s13, 0x3fb8aa3b
	v_mul_f32_e32 v33, 0x3fb8aa3b, v32
	v_fma_f32 v34, v32, s13, -v33
	v_rndne_f32_e32 v36, v33
	v_fmamk_f32 v34, v32, 0x32a5705f, v34
	v_sub_f32_e32 v33, v33, v36
	v_add_f32_e32 v33, v33, v34
	v_exp_f32_e32 v33, v33
	v_cvt_i32_f32_e32 v34, v36
	s_mov_b32 s13, 0xc2ce8ed0
	v_cmp_ngt_f32_e32 vcc, s13, v32
	s_mov_b32 s13, 0x42b17218
	v_ldexp_f32 v33, v33, v34
	v_cndmask_b32_e32 v33, 0, v33, vcc
	v_mov_b32_e32 v34, 0x7f800000
	v_cmp_nlt_f32_e32 vcc, s13, v32
	s_mov_b32 s13, 0x3f2aaaab
	s_mov_b32 s46, 0x7f800000
	v_cndmask_b32_e32 v86, v34, v33, vcc
	v_add_f32_e32 v34, 1.0, v86
	v_add_f32_e32 v32, -1.0, v34
	v_sub_f32_e32 v33, v32, v34
	v_add_f32_e32 v33, 1.0, v33
	v_sub_f32_e32 v32, v86, v32
	v_add_f32_e32 v36, v32, v33
	v_frexp_mant_f32_e32 v37, v34
	v_cvt_f64_f32_e32 v[32:33], v34
	v_frexp_exp_i32_f64_e32 v32, v[32:33]
	v_cmp_gt_f32_e32 vcc, s13, v37
	s_mov_b32 s13, 0x3f317218
	s_nop 0
	v_subbrev_co_u32_e32 v96, vcc, 0, v32, vcc
	v_sub_u32_e32 v32, 0, v96
	v_ldexp_f32 v33, v34, v32
	v_add_f32_e32 v34, -1.0, v33
	v_add_f32_e32 v37, 1.0, v33
	v_ldexp_f32 v32, v36, v32
	v_add_f32_e32 v36, 1.0, v34
	v_add_f32_e32 v38, -1.0, v37
	v_sub_f32_e32 v36, v33, v36
	v_sub_f32_e32 v33, v33, v38
	v_add_f32_e32 v36, v32, v36
	v_add_f32_e32 v32, v32, v33
	v_add_f32_e32 v97, v37, v32
	v_rcp_f32_e32 v99, v97
	v_sub_f32_e32 v33, v37, v97
	v_add_f32_e32 v98, v32, v33
	v_add_f32_e32 v33, v34, v36
	v_sub_f32_e32 v32, v34, v33
	v_mul_f32_e32 v100, v33, v99
	v_add_f32_e32 v34, v36, v32
	v_mul_f32_e32 v36, v97, v100
	v_fma_f32 v38, v100, v97, -v36
	v_fmac_f32_e32 v38, v100, v98
	v_add_f32_e32 v32, v36, v38
	v_sub_f32_e32 v37, v33, v32
	v_pk_add_f32 v[84:85], v[32:33], v[36:37] neg_lo:[0,1] neg_hi:[0,1]
	v_mov_b32_e32 v39, v32
	v_pk_add_f32 v[32:33], v[84:85], v[38:39] neg_lo:[0,1] neg_hi:[0,1]
	v_cmp_eq_f32_e32 vcc, s46, v86
	v_add_f32_e32 v33, v34, v33
	v_add_f32_e32 v32, v32, v33
	;; [unrolled: 1-line block ×3, first 2 shown]
	v_mul_f32_e32 v34, v99, v33
	v_mul_f32_e32 v36, v97, v34
	v_fma_f32 v38, v34, v97, -v36
	v_fmac_f32_e32 v38, v34, v98
	v_sub_f32_e32 v37, v37, v33
	v_add_f32_e32 v97, v32, v37
	v_add_f32_e32 v32, v36, v38
	v_sub_f32_e32 v37, v33, v32
	v_pk_add_f32 v[84:85], v[32:33], v[36:37] neg_lo:[0,1] neg_hi:[0,1]
	v_mov_b32_e32 v39, v32
	v_pk_add_f32 v[32:33], v[84:85], v[38:39] neg_lo:[0,1] neg_hi:[0,1]
	v_cvt_f32_i32_e32 v36, v96
	v_add_f32_e32 v33, v97, v33
	v_add_f32_e32 v32, v32, v33
	;; [unrolled: 1-line block ×4, first 2 shown]
	v_sub_f32_e32 v33, v37, v100
	v_mul_f32_e32 v32, v99, v32
	v_sub_f32_e32 v33, v34, v33
	v_add_f32_e32 v32, v33, v32
	v_add_f32_e32 v34, v37, v32
	v_mul_f32_e32 v38, v34, v34
	v_mov_b32_e32 v33, 0x3ecc95a3
	v_sub_f32_e32 v37, v34, v37
	v_fmac_f32_e32 v33, 0x3e9b6dac, v38
	v_sub_f32_e32 v32, v32, v37
	v_fmaak_f32 v33, v38, v33, 0x3f2aaada
	v_ldexp_f32 v84, v32, 1
	v_mul_f32_e32 v37, v34, v38
	v_mov_b32_e32 v32, 0x3f317218
	v_pk_mul_f32 v[32:33], v[36:37], v[32:33]
	v_ldexp_f32 v39, v34, 1
	v_fma_f32 v34, v36, s13, -v32
	v_fmamk_f32 v38, v36, 0xb102e308, v34
	v_pk_add_f32 v[36:37], v[32:33], v[38:39]
	s_mov_b32 s13, 0x33800000
	v_sub_f32_e32 v34, v37, v39
	v_sub_f32_e32 v34, v33, v34
	v_add_f32_e32 v85, v84, v34
	v_mov_b32_e32 v84, v32
	v_pk_add_f32 v[32:33], v[36:37], v[32:33] neg_lo:[0,1] neg_hi:[0,1]
	v_pk_add_f32 v[96:97], v[36:37], v[84:85]
	v_mov_b32_e32 v39, v36
	v_mov_b32_e32 v33, v97
	v_pk_add_f32 v[98:99], v[38:39], v[32:33] neg_lo:[0,1] neg_hi:[0,1]
	v_pk_add_f32 v[32:33], v[38:39], v[32:33]
	v_cmp_lt_f32_e64 s[46:47], |v86|, s13
	v_mov_b32_e32 v34, v33
	v_pk_add_f32 v[38:39], v[34:35], v[36:37] neg_lo:[0,1] neg_hi:[0,1]
	v_mov_b32_e32 v32, v97
	v_mov_b32_e32 v39, v38
	v_pk_add_f32 v[100:101], v[96:97], v[38:39] neg_lo:[0,1] neg_hi:[0,1]
	v_mov_b32_e32 v96, v37
	v_mov_b32_e32 v97, v38
	;; [unrolled: 1-line block ×3, first 2 shown]
	v_pk_add_f32 v[32:33], v[32:33], v[96:97] neg_lo:[0,1] neg_hi:[0,1]
	v_mov_b32_e32 v38, v85
	v_mov_b32_e32 v39, v36
	v_pk_add_f32 v[32:33], v[38:39], v[32:33] neg_lo:[0,1] neg_hi:[0,1]
	v_mov_b32_e32 v100, v98
	v_pk_add_f32 v[36:37], v[100:101], v[32:33]
	s_or_b64 vcc, vcc, s[46:47]
	v_mov_b32_e32 v38, v37
	v_pk_add_f32 v[38:39], v[36:37], v[38:39]
	s_nop 0
	v_pk_add_f32 v[84:85], v[34:35], v[38:39]
	v_mov_b32_e32 v33, v38
	v_mov_b32_e32 v37, v84
	v_pk_add_f32 v[96:97], v[36:37], v[98:99] neg_lo:[0,1] neg_hi:[0,1]
	s_nop 0
	v_sub_f32_e32 v34, v36, v96
	v_pk_add_f32 v[32:33], v[32:33], v[96:97] neg_lo:[0,1] neg_hi:[0,1]
	v_sub_f32_e32 v34, v98, v34
	v_add_f32_e32 v32, v32, v34
	v_add_f32_e32 v32, v32, v33
	;; [unrolled: 1-line block ×3, first 2 shown]
	v_cndmask_b32_e32 v32, v32, v86, vcc
	v_add_f32_e32 v32, v35, v32
	v_cvt_f16_f32_e32 v33, v32
	v_cvt_f32_f16_e32 v34, v33
	v_mov_b32_e32 v32, v33
.LBB360_93:
	s_or_b64 exec, exec, s[44:45]
	v_cvt_f32_f16_sdwa v84, v18 dst_sel:DWORD dst_unused:UNUSED_PAD src0_sel:WORD_1
	v_max_f32_e32 v35, v34, v34
	v_cmp_u_f16_e32 vcc, v33, v33
	v_cmp_u_f16_sdwa s[44:45], v18, v18 src0_sel:WORD_1 src1_sel:WORD_1
	v_min_f32_e32 v36, v35, v84
	v_max_f32_e32 v35, v35, v84
	v_cndmask_b32_e32 v36, v36, v34, vcc
	v_cndmask_b32_e32 v35, v35, v34, vcc
	v_cndmask_b32_e64 v36, v36, v84, s[44:45]
	v_cndmask_b32_e64 v35, v35, v84, s[44:45]
	s_movk_i32 s13, 0x1f8
	v_cmp_neq_f32_e32 vcc, v36, v35
	v_cmp_class_f32_e64 s[46:47], v36, s13
	s_or_b64 vcc, vcc, s[46:47]
	s_and_saveexec_b64 s[46:47], vcc
	s_cbranch_execz .LBB360_95
; %bb.94:
	v_sub_f32_e32 v32, v36, v35
	s_mov_b32 s48, 0x3fb8aa3b
	v_mul_f32_e32 v33, 0x3fb8aa3b, v32
	v_fma_f32 v34, v32, s48, -v33
	v_rndne_f32_e32 v36, v33
	v_fmamk_f32 v34, v32, 0x32a5705f, v34
	v_sub_f32_e32 v33, v33, v36
	v_add_f32_e32 v33, v33, v34
	v_exp_f32_e32 v33, v33
	v_cvt_i32_f32_e32 v34, v36
	s_mov_b32 s48, 0xc2ce8ed0
	v_cmp_ngt_f32_e32 vcc, s48, v32
	s_mov_b32 s48, 0x42b17218
	v_ldexp_f32 v33, v33, v34
	v_cndmask_b32_e32 v33, 0, v33, vcc
	v_mov_b32_e32 v34, 0x7f800000
	v_cmp_nlt_f32_e32 vcc, s48, v32
	s_mov_b32 s48, 0x3f2aaaab
	s_mov_b32 s49, 0x7f800000
	v_cndmask_b32_e32 v85, v34, v33, vcc
	v_add_f32_e32 v34, 1.0, v85
	v_add_f32_e32 v32, -1.0, v34
	v_sub_f32_e32 v33, v32, v34
	v_add_f32_e32 v33, 1.0, v33
	v_sub_f32_e32 v32, v85, v32
	v_add_f32_e32 v36, v32, v33
	v_frexp_mant_f32_e32 v37, v34
	v_cvt_f64_f32_e32 v[32:33], v34
	v_frexp_exp_i32_f64_e32 v32, v[32:33]
	v_cmp_gt_f32_e32 vcc, s48, v37
	s_mov_b32 s48, 0x3f317218
	s_nop 0
	v_subbrev_co_u32_e32 v86, vcc, 0, v32, vcc
	v_sub_u32_e32 v32, 0, v86
	v_ldexp_f32 v33, v34, v32
	v_add_f32_e32 v34, -1.0, v33
	v_add_f32_e32 v37, 1.0, v33
	v_ldexp_f32 v32, v36, v32
	v_add_f32_e32 v36, 1.0, v34
	v_add_f32_e32 v38, -1.0, v37
	v_sub_f32_e32 v36, v33, v36
	v_sub_f32_e32 v33, v33, v38
	v_add_f32_e32 v36, v32, v36
	v_add_f32_e32 v32, v32, v33
	;; [unrolled: 1-line block ×3, first 2 shown]
	v_rcp_f32_e32 v100, v98
	v_sub_f32_e32 v33, v37, v98
	v_add_f32_e32 v99, v32, v33
	v_add_f32_e32 v33, v34, v36
	v_sub_f32_e32 v32, v34, v33
	v_mul_f32_e32 v101, v33, v100
	v_add_f32_e32 v34, v36, v32
	v_mul_f32_e32 v36, v98, v101
	v_fma_f32 v38, v101, v98, -v36
	v_fmac_f32_e32 v38, v101, v99
	v_add_f32_e32 v32, v36, v38
	v_sub_f32_e32 v37, v33, v32
	v_pk_add_f32 v[96:97], v[32:33], v[36:37] neg_lo:[0,1] neg_hi:[0,1]
	v_mov_b32_e32 v39, v32
	v_pk_add_f32 v[32:33], v[96:97], v[38:39] neg_lo:[0,1] neg_hi:[0,1]
	v_cmp_eq_f32_e32 vcc, s49, v85
	v_add_f32_e32 v33, v34, v33
	v_add_f32_e32 v32, v32, v33
	v_add_f32_e32 v33, v37, v32
	v_mul_f32_e32 v34, v100, v33
	v_mul_f32_e32 v36, v98, v34
	v_fma_f32 v38, v34, v98, -v36
	v_fmac_f32_e32 v38, v34, v99
	v_sub_f32_e32 v37, v37, v33
	v_add_f32_e32 v98, v32, v37
	v_add_f32_e32 v32, v36, v38
	v_sub_f32_e32 v37, v33, v32
	v_pk_add_f32 v[96:97], v[32:33], v[36:37] neg_lo:[0,1] neg_hi:[0,1]
	v_mov_b32_e32 v39, v32
	v_pk_add_f32 v[32:33], v[96:97], v[38:39] neg_lo:[0,1] neg_hi:[0,1]
	v_cvt_f32_i32_e32 v36, v86
	v_add_f32_e32 v33, v98, v33
	v_add_f32_e32 v32, v32, v33
	;; [unrolled: 1-line block ×4, first 2 shown]
	v_sub_f32_e32 v33, v37, v101
	v_mul_f32_e32 v32, v100, v32
	v_sub_f32_e32 v33, v34, v33
	v_add_f32_e32 v32, v33, v32
	v_add_f32_e32 v34, v37, v32
	v_mul_f32_e32 v38, v34, v34
	v_mov_b32_e32 v33, 0x3ecc95a3
	v_sub_f32_e32 v37, v34, v37
	v_fmac_f32_e32 v33, 0x3e9b6dac, v38
	v_sub_f32_e32 v32, v32, v37
	v_fmaak_f32 v33, v38, v33, 0x3f2aaada
	v_ldexp_f32 v86, v32, 1
	v_mul_f32_e32 v37, v34, v38
	v_mov_b32_e32 v32, 0x3f317218
	v_pk_mul_f32 v[32:33], v[36:37], v[32:33]
	v_ldexp_f32 v39, v34, 1
	v_fma_f32 v34, v36, s48, -v32
	v_fmamk_f32 v38, v36, 0xb102e308, v34
	v_pk_add_f32 v[36:37], v[32:33], v[38:39]
	v_mov_b32_e32 v96, v32
	v_sub_f32_e32 v34, v37, v39
	v_sub_f32_e32 v34, v33, v34
	v_add_f32_e32 v97, v86, v34
	v_pk_add_f32 v[32:33], v[36:37], v[32:33] neg_lo:[0,1] neg_hi:[0,1]
	v_pk_add_f32 v[98:99], v[36:37], v[96:97]
	v_mov_b32_e32 v39, v36
	v_mov_b32_e32 v33, v99
	v_pk_add_f32 v[100:101], v[38:39], v[32:33] neg_lo:[0,1] neg_hi:[0,1]
	v_pk_add_f32 v[32:33], v[38:39], v[32:33]
	s_mov_b32 s48, 0x33800000
	v_mov_b32_e32 v34, v33
	v_pk_add_f32 v[38:39], v[34:35], v[36:37] neg_lo:[0,1] neg_hi:[0,1]
	v_mov_b32_e32 v32, v99
	v_mov_b32_e32 v39, v38
	v_pk_add_f32 v[102:103], v[98:99], v[38:39] neg_lo:[0,1] neg_hi:[0,1]
	v_mov_b32_e32 v98, v37
	v_mov_b32_e32 v99, v38
	;; [unrolled: 1-line block ×3, first 2 shown]
	v_pk_add_f32 v[32:33], v[32:33], v[98:99] neg_lo:[0,1] neg_hi:[0,1]
	v_mov_b32_e32 v38, v97
	v_mov_b32_e32 v39, v36
	v_pk_add_f32 v[32:33], v[38:39], v[32:33] neg_lo:[0,1] neg_hi:[0,1]
	v_mov_b32_e32 v102, v100
	v_pk_add_f32 v[36:37], v[102:103], v[32:33]
	v_cmp_lt_f32_e64 s[48:49], |v85|, s48
	v_mov_b32_e32 v38, v37
	v_pk_add_f32 v[38:39], v[36:37], v[38:39]
	s_or_b64 vcc, vcc, s[48:49]
	v_pk_add_f32 v[96:97], v[34:35], v[38:39]
	v_mov_b32_e32 v33, v38
	v_mov_b32_e32 v37, v96
	v_pk_add_f32 v[98:99], v[36:37], v[100:101] neg_lo:[0,1] neg_hi:[0,1]
	s_nop 0
	v_sub_f32_e32 v34, v36, v98
	v_pk_add_f32 v[32:33], v[32:33], v[98:99] neg_lo:[0,1] neg_hi:[0,1]
	v_sub_f32_e32 v34, v100, v34
	v_add_f32_e32 v32, v32, v34
	v_add_f32_e32 v32, v32, v33
	;; [unrolled: 1-line block ×3, first 2 shown]
	v_cndmask_b32_e32 v32, v32, v85, vcc
	v_add_f32_e32 v32, v35, v32
	v_cvt_f16_f32_e32 v33, v32
	v_cvt_f32_f16_e32 v34, v33
	v_mov_b32_e32 v32, v33
.LBB360_95:
	s_or_b64 exec, exec, s[46:47]
	v_cvt_f32_f16_e32 v85, v19
	v_max_f32_e32 v35, v34, v34
	v_cmp_u_f16_e32 vcc, v33, v33
	v_cmp_u_f16_e64 s[46:47], v19, v19
	v_min_f32_e32 v36, v35, v85
	v_max_f32_e32 v35, v35, v85
	v_cndmask_b32_e32 v36, v36, v34, vcc
	v_cndmask_b32_e32 v35, v35, v34, vcc
	v_cndmask_b32_e64 v36, v36, v85, s[46:47]
	v_cndmask_b32_e64 v35, v35, v85, s[46:47]
	v_cmp_neq_f32_e32 vcc, v36, v35
	v_cmp_class_f32_e64 s[48:49], v36, s13
	s_or_b64 vcc, vcc, s[48:49]
	s_and_saveexec_b64 s[48:49], vcc
	s_cbranch_execz .LBB360_97
; %bb.96:
	v_sub_f32_e32 v32, v36, v35
	s_mov_b32 s13, 0x3fb8aa3b
	v_mul_f32_e32 v33, 0x3fb8aa3b, v32
	v_fma_f32 v34, v32, s13, -v33
	v_rndne_f32_e32 v36, v33
	v_fmamk_f32 v34, v32, 0x32a5705f, v34
	v_sub_f32_e32 v33, v33, v36
	v_add_f32_e32 v33, v33, v34
	v_exp_f32_e32 v33, v33
	v_cvt_i32_f32_e32 v34, v36
	s_mov_b32 s13, 0xc2ce8ed0
	v_cmp_ngt_f32_e32 vcc, s13, v32
	s_mov_b32 s13, 0x42b17218
	v_ldexp_f32 v33, v33, v34
	v_cndmask_b32_e32 v33, 0, v33, vcc
	v_mov_b32_e32 v34, 0x7f800000
	v_cmp_nlt_f32_e32 vcc, s13, v32
	s_mov_b32 s13, 0x3f2aaaab
	s_mov_b32 s52, 0x7f800000
	v_cndmask_b32_e32 v86, v34, v33, vcc
	v_add_f32_e32 v34, 1.0, v86
	v_add_f32_e32 v32, -1.0, v34
	v_sub_f32_e32 v33, v32, v34
	v_add_f32_e32 v33, 1.0, v33
	v_sub_f32_e32 v32, v86, v32
	v_add_f32_e32 v36, v32, v33
	v_frexp_mant_f32_e32 v37, v34
	v_cvt_f64_f32_e32 v[32:33], v34
	v_frexp_exp_i32_f64_e32 v32, v[32:33]
	v_cmp_gt_f32_e32 vcc, s13, v37
	s_mov_b32 s13, 0x3f317218
	s_nop 0
	v_subbrev_co_u32_e32 v98, vcc, 0, v32, vcc
	v_sub_u32_e32 v32, 0, v98
	v_ldexp_f32 v33, v34, v32
	v_add_f32_e32 v34, -1.0, v33
	v_add_f32_e32 v37, 1.0, v33
	v_ldexp_f32 v32, v36, v32
	v_add_f32_e32 v36, 1.0, v34
	v_add_f32_e32 v38, -1.0, v37
	v_sub_f32_e32 v36, v33, v36
	v_sub_f32_e32 v33, v33, v38
	v_add_f32_e32 v36, v32, v36
	v_add_f32_e32 v32, v32, v33
	;; [unrolled: 1-line block ×3, first 2 shown]
	v_rcp_f32_e32 v101, v99
	v_sub_f32_e32 v33, v37, v99
	v_add_f32_e32 v100, v32, v33
	v_add_f32_e32 v33, v34, v36
	v_sub_f32_e32 v32, v34, v33
	v_mul_f32_e32 v102, v33, v101
	v_add_f32_e32 v34, v36, v32
	v_mul_f32_e32 v36, v99, v102
	v_fma_f32 v38, v102, v99, -v36
	v_fmac_f32_e32 v38, v102, v100
	v_add_f32_e32 v32, v36, v38
	v_sub_f32_e32 v37, v33, v32
	v_pk_add_f32 v[96:97], v[32:33], v[36:37] neg_lo:[0,1] neg_hi:[0,1]
	v_mov_b32_e32 v39, v32
	v_pk_add_f32 v[32:33], v[96:97], v[38:39] neg_lo:[0,1] neg_hi:[0,1]
	v_cmp_eq_f32_e32 vcc, s52, v86
	v_add_f32_e32 v33, v34, v33
	v_add_f32_e32 v32, v32, v33
	;; [unrolled: 1-line block ×3, first 2 shown]
	v_mul_f32_e32 v34, v101, v33
	v_mul_f32_e32 v36, v99, v34
	v_fma_f32 v38, v34, v99, -v36
	v_fmac_f32_e32 v38, v34, v100
	v_sub_f32_e32 v37, v37, v33
	v_add_f32_e32 v99, v32, v37
	v_add_f32_e32 v32, v36, v38
	v_sub_f32_e32 v37, v33, v32
	v_pk_add_f32 v[96:97], v[32:33], v[36:37] neg_lo:[0,1] neg_hi:[0,1]
	v_mov_b32_e32 v39, v32
	v_pk_add_f32 v[32:33], v[96:97], v[38:39] neg_lo:[0,1] neg_hi:[0,1]
	v_cvt_f32_i32_e32 v36, v98
	v_add_f32_e32 v33, v99, v33
	v_add_f32_e32 v32, v32, v33
	;; [unrolled: 1-line block ×4, first 2 shown]
	v_sub_f32_e32 v33, v37, v102
	v_mul_f32_e32 v32, v101, v32
	v_sub_f32_e32 v33, v34, v33
	v_add_f32_e32 v32, v33, v32
	v_add_f32_e32 v34, v37, v32
	v_mul_f32_e32 v38, v34, v34
	v_mov_b32_e32 v33, 0x3ecc95a3
	v_sub_f32_e32 v37, v34, v37
	v_fmac_f32_e32 v33, 0x3e9b6dac, v38
	v_sub_f32_e32 v32, v32, v37
	v_fmaak_f32 v33, v38, v33, 0x3f2aaada
	v_ldexp_f32 v96, v32, 1
	v_mul_f32_e32 v37, v34, v38
	v_mov_b32_e32 v32, 0x3f317218
	v_pk_mul_f32 v[32:33], v[36:37], v[32:33]
	v_ldexp_f32 v39, v34, 1
	v_fma_f32 v34, v36, s13, -v32
	v_fmamk_f32 v38, v36, 0xb102e308, v34
	v_pk_add_f32 v[36:37], v[32:33], v[38:39]
	s_mov_b32 s13, 0x33800000
	v_sub_f32_e32 v34, v37, v39
	v_sub_f32_e32 v34, v33, v34
	v_add_f32_e32 v97, v96, v34
	v_mov_b32_e32 v96, v32
	v_pk_add_f32 v[32:33], v[36:37], v[32:33] neg_lo:[0,1] neg_hi:[0,1]
	v_pk_add_f32 v[98:99], v[36:37], v[96:97]
	v_mov_b32_e32 v39, v36
	v_mov_b32_e32 v33, v99
	v_pk_add_f32 v[100:101], v[38:39], v[32:33] neg_lo:[0,1] neg_hi:[0,1]
	v_pk_add_f32 v[32:33], v[38:39], v[32:33]
	v_cmp_lt_f32_e64 s[52:53], |v86|, s13
	v_mov_b32_e32 v34, v33
	v_pk_add_f32 v[38:39], v[34:35], v[36:37] neg_lo:[0,1] neg_hi:[0,1]
	v_mov_b32_e32 v32, v99
	v_mov_b32_e32 v39, v38
	v_pk_add_f32 v[102:103], v[98:99], v[38:39] neg_lo:[0,1] neg_hi:[0,1]
	v_mov_b32_e32 v98, v37
	v_mov_b32_e32 v99, v38
	;; [unrolled: 1-line block ×3, first 2 shown]
	v_pk_add_f32 v[32:33], v[32:33], v[98:99] neg_lo:[0,1] neg_hi:[0,1]
	v_mov_b32_e32 v38, v97
	v_mov_b32_e32 v39, v36
	v_pk_add_f32 v[32:33], v[38:39], v[32:33] neg_lo:[0,1] neg_hi:[0,1]
	v_mov_b32_e32 v102, v100
	v_pk_add_f32 v[36:37], v[102:103], v[32:33]
	s_or_b64 vcc, vcc, s[52:53]
	v_mov_b32_e32 v38, v37
	v_pk_add_f32 v[38:39], v[36:37], v[38:39]
	s_nop 0
	v_pk_add_f32 v[96:97], v[34:35], v[38:39]
	v_mov_b32_e32 v33, v38
	v_mov_b32_e32 v37, v96
	v_pk_add_f32 v[98:99], v[36:37], v[100:101] neg_lo:[0,1] neg_hi:[0,1]
	s_nop 0
	v_sub_f32_e32 v34, v36, v98
	v_pk_add_f32 v[32:33], v[32:33], v[98:99] neg_lo:[0,1] neg_hi:[0,1]
	v_sub_f32_e32 v34, v100, v34
	v_add_f32_e32 v32, v32, v34
	v_add_f32_e32 v32, v32, v33
	;; [unrolled: 1-line block ×3, first 2 shown]
	v_cndmask_b32_e32 v32, v32, v86, vcc
	v_add_f32_e32 v32, v35, v32
	v_cvt_f16_f32_e32 v33, v32
	v_cvt_f32_f16_e32 v34, v33
	v_mov_b32_e32 v32, v33
.LBB360_97:
	s_or_b64 exec, exec, s[48:49]
	v_cvt_f32_f16_sdwa v86, v19 dst_sel:DWORD dst_unused:UNUSED_PAD src0_sel:WORD_1
	v_max_f32_e32 v36, v34, v34
	v_cmp_u_f16_e32 vcc, v33, v33
	v_cmp_u_f16_sdwa s[48:49], v19, v19 src0_sel:WORD_1 src1_sel:WORD_1
	v_min_f32_e32 v35, v36, v86
	v_cndmask_b32_e32 v33, v35, v34, vcc
	v_cndmask_b32_e64 v35, v33, v86, s[48:49]
	v_max_f32_e32 v33, v36, v86
	v_cndmask_b32_e32 v33, v33, v34, vcc
	v_cndmask_b32_e64 v33, v33, v86, s[48:49]
	s_movk_i32 s13, 0x1f8
	v_cmp_neq_f32_e32 vcc, v35, v33
	v_cmp_class_f32_e64 s[52:53], v35, s13
	s_or_b64 vcc, vcc, s[52:53]
	s_and_saveexec_b64 s[52:53], vcc
	s_cbranch_execz .LBB360_99
; %bb.98:
	v_sub_f32_e32 v32, v35, v33
	s_mov_b32 s13, 0x3fb8aa3b
	v_mul_f32_e32 v34, 0x3fb8aa3b, v32
	v_fma_f32 v35, v32, s13, -v34
	v_rndne_f32_e32 v36, v34
	v_fmamk_f32 v35, v32, 0x32a5705f, v35
	v_sub_f32_e32 v34, v34, v36
	v_add_f32_e32 v34, v34, v35
	v_exp_f32_e32 v34, v34
	v_cvt_i32_f32_e32 v35, v36
	s_mov_b32 s13, 0xc2ce8ed0
	v_cmp_ngt_f32_e32 vcc, s13, v32
	s_mov_b32 s13, 0x42b17218
	v_ldexp_f32 v34, v34, v35
	v_cndmask_b32_e32 v34, 0, v34, vcc
	v_mov_b32_e32 v35, 0x7f800000
	v_cmp_nlt_f32_e32 vcc, s13, v32
	s_mov_b32 s13, 0x3f2aaaab
	s_mov_b32 s56, 0x7f800000
	v_cndmask_b32_e32 v112, v35, v34, vcc
	v_add_f32_e32 v32, 1.0, v112
	v_add_f32_e32 v34, -1.0, v32
	v_sub_f32_e32 v35, v34, v32
	v_add_f32_e32 v35, 1.0, v35
	v_sub_f32_e32 v34, v112, v34
	v_add_f32_e32 v36, v34, v35
	v_frexp_mant_f32_e32 v37, v32
	v_cvt_f64_f32_e32 v[34:35], v32
	v_frexp_exp_i32_f64_e32 v34, v[34:35]
	v_cmp_gt_f32_e32 vcc, s13, v37
	s_mov_b32 s13, 0x3f317218
	s_nop 0
	v_subbrev_co_u32_e32 v98, vcc, 0, v34, vcc
	v_sub_u32_e32 v34, 0, v98
	v_ldexp_f32 v32, v32, v34
	v_ldexp_f32 v34, v36, v34
	v_add_f32_e32 v36, -1.0, v32
	v_add_f32_e32 v35, 1.0, v36
	v_sub_f32_e32 v35, v32, v35
	v_add_f32_e32 v37, v34, v35
	v_add_f32_e32 v35, 1.0, v32
	v_add_f32_e32 v38, -1.0, v35
	v_sub_f32_e32 v32, v32, v38
	v_add_f32_e32 v32, v34, v32
	v_add_f32_e32 v99, v35, v32
	v_rcp_f32_e32 v100, v99
	v_sub_f32_e32 v34, v35, v99
	v_add_f32_e32 v35, v36, v37
	v_add_f32_e32 v32, v32, v34
	v_mul_f32_e32 v102, v35, v100
	v_sub_f32_e32 v34, v36, v35
	v_mul_f32_e32 v36, v99, v102
	v_fma_f32 v38, v102, v99, -v36
	v_fmac_f32_e32 v38, v102, v32
	v_add_f32_e32 v101, v37, v34
	v_add_f32_e32 v34, v36, v38
	v_sub_f32_e32 v37, v35, v34
	v_pk_add_f32 v[96:97], v[34:35], v[36:37] neg_lo:[0,1] neg_hi:[0,1]
	v_mov_b32_e32 v39, v34
	v_pk_add_f32 v[34:35], v[96:97], v[38:39] neg_lo:[0,1] neg_hi:[0,1]
	v_cmp_eq_f32_e32 vcc, s56, v112
	v_add_f32_e32 v35, v101, v35
	v_add_f32_e32 v34, v34, v35
	;; [unrolled: 1-line block ×3, first 2 shown]
	v_mul_f32_e32 v101, v100, v35
	v_mul_f32_e32 v36, v99, v101
	v_fma_f32 v38, v101, v99, -v36
	v_fmac_f32_e32 v38, v101, v32
	v_sub_f32_e32 v32, v37, v35
	v_add_f32_e32 v32, v34, v32
	v_add_f32_e32 v34, v36, v38
	v_sub_f32_e32 v37, v35, v34
	v_pk_add_f32 v[96:97], v[34:35], v[36:37] neg_lo:[0,1] neg_hi:[0,1]
	v_mov_b32_e32 v39, v34
	v_pk_add_f32 v[34:35], v[96:97], v[38:39] neg_lo:[0,1] neg_hi:[0,1]
	v_cvt_f32_i32_e32 v36, v98
	v_add_f32_e32 v32, v32, v35
	v_add_f32_e32 v32, v34, v32
	;; [unrolled: 1-line block ×4, first 2 shown]
	v_sub_f32_e32 v35, v34, v102
	v_mul_f32_e32 v32, v100, v32
	v_sub_f32_e32 v35, v101, v35
	v_add_f32_e32 v32, v35, v32
	v_add_f32_e32 v37, v34, v32
	v_mul_f32_e32 v38, v37, v37
	v_mov_b32_e32 v35, 0x3ecc95a3
	v_fmac_f32_e32 v35, 0x3e9b6dac, v38
	v_sub_f32_e32 v34, v37, v34
	v_fmaak_f32 v35, v38, v35, 0x3f2aaada
	v_sub_f32_e32 v32, v32, v34
	v_ldexp_f32 v39, v37, 1
	v_mul_f32_e32 v37, v37, v38
	v_mov_b32_e32 v34, 0x3f317218
	v_pk_mul_f32 v[34:35], v[36:37], v[34:35]
	v_ldexp_f32 v32, v32, 1
	v_fma_f32 v37, v36, s13, -v34
	v_fmamk_f32 v38, v36, 0xb102e308, v37
	v_pk_add_f32 v[36:37], v[34:35], v[38:39]
	v_mov_b32_e32 v96, v34
	v_sub_f32_e32 v39, v37, v39
	v_sub_f32_e32 v39, v35, v39
	v_add_f32_e32 v97, v32, v39
	v_pk_add_f32 v[34:35], v[36:37], v[34:35] neg_lo:[0,1] neg_hi:[0,1]
	v_pk_add_f32 v[98:99], v[36:37], v[96:97]
	v_mov_b32_e32 v39, v36
	v_mov_b32_e32 v35, v99
	v_pk_add_f32 v[100:101], v[38:39], v[34:35] neg_lo:[0,1] neg_hi:[0,1]
	v_pk_add_f32 v[34:35], v[38:39], v[34:35]
	s_mov_b32 s13, 0x33800000
	v_mov_b32_e32 v32, v35
	v_pk_add_f32 v[38:39], v[32:33], v[36:37] neg_lo:[0,1] neg_hi:[0,1]
	v_mov_b32_e32 v34, v99
	v_mov_b32_e32 v39, v38
	v_pk_add_f32 v[102:103], v[98:99], v[38:39] neg_lo:[0,1] neg_hi:[0,1]
	v_mov_b32_e32 v98, v37
	v_mov_b32_e32 v99, v38
	;; [unrolled: 1-line block ×3, first 2 shown]
	v_pk_add_f32 v[34:35], v[34:35], v[98:99] neg_lo:[0,1] neg_hi:[0,1]
	v_mov_b32_e32 v38, v97
	v_mov_b32_e32 v39, v36
	v_pk_add_f32 v[34:35], v[38:39], v[34:35] neg_lo:[0,1] neg_hi:[0,1]
	v_mov_b32_e32 v102, v100
	v_pk_add_f32 v[36:37], v[102:103], v[34:35]
	v_cmp_lt_f32_e64 s[56:57], |v112|, s13
	v_mov_b32_e32 v38, v37
	v_pk_add_f32 v[38:39], v[36:37], v[38:39]
	s_or_b64 vcc, vcc, s[56:57]
	v_pk_add_f32 v[96:97], v[32:33], v[38:39]
	v_mov_b32_e32 v35, v38
	v_mov_b32_e32 v37, v96
	v_pk_add_f32 v[98:99], v[36:37], v[100:101] neg_lo:[0,1] neg_hi:[0,1]
	s_nop 0
	v_sub_f32_e32 v32, v36, v98
	v_pk_add_f32 v[34:35], v[34:35], v[98:99] neg_lo:[0,1] neg_hi:[0,1]
	v_sub_f32_e32 v32, v100, v32
	v_add_f32_e32 v32, v34, v32
	v_add_f32_e32 v32, v32, v35
	v_add_f32_e32 v32, v96, v32
	v_cndmask_b32_e32 v32, v32, v112, vcc
	v_add_f32_e32 v32, v33, v32
	v_cvt_f16_f32_e32 v32, v32
.LBB360_99:
	s_or_b64 exec, exec, s[52:53]
	v_mbcnt_lo_u32_b32 v33, -1, 0
	v_mbcnt_hi_u32_b32 v33, -1, v33
	v_and_b32_e32 v34, 15, v33
	v_and_b32_e32 v35, 0xffff, v32
	v_cmp_ne_u32_e32 vcc, 0, v34
	s_nop 0
	v_mov_b32_dpp v36, v35 row_shr:1 row_mask:0xf bank_mask:0xf
	s_and_saveexec_b64 s[56:57], vcc
	s_cbranch_execz .LBB360_103
; %bb.100:
	v_cvt_f32_f16_e32 v37, v36
	v_cvt_f32_f16_e32 v38, v32
	v_cmp_u_f16_e32 vcc, v36, v36
	v_cmp_u_f16_e64 s[52:53], v32, v32
	s_movk_i32 s13, 0x1f8
	v_min_f32_e32 v35, v37, v38
	v_max_f32_e32 v32, v37, v38
	v_cndmask_b32_e32 v35, v35, v37, vcc
	v_cndmask_b32_e32 v32, v32, v37, vcc
	v_cndmask_b32_e64 v35, v35, v38, s[52:53]
	v_cndmask_b32_e64 v32, v32, v38, s[52:53]
	v_cmp_neq_f32_e32 vcc, v35, v32
	v_cmp_class_f32_e64 s[52:53], v35, s13
	s_or_b64 vcc, vcc, s[52:53]
	s_and_saveexec_b64 s[52:53], vcc
	s_cbranch_execz .LBB360_102
; %bb.101:
	v_sub_f32_e32 v35, v35, v32
	s_mov_b32 s13, 0x3fb8aa3b
	v_mul_f32_e32 v36, 0x3fb8aa3b, v35
	v_fma_f32 v37, v35, s13, -v36
	v_rndne_f32_e32 v38, v36
	v_fmamk_f32 v37, v35, 0x32a5705f, v37
	v_sub_f32_e32 v36, v36, v38
	v_add_f32_e32 v36, v36, v37
	v_exp_f32_e32 v36, v36
	v_cvt_i32_f32_e32 v37, v38
	s_mov_b32 s13, 0xc2ce8ed0
	v_cmp_ngt_f32_e32 vcc, s13, v35
	s_mov_b32 s13, 0x42b17218
	v_ldexp_f32 v36, v36, v37
	v_cndmask_b32_e32 v36, 0, v36, vcc
	v_mov_b32_e32 v37, 0x7f800000
	v_cmp_nlt_f32_e32 vcc, s13, v35
	s_mov_b32 s13, 0x3f2aaaab
	s_mov_b32 s60, 0x7f800000
	v_cndmask_b32_e32 v116, v37, v36, vcc
	v_add_f32_e32 v35, 1.0, v116
	v_add_f32_e32 v36, -1.0, v35
	v_sub_f32_e32 v37, v36, v35
	v_add_f32_e32 v37, 1.0, v37
	v_sub_f32_e32 v36, v116, v36
	v_add_f32_e32 v38, v36, v37
	v_frexp_mant_f32_e32 v39, v35
	v_cvt_f64_f32_e32 v[36:37], v35
	v_frexp_exp_i32_f64_e32 v36, v[36:37]
	v_cmp_gt_f32_e32 vcc, s13, v39
	s_mov_b32 s13, 0x3f317218
	s_nop 0
	v_subbrev_co_u32_e32 v100, vcc, 0, v36, vcc
	v_sub_u32_e32 v36, 0, v100
	v_ldexp_f32 v35, v35, v36
	v_ldexp_f32 v36, v38, v36
	v_add_f32_e32 v38, -1.0, v35
	v_add_f32_e32 v37, 1.0, v38
	v_sub_f32_e32 v37, v35, v37
	v_add_f32_e32 v39, v36, v37
	v_add_f32_e32 v37, 1.0, v35
	v_add_f32_e32 v96, -1.0, v37
	v_sub_f32_e32 v35, v35, v96
	v_add_f32_e32 v35, v36, v35
	v_add_f32_e32 v101, v37, v35
	v_rcp_f32_e32 v102, v101
	v_sub_f32_e32 v36, v37, v101
	v_add_f32_e32 v37, v38, v39
	v_add_f32_e32 v35, v35, v36
	v_mul_f32_e32 v112, v37, v102
	v_sub_f32_e32 v36, v38, v37
	v_mul_f32_e32 v38, v101, v112
	v_fma_f32 v96, v112, v101, -v38
	v_fmac_f32_e32 v96, v112, v35
	v_add_f32_e32 v103, v39, v36
	v_add_f32_e32 v36, v38, v96
	v_sub_f32_e32 v39, v37, v36
	v_pk_add_f32 v[98:99], v[36:37], v[38:39] neg_lo:[0,1] neg_hi:[0,1]
	v_mov_b32_e32 v97, v36
	v_pk_add_f32 v[36:37], v[98:99], v[96:97] neg_lo:[0,1] neg_hi:[0,1]
	v_cmp_eq_f32_e32 vcc, s60, v116
	v_add_f32_e32 v37, v103, v37
	v_add_f32_e32 v36, v36, v37
	;; [unrolled: 1-line block ×3, first 2 shown]
	v_mul_f32_e32 v103, v102, v37
	v_mul_f32_e32 v38, v101, v103
	v_fma_f32 v96, v103, v101, -v38
	v_fmac_f32_e32 v96, v103, v35
	v_sub_f32_e32 v35, v39, v37
	v_add_f32_e32 v35, v36, v35
	v_add_f32_e32 v36, v38, v96
	v_sub_f32_e32 v39, v37, v36
	v_pk_add_f32 v[98:99], v[36:37], v[38:39] neg_lo:[0,1] neg_hi:[0,1]
	v_mov_b32_e32 v97, v36
	v_pk_add_f32 v[36:37], v[98:99], v[96:97] neg_lo:[0,1] neg_hi:[0,1]
	v_cvt_f32_i32_e32 v38, v100
	v_add_f32_e32 v35, v35, v37
	v_add_f32_e32 v35, v36, v35
	;; [unrolled: 1-line block ×4, first 2 shown]
	v_sub_f32_e32 v37, v36, v112
	v_mul_f32_e32 v35, v102, v35
	v_sub_f32_e32 v37, v103, v37
	v_add_f32_e32 v35, v37, v35
	v_add_f32_e32 v39, v36, v35
	v_mul_f32_e32 v96, v39, v39
	v_mov_b32_e32 v37, 0x3ecc95a3
	v_fmac_f32_e32 v37, 0x3e9b6dac, v96
	v_sub_f32_e32 v36, v39, v36
	v_fmaak_f32 v37, v96, v37, 0x3f2aaada
	v_sub_f32_e32 v35, v35, v36
	v_ldexp_f32 v97, v39, 1
	v_mul_f32_e32 v39, v39, v96
	v_mov_b32_e32 v36, 0x3f317218
	v_pk_mul_f32 v[36:37], v[38:39], v[36:37]
	v_ldexp_f32 v35, v35, 1
	v_fma_f32 v39, v38, s13, -v36
	v_fmamk_f32 v96, v38, 0xb102e308, v39
	v_pk_add_f32 v[38:39], v[36:37], v[96:97]
	v_mov_b32_e32 v98, v36
	v_sub_f32_e32 v97, v39, v97
	v_sub_f32_e32 v97, v37, v97
	v_add_f32_e32 v99, v35, v97
	v_pk_add_f32 v[36:37], v[38:39], v[36:37] neg_lo:[0,1] neg_hi:[0,1]
	v_pk_add_f32 v[100:101], v[38:39], v[98:99]
	v_mov_b32_e32 v97, v38
	v_mov_b32_e32 v37, v101
	v_pk_add_f32 v[102:103], v[96:97], v[36:37] neg_lo:[0,1] neg_hi:[0,1]
	v_pk_add_f32 v[36:37], v[96:97], v[36:37]
	v_mov_b32_e32 v98, v99
	v_mov_b32_e32 v96, v37
	v_pk_add_f32 v[112:113], v[96:97], v[38:39] neg_lo:[0,1] neg_hi:[0,1]
	v_mov_b32_e32 v36, v101
	v_mov_b32_e32 v35, v112
	v_pk_add_f32 v[114:115], v[100:101], v[34:35] neg_lo:[0,1] neg_hi:[0,1]
	v_mov_b32_e32 v100, v39
	v_mov_b32_e32 v101, v112
	;; [unrolled: 1-line block ×3, first 2 shown]
	v_pk_add_f32 v[36:37], v[36:37], v[100:101] neg_lo:[0,1] neg_hi:[0,1]
	v_mov_b32_e32 v99, v38
	v_pk_add_f32 v[36:37], v[98:99], v[36:37] neg_lo:[0,1] neg_hi:[0,1]
	v_mov_b32_e32 v114, v102
	v_pk_add_f32 v[38:39], v[114:115], v[36:37]
	s_mov_b32 s13, 0x33800000
	v_mov_b32_e32 v98, v39
	v_pk_add_f32 v[98:99], v[38:39], v[98:99]
	v_cmp_lt_f32_e64 s[60:61], |v116|, s13
	v_pk_add_f32 v[96:97], v[96:97], v[98:99]
	v_mov_b32_e32 v37, v98
	v_mov_b32_e32 v39, v96
	v_pk_add_f32 v[100:101], v[38:39], v[102:103] neg_lo:[0,1] neg_hi:[0,1]
	s_or_b64 vcc, vcc, s[60:61]
	v_sub_f32_e32 v35, v38, v100
	v_pk_add_f32 v[36:37], v[36:37], v[100:101] neg_lo:[0,1] neg_hi:[0,1]
	v_sub_f32_e32 v35, v102, v35
	v_add_f32_e32 v35, v36, v35
	v_add_f32_e32 v35, v35, v37
	;; [unrolled: 1-line block ×3, first 2 shown]
	v_cndmask_b32_e32 v35, v35, v116, vcc
	v_add_f32_e32 v32, v32, v35
	v_cvt_f16_f32_e32 v36, v32
.LBB360_102:
	s_or_b64 exec, exec, s[52:53]
	v_and_b32_e32 v35, 0xffff, v36
	v_mov_b32_e32 v32, v36
.LBB360_103:
	s_or_b64 exec, exec, s[56:57]
	v_mov_b32_dpp v36, v35 row_shr:2 row_mask:0xf bank_mask:0xf
	v_cmp_lt_u32_e32 vcc, 1, v34
	s_and_saveexec_b64 s[56:57], vcc
	s_cbranch_execz .LBB360_107
; %bb.104:
	v_cvt_f32_f16_e32 v37, v36
	v_cvt_f32_f16_e32 v38, v32
	v_cmp_u_f16_e32 vcc, v36, v36
	v_cmp_u_f16_e64 s[52:53], v32, v32
	s_movk_i32 s13, 0x1f8
	v_min_f32_e32 v35, v37, v38
	v_max_f32_e32 v32, v37, v38
	v_cndmask_b32_e32 v35, v35, v37, vcc
	v_cndmask_b32_e32 v32, v32, v37, vcc
	v_cndmask_b32_e64 v35, v35, v38, s[52:53]
	v_cndmask_b32_e64 v32, v32, v38, s[52:53]
	v_cmp_neq_f32_e32 vcc, v35, v32
	v_cmp_class_f32_e64 s[52:53], v35, s13
	s_or_b64 vcc, vcc, s[52:53]
	s_and_saveexec_b64 s[52:53], vcc
	s_cbranch_execz .LBB360_106
; %bb.105:
	v_sub_f32_e32 v35, v35, v32
	s_mov_b32 s13, 0x3fb8aa3b
	v_mul_f32_e32 v36, 0x3fb8aa3b, v35
	v_fma_f32 v37, v35, s13, -v36
	v_rndne_f32_e32 v38, v36
	v_fmamk_f32 v37, v35, 0x32a5705f, v37
	v_sub_f32_e32 v36, v36, v38
	v_add_f32_e32 v36, v36, v37
	v_exp_f32_e32 v36, v36
	v_cvt_i32_f32_e32 v37, v38
	s_mov_b32 s13, 0xc2ce8ed0
	v_cmp_ngt_f32_e32 vcc, s13, v35
	s_mov_b32 s13, 0x42b17218
	v_ldexp_f32 v36, v36, v37
	v_cndmask_b32_e32 v36, 0, v36, vcc
	v_mov_b32_e32 v37, 0x7f800000
	v_cmp_nlt_f32_e32 vcc, s13, v35
	s_mov_b32 s13, 0x3f2aaaab
	s_mov_b32 s60, 0x7f800000
	v_cndmask_b32_e32 v116, v37, v36, vcc
	v_add_f32_e32 v35, 1.0, v116
	v_add_f32_e32 v36, -1.0, v35
	v_sub_f32_e32 v37, v36, v35
	v_add_f32_e32 v37, 1.0, v37
	v_sub_f32_e32 v36, v116, v36
	v_add_f32_e32 v38, v36, v37
	v_frexp_mant_f32_e32 v39, v35
	v_cvt_f64_f32_e32 v[36:37], v35
	v_frexp_exp_i32_f64_e32 v36, v[36:37]
	v_cmp_gt_f32_e32 vcc, s13, v39
	s_mov_b32 s13, 0x3f317218
	s_nop 0
	v_subbrev_co_u32_e32 v100, vcc, 0, v36, vcc
	v_sub_u32_e32 v36, 0, v100
	v_ldexp_f32 v35, v35, v36
	v_ldexp_f32 v36, v38, v36
	v_add_f32_e32 v38, -1.0, v35
	v_add_f32_e32 v37, 1.0, v38
	v_sub_f32_e32 v37, v35, v37
	v_add_f32_e32 v39, v36, v37
	v_add_f32_e32 v37, 1.0, v35
	v_add_f32_e32 v96, -1.0, v37
	v_sub_f32_e32 v35, v35, v96
	v_add_f32_e32 v35, v36, v35
	v_add_f32_e32 v101, v37, v35
	v_rcp_f32_e32 v102, v101
	v_sub_f32_e32 v36, v37, v101
	v_add_f32_e32 v37, v38, v39
	v_add_f32_e32 v35, v35, v36
	v_mul_f32_e32 v112, v37, v102
	v_sub_f32_e32 v36, v38, v37
	v_mul_f32_e32 v38, v101, v112
	v_fma_f32 v96, v112, v101, -v38
	v_fmac_f32_e32 v96, v112, v35
	v_add_f32_e32 v103, v39, v36
	v_add_f32_e32 v36, v38, v96
	v_sub_f32_e32 v39, v37, v36
	v_pk_add_f32 v[98:99], v[36:37], v[38:39] neg_lo:[0,1] neg_hi:[0,1]
	v_mov_b32_e32 v97, v36
	v_pk_add_f32 v[36:37], v[98:99], v[96:97] neg_lo:[0,1] neg_hi:[0,1]
	v_cmp_eq_f32_e32 vcc, s60, v116
	v_add_f32_e32 v37, v103, v37
	v_add_f32_e32 v36, v36, v37
	;; [unrolled: 1-line block ×3, first 2 shown]
	v_mul_f32_e32 v103, v102, v37
	v_mul_f32_e32 v38, v101, v103
	v_fma_f32 v96, v103, v101, -v38
	v_fmac_f32_e32 v96, v103, v35
	v_sub_f32_e32 v35, v39, v37
	v_add_f32_e32 v35, v36, v35
	v_add_f32_e32 v36, v38, v96
	v_sub_f32_e32 v39, v37, v36
	v_pk_add_f32 v[98:99], v[36:37], v[38:39] neg_lo:[0,1] neg_hi:[0,1]
	v_mov_b32_e32 v97, v36
	v_pk_add_f32 v[36:37], v[98:99], v[96:97] neg_lo:[0,1] neg_hi:[0,1]
	v_cvt_f32_i32_e32 v38, v100
	v_add_f32_e32 v35, v35, v37
	v_add_f32_e32 v35, v36, v35
	;; [unrolled: 1-line block ×4, first 2 shown]
	v_sub_f32_e32 v37, v36, v112
	v_mul_f32_e32 v35, v102, v35
	v_sub_f32_e32 v37, v103, v37
	v_add_f32_e32 v35, v37, v35
	v_add_f32_e32 v39, v36, v35
	v_mul_f32_e32 v96, v39, v39
	v_mov_b32_e32 v37, 0x3ecc95a3
	v_fmac_f32_e32 v37, 0x3e9b6dac, v96
	v_sub_f32_e32 v36, v39, v36
	v_fmaak_f32 v37, v96, v37, 0x3f2aaada
	v_sub_f32_e32 v35, v35, v36
	v_ldexp_f32 v97, v39, 1
	v_mul_f32_e32 v39, v39, v96
	v_mov_b32_e32 v36, 0x3f317218
	v_pk_mul_f32 v[36:37], v[38:39], v[36:37]
	v_ldexp_f32 v35, v35, 1
	v_fma_f32 v39, v38, s13, -v36
	v_fmamk_f32 v96, v38, 0xb102e308, v39
	v_pk_add_f32 v[38:39], v[36:37], v[96:97]
	v_mov_b32_e32 v98, v36
	v_sub_f32_e32 v97, v39, v97
	v_sub_f32_e32 v97, v37, v97
	v_add_f32_e32 v99, v35, v97
	v_pk_add_f32 v[36:37], v[38:39], v[36:37] neg_lo:[0,1] neg_hi:[0,1]
	v_pk_add_f32 v[100:101], v[38:39], v[98:99]
	v_mov_b32_e32 v97, v38
	v_mov_b32_e32 v37, v101
	v_pk_add_f32 v[102:103], v[96:97], v[36:37] neg_lo:[0,1] neg_hi:[0,1]
	v_pk_add_f32 v[36:37], v[96:97], v[36:37]
	v_mov_b32_e32 v98, v99
	v_mov_b32_e32 v96, v37
	v_pk_add_f32 v[112:113], v[96:97], v[38:39] neg_lo:[0,1] neg_hi:[0,1]
	v_mov_b32_e32 v36, v101
	v_mov_b32_e32 v35, v112
	v_pk_add_f32 v[114:115], v[100:101], v[34:35] neg_lo:[0,1] neg_hi:[0,1]
	v_mov_b32_e32 v100, v39
	v_mov_b32_e32 v101, v112
	;; [unrolled: 1-line block ×3, first 2 shown]
	v_pk_add_f32 v[36:37], v[36:37], v[100:101] neg_lo:[0,1] neg_hi:[0,1]
	v_mov_b32_e32 v99, v38
	v_pk_add_f32 v[36:37], v[98:99], v[36:37] neg_lo:[0,1] neg_hi:[0,1]
	v_mov_b32_e32 v114, v102
	v_pk_add_f32 v[38:39], v[114:115], v[36:37]
	s_mov_b32 s13, 0x33800000
	v_mov_b32_e32 v98, v39
	v_pk_add_f32 v[98:99], v[38:39], v[98:99]
	v_cmp_lt_f32_e64 s[60:61], |v116|, s13
	v_pk_add_f32 v[96:97], v[96:97], v[98:99]
	v_mov_b32_e32 v37, v98
	v_mov_b32_e32 v39, v96
	v_pk_add_f32 v[100:101], v[38:39], v[102:103] neg_lo:[0,1] neg_hi:[0,1]
	s_or_b64 vcc, vcc, s[60:61]
	v_sub_f32_e32 v35, v38, v100
	v_pk_add_f32 v[36:37], v[36:37], v[100:101] neg_lo:[0,1] neg_hi:[0,1]
	v_sub_f32_e32 v35, v102, v35
	v_add_f32_e32 v35, v36, v35
	v_add_f32_e32 v35, v35, v37
	v_add_f32_e32 v35, v96, v35
	v_cndmask_b32_e32 v35, v35, v116, vcc
	v_add_f32_e32 v32, v32, v35
	v_cvt_f16_f32_e32 v36, v32
.LBB360_106:
	s_or_b64 exec, exec, s[52:53]
	v_and_b32_e32 v35, 0xffff, v36
	v_mov_b32_e32 v32, v36
.LBB360_107:
	s_or_b64 exec, exec, s[56:57]
	v_mov_b32_dpp v36, v35 row_shr:4 row_mask:0xf bank_mask:0xf
	v_cmp_lt_u32_e32 vcc, 3, v34
	s_and_saveexec_b64 s[56:57], vcc
	s_cbranch_execz .LBB360_111
; %bb.108:
	v_cvt_f32_f16_e32 v37, v36
	v_cvt_f32_f16_e32 v38, v32
	v_cmp_u_f16_e32 vcc, v36, v36
	v_cmp_u_f16_e64 s[52:53], v32, v32
	s_movk_i32 s13, 0x1f8
	v_min_f32_e32 v35, v37, v38
	v_max_f32_e32 v32, v37, v38
	v_cndmask_b32_e32 v35, v35, v37, vcc
	v_cndmask_b32_e32 v32, v32, v37, vcc
	v_cndmask_b32_e64 v35, v35, v38, s[52:53]
	v_cndmask_b32_e64 v32, v32, v38, s[52:53]
	v_cmp_neq_f32_e32 vcc, v35, v32
	v_cmp_class_f32_e64 s[52:53], v35, s13
	s_or_b64 vcc, vcc, s[52:53]
	s_and_saveexec_b64 s[52:53], vcc
	s_cbranch_execz .LBB360_110
; %bb.109:
	v_sub_f32_e32 v35, v35, v32
	s_mov_b32 s13, 0x3fb8aa3b
	v_mul_f32_e32 v36, 0x3fb8aa3b, v35
	v_fma_f32 v37, v35, s13, -v36
	v_rndne_f32_e32 v38, v36
	v_fmamk_f32 v37, v35, 0x32a5705f, v37
	v_sub_f32_e32 v36, v36, v38
	v_add_f32_e32 v36, v36, v37
	v_exp_f32_e32 v36, v36
	v_cvt_i32_f32_e32 v37, v38
	s_mov_b32 s13, 0xc2ce8ed0
	v_cmp_ngt_f32_e32 vcc, s13, v35
	s_mov_b32 s13, 0x42b17218
	v_ldexp_f32 v36, v36, v37
	v_cndmask_b32_e32 v36, 0, v36, vcc
	v_mov_b32_e32 v37, 0x7f800000
	v_cmp_nlt_f32_e32 vcc, s13, v35
	s_mov_b32 s13, 0x3f2aaaab
	s_mov_b32 s60, 0x7f800000
	v_cndmask_b32_e32 v116, v37, v36, vcc
	v_add_f32_e32 v35, 1.0, v116
	v_add_f32_e32 v36, -1.0, v35
	v_sub_f32_e32 v37, v36, v35
	v_add_f32_e32 v37, 1.0, v37
	v_sub_f32_e32 v36, v116, v36
	v_add_f32_e32 v38, v36, v37
	v_frexp_mant_f32_e32 v39, v35
	v_cvt_f64_f32_e32 v[36:37], v35
	v_frexp_exp_i32_f64_e32 v36, v[36:37]
	v_cmp_gt_f32_e32 vcc, s13, v39
	s_mov_b32 s13, 0x3f317218
	s_nop 0
	v_subbrev_co_u32_e32 v100, vcc, 0, v36, vcc
	v_sub_u32_e32 v36, 0, v100
	v_ldexp_f32 v35, v35, v36
	v_ldexp_f32 v36, v38, v36
	v_add_f32_e32 v38, -1.0, v35
	v_add_f32_e32 v37, 1.0, v38
	v_sub_f32_e32 v37, v35, v37
	v_add_f32_e32 v39, v36, v37
	v_add_f32_e32 v37, 1.0, v35
	v_add_f32_e32 v96, -1.0, v37
	v_sub_f32_e32 v35, v35, v96
	v_add_f32_e32 v35, v36, v35
	v_add_f32_e32 v101, v37, v35
	v_rcp_f32_e32 v102, v101
	v_sub_f32_e32 v36, v37, v101
	v_add_f32_e32 v37, v38, v39
	v_add_f32_e32 v35, v35, v36
	v_mul_f32_e32 v112, v37, v102
	v_sub_f32_e32 v36, v38, v37
	v_mul_f32_e32 v38, v101, v112
	v_fma_f32 v96, v112, v101, -v38
	v_fmac_f32_e32 v96, v112, v35
	v_add_f32_e32 v103, v39, v36
	v_add_f32_e32 v36, v38, v96
	v_sub_f32_e32 v39, v37, v36
	v_pk_add_f32 v[98:99], v[36:37], v[38:39] neg_lo:[0,1] neg_hi:[0,1]
	v_mov_b32_e32 v97, v36
	v_pk_add_f32 v[36:37], v[98:99], v[96:97] neg_lo:[0,1] neg_hi:[0,1]
	v_cmp_eq_f32_e32 vcc, s60, v116
	v_add_f32_e32 v37, v103, v37
	v_add_f32_e32 v36, v36, v37
	;; [unrolled: 1-line block ×3, first 2 shown]
	v_mul_f32_e32 v103, v102, v37
	v_mul_f32_e32 v38, v101, v103
	v_fma_f32 v96, v103, v101, -v38
	v_fmac_f32_e32 v96, v103, v35
	v_sub_f32_e32 v35, v39, v37
	v_add_f32_e32 v35, v36, v35
	v_add_f32_e32 v36, v38, v96
	v_sub_f32_e32 v39, v37, v36
	v_pk_add_f32 v[98:99], v[36:37], v[38:39] neg_lo:[0,1] neg_hi:[0,1]
	v_mov_b32_e32 v97, v36
	v_pk_add_f32 v[36:37], v[98:99], v[96:97] neg_lo:[0,1] neg_hi:[0,1]
	v_cvt_f32_i32_e32 v38, v100
	v_add_f32_e32 v35, v35, v37
	v_add_f32_e32 v35, v36, v35
	;; [unrolled: 1-line block ×4, first 2 shown]
	v_sub_f32_e32 v37, v36, v112
	v_mul_f32_e32 v35, v102, v35
	v_sub_f32_e32 v37, v103, v37
	v_add_f32_e32 v35, v37, v35
	v_add_f32_e32 v39, v36, v35
	v_mul_f32_e32 v96, v39, v39
	v_mov_b32_e32 v37, 0x3ecc95a3
	v_fmac_f32_e32 v37, 0x3e9b6dac, v96
	v_sub_f32_e32 v36, v39, v36
	v_fmaak_f32 v37, v96, v37, 0x3f2aaada
	v_sub_f32_e32 v35, v35, v36
	v_ldexp_f32 v97, v39, 1
	v_mul_f32_e32 v39, v39, v96
	v_mov_b32_e32 v36, 0x3f317218
	v_pk_mul_f32 v[36:37], v[38:39], v[36:37]
	v_ldexp_f32 v35, v35, 1
	v_fma_f32 v39, v38, s13, -v36
	v_fmamk_f32 v96, v38, 0xb102e308, v39
	v_pk_add_f32 v[38:39], v[36:37], v[96:97]
	v_mov_b32_e32 v98, v36
	v_sub_f32_e32 v97, v39, v97
	v_sub_f32_e32 v97, v37, v97
	v_add_f32_e32 v99, v35, v97
	v_pk_add_f32 v[36:37], v[38:39], v[36:37] neg_lo:[0,1] neg_hi:[0,1]
	v_pk_add_f32 v[100:101], v[38:39], v[98:99]
	v_mov_b32_e32 v97, v38
	v_mov_b32_e32 v37, v101
	v_pk_add_f32 v[102:103], v[96:97], v[36:37] neg_lo:[0,1] neg_hi:[0,1]
	v_pk_add_f32 v[36:37], v[96:97], v[36:37]
	v_mov_b32_e32 v98, v99
	v_mov_b32_e32 v96, v37
	v_pk_add_f32 v[112:113], v[96:97], v[38:39] neg_lo:[0,1] neg_hi:[0,1]
	v_mov_b32_e32 v36, v101
	v_mov_b32_e32 v35, v112
	v_pk_add_f32 v[114:115], v[100:101], v[34:35] neg_lo:[0,1] neg_hi:[0,1]
	v_mov_b32_e32 v100, v39
	v_mov_b32_e32 v101, v112
	;; [unrolled: 1-line block ×3, first 2 shown]
	v_pk_add_f32 v[36:37], v[36:37], v[100:101] neg_lo:[0,1] neg_hi:[0,1]
	v_mov_b32_e32 v99, v38
	v_pk_add_f32 v[36:37], v[98:99], v[36:37] neg_lo:[0,1] neg_hi:[0,1]
	v_mov_b32_e32 v114, v102
	v_pk_add_f32 v[38:39], v[114:115], v[36:37]
	s_mov_b32 s13, 0x33800000
	v_mov_b32_e32 v98, v39
	v_pk_add_f32 v[98:99], v[38:39], v[98:99]
	v_cmp_lt_f32_e64 s[60:61], |v116|, s13
	v_pk_add_f32 v[96:97], v[96:97], v[98:99]
	v_mov_b32_e32 v37, v98
	v_mov_b32_e32 v39, v96
	v_pk_add_f32 v[100:101], v[38:39], v[102:103] neg_lo:[0,1] neg_hi:[0,1]
	s_or_b64 vcc, vcc, s[60:61]
	v_sub_f32_e32 v35, v38, v100
	v_pk_add_f32 v[36:37], v[36:37], v[100:101] neg_lo:[0,1] neg_hi:[0,1]
	v_sub_f32_e32 v35, v102, v35
	v_add_f32_e32 v35, v36, v35
	v_add_f32_e32 v35, v35, v37
	;; [unrolled: 1-line block ×3, first 2 shown]
	v_cndmask_b32_e32 v35, v35, v116, vcc
	v_add_f32_e32 v32, v32, v35
	v_cvt_f16_f32_e32 v36, v32
.LBB360_110:
	s_or_b64 exec, exec, s[52:53]
	v_and_b32_e32 v35, 0xffff, v36
	v_mov_b32_e32 v32, v36
.LBB360_111:
	s_or_b64 exec, exec, s[56:57]
	v_mov_b32_dpp v36, v35 row_shr:8 row_mask:0xf bank_mask:0xf
	v_cmp_lt_u32_e32 vcc, 7, v34
	s_and_saveexec_b64 s[56:57], vcc
	s_cbranch_execz .LBB360_115
; %bb.112:
	v_cvt_f32_f16_e32 v35, v36
	v_cvt_f32_f16_e32 v37, v32
	v_cmp_u_f16_e32 vcc, v36, v36
	v_cmp_u_f16_e64 s[52:53], v32, v32
	s_movk_i32 s13, 0x1f8
	v_min_f32_e32 v34, v35, v37
	v_max_f32_e32 v32, v35, v37
	v_cndmask_b32_e32 v34, v34, v35, vcc
	v_cndmask_b32_e32 v32, v32, v35, vcc
	v_cndmask_b32_e64 v34, v34, v37, s[52:53]
	v_cndmask_b32_e64 v32, v32, v37, s[52:53]
	v_cmp_neq_f32_e32 vcc, v34, v32
	v_cmp_class_f32_e64 s[52:53], v34, s13
	s_or_b64 vcc, vcc, s[52:53]
	s_and_saveexec_b64 s[52:53], vcc
	s_cbranch_execz .LBB360_114
; %bb.113:
	v_sub_f32_e32 v34, v34, v32
	s_mov_b32 s13, 0x3fb8aa3b
	v_mul_f32_e32 v35, 0x3fb8aa3b, v34
	v_fma_f32 v36, v34, s13, -v35
	v_rndne_f32_e32 v37, v35
	v_fmamk_f32 v36, v34, 0x32a5705f, v36
	v_sub_f32_e32 v35, v35, v37
	v_add_f32_e32 v35, v35, v36
	v_exp_f32_e32 v35, v35
	v_cvt_i32_f32_e32 v36, v37
	s_mov_b32 s13, 0xc2ce8ed0
	v_cmp_ngt_f32_e32 vcc, s13, v34
	s_mov_b32 s13, 0x42b17218
	v_ldexp_f32 v35, v35, v36
	v_cndmask_b32_e32 v35, 0, v35, vcc
	v_mov_b32_e32 v36, 0x7f800000
	v_cmp_nlt_f32_e32 vcc, s13, v34
	s_mov_b32 s13, 0x3f2aaaab
	s_mov_b32 s60, 0x7f800000
	v_cndmask_b32_e32 v114, v36, v35, vcc
	v_add_f32_e32 v36, 1.0, v114
	v_add_f32_e32 v34, -1.0, v36
	v_sub_f32_e32 v35, v34, v36
	v_add_f32_e32 v35, 1.0, v35
	v_sub_f32_e32 v34, v114, v34
	v_add_f32_e32 v37, v34, v35
	v_frexp_mant_f32_e32 v38, v36
	v_cvt_f64_f32_e32 v[34:35], v36
	v_frexp_exp_i32_f64_e32 v34, v[34:35]
	v_cmp_gt_f32_e32 vcc, s13, v38
	s_mov_b32 s13, 0x3f317218
	s_nop 0
	v_subbrev_co_u32_e32 v98, vcc, 0, v34, vcc
	v_sub_u32_e32 v34, 0, v98
	v_ldexp_f32 v35, v36, v34
	v_add_f32_e32 v36, -1.0, v35
	v_add_f32_e32 v38, 1.0, v35
	v_ldexp_f32 v34, v37, v34
	v_add_f32_e32 v37, 1.0, v36
	v_add_f32_e32 v39, -1.0, v38
	v_sub_f32_e32 v37, v35, v37
	v_sub_f32_e32 v35, v35, v39
	v_add_f32_e32 v37, v34, v37
	v_add_f32_e32 v34, v34, v35
	;; [unrolled: 1-line block ×3, first 2 shown]
	v_rcp_f32_e32 v101, v99
	v_sub_f32_e32 v35, v38, v99
	v_add_f32_e32 v100, v34, v35
	v_add_f32_e32 v35, v36, v37
	v_mul_f32_e32 v103, v35, v101
	v_sub_f32_e32 v34, v36, v35
	v_mul_f32_e32 v36, v99, v103
	v_fma_f32 v38, v103, v99, -v36
	v_fmac_f32_e32 v38, v103, v100
	v_add_f32_e32 v102, v37, v34
	v_add_f32_e32 v34, v36, v38
	v_sub_f32_e32 v37, v35, v34
	v_pk_add_f32 v[96:97], v[34:35], v[36:37] neg_lo:[0,1] neg_hi:[0,1]
	v_mov_b32_e32 v39, v34
	v_pk_add_f32 v[34:35], v[96:97], v[38:39] neg_lo:[0,1] neg_hi:[0,1]
	v_cmp_eq_f32_e32 vcc, s60, v114
	v_add_f32_e32 v35, v102, v35
	v_add_f32_e32 v34, v34, v35
	;; [unrolled: 1-line block ×3, first 2 shown]
	v_mul_f32_e32 v102, v101, v35
	v_mul_f32_e32 v36, v99, v102
	v_fma_f32 v38, v102, v99, -v36
	v_fmac_f32_e32 v38, v102, v100
	v_sub_f32_e32 v37, v37, v35
	v_add_f32_e32 v99, v34, v37
	v_add_f32_e32 v34, v36, v38
	v_sub_f32_e32 v37, v35, v34
	v_pk_add_f32 v[96:97], v[34:35], v[36:37] neg_lo:[0,1] neg_hi:[0,1]
	v_mov_b32_e32 v39, v34
	v_pk_add_f32 v[34:35], v[96:97], v[38:39] neg_lo:[0,1] neg_hi:[0,1]
	v_cvt_f32_i32_e32 v36, v98
	v_add_f32_e32 v35, v99, v35
	v_add_f32_e32 v34, v34, v35
	;; [unrolled: 1-line block ×4, first 2 shown]
	v_sub_f32_e32 v35, v37, v103
	v_mul_f32_e32 v34, v101, v34
	v_sub_f32_e32 v35, v102, v35
	v_add_f32_e32 v34, v35, v34
	v_add_f32_e32 v38, v37, v34
	v_mul_f32_e32 v96, v38, v38
	v_mov_b32_e32 v35, 0x3ecc95a3
	v_sub_f32_e32 v37, v38, v37
	v_fmac_f32_e32 v35, 0x3e9b6dac, v96
	v_sub_f32_e32 v34, v34, v37
	v_fmaak_f32 v35, v96, v35, 0x3f2aaada
	v_ldexp_f32 v97, v34, 1
	v_mul_f32_e32 v37, v38, v96
	v_mov_b32_e32 v34, 0x3f317218
	v_pk_mul_f32 v[34:35], v[36:37], v[34:35]
	v_ldexp_f32 v39, v38, 1
	v_fma_f32 v37, v36, s13, -v34
	v_fmamk_f32 v38, v36, 0xb102e308, v37
	v_pk_add_f32 v[36:37], v[34:35], v[38:39]
	v_mov_b32_e32 v96, v34
	v_sub_f32_e32 v39, v37, v39
	v_sub_f32_e32 v39, v35, v39
	v_add_f32_e32 v97, v97, v39
	v_pk_add_f32 v[34:35], v[36:37], v[34:35] neg_lo:[0,1] neg_hi:[0,1]
	v_pk_add_f32 v[98:99], v[36:37], v[96:97]
	v_mov_b32_e32 v39, v36
	v_mov_b32_e32 v35, v99
	v_pk_add_f32 v[100:101], v[38:39], v[34:35] neg_lo:[0,1] neg_hi:[0,1]
	v_pk_add_f32 v[34:35], v[38:39], v[34:35]
	v_mov_b32_e32 v96, v97
	v_mov_b32_e32 v38, v35
	v_pk_add_f32 v[102:103], v[38:39], v[36:37] neg_lo:[0,1] neg_hi:[0,1]
	v_mov_b32_e32 v34, v99
	v_mov_b32_e32 v39, v102
	v_pk_add_f32 v[112:113], v[98:99], v[38:39] neg_lo:[0,1] neg_hi:[0,1]
	v_mov_b32_e32 v98, v37
	v_mov_b32_e32 v99, v102
	;; [unrolled: 1-line block ×3, first 2 shown]
	v_pk_add_f32 v[34:35], v[34:35], v[98:99] neg_lo:[0,1] neg_hi:[0,1]
	v_mov_b32_e32 v97, v36
	v_pk_add_f32 v[34:35], v[96:97], v[34:35] neg_lo:[0,1] neg_hi:[0,1]
	v_mov_b32_e32 v112, v100
	v_pk_add_f32 v[36:37], v[112:113], v[34:35]
	s_mov_b32 s13, 0x33800000
	v_mov_b32_e32 v96, v37
	v_pk_add_f32 v[96:97], v[36:37], v[96:97]
	v_cmp_lt_f32_e64 s[60:61], |v114|, s13
	v_pk_add_f32 v[38:39], v[38:39], v[96:97]
	v_mov_b32_e32 v35, v96
	v_mov_b32_e32 v37, v38
	v_pk_add_f32 v[98:99], v[36:37], v[100:101] neg_lo:[0,1] neg_hi:[0,1]
	s_or_b64 vcc, vcc, s[60:61]
	v_sub_f32_e32 v36, v36, v98
	v_pk_add_f32 v[34:35], v[34:35], v[98:99] neg_lo:[0,1] neg_hi:[0,1]
	v_sub_f32_e32 v36, v100, v36
	v_add_f32_e32 v34, v34, v36
	v_add_f32_e32 v34, v34, v35
	;; [unrolled: 1-line block ×3, first 2 shown]
	v_cndmask_b32_e32 v34, v34, v114, vcc
	v_add_f32_e32 v32, v32, v34
	v_cvt_f16_f32_e32 v36, v32
.LBB360_114:
	s_or_b64 exec, exec, s[52:53]
	v_and_b32_e32 v35, 0xffff, v36
	v_mov_b32_e32 v32, v36
.LBB360_115:
	s_or_b64 exec, exec, s[56:57]
	v_and_b32_e32 v36, 16, v33
	v_mov_b32_dpp v34, v35 row_bcast:15 row_mask:0xf bank_mask:0xf
	v_cmp_ne_u32_e32 vcc, 0, v36
	s_and_saveexec_b64 s[56:57], vcc
	s_cbranch_execz .LBB360_119
; %bb.116:
	v_cvt_f32_f16_e32 v36, v34
	v_cvt_f32_f16_e32 v37, v32
	v_cmp_u_f16_e32 vcc, v34, v34
	v_cmp_u_f16_e64 s[52:53], v32, v32
	s_movk_i32 s13, 0x1f8
	v_min_f32_e32 v35, v36, v37
	v_max_f32_e32 v32, v36, v37
	v_cndmask_b32_e32 v35, v35, v36, vcc
	v_cndmask_b32_e32 v32, v32, v36, vcc
	v_cndmask_b32_e64 v35, v35, v37, s[52:53]
	v_cndmask_b32_e64 v32, v32, v37, s[52:53]
	v_cmp_neq_f32_e32 vcc, v35, v32
	v_cmp_class_f32_e64 s[52:53], v35, s13
	s_or_b64 vcc, vcc, s[52:53]
	s_and_saveexec_b64 s[52:53], vcc
	s_cbranch_execz .LBB360_118
; %bb.117:
	v_sub_f32_e32 v34, v35, v32
	s_mov_b32 s13, 0x3fb8aa3b
	v_mul_f32_e32 v35, 0x3fb8aa3b, v34
	v_fma_f32 v36, v34, s13, -v35
	v_rndne_f32_e32 v37, v35
	v_fmamk_f32 v36, v34, 0x32a5705f, v36
	v_sub_f32_e32 v35, v35, v37
	v_add_f32_e32 v35, v35, v36
	v_exp_f32_e32 v35, v35
	v_cvt_i32_f32_e32 v36, v37
	s_mov_b32 s13, 0xc2ce8ed0
	v_cmp_ngt_f32_e32 vcc, s13, v34
	s_mov_b32 s13, 0x42b17218
	v_ldexp_f32 v35, v35, v36
	v_cndmask_b32_e32 v35, 0, v35, vcc
	v_mov_b32_e32 v36, 0x7f800000
	v_cmp_nlt_f32_e32 vcc, s13, v34
	s_mov_b32 s13, 0x3f2aaaab
	s_mov_b32 s60, 0x7f800000
	v_cndmask_b32_e32 v114, v36, v35, vcc
	v_add_f32_e32 v36, 1.0, v114
	v_add_f32_e32 v34, -1.0, v36
	v_sub_f32_e32 v35, v34, v36
	v_add_f32_e32 v35, 1.0, v35
	v_sub_f32_e32 v34, v114, v34
	v_add_f32_e32 v37, v34, v35
	v_frexp_mant_f32_e32 v38, v36
	v_cvt_f64_f32_e32 v[34:35], v36
	v_frexp_exp_i32_f64_e32 v34, v[34:35]
	v_cmp_gt_f32_e32 vcc, s13, v38
	s_mov_b32 s13, 0x3f317218
	s_nop 0
	v_subbrev_co_u32_e32 v98, vcc, 0, v34, vcc
	v_sub_u32_e32 v34, 0, v98
	v_ldexp_f32 v35, v36, v34
	v_add_f32_e32 v36, -1.0, v35
	v_add_f32_e32 v38, 1.0, v35
	v_ldexp_f32 v34, v37, v34
	v_add_f32_e32 v37, 1.0, v36
	v_add_f32_e32 v39, -1.0, v38
	v_sub_f32_e32 v37, v35, v37
	v_sub_f32_e32 v35, v35, v39
	v_add_f32_e32 v37, v34, v37
	v_add_f32_e32 v34, v34, v35
	;; [unrolled: 1-line block ×3, first 2 shown]
	v_rcp_f32_e32 v101, v99
	v_sub_f32_e32 v35, v38, v99
	v_add_f32_e32 v100, v34, v35
	v_add_f32_e32 v35, v36, v37
	v_mul_f32_e32 v103, v35, v101
	v_sub_f32_e32 v34, v36, v35
	v_mul_f32_e32 v36, v99, v103
	v_fma_f32 v38, v103, v99, -v36
	v_fmac_f32_e32 v38, v103, v100
	v_add_f32_e32 v102, v37, v34
	v_add_f32_e32 v34, v36, v38
	v_sub_f32_e32 v37, v35, v34
	v_pk_add_f32 v[96:97], v[34:35], v[36:37] neg_lo:[0,1] neg_hi:[0,1]
	v_mov_b32_e32 v39, v34
	v_pk_add_f32 v[34:35], v[96:97], v[38:39] neg_lo:[0,1] neg_hi:[0,1]
	v_cmp_eq_f32_e32 vcc, s60, v114
	v_add_f32_e32 v35, v102, v35
	v_add_f32_e32 v34, v34, v35
	;; [unrolled: 1-line block ×3, first 2 shown]
	v_mul_f32_e32 v102, v101, v35
	v_mul_f32_e32 v36, v99, v102
	v_fma_f32 v38, v102, v99, -v36
	v_fmac_f32_e32 v38, v102, v100
	v_sub_f32_e32 v37, v37, v35
	v_add_f32_e32 v99, v34, v37
	v_add_f32_e32 v34, v36, v38
	v_sub_f32_e32 v37, v35, v34
	v_pk_add_f32 v[96:97], v[34:35], v[36:37] neg_lo:[0,1] neg_hi:[0,1]
	v_mov_b32_e32 v39, v34
	v_pk_add_f32 v[34:35], v[96:97], v[38:39] neg_lo:[0,1] neg_hi:[0,1]
	v_cvt_f32_i32_e32 v36, v98
	v_add_f32_e32 v35, v99, v35
	v_add_f32_e32 v34, v34, v35
	;; [unrolled: 1-line block ×4, first 2 shown]
	v_sub_f32_e32 v35, v37, v103
	v_mul_f32_e32 v34, v101, v34
	v_sub_f32_e32 v35, v102, v35
	v_add_f32_e32 v34, v35, v34
	v_add_f32_e32 v38, v37, v34
	v_mul_f32_e32 v96, v38, v38
	v_mov_b32_e32 v35, 0x3ecc95a3
	v_sub_f32_e32 v37, v38, v37
	v_fmac_f32_e32 v35, 0x3e9b6dac, v96
	v_sub_f32_e32 v34, v34, v37
	v_fmaak_f32 v35, v96, v35, 0x3f2aaada
	v_ldexp_f32 v97, v34, 1
	v_mul_f32_e32 v37, v38, v96
	v_mov_b32_e32 v34, 0x3f317218
	v_pk_mul_f32 v[34:35], v[36:37], v[34:35]
	v_ldexp_f32 v39, v38, 1
	v_fma_f32 v37, v36, s13, -v34
	v_fmamk_f32 v38, v36, 0xb102e308, v37
	v_pk_add_f32 v[36:37], v[34:35], v[38:39]
	v_mov_b32_e32 v96, v34
	v_sub_f32_e32 v39, v37, v39
	v_sub_f32_e32 v39, v35, v39
	v_add_f32_e32 v97, v97, v39
	v_pk_add_f32 v[34:35], v[36:37], v[34:35] neg_lo:[0,1] neg_hi:[0,1]
	v_pk_add_f32 v[98:99], v[36:37], v[96:97]
	v_mov_b32_e32 v39, v36
	v_mov_b32_e32 v35, v99
	v_pk_add_f32 v[100:101], v[38:39], v[34:35] neg_lo:[0,1] neg_hi:[0,1]
	v_pk_add_f32 v[34:35], v[38:39], v[34:35]
	v_mov_b32_e32 v96, v97
	v_mov_b32_e32 v38, v35
	v_pk_add_f32 v[102:103], v[38:39], v[36:37] neg_lo:[0,1] neg_hi:[0,1]
	v_mov_b32_e32 v34, v99
	v_mov_b32_e32 v39, v102
	v_pk_add_f32 v[112:113], v[98:99], v[38:39] neg_lo:[0,1] neg_hi:[0,1]
	v_mov_b32_e32 v98, v37
	v_mov_b32_e32 v99, v102
	;; [unrolled: 1-line block ×3, first 2 shown]
	v_pk_add_f32 v[34:35], v[34:35], v[98:99] neg_lo:[0,1] neg_hi:[0,1]
	v_mov_b32_e32 v97, v36
	v_pk_add_f32 v[34:35], v[96:97], v[34:35] neg_lo:[0,1] neg_hi:[0,1]
	v_mov_b32_e32 v112, v100
	v_pk_add_f32 v[36:37], v[112:113], v[34:35]
	s_mov_b32 s13, 0x33800000
	v_mov_b32_e32 v96, v37
	v_pk_add_f32 v[96:97], v[36:37], v[96:97]
	v_cmp_lt_f32_e64 s[60:61], |v114|, s13
	v_pk_add_f32 v[38:39], v[38:39], v[96:97]
	v_mov_b32_e32 v35, v96
	v_mov_b32_e32 v37, v38
	v_pk_add_f32 v[98:99], v[36:37], v[100:101] neg_lo:[0,1] neg_hi:[0,1]
	s_or_b64 vcc, vcc, s[60:61]
	v_sub_f32_e32 v36, v36, v98
	v_pk_add_f32 v[34:35], v[34:35], v[98:99] neg_lo:[0,1] neg_hi:[0,1]
	v_sub_f32_e32 v36, v100, v36
	v_add_f32_e32 v34, v34, v36
	v_add_f32_e32 v34, v34, v35
	;; [unrolled: 1-line block ×3, first 2 shown]
	v_cndmask_b32_e32 v34, v34, v114, vcc
	v_add_f32_e32 v32, v32, v34
	v_cvt_f16_f32_e32 v34, v32
.LBB360_118:
	s_or_b64 exec, exec, s[52:53]
	v_and_b32_e32 v35, 0xffff, v34
	v_mov_b32_e32 v32, v34
.LBB360_119:
	s_or_b64 exec, exec, s[56:57]
	v_mov_b32_dpp v34, v35 row_bcast:31 row_mask:0xf bank_mask:0xf
	v_cmp_lt_u32_e32 vcc, 31, v33
	s_and_saveexec_b64 s[56:57], vcc
	s_cbranch_execz .LBB360_123
; %bb.120:
	v_cvt_f32_f16_e32 v36, v34
	v_cvt_f32_f16_e32 v37, v32
	v_cmp_u_f16_e32 vcc, v34, v34
	v_cmp_u_f16_e64 s[52:53], v32, v32
	s_movk_i32 s13, 0x1f8
	v_min_f32_e32 v35, v36, v37
	v_max_f32_e32 v32, v36, v37
	v_cndmask_b32_e32 v35, v35, v36, vcc
	v_cndmask_b32_e32 v32, v32, v36, vcc
	v_cndmask_b32_e64 v35, v35, v37, s[52:53]
	v_cndmask_b32_e64 v32, v32, v37, s[52:53]
	v_cmp_neq_f32_e32 vcc, v35, v32
	v_cmp_class_f32_e64 s[52:53], v35, s13
	s_or_b64 vcc, vcc, s[52:53]
	s_and_saveexec_b64 s[52:53], vcc
	s_cbranch_execz .LBB360_122
; %bb.121:
	v_sub_f32_e32 v34, v35, v32
	s_mov_b32 s13, 0x3fb8aa3b
	v_mul_f32_e32 v35, 0x3fb8aa3b, v34
	v_fma_f32 v36, v34, s13, -v35
	v_rndne_f32_e32 v37, v35
	v_fmamk_f32 v36, v34, 0x32a5705f, v36
	v_sub_f32_e32 v35, v35, v37
	v_add_f32_e32 v35, v35, v36
	v_exp_f32_e32 v35, v35
	v_cvt_i32_f32_e32 v36, v37
	s_mov_b32 s13, 0xc2ce8ed0
	v_cmp_ngt_f32_e32 vcc, s13, v34
	s_mov_b32 s13, 0x42b17218
	v_ldexp_f32 v35, v35, v36
	v_cndmask_b32_e32 v35, 0, v35, vcc
	v_mov_b32_e32 v36, 0x7f800000
	v_cmp_nlt_f32_e32 vcc, s13, v34
	s_mov_b32 s13, 0x3f2aaaab
	s_mov_b32 s60, 0x7f800000
	v_cndmask_b32_e32 v114, v36, v35, vcc
	v_add_f32_e32 v36, 1.0, v114
	v_add_f32_e32 v34, -1.0, v36
	v_sub_f32_e32 v35, v34, v36
	v_add_f32_e32 v35, 1.0, v35
	v_sub_f32_e32 v34, v114, v34
	v_add_f32_e32 v37, v34, v35
	v_frexp_mant_f32_e32 v38, v36
	v_cvt_f64_f32_e32 v[34:35], v36
	v_frexp_exp_i32_f64_e32 v34, v[34:35]
	v_cmp_gt_f32_e32 vcc, s13, v38
	s_mov_b32 s13, 0x3f317218
	s_nop 0
	v_subbrev_co_u32_e32 v98, vcc, 0, v34, vcc
	v_sub_u32_e32 v34, 0, v98
	v_ldexp_f32 v35, v36, v34
	v_add_f32_e32 v36, -1.0, v35
	v_add_f32_e32 v38, 1.0, v35
	v_ldexp_f32 v34, v37, v34
	v_add_f32_e32 v37, 1.0, v36
	v_add_f32_e32 v39, -1.0, v38
	v_sub_f32_e32 v37, v35, v37
	v_sub_f32_e32 v35, v35, v39
	v_add_f32_e32 v37, v34, v37
	v_add_f32_e32 v34, v34, v35
	;; [unrolled: 1-line block ×3, first 2 shown]
	v_rcp_f32_e32 v101, v99
	v_sub_f32_e32 v35, v38, v99
	v_add_f32_e32 v100, v34, v35
	v_add_f32_e32 v35, v36, v37
	v_mul_f32_e32 v103, v35, v101
	v_sub_f32_e32 v34, v36, v35
	v_mul_f32_e32 v36, v99, v103
	v_fma_f32 v38, v103, v99, -v36
	v_fmac_f32_e32 v38, v103, v100
	v_add_f32_e32 v102, v37, v34
	v_add_f32_e32 v34, v36, v38
	v_sub_f32_e32 v37, v35, v34
	v_pk_add_f32 v[96:97], v[34:35], v[36:37] neg_lo:[0,1] neg_hi:[0,1]
	v_mov_b32_e32 v39, v34
	v_pk_add_f32 v[34:35], v[96:97], v[38:39] neg_lo:[0,1] neg_hi:[0,1]
	v_cmp_eq_f32_e32 vcc, s60, v114
	v_add_f32_e32 v35, v102, v35
	v_add_f32_e32 v34, v34, v35
	;; [unrolled: 1-line block ×3, first 2 shown]
	v_mul_f32_e32 v102, v101, v35
	v_mul_f32_e32 v36, v99, v102
	v_fma_f32 v38, v102, v99, -v36
	v_fmac_f32_e32 v38, v102, v100
	v_sub_f32_e32 v37, v37, v35
	v_add_f32_e32 v99, v34, v37
	v_add_f32_e32 v34, v36, v38
	v_sub_f32_e32 v37, v35, v34
	v_pk_add_f32 v[96:97], v[34:35], v[36:37] neg_lo:[0,1] neg_hi:[0,1]
	v_mov_b32_e32 v39, v34
	v_pk_add_f32 v[34:35], v[96:97], v[38:39] neg_lo:[0,1] neg_hi:[0,1]
	v_cvt_f32_i32_e32 v36, v98
	v_add_f32_e32 v35, v99, v35
	v_add_f32_e32 v34, v34, v35
	;; [unrolled: 1-line block ×4, first 2 shown]
	v_sub_f32_e32 v35, v37, v103
	v_mul_f32_e32 v34, v101, v34
	v_sub_f32_e32 v35, v102, v35
	v_add_f32_e32 v34, v35, v34
	v_add_f32_e32 v38, v37, v34
	v_mul_f32_e32 v96, v38, v38
	v_mov_b32_e32 v35, 0x3ecc95a3
	v_sub_f32_e32 v37, v38, v37
	v_fmac_f32_e32 v35, 0x3e9b6dac, v96
	v_sub_f32_e32 v34, v34, v37
	v_fmaak_f32 v35, v96, v35, 0x3f2aaada
	v_ldexp_f32 v97, v34, 1
	v_mul_f32_e32 v37, v38, v96
	v_mov_b32_e32 v34, 0x3f317218
	v_pk_mul_f32 v[34:35], v[36:37], v[34:35]
	v_ldexp_f32 v39, v38, 1
	v_fma_f32 v37, v36, s13, -v34
	v_fmamk_f32 v38, v36, 0xb102e308, v37
	v_pk_add_f32 v[36:37], v[34:35], v[38:39]
	v_mov_b32_e32 v96, v34
	v_sub_f32_e32 v39, v37, v39
	v_sub_f32_e32 v39, v35, v39
	v_add_f32_e32 v97, v97, v39
	v_pk_add_f32 v[34:35], v[36:37], v[34:35] neg_lo:[0,1] neg_hi:[0,1]
	v_pk_add_f32 v[98:99], v[36:37], v[96:97]
	v_mov_b32_e32 v39, v36
	v_mov_b32_e32 v35, v99
	v_pk_add_f32 v[100:101], v[38:39], v[34:35] neg_lo:[0,1] neg_hi:[0,1]
	v_pk_add_f32 v[34:35], v[38:39], v[34:35]
	v_mov_b32_e32 v96, v97
	v_mov_b32_e32 v38, v35
	v_pk_add_f32 v[102:103], v[38:39], v[36:37] neg_lo:[0,1] neg_hi:[0,1]
	v_mov_b32_e32 v34, v99
	v_mov_b32_e32 v39, v102
	v_pk_add_f32 v[112:113], v[98:99], v[38:39] neg_lo:[0,1] neg_hi:[0,1]
	v_mov_b32_e32 v98, v37
	v_mov_b32_e32 v99, v102
	v_mov_b32_e32 v101, v35
	v_pk_add_f32 v[34:35], v[34:35], v[98:99] neg_lo:[0,1] neg_hi:[0,1]
	v_mov_b32_e32 v97, v36
	v_pk_add_f32 v[34:35], v[96:97], v[34:35] neg_lo:[0,1] neg_hi:[0,1]
	v_mov_b32_e32 v112, v100
	v_pk_add_f32 v[36:37], v[112:113], v[34:35]
	s_mov_b32 s13, 0x33800000
	v_mov_b32_e32 v96, v37
	v_pk_add_f32 v[96:97], v[36:37], v[96:97]
	v_cmp_lt_f32_e64 s[60:61], |v114|, s13
	v_pk_add_f32 v[38:39], v[38:39], v[96:97]
	v_mov_b32_e32 v35, v96
	v_mov_b32_e32 v37, v38
	v_pk_add_f32 v[98:99], v[36:37], v[100:101] neg_lo:[0,1] neg_hi:[0,1]
	s_or_b64 vcc, vcc, s[60:61]
	v_sub_f32_e32 v36, v36, v98
	v_pk_add_f32 v[34:35], v[34:35], v[98:99] neg_lo:[0,1] neg_hi:[0,1]
	v_sub_f32_e32 v36, v100, v36
	v_add_f32_e32 v34, v34, v36
	v_add_f32_e32 v34, v34, v35
	;; [unrolled: 1-line block ×3, first 2 shown]
	v_cndmask_b32_e32 v34, v34, v114, vcc
	v_add_f32_e32 v32, v32, v34
	v_cvt_f16_f32_e32 v34, v32
.LBB360_122:
	s_or_b64 exec, exec, s[52:53]
	v_mov_b32_e32 v32, v34
.LBB360_123:
	s_or_b64 exec, exec, s[56:57]
	v_and_b32_e32 v35, 0x3c0, v0
	v_min_u32_e32 v35, 0xc0, v35
	v_or_b32_e32 v35, 63, v35
	v_lshrrev_b32_e32 v34, 6, v0
	v_cmp_eq_u32_e32 vcc, v35, v0
	s_and_saveexec_b64 s[52:53], vcc
	s_cbranch_execz .LBB360_125
; %bb.124:
	v_lshlrev_b32_e32 v35, 1, v34
	ds_write_b16 v35, v32
.LBB360_125:
	s_or_b64 exec, exec, s[52:53]
	v_cmp_gt_u32_e32 vcc, 4, v0
	s_waitcnt lgkmcnt(0)
	s_barrier
	s_and_saveexec_b64 s[56:57], vcc
	s_cbranch_execz .LBB360_135
; %bb.126:
	ds_read_u16 v36, v10
	v_and_b32_e32 v35, 3, v33
	v_cmp_ne_u32_e32 vcc, 0, v35
	s_waitcnt lgkmcnt(0)
	v_and_b32_e32 v38, 0xffff, v36
	s_nop 1
	v_mov_b32_dpp v37, v38 row_shr:1 row_mask:0xf bank_mask:0xf
	s_and_saveexec_b64 s[60:61], vcc
	s_cbranch_execz .LBB360_130
; %bb.127:
	v_cvt_f32_f16_e32 v39, v37
	v_cvt_f32_f16_e32 v96, v36
	v_cmp_u_f16_e32 vcc, v37, v37
	v_cmp_u_f16_e64 s[52:53], v36, v36
	s_movk_i32 s13, 0x1f8
	v_min_f32_e32 v38, v39, v96
	v_max_f32_e32 v36, v39, v96
	v_cndmask_b32_e32 v38, v38, v39, vcc
	v_cndmask_b32_e32 v36, v36, v39, vcc
	v_cndmask_b32_e64 v38, v38, v96, s[52:53]
	v_cndmask_b32_e64 v36, v36, v96, s[52:53]
	v_cmp_neq_f32_e32 vcc, v38, v36
	v_cmp_class_f32_e64 s[52:53], v38, s13
	s_or_b64 vcc, vcc, s[52:53]
	s_and_saveexec_b64 s[52:53], vcc
	s_cbranch_execz .LBB360_129
; %bb.128:
	v_sub_f32_e32 v37, v38, v36
	s_mov_b32 s13, 0x3fb8aa3b
	v_mul_f32_e32 v38, 0x3fb8aa3b, v37
	v_fma_f32 v39, v37, s13, -v38
	v_rndne_f32_e32 v96, v38
	v_fmamk_f32 v39, v37, 0x32a5705f, v39
	v_sub_f32_e32 v38, v38, v96
	v_add_f32_e32 v38, v38, v39
	v_exp_f32_e32 v38, v38
	v_cvt_i32_f32_e32 v39, v96
	s_mov_b32 s13, 0xc2ce8ed0
	v_cmp_ngt_f32_e32 vcc, s13, v37
	s_mov_b32 s13, 0x42b17218
	v_ldexp_f32 v38, v38, v39
	v_cndmask_b32_e32 v38, 0, v38, vcc
	v_mov_b32_e32 v39, 0x7f800000
	v_cmp_nlt_f32_e32 vcc, s13, v37
	s_mov_b32 s13, 0x3f2aaaab
	s_mov_b32 s62, 0x7f800000
	v_cndmask_b32_e32 v118, v39, v38, vcc
	v_add_f32_e32 v37, 1.0, v118
	v_add_f32_e32 v38, -1.0, v37
	v_sub_f32_e32 v39, v38, v37
	v_add_f32_e32 v39, 1.0, v39
	v_sub_f32_e32 v38, v118, v38
	v_add_f32_e32 v96, v38, v39
	v_frexp_mant_f32_e32 v97, v37
	v_cvt_f64_f32_e32 v[38:39], v37
	v_frexp_exp_i32_f64_e32 v38, v[38:39]
	v_cmp_gt_f32_e32 vcc, s13, v97
	s_mov_b32 s13, 0x3f317218
	s_nop 0
	v_subbrev_co_u32_e32 v102, vcc, 0, v38, vcc
	v_sub_u32_e32 v38, 0, v102
	v_ldexp_f32 v37, v37, v38
	v_ldexp_f32 v38, v96, v38
	v_add_f32_e32 v96, -1.0, v37
	v_add_f32_e32 v39, 1.0, v96
	v_sub_f32_e32 v39, v37, v39
	v_add_f32_e32 v97, v38, v39
	v_add_f32_e32 v39, 1.0, v37
	v_add_f32_e32 v98, -1.0, v39
	v_sub_f32_e32 v37, v37, v98
	v_add_f32_e32 v37, v38, v37
	v_add_f32_e32 v103, v39, v37
	v_rcp_f32_e32 v112, v103
	v_sub_f32_e32 v38, v39, v103
	v_add_f32_e32 v39, v96, v97
	v_add_f32_e32 v37, v37, v38
	v_mul_f32_e32 v114, v39, v112
	v_sub_f32_e32 v38, v96, v39
	v_mul_f32_e32 v96, v103, v114
	v_fma_f32 v98, v114, v103, -v96
	v_fmac_f32_e32 v98, v114, v37
	v_add_f32_e32 v113, v97, v38
	v_add_f32_e32 v38, v96, v98
	v_sub_f32_e32 v97, v39, v38
	v_pk_add_f32 v[100:101], v[38:39], v[96:97] neg_lo:[0,1] neg_hi:[0,1]
	v_mov_b32_e32 v99, v38
	v_pk_add_f32 v[38:39], v[100:101], v[98:99] neg_lo:[0,1] neg_hi:[0,1]
	v_cmp_eq_f32_e32 vcc, s62, v118
	v_add_f32_e32 v39, v113, v39
	v_add_f32_e32 v38, v38, v39
	;; [unrolled: 1-line block ×3, first 2 shown]
	v_mul_f32_e32 v113, v112, v39
	v_mul_f32_e32 v96, v103, v113
	v_fma_f32 v98, v113, v103, -v96
	v_fmac_f32_e32 v98, v113, v37
	v_sub_f32_e32 v37, v97, v39
	v_add_f32_e32 v37, v38, v37
	v_add_f32_e32 v38, v96, v98
	v_sub_f32_e32 v97, v39, v38
	v_pk_add_f32 v[100:101], v[38:39], v[96:97] neg_lo:[0,1] neg_hi:[0,1]
	v_mov_b32_e32 v99, v38
	v_pk_add_f32 v[38:39], v[100:101], v[98:99] neg_lo:[0,1] neg_hi:[0,1]
	v_cvt_f32_i32_e32 v96, v102
	v_add_f32_e32 v37, v37, v39
	v_add_f32_e32 v37, v38, v37
	;; [unrolled: 1-line block ×4, first 2 shown]
	v_sub_f32_e32 v39, v38, v114
	v_mul_f32_e32 v37, v112, v37
	v_sub_f32_e32 v39, v113, v39
	v_add_f32_e32 v37, v39, v37
	v_add_f32_e32 v97, v38, v37
	v_mul_f32_e32 v98, v97, v97
	v_mov_b32_e32 v39, 0x3ecc95a3
	v_fmac_f32_e32 v39, 0x3e9b6dac, v98
	v_sub_f32_e32 v38, v97, v38
	v_fmaak_f32 v39, v98, v39, 0x3f2aaada
	v_sub_f32_e32 v37, v37, v38
	v_ldexp_f32 v99, v97, 1
	v_mul_f32_e32 v97, v97, v98
	v_mov_b32_e32 v38, 0x3f317218
	v_pk_mul_f32 v[38:39], v[96:97], v[38:39]
	v_ldexp_f32 v37, v37, 1
	v_fma_f32 v97, v96, s13, -v38
	v_fmamk_f32 v98, v96, 0xb102e308, v97
	v_pk_add_f32 v[96:97], v[38:39], v[98:99]
	v_mov_b32_e32 v100, v38
	v_sub_f32_e32 v99, v97, v99
	v_sub_f32_e32 v99, v39, v99
	v_add_f32_e32 v101, v37, v99
	v_pk_add_f32 v[38:39], v[96:97], v[38:39] neg_lo:[0,1] neg_hi:[0,1]
	v_pk_add_f32 v[102:103], v[96:97], v[100:101]
	v_mov_b32_e32 v99, v96
	v_mov_b32_e32 v39, v103
	v_pk_add_f32 v[112:113], v[98:99], v[38:39] neg_lo:[0,1] neg_hi:[0,1]
	v_pk_add_f32 v[38:39], v[98:99], v[38:39]
	v_mov_b32_e32 v100, v101
	v_mov_b32_e32 v98, v39
	v_pk_add_f32 v[114:115], v[98:99], v[96:97] neg_lo:[0,1] neg_hi:[0,1]
	v_mov_b32_e32 v38, v103
	v_mov_b32_e32 v37, v114
	v_pk_add_f32 v[116:117], v[102:103], v[36:37] neg_lo:[0,1] neg_hi:[0,1]
	v_mov_b32_e32 v102, v97
	v_mov_b32_e32 v103, v114
	;; [unrolled: 1-line block ×3, first 2 shown]
	v_pk_add_f32 v[38:39], v[38:39], v[102:103] neg_lo:[0,1] neg_hi:[0,1]
	v_mov_b32_e32 v101, v96
	v_pk_add_f32 v[38:39], v[100:101], v[38:39] neg_lo:[0,1] neg_hi:[0,1]
	v_mov_b32_e32 v116, v112
	v_pk_add_f32 v[96:97], v[116:117], v[38:39]
	s_mov_b32 s13, 0x33800000
	v_mov_b32_e32 v100, v97
	v_pk_add_f32 v[100:101], v[96:97], v[100:101]
	v_cmp_lt_f32_e64 s[62:63], |v118|, s13
	v_pk_add_f32 v[98:99], v[98:99], v[100:101]
	v_mov_b32_e32 v39, v100
	v_mov_b32_e32 v97, v98
	v_pk_add_f32 v[102:103], v[96:97], v[112:113] neg_lo:[0,1] neg_hi:[0,1]
	s_or_b64 vcc, vcc, s[62:63]
	v_sub_f32_e32 v37, v96, v102
	v_pk_add_f32 v[38:39], v[38:39], v[102:103] neg_lo:[0,1] neg_hi:[0,1]
	v_sub_f32_e32 v37, v112, v37
	v_add_f32_e32 v37, v38, v37
	v_add_f32_e32 v37, v37, v39
	;; [unrolled: 1-line block ×3, first 2 shown]
	v_cndmask_b32_e32 v37, v37, v118, vcc
	v_add_f32_e32 v36, v36, v37
	v_cvt_f16_f32_e32 v37, v36
.LBB360_129:
	s_or_b64 exec, exec, s[52:53]
	v_and_b32_e32 v38, 0xffff, v37
	v_mov_b32_e32 v36, v37
.LBB360_130:
	s_or_b64 exec, exec, s[60:61]
	v_mov_b32_dpp v37, v38 row_shr:2 row_mask:0xf bank_mask:0xf
	v_cmp_lt_u32_e32 vcc, 1, v35
	s_and_saveexec_b64 s[60:61], vcc
	s_cbranch_execz .LBB360_134
; %bb.131:
	v_cvt_f32_f16_e32 v35, v37
	v_cvt_f32_f16_e32 v38, v36
	v_cmp_u_f16_e32 vcc, v37, v37
	v_cmp_u_f16_e64 s[52:53], v36, v36
	s_movk_i32 s13, 0x1f8
	v_min_f32_e32 v39, v35, v38
	v_cndmask_b32_e32 v39, v39, v35, vcc
	v_cndmask_b32_e64 v36, v39, v38, s[52:53]
	v_max_f32_e32 v39, v35, v38
	v_cndmask_b32_e32 v35, v39, v35, vcc
	v_cndmask_b32_e64 v35, v35, v38, s[52:53]
	v_cmp_neq_f32_e32 vcc, v36, v35
	v_cmp_class_f32_e64 s[52:53], v36, s13
	s_or_b64 vcc, vcc, s[52:53]
	s_and_saveexec_b64 s[52:53], vcc
	s_cbranch_execz .LBB360_133
; %bb.132:
	v_sub_f32_e32 v36, v36, v35
	s_mov_b32 s13, 0x3fb8aa3b
	v_mul_f32_e32 v37, 0x3fb8aa3b, v36
	v_fma_f32 v38, v36, s13, -v37
	v_rndne_f32_e32 v39, v37
	v_fmamk_f32 v38, v36, 0x32a5705f, v38
	v_sub_f32_e32 v37, v37, v39
	v_add_f32_e32 v37, v37, v38
	v_exp_f32_e32 v37, v37
	v_cvt_i32_f32_e32 v38, v39
	s_mov_b32 s13, 0xc2ce8ed0
	v_cmp_ngt_f32_e32 vcc, s13, v36
	s_mov_b32 s13, 0x42b17218
	v_ldexp_f32 v37, v37, v38
	v_cndmask_b32_e32 v37, 0, v37, vcc
	v_mov_b32_e32 v38, 0x7f800000
	v_cmp_nlt_f32_e32 vcc, s13, v36
	s_mov_b32 s13, 0x3f2aaaab
	s_mov_b32 s62, 0x7f800000
	v_cndmask_b32_e32 v116, v38, v37, vcc
	v_add_f32_e32 v38, 1.0, v116
	v_add_f32_e32 v36, -1.0, v38
	v_sub_f32_e32 v37, v36, v38
	v_add_f32_e32 v37, 1.0, v37
	v_sub_f32_e32 v36, v116, v36
	v_add_f32_e32 v39, v36, v37
	v_frexp_mant_f32_e32 v96, v38
	v_cvt_f64_f32_e32 v[36:37], v38
	v_frexp_exp_i32_f64_e32 v36, v[36:37]
	v_cmp_gt_f32_e32 vcc, s13, v96
	s_mov_b32 s13, 0x3f317218
	s_nop 0
	v_subbrev_co_u32_e32 v100, vcc, 0, v36, vcc
	v_sub_u32_e32 v36, 0, v100
	v_ldexp_f32 v37, v38, v36
	v_add_f32_e32 v38, -1.0, v37
	v_add_f32_e32 v96, 1.0, v37
	v_ldexp_f32 v36, v39, v36
	v_add_f32_e32 v39, 1.0, v38
	v_add_f32_e32 v97, -1.0, v96
	v_sub_f32_e32 v39, v37, v39
	v_sub_f32_e32 v37, v37, v97
	v_add_f32_e32 v39, v36, v39
	v_add_f32_e32 v36, v36, v37
	;; [unrolled: 1-line block ×3, first 2 shown]
	v_rcp_f32_e32 v103, v101
	v_sub_f32_e32 v37, v96, v101
	v_add_f32_e32 v102, v36, v37
	v_add_f32_e32 v37, v38, v39
	v_mul_f32_e32 v113, v37, v103
	v_sub_f32_e32 v36, v38, v37
	v_mul_f32_e32 v38, v101, v113
	v_fma_f32 v96, v113, v101, -v38
	v_fmac_f32_e32 v96, v113, v102
	v_add_f32_e32 v112, v39, v36
	v_add_f32_e32 v36, v38, v96
	v_sub_f32_e32 v39, v37, v36
	v_pk_add_f32 v[98:99], v[36:37], v[38:39] neg_lo:[0,1] neg_hi:[0,1]
	v_mov_b32_e32 v97, v36
	v_pk_add_f32 v[36:37], v[98:99], v[96:97] neg_lo:[0,1] neg_hi:[0,1]
	v_cmp_eq_f32_e32 vcc, s62, v116
	v_add_f32_e32 v37, v112, v37
	v_add_f32_e32 v36, v36, v37
	;; [unrolled: 1-line block ×3, first 2 shown]
	v_mul_f32_e32 v112, v103, v37
	v_mul_f32_e32 v38, v101, v112
	v_fma_f32 v96, v112, v101, -v38
	v_fmac_f32_e32 v96, v112, v102
	v_sub_f32_e32 v39, v39, v37
	v_add_f32_e32 v101, v36, v39
	v_add_f32_e32 v36, v38, v96
	v_sub_f32_e32 v39, v37, v36
	v_pk_add_f32 v[98:99], v[36:37], v[38:39] neg_lo:[0,1] neg_hi:[0,1]
	v_mov_b32_e32 v97, v36
	v_pk_add_f32 v[36:37], v[98:99], v[96:97] neg_lo:[0,1] neg_hi:[0,1]
	v_cvt_f32_i32_e32 v38, v100
	v_add_f32_e32 v37, v101, v37
	v_add_f32_e32 v36, v36, v37
	;; [unrolled: 1-line block ×4, first 2 shown]
	v_sub_f32_e32 v37, v39, v113
	v_mul_f32_e32 v36, v103, v36
	v_sub_f32_e32 v37, v112, v37
	v_add_f32_e32 v36, v37, v36
	v_add_f32_e32 v96, v39, v36
	v_mul_f32_e32 v98, v96, v96
	v_mov_b32_e32 v37, 0x3ecc95a3
	v_sub_f32_e32 v39, v96, v39
	v_fmac_f32_e32 v37, 0x3e9b6dac, v98
	v_sub_f32_e32 v36, v36, v39
	v_fmaak_f32 v37, v98, v37, 0x3f2aaada
	v_ldexp_f32 v99, v36, 1
	v_mul_f32_e32 v39, v96, v98
	v_mov_b32_e32 v36, 0x3f317218
	v_pk_mul_f32 v[36:37], v[38:39], v[36:37]
	v_ldexp_f32 v97, v96, 1
	v_fma_f32 v39, v38, s13, -v36
	v_fmamk_f32 v96, v38, 0xb102e308, v39
	v_pk_add_f32 v[38:39], v[36:37], v[96:97]
	v_mov_b32_e32 v98, v36
	v_sub_f32_e32 v97, v39, v97
	v_sub_f32_e32 v97, v37, v97
	v_add_f32_e32 v99, v99, v97
	v_pk_add_f32 v[36:37], v[38:39], v[36:37] neg_lo:[0,1] neg_hi:[0,1]
	v_pk_add_f32 v[100:101], v[38:39], v[98:99]
	v_mov_b32_e32 v97, v38
	v_mov_b32_e32 v37, v101
	v_pk_add_f32 v[102:103], v[96:97], v[36:37] neg_lo:[0,1] neg_hi:[0,1]
	v_pk_add_f32 v[36:37], v[96:97], v[36:37]
	v_mov_b32_e32 v98, v99
	v_mov_b32_e32 v96, v37
	v_pk_add_f32 v[112:113], v[96:97], v[38:39] neg_lo:[0,1] neg_hi:[0,1]
	v_mov_b32_e32 v36, v101
	v_mov_b32_e32 v97, v112
	v_pk_add_f32 v[114:115], v[100:101], v[96:97] neg_lo:[0,1] neg_hi:[0,1]
	v_mov_b32_e32 v100, v39
	v_mov_b32_e32 v101, v112
	;; [unrolled: 1-line block ×3, first 2 shown]
	v_pk_add_f32 v[36:37], v[36:37], v[100:101] neg_lo:[0,1] neg_hi:[0,1]
	v_mov_b32_e32 v99, v38
	v_pk_add_f32 v[36:37], v[98:99], v[36:37] neg_lo:[0,1] neg_hi:[0,1]
	v_mov_b32_e32 v114, v102
	v_pk_add_f32 v[38:39], v[114:115], v[36:37]
	s_mov_b32 s13, 0x33800000
	v_mov_b32_e32 v98, v39
	v_pk_add_f32 v[98:99], v[38:39], v[98:99]
	v_cmp_lt_f32_e64 s[62:63], |v116|, s13
	v_pk_add_f32 v[96:97], v[96:97], v[98:99]
	v_mov_b32_e32 v37, v98
	v_mov_b32_e32 v39, v96
	v_pk_add_f32 v[100:101], v[38:39], v[102:103] neg_lo:[0,1] neg_hi:[0,1]
	s_or_b64 vcc, vcc, s[62:63]
	v_sub_f32_e32 v38, v38, v100
	v_pk_add_f32 v[36:37], v[36:37], v[100:101] neg_lo:[0,1] neg_hi:[0,1]
	v_sub_f32_e32 v38, v102, v38
	v_add_f32_e32 v36, v36, v38
	v_add_f32_e32 v36, v36, v37
	;; [unrolled: 1-line block ×3, first 2 shown]
	v_cndmask_b32_e32 v36, v36, v116, vcc
	v_add_f32_e32 v35, v35, v36
	v_cvt_f16_f32_e32 v37, v35
.LBB360_133:
	s_or_b64 exec, exec, s[52:53]
	v_mov_b32_e32 v36, v37
.LBB360_134:
	s_or_b64 exec, exec, s[60:61]
	ds_write_b16 v10, v36
.LBB360_135:
	s_or_b64 exec, exec, s[56:57]
	v_cmp_gt_u32_e32 vcc, 64, v0
	v_cmp_lt_u32_e64 s[52:53], 63, v0
	s_waitcnt lgkmcnt(0)
	s_barrier
	s_waitcnt lgkmcnt(0)
                                        ; implicit-def: $vgpr96
	s_and_saveexec_b64 s[56:57], s[52:53]
	s_cbranch_execz .LBB360_139
; %bb.136:
	v_lshl_add_u32 v34, v34, 1, -2
	ds_read_u16 v96, v34
	v_cvt_f32_f16_e32 v34, v32
	s_movk_i32 s13, 0x1f8
	s_waitcnt lgkmcnt(0)
	v_cvt_f32_f16_e32 v35, v96
	v_cmp_u_f16_e64 s[52:53], v96, v96
	v_min_f32_e32 v36, v35, v34
	v_max_f32_e32 v37, v35, v34
	v_cndmask_b32_e64 v36, v36, v35, s[52:53]
	v_cndmask_b32_e64 v37, v37, v35, s[52:53]
	v_cmp_u_f16_e64 s[52:53], v32, v32
	v_mov_b32_e32 v32, v96
	s_nop 0
	v_cndmask_b32_e64 v35, v36, v34, s[52:53]
	v_cndmask_b32_e64 v34, v37, v34, s[52:53]
	v_cmp_neq_f32_e64 s[52:53], v35, v34
	v_cmp_class_f32_e64 s[60:61], v35, s13
	s_or_b64 s[52:53], s[52:53], s[60:61]
	s_and_saveexec_b64 s[60:61], s[52:53]
	s_cbranch_execz .LBB360_138
; %bb.137:
	v_sub_f32_e32 v32, v35, v34
	s_mov_b32 s13, 0x3fb8aa3b
	v_mul_f32_e32 v35, 0x3fb8aa3b, v32
	v_fma_f32 v36, v32, s13, -v35
	v_rndne_f32_e32 v37, v35
	v_fmamk_f32 v36, v32, 0x32a5705f, v36
	v_sub_f32_e32 v35, v35, v37
	v_add_f32_e32 v35, v35, v36
	v_exp_f32_e32 v35, v35
	v_cvt_i32_f32_e32 v36, v37
	s_mov_b32 s13, 0xc2ce8ed0
	v_cmp_ngt_f32_e64 s[52:53], s13, v32
	s_mov_b32 s13, 0x42b17218
	v_ldexp_f32 v35, v35, v36
	v_cndmask_b32_e64 v35, 0, v35, s[52:53]
	v_mov_b32_e32 v36, 0x7f800000
	v_cmp_nlt_f32_e64 s[52:53], s13, v32
	s_mov_b32 s13, 0x3f2aaaab
	s_mov_b32 s62, 0x7f800000
	v_cndmask_b32_e64 v97, v36, v35, s[52:53]
	v_add_f32_e32 v32, 1.0, v97
	v_add_f32_e32 v35, -1.0, v32
	v_sub_f32_e32 v36, v35, v32
	v_add_f32_e32 v36, 1.0, v36
	v_sub_f32_e32 v35, v97, v35
	v_add_f32_e32 v35, v35, v36
	v_frexp_mant_f32_e32 v38, v32
	v_cvt_f64_f32_e32 v[36:37], v32
	v_frexp_exp_i32_f64_e32 v36, v[36:37]
	v_cmp_gt_f32_e64 s[52:53], s13, v38
	s_mov_b32 s13, 0x3f317218
	s_nop 0
	v_subbrev_co_u32_e64 v102, s[52:53], 0, v36, s[52:53]
	v_sub_u32_e32 v36, 0, v102
	v_ldexp_f32 v32, v32, v36
	v_ldexp_f32 v35, v35, v36
	v_add_f32_e32 v36, -1.0, v32
	v_add_f32_e32 v37, 1.0, v36
	v_sub_f32_e32 v37, v32, v37
	v_add_f32_e32 v38, v35, v37
	v_add_f32_e32 v37, 1.0, v32
	v_add_f32_e32 v39, -1.0, v37
	v_sub_f32_e32 v32, v32, v39
	v_add_f32_e32 v32, v35, v32
	v_add_f32_e32 v35, v37, v32
	v_rcp_f32_e32 v103, v35
	v_sub_f32_e32 v37, v37, v35
	v_add_f32_e32 v32, v32, v37
	v_add_f32_e32 v37, v36, v38
	v_sub_f32_e32 v36, v36, v37
	v_mul_f32_e32 v113, v37, v103
	v_add_f32_e32 v112, v38, v36
	v_mul_f32_e32 v38, v35, v113
	v_fma_f32 v98, v113, v35, -v38
	v_fmac_f32_e32 v98, v113, v32
	v_add_f32_e32 v36, v38, v98
	v_sub_f32_e32 v39, v37, v36
	v_pk_add_f32 v[100:101], v[36:37], v[38:39] neg_lo:[0,1] neg_hi:[0,1]
	v_mov_b32_e32 v99, v36
	v_pk_add_f32 v[36:37], v[100:101], v[98:99] neg_lo:[0,1] neg_hi:[0,1]
	v_cmp_eq_f32_e64 s[52:53], s62, v97
	v_add_f32_e32 v37, v112, v37
	v_add_f32_e32 v36, v36, v37
	v_add_f32_e32 v37, v39, v36
	v_mul_f32_e32 v112, v103, v37
	v_mul_f32_e32 v38, v35, v112
	v_fma_f32 v98, v112, v35, -v38
	v_fmac_f32_e32 v98, v112, v32
	v_sub_f32_e32 v32, v39, v37
	v_add_f32_e32 v32, v36, v32
	v_add_f32_e32 v36, v38, v98
	v_sub_f32_e32 v39, v37, v36
	v_pk_add_f32 v[100:101], v[36:37], v[38:39] neg_lo:[0,1] neg_hi:[0,1]
	v_mov_b32_e32 v99, v36
	v_pk_add_f32 v[36:37], v[100:101], v[98:99] neg_lo:[0,1] neg_hi:[0,1]
	v_add_f32_e32 v35, v113, v112
	v_add_f32_e32 v32, v32, v37
	;; [unrolled: 1-line block ×4, first 2 shown]
	v_sub_f32_e32 v36, v35, v113
	v_mul_f32_e32 v32, v103, v32
	v_sub_f32_e32 v36, v112, v36
	v_add_f32_e32 v32, v36, v32
	v_add_f32_e32 v36, v35, v32
	v_cvt_f32_i32_e32 v38, v102
	v_mul_f32_e32 v39, v36, v36
	v_mov_b32_e32 v37, 0x3ecc95a3
	v_fmac_f32_e32 v37, 0x3e9b6dac, v39
	v_fmaak_f32 v37, v39, v37, 0x3f2aaada
	v_sub_f32_e32 v35, v36, v35
	v_ldexp_f32 v99, v36, 1
	v_mul_f32_e32 v39, v36, v39
	v_mov_b32_e32 v36, 0x3f317218
	v_pk_mul_f32 v[36:37], v[38:39], v[36:37]
	v_sub_f32_e32 v32, v32, v35
	v_fma_f32 v35, v38, s13, -v36
	v_fmamk_f32 v98, v38, 0xb102e308, v35
	v_pk_add_f32 v[38:39], v[36:37], v[98:99]
	v_ldexp_f32 v32, v32, 1
	v_sub_f32_e32 v35, v39, v99
	v_sub_f32_e32 v35, v37, v35
	v_add_f32_e32 v101, v32, v35
	v_mov_b32_e32 v100, v36
	v_pk_add_f32 v[36:37], v[38:39], v[36:37] neg_lo:[0,1] neg_hi:[0,1]
	v_pk_add_f32 v[102:103], v[38:39], v[100:101]
	v_mov_b32_e32 v99, v38
	v_mov_b32_e32 v37, v103
	v_pk_add_f32 v[112:113], v[98:99], v[36:37] neg_lo:[0,1] neg_hi:[0,1]
	v_pk_add_f32 v[36:37], v[98:99], v[36:37]
	s_mov_b32 s13, 0x33800000
	v_mov_b32_e32 v32, v37
	v_pk_add_f32 v[98:99], v[32:33], v[38:39] neg_lo:[0,1] neg_hi:[0,1]
	v_mov_b32_e32 v36, v103
	v_mov_b32_e32 v35, v98
	v_pk_add_f32 v[114:115], v[102:103], v[34:35] neg_lo:[0,1] neg_hi:[0,1]
	v_mov_b32_e32 v102, v39
	v_mov_b32_e32 v103, v98
	;; [unrolled: 1-line block ×3, first 2 shown]
	v_pk_add_f32 v[36:37], v[36:37], v[102:103] neg_lo:[0,1] neg_hi:[0,1]
	v_mov_b32_e32 v98, v101
	v_mov_b32_e32 v99, v38
	v_pk_add_f32 v[36:37], v[98:99], v[36:37] neg_lo:[0,1] neg_hi:[0,1]
	v_mov_b32_e32 v114, v112
	v_pk_add_f32 v[38:39], v[114:115], v[36:37]
	v_cmp_lt_f32_e64 s[62:63], |v97|, s13
	v_mov_b32_e32 v98, v39
	v_pk_add_f32 v[98:99], v[38:39], v[98:99]
	s_or_b64 s[52:53], s[52:53], s[62:63]
	v_pk_add_f32 v[100:101], v[32:33], v[98:99]
	v_mov_b32_e32 v37, v98
	v_mov_b32_e32 v39, v100
	v_pk_add_f32 v[102:103], v[38:39], v[112:113] neg_lo:[0,1] neg_hi:[0,1]
	s_nop 0
	v_sub_f32_e32 v32, v38, v102
	v_pk_add_f32 v[36:37], v[36:37], v[102:103] neg_lo:[0,1] neg_hi:[0,1]
	v_sub_f32_e32 v32, v112, v32
	v_add_f32_e32 v32, v36, v32
	v_add_f32_e32 v32, v32, v37
	;; [unrolled: 1-line block ×3, first 2 shown]
	v_cndmask_b32_e64 v32, v32, v97, s[52:53]
	v_add_f32_e32 v32, v34, v32
	v_cvt_f16_f32_e32 v32, v32
.LBB360_138:
	s_or_b64 exec, exec, s[60:61]
.LBB360_139:
	s_or_b64 exec, exec, s[56:57]
	v_add_u32_e32 v34, -1, v33
	v_and_b32_e32 v35, 64, v33
	v_cmp_lt_i32_e64 s[52:53], v34, v35
	v_and_b32_e32 v32, 0xffff, v32
	s_nop 0
	v_cndmask_b32_e64 v34, v34, v33, s[52:53]
	v_lshlrev_b32_e32 v34, 2, v34
	ds_bpermute_b32 v97, v34, v32
	v_cmp_eq_u32_e64 s[52:53], 0, v33
	s_and_saveexec_b64 s[60:61], vcc
	s_cbranch_execz .LBB360_210
; %bb.140:
	v_mov_b32_e32 v37, 0
	ds_read_u16 v98, v37 offset:6
	s_and_saveexec_b64 vcc, s[52:53]
	s_cbranch_execz .LBB360_142
; %bb.141:
	s_add_i32 s56, s12, 64
	s_mov_b32 s57, 0
	v_lshl_add_u64 v[34:35], s[56:57], 2, v[28:29]
	s_waitcnt lgkmcnt(0)
	v_or_b32_e32 v32, 0x10000, v98
	flat_store_dword v[34:35], v32 sc1
.LBB360_142:
	s_or_b64 exec, exec, vcc
	v_xad_u32 v32, v33, -1, s12
	v_add_u32_e32 v36, 64, v32
	v_lshl_add_u64 v[34:35], v[36:37], 2, v[28:29]
	flat_load_dword v132, v[34:35] sc1
	s_waitcnt vmcnt(0) lgkmcnt(0)
	v_lshrrev_b32_e32 v99, 16, v132
	v_cmp_eq_u16_sdwa s[56:57], v99, v37 src0_sel:BYTE_0 src1_sel:DWORD
	s_and_saveexec_b64 vcc, s[56:57]
	s_cbranch_execz .LBB360_146
; %bb.143:
	s_mov_b64 s[56:57], 0
	v_mov_b32_e32 v36, 0
.LBB360_144:                            ; =>This Inner Loop Header: Depth=1
	flat_load_dword v132, v[34:35] sc1
	s_waitcnt vmcnt(0) lgkmcnt(0)
	v_lshrrev_b32_e32 v99, 16, v132
	v_cmp_ne_u16_sdwa s[62:63], v99, v36 src0_sel:BYTE_0 src1_sel:DWORD
	s_or_b64 s[56:57], s[62:63], s[56:57]
	s_andn2_b64 exec, exec, s[56:57]
	s_cbranch_execnz .LBB360_144
; %bb.145:
	s_or_b64 exec, exec, s[56:57]
.LBB360_146:
	s_or_b64 exec, exec, vcc
	v_mov_b32_e32 v34, 2
	v_cmp_eq_u16_sdwa vcc, v99, v34 src0_sel:BYTE_0 src1_sel:DWORD
	v_lshlrev_b64 v[34:35], v33, -1
	v_and_b32_e32 v100, 63, v33
	v_and_b32_e32 v36, vcc_hi, v35
	v_and_b32_e32 v39, vcc_lo, v34
	v_cmp_ne_u32_e32 vcc, 63, v100
	v_and_b32_e32 v37, 0xffff, v132
	v_or_b32_e32 v36, 0x80000000, v36
	v_addc_co_u32_e32 v38, vcc, 0, v33, vcc
	v_lshlrev_b32_e32 v101, 2, v38
	ds_bpermute_b32 v38, v101, v37
	v_ffbl_b32_e32 v36, v36
	v_add_u32_e32 v36, 32, v36
	v_ffbl_b32_e32 v39, v39
	v_min_u32_e32 v36, v39, v36
	v_cmp_lt_u32_e32 vcc, v100, v36
	s_and_saveexec_b64 s[62:63], vcc
	s_cbranch_execz .LBB360_150
; %bb.147:
	s_waitcnt lgkmcnt(0)
	v_cvt_f32_f16_e32 v37, v38
	v_cvt_f32_f16_e32 v102, v132
	v_cmp_u_f16_e32 vcc, v38, v38
	v_cmp_u_f16_e64 s[56:57], v132, v132
	s_movk_i32 s13, 0x1f8
	v_min_f32_e32 v39, v37, v102
	v_max_f32_e32 v103, v37, v102
	v_cndmask_b32_e32 v39, v39, v37, vcc
	v_cndmask_b32_e32 v37, v103, v37, vcc
	v_cndmask_b32_e64 v39, v39, v102, s[56:57]
	v_cndmask_b32_e64 v37, v37, v102, s[56:57]
	v_cmp_neq_f32_e32 vcc, v39, v37
	v_cmp_class_f32_e64 s[56:57], v39, s13
	s_or_b64 vcc, vcc, s[56:57]
	s_and_saveexec_b64 s[56:57], vcc
	s_cbranch_execz .LBB360_149
; %bb.148:
	v_sub_f32_e32 v38, v39, v37
	s_mov_b32 s13, 0x3fb8aa3b
	v_mul_f32_e32 v39, 0x3fb8aa3b, v38
	v_fma_f32 v102, v38, s13, -v39
	v_rndne_f32_e32 v103, v39
	v_fmamk_f32 v102, v38, 0x32a5705f, v102
	v_sub_f32_e32 v39, v39, v103
	v_add_f32_e32 v39, v39, v102
	v_exp_f32_e32 v39, v39
	v_cvt_i32_f32_e32 v102, v103
	s_mov_b32 s13, 0xc2ce8ed0
	v_cmp_ngt_f32_e32 vcc, s13, v38
	s_mov_b32 s13, 0x42b17218
	v_ldexp_f32 v39, v39, v102
	v_cndmask_b32_e32 v39, 0, v39, vcc
	v_mov_b32_e32 v102, 0x7f800000
	v_cmp_nlt_f32_e32 vcc, s13, v38
	s_mov_b32 s13, 0x3f2aaaab
	s_mov_b32 s64, 0x7f800000
	v_cndmask_b32_e32 v132, v102, v39, vcc
	v_add_f32_e32 v102, 1.0, v132
	v_add_f32_e32 v38, -1.0, v102
	v_sub_f32_e32 v39, v38, v102
	v_add_f32_e32 v39, 1.0, v39
	v_sub_f32_e32 v38, v132, v38
	v_add_f32_e32 v103, v38, v39
	v_frexp_mant_f32_e32 v112, v102
	v_cvt_f64_f32_e32 v[38:39], v102
	v_frexp_exp_i32_f64_e32 v38, v[38:39]
	v_cmp_gt_f32_e32 vcc, s13, v112
	s_mov_b32 s13, 0x3f317218
	s_nop 0
	v_subbrev_co_u32_e32 v116, vcc, 0, v38, vcc
	v_sub_u32_e32 v38, 0, v116
	v_ldexp_f32 v39, v102, v38
	v_add_f32_e32 v102, -1.0, v39
	v_add_f32_e32 v112, 1.0, v39
	v_ldexp_f32 v38, v103, v38
	v_add_f32_e32 v103, 1.0, v102
	v_add_f32_e32 v113, -1.0, v112
	v_sub_f32_e32 v103, v39, v103
	v_sub_f32_e32 v39, v39, v113
	v_add_f32_e32 v103, v38, v103
	v_add_f32_e32 v38, v38, v39
	;; [unrolled: 1-line block ×3, first 2 shown]
	v_rcp_f32_e32 v119, v117
	v_sub_f32_e32 v39, v112, v117
	v_add_f32_e32 v118, v38, v39
	v_add_f32_e32 v39, v102, v103
	v_mul_f32_e32 v129, v39, v119
	v_sub_f32_e32 v38, v102, v39
	v_mul_f32_e32 v102, v117, v129
	v_fma_f32 v112, v129, v117, -v102
	v_fmac_f32_e32 v112, v129, v118
	v_add_f32_e32 v128, v103, v38
	v_add_f32_e32 v38, v102, v112
	v_sub_f32_e32 v103, v39, v38
	v_pk_add_f32 v[114:115], v[38:39], v[102:103] neg_lo:[0,1] neg_hi:[0,1]
	v_mov_b32_e32 v113, v38
	v_pk_add_f32 v[38:39], v[114:115], v[112:113] neg_lo:[0,1] neg_hi:[0,1]
	v_cmp_eq_f32_e32 vcc, s64, v132
	v_add_f32_e32 v39, v128, v39
	v_add_f32_e32 v38, v38, v39
	;; [unrolled: 1-line block ×3, first 2 shown]
	v_mul_f32_e32 v128, v119, v39
	v_mul_f32_e32 v102, v117, v128
	v_fma_f32 v112, v128, v117, -v102
	v_fmac_f32_e32 v112, v128, v118
	v_sub_f32_e32 v103, v103, v39
	v_add_f32_e32 v117, v38, v103
	v_add_f32_e32 v38, v102, v112
	v_sub_f32_e32 v103, v39, v38
	v_pk_add_f32 v[114:115], v[38:39], v[102:103] neg_lo:[0,1] neg_hi:[0,1]
	v_mov_b32_e32 v113, v38
	v_pk_add_f32 v[38:39], v[114:115], v[112:113] neg_lo:[0,1] neg_hi:[0,1]
	v_cvt_f32_i32_e32 v102, v116
	v_add_f32_e32 v39, v117, v39
	v_add_f32_e32 v38, v38, v39
	;; [unrolled: 1-line block ×4, first 2 shown]
	v_sub_f32_e32 v39, v103, v129
	v_mul_f32_e32 v38, v119, v38
	v_sub_f32_e32 v39, v128, v39
	v_add_f32_e32 v38, v39, v38
	v_add_f32_e32 v112, v103, v38
	v_mul_f32_e32 v114, v112, v112
	v_mov_b32_e32 v39, 0x3ecc95a3
	v_sub_f32_e32 v103, v112, v103
	v_fmac_f32_e32 v39, 0x3e9b6dac, v114
	v_sub_f32_e32 v38, v38, v103
	v_fmaak_f32 v39, v114, v39, 0x3f2aaada
	v_ldexp_f32 v115, v38, 1
	v_mul_f32_e32 v103, v112, v114
	v_mov_b32_e32 v38, 0x3f317218
	v_pk_mul_f32 v[38:39], v[102:103], v[38:39]
	v_ldexp_f32 v113, v112, 1
	v_fma_f32 v103, v102, s13, -v38
	v_fmamk_f32 v112, v102, 0xb102e308, v103
	v_pk_add_f32 v[102:103], v[38:39], v[112:113]
	v_mov_b32_e32 v114, v38
	v_sub_f32_e32 v113, v103, v113
	v_sub_f32_e32 v113, v39, v113
	v_add_f32_e32 v115, v115, v113
	v_pk_add_f32 v[38:39], v[102:103], v[38:39] neg_lo:[0,1] neg_hi:[0,1]
	v_pk_add_f32 v[116:117], v[102:103], v[114:115]
	v_mov_b32_e32 v113, v102
	v_mov_b32_e32 v39, v117
	v_pk_add_f32 v[118:119], v[112:113], v[38:39] neg_lo:[0,1] neg_hi:[0,1]
	v_pk_add_f32 v[38:39], v[112:113], v[38:39]
	v_mov_b32_e32 v114, v115
	v_mov_b32_e32 v112, v39
	v_pk_add_f32 v[128:129], v[112:113], v[102:103] neg_lo:[0,1] neg_hi:[0,1]
	v_mov_b32_e32 v38, v117
	v_mov_b32_e32 v113, v128
	v_pk_add_f32 v[130:131], v[116:117], v[112:113] neg_lo:[0,1] neg_hi:[0,1]
	v_mov_b32_e32 v116, v103
	v_mov_b32_e32 v117, v128
	;; [unrolled: 1-line block ×3, first 2 shown]
	v_pk_add_f32 v[38:39], v[38:39], v[116:117] neg_lo:[0,1] neg_hi:[0,1]
	v_mov_b32_e32 v115, v102
	v_pk_add_f32 v[38:39], v[114:115], v[38:39] neg_lo:[0,1] neg_hi:[0,1]
	v_mov_b32_e32 v130, v118
	v_pk_add_f32 v[102:103], v[130:131], v[38:39]
	s_mov_b32 s13, 0x33800000
	v_mov_b32_e32 v114, v103
	v_pk_add_f32 v[114:115], v[102:103], v[114:115]
	v_cmp_lt_f32_e64 s[64:65], |v132|, s13
	v_pk_add_f32 v[112:113], v[112:113], v[114:115]
	v_mov_b32_e32 v39, v114
	v_mov_b32_e32 v103, v112
	v_pk_add_f32 v[116:117], v[102:103], v[118:119] neg_lo:[0,1] neg_hi:[0,1]
	s_or_b64 vcc, vcc, s[64:65]
	v_sub_f32_e32 v102, v102, v116
	v_pk_add_f32 v[38:39], v[38:39], v[116:117] neg_lo:[0,1] neg_hi:[0,1]
	v_sub_f32_e32 v102, v118, v102
	v_add_f32_e32 v38, v38, v102
	v_add_f32_e32 v38, v38, v39
	v_add_f32_e32 v38, v112, v38
	v_cndmask_b32_e32 v38, v38, v132, vcc
	v_add_f32_e32 v37, v37, v38
	v_cvt_f16_f32_e32 v38, v37
.LBB360_149:
	s_or_b64 exec, exec, s[56:57]
	v_and_b32_e32 v37, 0xffff, v38
	v_mov_b32_e32 v132, v38
.LBB360_150:
	s_or_b64 exec, exec, s[62:63]
	v_cmp_gt_u32_e32 vcc, 62, v100
	v_add_u32_e32 v103, 2, v100
	s_waitcnt lgkmcnt(0)
	v_cndmask_b32_e64 v38, 0, 1, vcc
	v_lshlrev_b32_e32 v38, 1, v38
	v_add_lshl_u32 v102, v38, v33, 2
	ds_bpermute_b32 v38, v102, v37
	v_cmp_le_u32_e32 vcc, v103, v36
	s_and_saveexec_b64 s[62:63], vcc
	s_cbranch_execz .LBB360_154
; %bb.151:
	s_waitcnt lgkmcnt(0)
	v_cvt_f32_f16_e32 v37, v38
	v_cvt_f32_f16_e32 v112, v132
	v_cmp_u_f16_e32 vcc, v38, v38
	v_cmp_u_f16_e64 s[56:57], v132, v132
	s_movk_i32 s13, 0x1f8
	v_min_f32_e32 v39, v37, v112
	v_max_f32_e32 v113, v37, v112
	v_cndmask_b32_e32 v39, v39, v37, vcc
	v_cndmask_b32_e32 v37, v113, v37, vcc
	v_cndmask_b32_e64 v39, v39, v112, s[56:57]
	v_cndmask_b32_e64 v37, v37, v112, s[56:57]
	v_cmp_neq_f32_e32 vcc, v39, v37
	v_cmp_class_f32_e64 s[56:57], v39, s13
	s_or_b64 vcc, vcc, s[56:57]
	s_and_saveexec_b64 s[56:57], vcc
	s_cbranch_execz .LBB360_153
; %bb.152:
	v_sub_f32_e32 v38, v39, v37
	s_mov_b32 s13, 0x3fb8aa3b
	v_mul_f32_e32 v39, 0x3fb8aa3b, v38
	v_fma_f32 v112, v38, s13, -v39
	v_rndne_f32_e32 v113, v39
	v_fmamk_f32 v112, v38, 0x32a5705f, v112
	v_sub_f32_e32 v39, v39, v113
	v_add_f32_e32 v39, v39, v112
	v_exp_f32_e32 v39, v39
	v_cvt_i32_f32_e32 v112, v113
	s_mov_b32 s13, 0xc2ce8ed0
	v_cmp_ngt_f32_e32 vcc, s13, v38
	s_mov_b32 s13, 0x42b17218
	v_ldexp_f32 v39, v39, v112
	v_cndmask_b32_e32 v39, 0, v39, vcc
	v_mov_b32_e32 v112, 0x7f800000
	v_cmp_nlt_f32_e32 vcc, s13, v38
	s_mov_b32 s13, 0x3f2aaaab
	s_mov_b32 s64, 0x7f800000
	v_cndmask_b32_e32 v134, v112, v39, vcc
	v_add_f32_e32 v112, 1.0, v134
	v_add_f32_e32 v38, -1.0, v112
	v_sub_f32_e32 v39, v38, v112
	v_add_f32_e32 v39, 1.0, v39
	v_sub_f32_e32 v38, v134, v38
	v_add_f32_e32 v113, v38, v39
	v_frexp_mant_f32_e32 v114, v112
	v_cvt_f64_f32_e32 v[38:39], v112
	v_frexp_exp_i32_f64_e32 v38, v[38:39]
	v_cmp_gt_f32_e32 vcc, s13, v114
	s_mov_b32 s13, 0x3f317218
	s_nop 0
	v_subbrev_co_u32_e32 v118, vcc, 0, v38, vcc
	v_sub_u32_e32 v38, 0, v118
	v_ldexp_f32 v39, v112, v38
	v_add_f32_e32 v112, -1.0, v39
	v_add_f32_e32 v114, 1.0, v39
	v_ldexp_f32 v38, v113, v38
	v_add_f32_e32 v113, 1.0, v112
	v_add_f32_e32 v115, -1.0, v114
	v_sub_f32_e32 v113, v39, v113
	v_sub_f32_e32 v39, v39, v115
	v_add_f32_e32 v113, v38, v113
	v_add_f32_e32 v38, v38, v39
	;; [unrolled: 1-line block ×3, first 2 shown]
	v_rcp_f32_e32 v129, v119
	v_sub_f32_e32 v39, v114, v119
	v_add_f32_e32 v128, v38, v39
	v_add_f32_e32 v39, v112, v113
	v_mul_f32_e32 v131, v39, v129
	v_sub_f32_e32 v38, v112, v39
	v_mul_f32_e32 v112, v119, v131
	v_fma_f32 v114, v131, v119, -v112
	v_fmac_f32_e32 v114, v131, v128
	v_add_f32_e32 v130, v113, v38
	v_add_f32_e32 v38, v112, v114
	v_sub_f32_e32 v113, v39, v38
	v_pk_add_f32 v[116:117], v[38:39], v[112:113] neg_lo:[0,1] neg_hi:[0,1]
	v_mov_b32_e32 v115, v38
	v_pk_add_f32 v[38:39], v[116:117], v[114:115] neg_lo:[0,1] neg_hi:[0,1]
	v_cmp_eq_f32_e32 vcc, s64, v134
	v_add_f32_e32 v39, v130, v39
	v_add_f32_e32 v38, v38, v39
	;; [unrolled: 1-line block ×3, first 2 shown]
	v_mul_f32_e32 v130, v129, v39
	v_mul_f32_e32 v112, v119, v130
	v_fma_f32 v114, v130, v119, -v112
	v_fmac_f32_e32 v114, v130, v128
	v_sub_f32_e32 v113, v113, v39
	v_add_f32_e32 v119, v38, v113
	v_add_f32_e32 v38, v112, v114
	v_sub_f32_e32 v113, v39, v38
	v_pk_add_f32 v[116:117], v[38:39], v[112:113] neg_lo:[0,1] neg_hi:[0,1]
	v_mov_b32_e32 v115, v38
	v_pk_add_f32 v[38:39], v[116:117], v[114:115] neg_lo:[0,1] neg_hi:[0,1]
	v_cvt_f32_i32_e32 v112, v118
	v_add_f32_e32 v39, v119, v39
	v_add_f32_e32 v38, v38, v39
	;; [unrolled: 1-line block ×4, first 2 shown]
	v_sub_f32_e32 v39, v113, v131
	v_mul_f32_e32 v38, v129, v38
	v_sub_f32_e32 v39, v130, v39
	v_add_f32_e32 v38, v39, v38
	v_add_f32_e32 v114, v113, v38
	v_mul_f32_e32 v116, v114, v114
	v_mov_b32_e32 v39, 0x3ecc95a3
	v_sub_f32_e32 v113, v114, v113
	v_fmac_f32_e32 v39, 0x3e9b6dac, v116
	v_sub_f32_e32 v38, v38, v113
	v_fmaak_f32 v39, v116, v39, 0x3f2aaada
	v_ldexp_f32 v117, v38, 1
	v_mul_f32_e32 v113, v114, v116
	v_mov_b32_e32 v38, 0x3f317218
	v_pk_mul_f32 v[38:39], v[112:113], v[38:39]
	v_ldexp_f32 v115, v114, 1
	v_fma_f32 v113, v112, s13, -v38
	v_fmamk_f32 v114, v112, 0xb102e308, v113
	v_pk_add_f32 v[112:113], v[38:39], v[114:115]
	v_mov_b32_e32 v116, v38
	v_sub_f32_e32 v115, v113, v115
	v_sub_f32_e32 v115, v39, v115
	v_add_f32_e32 v117, v117, v115
	v_pk_add_f32 v[38:39], v[112:113], v[38:39] neg_lo:[0,1] neg_hi:[0,1]
	v_pk_add_f32 v[118:119], v[112:113], v[116:117]
	v_mov_b32_e32 v115, v112
	v_mov_b32_e32 v39, v119
	v_pk_add_f32 v[128:129], v[114:115], v[38:39] neg_lo:[0,1] neg_hi:[0,1]
	v_pk_add_f32 v[38:39], v[114:115], v[38:39]
	v_mov_b32_e32 v116, v117
	v_mov_b32_e32 v114, v39
	v_pk_add_f32 v[130:131], v[114:115], v[112:113] neg_lo:[0,1] neg_hi:[0,1]
	v_mov_b32_e32 v38, v119
	v_mov_b32_e32 v115, v130
	v_pk_add_f32 v[132:133], v[118:119], v[114:115] neg_lo:[0,1] neg_hi:[0,1]
	v_mov_b32_e32 v118, v113
	v_mov_b32_e32 v119, v130
	;; [unrolled: 1-line block ×3, first 2 shown]
	v_pk_add_f32 v[38:39], v[38:39], v[118:119] neg_lo:[0,1] neg_hi:[0,1]
	v_mov_b32_e32 v117, v112
	v_pk_add_f32 v[38:39], v[116:117], v[38:39] neg_lo:[0,1] neg_hi:[0,1]
	v_mov_b32_e32 v132, v128
	v_pk_add_f32 v[112:113], v[132:133], v[38:39]
	s_mov_b32 s13, 0x33800000
	v_mov_b32_e32 v116, v113
	v_pk_add_f32 v[116:117], v[112:113], v[116:117]
	v_cmp_lt_f32_e64 s[64:65], |v134|, s13
	v_pk_add_f32 v[114:115], v[114:115], v[116:117]
	v_mov_b32_e32 v39, v116
	v_mov_b32_e32 v113, v114
	v_pk_add_f32 v[118:119], v[112:113], v[128:129] neg_lo:[0,1] neg_hi:[0,1]
	s_or_b64 vcc, vcc, s[64:65]
	v_sub_f32_e32 v112, v112, v118
	v_pk_add_f32 v[38:39], v[38:39], v[118:119] neg_lo:[0,1] neg_hi:[0,1]
	v_sub_f32_e32 v112, v128, v112
	v_add_f32_e32 v38, v38, v112
	v_add_f32_e32 v38, v38, v39
	v_add_f32_e32 v38, v114, v38
	v_cndmask_b32_e32 v38, v38, v134, vcc
	v_add_f32_e32 v37, v37, v38
	v_cvt_f16_f32_e32 v38, v37
.LBB360_153:
	s_or_b64 exec, exec, s[56:57]
	v_and_b32_e32 v37, 0xffff, v38
	v_mov_b32_e32 v132, v38
.LBB360_154:
	s_or_b64 exec, exec, s[62:63]
	v_cmp_gt_u32_e32 vcc, 60, v100
	v_add_u32_e32 v113, 4, v100
	s_waitcnt lgkmcnt(0)
	v_cndmask_b32_e64 v38, 0, 1, vcc
	v_lshlrev_b32_e32 v38, 2, v38
	v_add_lshl_u32 v112, v38, v33, 2
	ds_bpermute_b32 v38, v112, v37
	v_cmp_le_u32_e32 vcc, v113, v36
	s_and_saveexec_b64 s[62:63], vcc
	s_cbranch_execz .LBB360_158
; %bb.155:
	s_waitcnt lgkmcnt(0)
	v_cvt_f32_f16_e32 v37, v38
	v_cvt_f32_f16_e32 v114, v132
	v_cmp_u_f16_e32 vcc, v38, v38
	v_cmp_u_f16_e64 s[56:57], v132, v132
	s_movk_i32 s13, 0x1f8
	v_min_f32_e32 v39, v37, v114
	v_max_f32_e32 v115, v37, v114
	v_cndmask_b32_e32 v39, v39, v37, vcc
	v_cndmask_b32_e32 v37, v115, v37, vcc
	v_cndmask_b32_e64 v39, v39, v114, s[56:57]
	v_cndmask_b32_e64 v37, v37, v114, s[56:57]
	v_cmp_neq_f32_e32 vcc, v39, v37
	v_cmp_class_f32_e64 s[56:57], v39, s13
	s_or_b64 vcc, vcc, s[56:57]
	s_and_saveexec_b64 s[56:57], vcc
	s_cbranch_execz .LBB360_157
; %bb.156:
	v_sub_f32_e32 v38, v39, v37
	s_mov_b32 s13, 0x3fb8aa3b
	v_mul_f32_e32 v39, 0x3fb8aa3b, v38
	v_fma_f32 v114, v38, s13, -v39
	v_rndne_f32_e32 v115, v39
	v_fmamk_f32 v114, v38, 0x32a5705f, v114
	v_sub_f32_e32 v39, v39, v115
	v_add_f32_e32 v39, v39, v114
	v_exp_f32_e32 v39, v39
	v_cvt_i32_f32_e32 v114, v115
	s_mov_b32 s13, 0xc2ce8ed0
	v_cmp_ngt_f32_e32 vcc, s13, v38
	s_mov_b32 s13, 0x42b17218
	v_ldexp_f32 v39, v39, v114
	v_cndmask_b32_e32 v39, 0, v39, vcc
	v_mov_b32_e32 v114, 0x7f800000
	v_cmp_nlt_f32_e32 vcc, s13, v38
	s_mov_b32 s13, 0x3f2aaaab
	s_mov_b32 s64, 0x7f800000
	v_cndmask_b32_e32 v144, v114, v39, vcc
	v_add_f32_e32 v114, 1.0, v144
	v_add_f32_e32 v38, -1.0, v114
	v_sub_f32_e32 v39, v38, v114
	v_add_f32_e32 v39, 1.0, v39
	v_sub_f32_e32 v38, v144, v38
	v_add_f32_e32 v115, v38, v39
	v_frexp_mant_f32_e32 v116, v114
	v_cvt_f64_f32_e32 v[38:39], v114
	v_frexp_exp_i32_f64_e32 v38, v[38:39]
	v_cmp_gt_f32_e32 vcc, s13, v116
	s_mov_b32 s13, 0x3f317218
	s_nop 0
	v_subbrev_co_u32_e32 v128, vcc, 0, v38, vcc
	v_sub_u32_e32 v38, 0, v128
	v_ldexp_f32 v39, v114, v38
	v_add_f32_e32 v114, -1.0, v39
	v_add_f32_e32 v116, 1.0, v39
	v_ldexp_f32 v38, v115, v38
	v_add_f32_e32 v115, 1.0, v114
	v_add_f32_e32 v117, -1.0, v116
	v_sub_f32_e32 v115, v39, v115
	v_sub_f32_e32 v39, v39, v117
	v_add_f32_e32 v115, v38, v115
	v_add_f32_e32 v38, v38, v39
	;; [unrolled: 1-line block ×3, first 2 shown]
	v_rcp_f32_e32 v131, v129
	v_sub_f32_e32 v39, v116, v129
	v_add_f32_e32 v130, v38, v39
	v_add_f32_e32 v39, v114, v115
	v_mul_f32_e32 v133, v39, v131
	v_sub_f32_e32 v38, v114, v39
	v_mul_f32_e32 v114, v129, v133
	v_fma_f32 v116, v133, v129, -v114
	v_fmac_f32_e32 v116, v133, v130
	v_add_f32_e32 v132, v115, v38
	v_add_f32_e32 v38, v114, v116
	v_sub_f32_e32 v115, v39, v38
	v_pk_add_f32 v[118:119], v[38:39], v[114:115] neg_lo:[0,1] neg_hi:[0,1]
	v_mov_b32_e32 v117, v38
	v_pk_add_f32 v[38:39], v[118:119], v[116:117] neg_lo:[0,1] neg_hi:[0,1]
	v_cmp_eq_f32_e32 vcc, s64, v144
	v_add_f32_e32 v39, v132, v39
	v_add_f32_e32 v38, v38, v39
	;; [unrolled: 1-line block ×3, first 2 shown]
	v_mul_f32_e32 v132, v131, v39
	v_mul_f32_e32 v114, v129, v132
	v_fma_f32 v116, v132, v129, -v114
	v_fmac_f32_e32 v116, v132, v130
	v_sub_f32_e32 v115, v115, v39
	v_add_f32_e32 v129, v38, v115
	v_add_f32_e32 v38, v114, v116
	v_sub_f32_e32 v115, v39, v38
	v_pk_add_f32 v[118:119], v[38:39], v[114:115] neg_lo:[0,1] neg_hi:[0,1]
	v_mov_b32_e32 v117, v38
	v_pk_add_f32 v[38:39], v[118:119], v[116:117] neg_lo:[0,1] neg_hi:[0,1]
	v_cvt_f32_i32_e32 v114, v128
	v_add_f32_e32 v39, v129, v39
	v_add_f32_e32 v38, v38, v39
	;; [unrolled: 1-line block ×4, first 2 shown]
	v_sub_f32_e32 v39, v115, v133
	v_mul_f32_e32 v38, v131, v38
	v_sub_f32_e32 v39, v132, v39
	v_add_f32_e32 v38, v39, v38
	v_add_f32_e32 v116, v115, v38
	v_mul_f32_e32 v118, v116, v116
	v_mov_b32_e32 v39, 0x3ecc95a3
	v_sub_f32_e32 v115, v116, v115
	v_fmac_f32_e32 v39, 0x3e9b6dac, v118
	v_sub_f32_e32 v38, v38, v115
	v_fmaak_f32 v39, v118, v39, 0x3f2aaada
	v_ldexp_f32 v119, v38, 1
	v_mul_f32_e32 v115, v116, v118
	v_mov_b32_e32 v38, 0x3f317218
	v_pk_mul_f32 v[38:39], v[114:115], v[38:39]
	v_ldexp_f32 v117, v116, 1
	v_fma_f32 v115, v114, s13, -v38
	v_fmamk_f32 v116, v114, 0xb102e308, v115
	v_pk_add_f32 v[114:115], v[38:39], v[116:117]
	v_mov_b32_e32 v118, v38
	v_sub_f32_e32 v117, v115, v117
	v_sub_f32_e32 v117, v39, v117
	v_add_f32_e32 v119, v119, v117
	v_pk_add_f32 v[38:39], v[114:115], v[38:39] neg_lo:[0,1] neg_hi:[0,1]
	v_pk_add_f32 v[128:129], v[114:115], v[118:119]
	v_mov_b32_e32 v117, v114
	v_mov_b32_e32 v39, v129
	v_pk_add_f32 v[130:131], v[116:117], v[38:39] neg_lo:[0,1] neg_hi:[0,1]
	v_pk_add_f32 v[38:39], v[116:117], v[38:39]
	v_mov_b32_e32 v118, v119
	v_mov_b32_e32 v116, v39
	v_pk_add_f32 v[132:133], v[116:117], v[114:115] neg_lo:[0,1] neg_hi:[0,1]
	v_mov_b32_e32 v38, v129
	v_mov_b32_e32 v117, v132
	v_pk_add_f32 v[134:135], v[128:129], v[116:117] neg_lo:[0,1] neg_hi:[0,1]
	v_mov_b32_e32 v128, v115
	v_mov_b32_e32 v129, v132
	;; [unrolled: 1-line block ×3, first 2 shown]
	v_pk_add_f32 v[38:39], v[38:39], v[128:129] neg_lo:[0,1] neg_hi:[0,1]
	v_mov_b32_e32 v119, v114
	v_pk_add_f32 v[38:39], v[118:119], v[38:39] neg_lo:[0,1] neg_hi:[0,1]
	v_mov_b32_e32 v134, v130
	v_pk_add_f32 v[114:115], v[134:135], v[38:39]
	s_mov_b32 s13, 0x33800000
	v_mov_b32_e32 v118, v115
	v_pk_add_f32 v[118:119], v[114:115], v[118:119]
	v_cmp_lt_f32_e64 s[64:65], |v144|, s13
	v_pk_add_f32 v[116:117], v[116:117], v[118:119]
	v_mov_b32_e32 v39, v118
	v_mov_b32_e32 v115, v116
	v_pk_add_f32 v[128:129], v[114:115], v[130:131] neg_lo:[0,1] neg_hi:[0,1]
	s_or_b64 vcc, vcc, s[64:65]
	v_sub_f32_e32 v114, v114, v128
	v_pk_add_f32 v[38:39], v[38:39], v[128:129] neg_lo:[0,1] neg_hi:[0,1]
	v_sub_f32_e32 v114, v130, v114
	v_add_f32_e32 v38, v38, v114
	v_add_f32_e32 v38, v38, v39
	;; [unrolled: 1-line block ×3, first 2 shown]
	v_cndmask_b32_e32 v38, v38, v144, vcc
	v_add_f32_e32 v37, v37, v38
	v_cvt_f16_f32_e32 v38, v37
.LBB360_157:
	s_or_b64 exec, exec, s[56:57]
	v_and_b32_e32 v37, 0xffff, v38
	v_mov_b32_e32 v132, v38
.LBB360_158:
	s_or_b64 exec, exec, s[62:63]
	v_cmp_gt_u32_e32 vcc, 56, v100
	v_add_u32_e32 v115, 8, v100
	s_waitcnt lgkmcnt(0)
	v_cndmask_b32_e64 v38, 0, 1, vcc
	v_lshlrev_b32_e32 v38, 3, v38
	v_add_lshl_u32 v114, v38, v33, 2
	ds_bpermute_b32 v38, v114, v37
	v_cmp_le_u32_e32 vcc, v115, v36
	s_and_saveexec_b64 s[62:63], vcc
	s_cbranch_execz .LBB360_162
; %bb.159:
	s_waitcnt lgkmcnt(0)
	v_cvt_f32_f16_e32 v37, v38
	v_cvt_f32_f16_e32 v116, v132
	v_cmp_u_f16_e32 vcc, v38, v38
	v_cmp_u_f16_e64 s[56:57], v132, v132
	s_movk_i32 s13, 0x1f8
	v_min_f32_e32 v39, v37, v116
	v_max_f32_e32 v117, v37, v116
	v_cndmask_b32_e32 v39, v39, v37, vcc
	v_cndmask_b32_e32 v37, v117, v37, vcc
	v_cndmask_b32_e64 v39, v39, v116, s[56:57]
	v_cndmask_b32_e64 v37, v37, v116, s[56:57]
	v_cmp_neq_f32_e32 vcc, v39, v37
	v_cmp_class_f32_e64 s[56:57], v39, s13
	s_or_b64 vcc, vcc, s[56:57]
	s_and_saveexec_b64 s[56:57], vcc
	s_cbranch_execz .LBB360_161
; %bb.160:
	v_sub_f32_e32 v38, v39, v37
	s_mov_b32 s13, 0x3fb8aa3b
	v_mul_f32_e32 v39, 0x3fb8aa3b, v38
	v_fma_f32 v116, v38, s13, -v39
	v_rndne_f32_e32 v117, v39
	v_fmamk_f32 v116, v38, 0x32a5705f, v116
	v_sub_f32_e32 v39, v39, v117
	v_add_f32_e32 v39, v39, v116
	v_exp_f32_e32 v39, v39
	v_cvt_i32_f32_e32 v116, v117
	s_mov_b32 s13, 0xc2ce8ed0
	v_cmp_ngt_f32_e32 vcc, s13, v38
	s_mov_b32 s13, 0x42b17218
	v_ldexp_f32 v39, v39, v116
	v_cndmask_b32_e32 v39, 0, v39, vcc
	v_mov_b32_e32 v116, 0x7f800000
	v_cmp_nlt_f32_e32 vcc, s13, v38
	s_mov_b32 s13, 0x3f2aaaab
	s_mov_b32 s64, 0x7f800000
	v_cndmask_b32_e32 v146, v116, v39, vcc
	v_add_f32_e32 v116, 1.0, v146
	v_add_f32_e32 v38, -1.0, v116
	v_sub_f32_e32 v39, v38, v116
	v_add_f32_e32 v39, 1.0, v39
	v_sub_f32_e32 v38, v146, v38
	v_add_f32_e32 v117, v38, v39
	v_frexp_mant_f32_e32 v118, v116
	v_cvt_f64_f32_e32 v[38:39], v116
	v_frexp_exp_i32_f64_e32 v38, v[38:39]
	v_cmp_gt_f32_e32 vcc, s13, v118
	s_mov_b32 s13, 0x3f317218
	s_nop 0
	v_subbrev_co_u32_e32 v130, vcc, 0, v38, vcc
	v_sub_u32_e32 v38, 0, v130
	v_ldexp_f32 v39, v116, v38
	v_add_f32_e32 v116, -1.0, v39
	v_add_f32_e32 v118, 1.0, v39
	v_ldexp_f32 v38, v117, v38
	v_add_f32_e32 v117, 1.0, v116
	v_add_f32_e32 v119, -1.0, v118
	v_sub_f32_e32 v117, v39, v117
	v_sub_f32_e32 v39, v39, v119
	v_add_f32_e32 v117, v38, v117
	v_add_f32_e32 v38, v38, v39
	v_add_f32_e32 v131, v118, v38
	v_rcp_f32_e32 v133, v131
	v_sub_f32_e32 v39, v118, v131
	v_add_f32_e32 v132, v38, v39
	v_add_f32_e32 v39, v116, v117
	v_mul_f32_e32 v135, v39, v133
	v_sub_f32_e32 v38, v116, v39
	v_mul_f32_e32 v116, v131, v135
	v_fma_f32 v118, v135, v131, -v116
	v_fmac_f32_e32 v118, v135, v132
	v_add_f32_e32 v134, v117, v38
	v_add_f32_e32 v38, v116, v118
	v_sub_f32_e32 v117, v39, v38
	v_pk_add_f32 v[128:129], v[38:39], v[116:117] neg_lo:[0,1] neg_hi:[0,1]
	v_mov_b32_e32 v119, v38
	v_pk_add_f32 v[38:39], v[128:129], v[118:119] neg_lo:[0,1] neg_hi:[0,1]
	v_cmp_eq_f32_e32 vcc, s64, v146
	v_add_f32_e32 v39, v134, v39
	v_add_f32_e32 v38, v38, v39
	;; [unrolled: 1-line block ×3, first 2 shown]
	v_mul_f32_e32 v134, v133, v39
	v_mul_f32_e32 v116, v131, v134
	v_fma_f32 v118, v134, v131, -v116
	v_fmac_f32_e32 v118, v134, v132
	v_sub_f32_e32 v117, v117, v39
	v_add_f32_e32 v131, v38, v117
	v_add_f32_e32 v38, v116, v118
	v_sub_f32_e32 v117, v39, v38
	v_pk_add_f32 v[128:129], v[38:39], v[116:117] neg_lo:[0,1] neg_hi:[0,1]
	v_mov_b32_e32 v119, v38
	v_pk_add_f32 v[38:39], v[128:129], v[118:119] neg_lo:[0,1] neg_hi:[0,1]
	v_cvt_f32_i32_e32 v116, v130
	v_add_f32_e32 v39, v131, v39
	v_add_f32_e32 v38, v38, v39
	;; [unrolled: 1-line block ×4, first 2 shown]
	v_sub_f32_e32 v39, v117, v135
	v_mul_f32_e32 v38, v133, v38
	v_sub_f32_e32 v39, v134, v39
	v_add_f32_e32 v38, v39, v38
	v_add_f32_e32 v118, v117, v38
	v_mul_f32_e32 v128, v118, v118
	v_mov_b32_e32 v39, 0x3ecc95a3
	v_sub_f32_e32 v117, v118, v117
	v_fmac_f32_e32 v39, 0x3e9b6dac, v128
	v_sub_f32_e32 v38, v38, v117
	v_fmaak_f32 v39, v128, v39, 0x3f2aaada
	v_ldexp_f32 v129, v38, 1
	v_mul_f32_e32 v117, v118, v128
	v_mov_b32_e32 v38, 0x3f317218
	v_pk_mul_f32 v[38:39], v[116:117], v[38:39]
	v_ldexp_f32 v119, v118, 1
	v_fma_f32 v117, v116, s13, -v38
	v_fmamk_f32 v118, v116, 0xb102e308, v117
	v_pk_add_f32 v[116:117], v[38:39], v[118:119]
	v_mov_b32_e32 v128, v38
	v_sub_f32_e32 v119, v117, v119
	v_sub_f32_e32 v119, v39, v119
	v_add_f32_e32 v129, v129, v119
	v_pk_add_f32 v[38:39], v[116:117], v[38:39] neg_lo:[0,1] neg_hi:[0,1]
	v_pk_add_f32 v[130:131], v[116:117], v[128:129]
	v_mov_b32_e32 v119, v116
	v_mov_b32_e32 v39, v131
	v_pk_add_f32 v[132:133], v[118:119], v[38:39] neg_lo:[0,1] neg_hi:[0,1]
	v_pk_add_f32 v[38:39], v[118:119], v[38:39]
	v_mov_b32_e32 v128, v129
	v_mov_b32_e32 v118, v39
	v_pk_add_f32 v[134:135], v[118:119], v[116:117] neg_lo:[0,1] neg_hi:[0,1]
	v_mov_b32_e32 v38, v131
	v_mov_b32_e32 v119, v134
	v_pk_add_f32 v[144:145], v[130:131], v[118:119] neg_lo:[0,1] neg_hi:[0,1]
	v_mov_b32_e32 v130, v117
	v_mov_b32_e32 v131, v134
	;; [unrolled: 1-line block ×3, first 2 shown]
	v_pk_add_f32 v[38:39], v[38:39], v[130:131] neg_lo:[0,1] neg_hi:[0,1]
	v_mov_b32_e32 v129, v116
	v_pk_add_f32 v[38:39], v[128:129], v[38:39] neg_lo:[0,1] neg_hi:[0,1]
	v_mov_b32_e32 v144, v132
	v_pk_add_f32 v[116:117], v[144:145], v[38:39]
	s_mov_b32 s13, 0x33800000
	v_mov_b32_e32 v128, v117
	v_pk_add_f32 v[128:129], v[116:117], v[128:129]
	v_cmp_lt_f32_e64 s[64:65], |v146|, s13
	v_pk_add_f32 v[118:119], v[118:119], v[128:129]
	v_mov_b32_e32 v39, v128
	v_mov_b32_e32 v117, v118
	v_pk_add_f32 v[130:131], v[116:117], v[132:133] neg_lo:[0,1] neg_hi:[0,1]
	s_or_b64 vcc, vcc, s[64:65]
	v_sub_f32_e32 v116, v116, v130
	v_pk_add_f32 v[38:39], v[38:39], v[130:131] neg_lo:[0,1] neg_hi:[0,1]
	v_sub_f32_e32 v116, v132, v116
	v_add_f32_e32 v38, v38, v116
	v_add_f32_e32 v38, v38, v39
	;; [unrolled: 1-line block ×3, first 2 shown]
	v_cndmask_b32_e32 v38, v38, v146, vcc
	v_add_f32_e32 v37, v37, v38
	v_cvt_f16_f32_e32 v38, v37
.LBB360_161:
	s_or_b64 exec, exec, s[56:57]
	v_and_b32_e32 v37, 0xffff, v38
	v_mov_b32_e32 v132, v38
.LBB360_162:
	s_or_b64 exec, exec, s[62:63]
	v_cmp_gt_u32_e32 vcc, 48, v100
	v_add_u32_e32 v117, 16, v100
	s_waitcnt lgkmcnt(0)
	v_cndmask_b32_e64 v38, 0, 1, vcc
	v_lshlrev_b32_e32 v38, 4, v38
	v_add_lshl_u32 v116, v38, v33, 2
	ds_bpermute_b32 v38, v116, v37
	v_cmp_le_u32_e32 vcc, v117, v36
	s_and_saveexec_b64 s[62:63], vcc
	s_cbranch_execz .LBB360_166
; %bb.163:
	s_waitcnt lgkmcnt(0)
	v_cvt_f32_f16_e32 v37, v38
	v_cvt_f32_f16_e32 v118, v132
	v_cmp_u_f16_e32 vcc, v38, v38
	v_cmp_u_f16_e64 s[56:57], v132, v132
	s_movk_i32 s13, 0x1f8
	v_min_f32_e32 v39, v37, v118
	v_max_f32_e32 v119, v37, v118
	v_cndmask_b32_e32 v39, v39, v37, vcc
	v_cndmask_b32_e32 v37, v119, v37, vcc
	v_cndmask_b32_e64 v39, v39, v118, s[56:57]
	v_cndmask_b32_e64 v37, v37, v118, s[56:57]
	v_cmp_neq_f32_e32 vcc, v39, v37
	v_cmp_class_f32_e64 s[56:57], v39, s13
	s_or_b64 vcc, vcc, s[56:57]
	s_and_saveexec_b64 s[56:57], vcc
	s_cbranch_execz .LBB360_165
; %bb.164:
	v_sub_f32_e32 v38, v39, v37
	s_mov_b32 s13, 0x3fb8aa3b
	v_mul_f32_e32 v39, 0x3fb8aa3b, v38
	v_fma_f32 v118, v38, s13, -v39
	v_rndne_f32_e32 v119, v39
	v_fmamk_f32 v118, v38, 0x32a5705f, v118
	v_sub_f32_e32 v39, v39, v119
	v_add_f32_e32 v39, v39, v118
	v_exp_f32_e32 v39, v39
	v_cvt_i32_f32_e32 v118, v119
	s_mov_b32 s13, 0xc2ce8ed0
	v_cmp_ngt_f32_e32 vcc, s13, v38
	s_mov_b32 s13, 0x42b17218
	v_ldexp_f32 v39, v39, v118
	v_cndmask_b32_e32 v39, 0, v39, vcc
	v_mov_b32_e32 v118, 0x7f800000
	v_cmp_nlt_f32_e32 vcc, s13, v38
	s_mov_b32 s13, 0x3f2aaaab
	s_mov_b32 s64, 0x7f800000
	v_cndmask_b32_e32 v148, v118, v39, vcc
	v_add_f32_e32 v118, 1.0, v148
	v_add_f32_e32 v38, -1.0, v118
	v_sub_f32_e32 v39, v38, v118
	v_add_f32_e32 v39, 1.0, v39
	v_sub_f32_e32 v38, v148, v38
	v_add_f32_e32 v119, v38, v39
	v_frexp_mant_f32_e32 v128, v118
	v_cvt_f64_f32_e32 v[38:39], v118
	v_frexp_exp_i32_f64_e32 v38, v[38:39]
	v_cmp_gt_f32_e32 vcc, s13, v128
	s_mov_b32 s13, 0x3f317218
	s_nop 0
	v_subbrev_co_u32_e32 v132, vcc, 0, v38, vcc
	v_sub_u32_e32 v38, 0, v132
	v_ldexp_f32 v39, v118, v38
	v_add_f32_e32 v118, -1.0, v39
	v_add_f32_e32 v128, 1.0, v39
	v_ldexp_f32 v38, v119, v38
	v_add_f32_e32 v119, 1.0, v118
	v_add_f32_e32 v129, -1.0, v128
	v_sub_f32_e32 v119, v39, v119
	v_sub_f32_e32 v39, v39, v129
	v_add_f32_e32 v119, v38, v119
	v_add_f32_e32 v38, v38, v39
	;; [unrolled: 1-line block ×3, first 2 shown]
	v_rcp_f32_e32 v135, v133
	v_sub_f32_e32 v39, v128, v133
	v_add_f32_e32 v134, v38, v39
	v_add_f32_e32 v39, v118, v119
	v_mul_f32_e32 v145, v39, v135
	v_sub_f32_e32 v38, v118, v39
	v_mul_f32_e32 v118, v133, v145
	v_fma_f32 v128, v145, v133, -v118
	v_fmac_f32_e32 v128, v145, v134
	v_add_f32_e32 v144, v119, v38
	v_add_f32_e32 v38, v118, v128
	v_sub_f32_e32 v119, v39, v38
	v_pk_add_f32 v[130:131], v[38:39], v[118:119] neg_lo:[0,1] neg_hi:[0,1]
	v_mov_b32_e32 v129, v38
	v_pk_add_f32 v[38:39], v[130:131], v[128:129] neg_lo:[0,1] neg_hi:[0,1]
	v_cmp_eq_f32_e32 vcc, s64, v148
	v_add_f32_e32 v39, v144, v39
	v_add_f32_e32 v38, v38, v39
	;; [unrolled: 1-line block ×3, first 2 shown]
	v_mul_f32_e32 v144, v135, v39
	v_mul_f32_e32 v118, v133, v144
	v_fma_f32 v128, v144, v133, -v118
	v_fmac_f32_e32 v128, v144, v134
	v_sub_f32_e32 v119, v119, v39
	v_add_f32_e32 v133, v38, v119
	v_add_f32_e32 v38, v118, v128
	v_sub_f32_e32 v119, v39, v38
	v_pk_add_f32 v[130:131], v[38:39], v[118:119] neg_lo:[0,1] neg_hi:[0,1]
	v_mov_b32_e32 v129, v38
	v_pk_add_f32 v[38:39], v[130:131], v[128:129] neg_lo:[0,1] neg_hi:[0,1]
	v_cvt_f32_i32_e32 v118, v132
	v_add_f32_e32 v39, v133, v39
	v_add_f32_e32 v38, v38, v39
	;; [unrolled: 1-line block ×4, first 2 shown]
	v_sub_f32_e32 v39, v119, v145
	v_mul_f32_e32 v38, v135, v38
	v_sub_f32_e32 v39, v144, v39
	v_add_f32_e32 v38, v39, v38
	v_add_f32_e32 v128, v119, v38
	v_mul_f32_e32 v130, v128, v128
	v_mov_b32_e32 v39, 0x3ecc95a3
	v_sub_f32_e32 v119, v128, v119
	v_fmac_f32_e32 v39, 0x3e9b6dac, v130
	v_sub_f32_e32 v38, v38, v119
	v_fmaak_f32 v39, v130, v39, 0x3f2aaada
	v_ldexp_f32 v131, v38, 1
	v_mul_f32_e32 v119, v128, v130
	v_mov_b32_e32 v38, 0x3f317218
	v_pk_mul_f32 v[38:39], v[118:119], v[38:39]
	v_ldexp_f32 v129, v128, 1
	v_fma_f32 v119, v118, s13, -v38
	v_fmamk_f32 v128, v118, 0xb102e308, v119
	v_pk_add_f32 v[118:119], v[38:39], v[128:129]
	v_mov_b32_e32 v130, v38
	v_sub_f32_e32 v129, v119, v129
	v_sub_f32_e32 v129, v39, v129
	v_add_f32_e32 v131, v131, v129
	v_pk_add_f32 v[38:39], v[118:119], v[38:39] neg_lo:[0,1] neg_hi:[0,1]
	v_pk_add_f32 v[132:133], v[118:119], v[130:131]
	v_mov_b32_e32 v129, v118
	v_mov_b32_e32 v39, v133
	v_pk_add_f32 v[134:135], v[128:129], v[38:39] neg_lo:[0,1] neg_hi:[0,1]
	v_pk_add_f32 v[38:39], v[128:129], v[38:39]
	v_mov_b32_e32 v130, v131
	v_mov_b32_e32 v128, v39
	v_pk_add_f32 v[144:145], v[128:129], v[118:119] neg_lo:[0,1] neg_hi:[0,1]
	v_mov_b32_e32 v38, v133
	v_mov_b32_e32 v129, v144
	v_pk_add_f32 v[146:147], v[132:133], v[128:129] neg_lo:[0,1] neg_hi:[0,1]
	v_mov_b32_e32 v132, v119
	v_mov_b32_e32 v133, v144
	;; [unrolled: 1-line block ×3, first 2 shown]
	v_pk_add_f32 v[38:39], v[38:39], v[132:133] neg_lo:[0,1] neg_hi:[0,1]
	v_mov_b32_e32 v131, v118
	v_pk_add_f32 v[38:39], v[130:131], v[38:39] neg_lo:[0,1] neg_hi:[0,1]
	v_mov_b32_e32 v146, v134
	v_pk_add_f32 v[118:119], v[146:147], v[38:39]
	s_mov_b32 s13, 0x33800000
	v_mov_b32_e32 v130, v119
	v_pk_add_f32 v[130:131], v[118:119], v[130:131]
	v_cmp_lt_f32_e64 s[64:65], |v148|, s13
	v_pk_add_f32 v[128:129], v[128:129], v[130:131]
	v_mov_b32_e32 v39, v130
	v_mov_b32_e32 v119, v128
	v_pk_add_f32 v[132:133], v[118:119], v[134:135] neg_lo:[0,1] neg_hi:[0,1]
	s_or_b64 vcc, vcc, s[64:65]
	v_sub_f32_e32 v118, v118, v132
	v_pk_add_f32 v[38:39], v[38:39], v[132:133] neg_lo:[0,1] neg_hi:[0,1]
	v_sub_f32_e32 v118, v134, v118
	v_add_f32_e32 v38, v38, v118
	v_add_f32_e32 v38, v38, v39
	;; [unrolled: 1-line block ×3, first 2 shown]
	v_cndmask_b32_e32 v38, v38, v148, vcc
	v_add_f32_e32 v37, v37, v38
	v_cvt_f16_f32_e32 v38, v37
.LBB360_165:
	s_or_b64 exec, exec, s[56:57]
	v_and_b32_e32 v37, 0xffff, v38
	v_mov_b32_e32 v132, v38
.LBB360_166:
	s_or_b64 exec, exec, s[62:63]
	v_cmp_gt_u32_e32 vcc, 32, v100
	v_add_u32_e32 v119, 32, v100
	s_waitcnt lgkmcnt(0)
	v_cndmask_b32_e64 v38, 0, 1, vcc
	v_lshlrev_b32_e32 v38, 5, v38
	v_add_lshl_u32 v118, v38, v33, 2
	ds_bpermute_b32 v37, v118, v37
	v_cmp_le_u32_e32 vcc, v119, v36
	s_and_saveexec_b64 s[62:63], vcc
	s_cbranch_execz .LBB360_170
; %bb.167:
	s_waitcnt lgkmcnt(0)
	v_cvt_f32_f16_e32 v33, v37
	v_cvt_f32_f16_e32 v38, v132
	v_cmp_u_f16_e32 vcc, v37, v37
	v_cmp_u_f16_e64 s[56:57], v132, v132
	s_movk_i32 s13, 0x1f8
	v_min_f32_e32 v36, v33, v38
	v_max_f32_e32 v39, v33, v38
	v_cndmask_b32_e32 v36, v36, v33, vcc
	v_cndmask_b32_e32 v33, v39, v33, vcc
	v_cndmask_b32_e64 v36, v36, v38, s[56:57]
	v_cndmask_b32_e64 v33, v33, v38, s[56:57]
	v_cmp_neq_f32_e32 vcc, v36, v33
	v_cmp_class_f32_e64 s[56:57], v36, s13
	s_or_b64 vcc, vcc, s[56:57]
	s_and_saveexec_b64 s[56:57], vcc
	s_cbranch_execz .LBB360_169
; %bb.168:
	v_sub_f32_e32 v36, v36, v33
	s_mov_b32 s13, 0x3fb8aa3b
	v_mul_f32_e32 v37, 0x3fb8aa3b, v36
	v_fma_f32 v38, v36, s13, -v37
	v_rndne_f32_e32 v39, v37
	v_fmamk_f32 v38, v36, 0x32a5705f, v38
	v_sub_f32_e32 v37, v37, v39
	v_add_f32_e32 v37, v37, v38
	v_exp_f32_e32 v37, v37
	v_cvt_i32_f32_e32 v38, v39
	s_mov_b32 s13, 0xc2ce8ed0
	v_cmp_ngt_f32_e32 vcc, s13, v36
	s_mov_b32 s13, 0x42b17218
	v_ldexp_f32 v37, v37, v38
	v_cndmask_b32_e32 v37, 0, v37, vcc
	v_mov_b32_e32 v38, 0x7f800000
	v_cmp_nlt_f32_e32 vcc, s13, v36
	s_mov_b32 s13, 0x3f2aaaab
	s_mov_b32 s64, 0x7f800000
	v_cndmask_b32_e32 v148, v38, v37, vcc
	v_add_f32_e32 v38, 1.0, v148
	v_add_f32_e32 v36, -1.0, v38
	v_sub_f32_e32 v37, v36, v38
	v_add_f32_e32 v37, 1.0, v37
	v_sub_f32_e32 v36, v148, v36
	v_add_f32_e32 v39, v36, v37
	v_frexp_mant_f32_e32 v128, v38
	v_cvt_f64_f32_e32 v[36:37], v38
	v_frexp_exp_i32_f64_e32 v36, v[36:37]
	v_cmp_gt_f32_e32 vcc, s13, v128
	s_mov_b32 s13, 0x3f317218
	s_nop 0
	v_subbrev_co_u32_e32 v132, vcc, 0, v36, vcc
	v_sub_u32_e32 v36, 0, v132
	v_ldexp_f32 v37, v38, v36
	v_add_f32_e32 v38, -1.0, v37
	v_add_f32_e32 v128, 1.0, v37
	v_ldexp_f32 v36, v39, v36
	v_add_f32_e32 v39, 1.0, v38
	v_add_f32_e32 v129, -1.0, v128
	v_sub_f32_e32 v39, v37, v39
	v_sub_f32_e32 v37, v37, v129
	v_add_f32_e32 v39, v36, v39
	v_add_f32_e32 v36, v36, v37
	;; [unrolled: 1-line block ×3, first 2 shown]
	v_rcp_f32_e32 v135, v133
	v_sub_f32_e32 v37, v128, v133
	v_add_f32_e32 v134, v36, v37
	v_add_f32_e32 v37, v38, v39
	v_mul_f32_e32 v145, v37, v135
	v_sub_f32_e32 v36, v38, v37
	v_mul_f32_e32 v38, v133, v145
	v_fma_f32 v128, v145, v133, -v38
	v_fmac_f32_e32 v128, v145, v134
	v_add_f32_e32 v144, v39, v36
	v_add_f32_e32 v36, v38, v128
	v_sub_f32_e32 v39, v37, v36
	v_pk_add_f32 v[130:131], v[36:37], v[38:39] neg_lo:[0,1] neg_hi:[0,1]
	v_mov_b32_e32 v129, v36
	v_pk_add_f32 v[36:37], v[130:131], v[128:129] neg_lo:[0,1] neg_hi:[0,1]
	v_cmp_eq_f32_e32 vcc, s64, v148
	v_add_f32_e32 v37, v144, v37
	v_add_f32_e32 v36, v36, v37
	;; [unrolled: 1-line block ×3, first 2 shown]
	v_mul_f32_e32 v144, v135, v37
	v_mul_f32_e32 v38, v133, v144
	v_fma_f32 v128, v144, v133, -v38
	v_fmac_f32_e32 v128, v144, v134
	v_sub_f32_e32 v39, v39, v37
	v_add_f32_e32 v133, v36, v39
	v_add_f32_e32 v36, v38, v128
	v_sub_f32_e32 v39, v37, v36
	v_pk_add_f32 v[130:131], v[36:37], v[38:39] neg_lo:[0,1] neg_hi:[0,1]
	v_mov_b32_e32 v129, v36
	v_pk_add_f32 v[36:37], v[130:131], v[128:129] neg_lo:[0,1] neg_hi:[0,1]
	v_cvt_f32_i32_e32 v38, v132
	v_add_f32_e32 v37, v133, v37
	v_add_f32_e32 v36, v36, v37
	;; [unrolled: 1-line block ×4, first 2 shown]
	v_sub_f32_e32 v37, v39, v145
	v_mul_f32_e32 v36, v135, v36
	v_sub_f32_e32 v37, v144, v37
	v_add_f32_e32 v36, v37, v36
	v_add_f32_e32 v128, v39, v36
	v_mul_f32_e32 v130, v128, v128
	v_mov_b32_e32 v37, 0x3ecc95a3
	v_sub_f32_e32 v39, v128, v39
	v_fmac_f32_e32 v37, 0x3e9b6dac, v130
	v_sub_f32_e32 v36, v36, v39
	v_fmaak_f32 v37, v130, v37, 0x3f2aaada
	v_ldexp_f32 v131, v36, 1
	v_mul_f32_e32 v39, v128, v130
	v_mov_b32_e32 v36, 0x3f317218
	v_pk_mul_f32 v[36:37], v[38:39], v[36:37]
	v_ldexp_f32 v129, v128, 1
	v_fma_f32 v39, v38, s13, -v36
	v_fmamk_f32 v128, v38, 0xb102e308, v39
	v_pk_add_f32 v[38:39], v[36:37], v[128:129]
	v_mov_b32_e32 v130, v36
	v_sub_f32_e32 v129, v39, v129
	v_sub_f32_e32 v129, v37, v129
	v_add_f32_e32 v131, v131, v129
	v_pk_add_f32 v[36:37], v[38:39], v[36:37] neg_lo:[0,1] neg_hi:[0,1]
	v_pk_add_f32 v[132:133], v[38:39], v[130:131]
	v_mov_b32_e32 v129, v38
	v_mov_b32_e32 v37, v133
	v_pk_add_f32 v[134:135], v[128:129], v[36:37] neg_lo:[0,1] neg_hi:[0,1]
	v_pk_add_f32 v[36:37], v[128:129], v[36:37]
	v_mov_b32_e32 v130, v131
	v_mov_b32_e32 v128, v37
	v_pk_add_f32 v[144:145], v[128:129], v[38:39] neg_lo:[0,1] neg_hi:[0,1]
	v_mov_b32_e32 v36, v133
	v_mov_b32_e32 v129, v144
	v_pk_add_f32 v[146:147], v[132:133], v[128:129] neg_lo:[0,1] neg_hi:[0,1]
	v_mov_b32_e32 v132, v39
	v_mov_b32_e32 v133, v144
	;; [unrolled: 1-line block ×3, first 2 shown]
	v_pk_add_f32 v[36:37], v[36:37], v[132:133] neg_lo:[0,1] neg_hi:[0,1]
	v_mov_b32_e32 v131, v38
	v_pk_add_f32 v[36:37], v[130:131], v[36:37] neg_lo:[0,1] neg_hi:[0,1]
	v_mov_b32_e32 v146, v134
	v_pk_add_f32 v[38:39], v[146:147], v[36:37]
	s_mov_b32 s13, 0x33800000
	v_mov_b32_e32 v130, v39
	v_pk_add_f32 v[130:131], v[38:39], v[130:131]
	v_cmp_lt_f32_e64 s[64:65], |v148|, s13
	v_pk_add_f32 v[128:129], v[128:129], v[130:131]
	v_mov_b32_e32 v37, v130
	v_mov_b32_e32 v39, v128
	v_pk_add_f32 v[132:133], v[38:39], v[134:135] neg_lo:[0,1] neg_hi:[0,1]
	s_or_b64 vcc, vcc, s[64:65]
	v_sub_f32_e32 v38, v38, v132
	v_pk_add_f32 v[36:37], v[36:37], v[132:133] neg_lo:[0,1] neg_hi:[0,1]
	v_sub_f32_e32 v38, v134, v38
	v_add_f32_e32 v36, v36, v38
	v_add_f32_e32 v36, v36, v37
	;; [unrolled: 1-line block ×3, first 2 shown]
	v_cndmask_b32_e32 v36, v36, v148, vcc
	v_add_f32_e32 v33, v33, v36
	v_cvt_f16_f32_e32 v37, v33
.LBB360_169:
	s_or_b64 exec, exec, s[56:57]
	v_mov_b32_e32 v132, v37
.LBB360_170:
	s_or_b64 exec, exec, s[62:63]
                                        ; implicit-def: $vgpr36
	v_mov_b32_e32 v33, 0
	s_movk_i32 s13, 0x1f8
	s_mov_b32 s64, 0x3fb8aa3b
	s_mov_b32 s65, 0xc2ce8ed0
	;; [unrolled: 1-line block ×5, first 2 shown]
	v_mov_b32_e32 v129, 0x3ecc95a3
	s_mov_b32 s69, 0x3f317218
	s_mov_b32 s70, 0x33800000
	v_mov_b32_e32 v130, 2
	v_mov_b32_e32 v131, 0x7f800000
	;; [unrolled: 1-line block ×3, first 2 shown]
	s_branch .LBB360_172
.LBB360_171:                            ;   in Loop: Header=BB360_172 Depth=1
	s_or_b64 exec, exec, s[56:57]
	v_subrev_u32_e32 v32, 64, v32
.LBB360_172:                            ; =>This Loop Header: Depth=1
                                        ;     Child Loop BB360_175 Depth 2
	v_cmp_ne_u16_sdwa vcc, v99, v130 src0_sel:BYTE_0 src1_sel:DWORD
	v_mov_b32_e32 v128, v132
	s_waitcnt lgkmcnt(0)
	v_cndmask_b32_e64 v37, 0, 1, vcc
	;;#ASMSTART
	;;#ASMEND
	s_nop 0
	v_cmp_ne_u32_e32 vcc, 0, v37
	s_cmp_lg_u64 vcc, exec
	s_cbranch_scc1 .LBB360_203
; %bb.173:                              ;   in Loop: Header=BB360_172 Depth=1
	v_lshl_add_u64 v[38:39], v[32:33], 2, v[28:29]
	flat_load_dword v132, v[38:39] sc1
	s_waitcnt vmcnt(0) lgkmcnt(0)
	v_lshrrev_b32_e32 v99, 16, v132
	v_cmp_eq_u16_sdwa s[56:57], v99, v33 src0_sel:BYTE_0 src1_sel:DWORD
	s_and_saveexec_b64 vcc, s[56:57]
	s_cbranch_execz .LBB360_177
; %bb.174:                              ;   in Loop: Header=BB360_172 Depth=1
	s_mov_b64 s[56:57], 0
.LBB360_175:                            ;   Parent Loop BB360_172 Depth=1
                                        ; =>  This Inner Loop Header: Depth=2
	flat_load_dword v132, v[38:39] sc1
	s_waitcnt vmcnt(0) lgkmcnt(0)
	v_lshrrev_b32_e32 v99, 16, v132
	v_cmp_ne_u16_sdwa s[62:63], v99, v33 src0_sel:BYTE_0 src1_sel:DWORD
	s_or_b64 s[56:57], s[62:63], s[56:57]
	s_andn2_b64 exec, exec, s[56:57]
	s_cbranch_execnz .LBB360_175
; %bb.176:                              ;   in Loop: Header=BB360_172 Depth=1
	s_or_b64 exec, exec, s[56:57]
.LBB360_177:                            ;   in Loop: Header=BB360_172 Depth=1
	s_or_b64 exec, exec, vcc
	v_cmp_eq_u16_sdwa vcc, v99, v130 src0_sel:BYTE_0 src1_sel:DWORD
	s_nop 1
	v_and_b32_e32 v37, vcc_hi, v35
	v_or_b32_e32 v37, 0x80000000, v37
	v_ffbl_b32_e32 v39, v37
	v_and_b32_e32 v37, 0xffff, v132
	ds_bpermute_b32 v133, v101, v37
	v_and_b32_e32 v38, vcc_lo, v34
	v_add_u32_e32 v39, 32, v39
	v_ffbl_b32_e32 v38, v38
	v_min_u32_e32 v38, v38, v39
	v_cmp_lt_u32_e32 vcc, v100, v38
	s_and_saveexec_b64 s[62:63], vcc
	s_cbranch_execz .LBB360_181
; %bb.178:                              ;   in Loop: Header=BB360_172 Depth=1
	s_waitcnt lgkmcnt(0)
	v_cvt_f32_f16_e32 v39, v133
	v_cvt_f32_f16_e32 v134, v132
	v_cmp_u_f16_e32 vcc, v133, v133
	v_cmp_u_f16_e64 s[56:57], v132, v132
	v_min_f32_e32 v37, v39, v134
	v_max_f32_e32 v132, v39, v134
	v_cndmask_b32_e32 v37, v37, v39, vcc
	v_cndmask_b32_e32 v39, v132, v39, vcc
	v_cndmask_b32_e64 v37, v37, v134, s[56:57]
	v_cndmask_b32_e64 v39, v39, v134, s[56:57]
	v_cmp_neq_f32_e32 vcc, v37, v39
	v_cmp_class_f32_e64 s[56:57], v37, s13
	s_or_b64 vcc, vcc, s[56:57]
	s_and_saveexec_b64 s[56:57], vcc
	s_cbranch_execz .LBB360_180
; %bb.179:                              ;   in Loop: Header=BB360_172 Depth=1
	v_sub_f32_e32 v37, v37, v39
	v_mul_f32_e32 v132, 0x3fb8aa3b, v37
	v_fma_f32 v133, v37, s64, -v132
	v_rndne_f32_e32 v134, v132
	v_fmac_f32_e32 v133, 0x32a5705f, v37
	v_sub_f32_e32 v132, v132, v134
	v_add_f32_e32 v132, v132, v133
	v_cvt_i32_f32_e32 v133, v134
	v_exp_f32_e32 v132, v132
	v_cmp_ngt_f32_e32 vcc, s65, v37
	v_ldexp_f32 v132, v132, v133
	s_nop 0
	v_cndmask_b32_e32 v132, 0, v132, vcc
	v_cmp_nlt_f32_e32 vcc, s66, v37
	s_nop 1
	v_cndmask_b32_e32 v164, v131, v132, vcc
	v_add_f32_e32 v37, 1.0, v164
	v_add_f32_e32 v132, -1.0, v37
	v_sub_f32_e32 v133, v132, v37
	v_add_f32_e32 v133, 1.0, v133
	v_sub_f32_e32 v132, v164, v132
	v_add_f32_e32 v134, v132, v133
	v_frexp_mant_f32_e32 v135, v37
	v_cvt_f64_f32_e32 v[132:133], v37
	v_frexp_exp_i32_f64_e32 v132, v[132:133]
	v_cmp_gt_f32_e32 vcc, s68, v135
	v_cmp_lt_f32_e64 s[72:73], |v164|, s70
	s_nop 0
	v_subbrev_co_u32_e32 v148, vcc, 0, v132, vcc
	v_sub_u32_e32 v132, 0, v148
	v_ldexp_f32 v37, v37, v132
	v_ldexp_f32 v132, v134, v132
	v_add_f32_e32 v134, -1.0, v37
	v_add_f32_e32 v133, 1.0, v134
	v_sub_f32_e32 v133, v37, v133
	v_add_f32_e32 v135, v132, v133
	v_add_f32_e32 v133, 1.0, v37
	v_add_f32_e32 v144, -1.0, v133
	v_sub_f32_e32 v37, v37, v144
	v_add_f32_e32 v37, v132, v37
	v_add_f32_e32 v149, v133, v37
	v_rcp_f32_e32 v150, v149
	v_sub_f32_e32 v132, v133, v149
	v_add_f32_e32 v133, v134, v135
	v_add_f32_e32 v37, v37, v132
	v_mul_f32_e32 v160, v133, v150
	v_sub_f32_e32 v132, v134, v133
	v_mul_f32_e32 v134, v149, v160
	v_fma_f32 v144, v160, v149, -v134
	v_fmac_f32_e32 v144, v160, v37
	v_add_f32_e32 v151, v135, v132
	v_add_f32_e32 v132, v134, v144
	v_sub_f32_e32 v135, v133, v132
	v_pk_add_f32 v[146:147], v[132:133], v[134:135] neg_lo:[0,1] neg_hi:[0,1]
	v_mov_b32_e32 v145, v132
	v_pk_add_f32 v[132:133], v[146:147], v[144:145] neg_lo:[0,1] neg_hi:[0,1]
	v_cmp_eq_f32_e32 vcc, s67, v164
	v_add_f32_e32 v133, v151, v133
	v_add_f32_e32 v132, v132, v133
	;; [unrolled: 1-line block ×3, first 2 shown]
	v_mul_f32_e32 v151, v150, v133
	v_mul_f32_e32 v134, v149, v151
	v_fma_f32 v144, v151, v149, -v134
	v_fmac_f32_e32 v144, v151, v37
	v_sub_f32_e32 v37, v135, v133
	v_add_f32_e32 v37, v132, v37
	v_add_f32_e32 v132, v134, v144
	v_sub_f32_e32 v135, v133, v132
	v_pk_add_f32 v[146:147], v[132:133], v[134:135] neg_lo:[0,1] neg_hi:[0,1]
	v_mov_b32_e32 v145, v132
	v_pk_add_f32 v[132:133], v[146:147], v[144:145] neg_lo:[0,1] neg_hi:[0,1]
	s_or_b64 vcc, vcc, s[72:73]
	v_add_f32_e32 v37, v37, v133
	v_add_f32_e32 v37, v132, v37
	;; [unrolled: 1-line block ×4, first 2 shown]
	v_sub_f32_e32 v132, v133, v160
	v_mul_f32_e32 v37, v150, v37
	v_sub_f32_e32 v132, v151, v132
	v_add_f32_e32 v134, v132, v37
	v_add_f32_e32 v144, v133, v134
	v_cvt_f32_i32_e32 v132, v148
	v_mul_f32_e32 v145, v144, v144
	v_sub_f32_e32 v133, v144, v133
	v_fmamk_f32 v37, v145, 0x3e9b6dac, v129
	v_sub_f32_e32 v133, v134, v133
	v_fmaak_f32 v37, v145, v37, 0x3f2aaada
	v_ldexp_f32 v146, v133, 1
	v_mul_f32_e32 v133, v144, v145
	v_ldexp_f32 v135, v144, 1
	v_pk_mul_f32 v[144:145], v[132:133], v[36:37]
	s_nop 0
	v_fma_f32 v134, v132, s69, -v144
	v_fmac_f32_e32 v134, 0xb102e308, v132
	v_pk_add_f32 v[132:133], v[144:145], v[134:135]
	s_nop 0
	v_sub_f32_e32 v37, v133, v135
	v_sub_f32_e32 v37, v145, v37
	v_add_f32_e32 v147, v146, v37
	v_mov_b32_e32 v146, v144
	v_pk_add_f32 v[144:145], v[132:133], v[144:145] neg_lo:[0,1] neg_hi:[0,1]
	v_pk_add_f32 v[148:149], v[132:133], v[146:147]
	v_mov_b32_e32 v135, v132
	v_mov_b32_e32 v145, v149
	v_pk_add_f32 v[150:151], v[134:135], v[144:145] neg_lo:[0,1] neg_hi:[0,1]
	v_pk_add_f32 v[134:135], v[134:135], v[144:145]
	v_mov_b32_e32 v146, v147
	v_mov_b32_e32 v144, v135
	v_pk_add_f32 v[160:161], v[144:145], v[132:133] neg_lo:[0,1] neg_hi:[0,1]
	v_mov_b32_e32 v134, v149
	v_mov_b32_e32 v37, v160
	v_pk_add_f32 v[162:163], v[148:149], v[36:37] neg_lo:[0,1] neg_hi:[0,1]
	v_mov_b32_e32 v148, v133
	v_mov_b32_e32 v149, v160
	;; [unrolled: 1-line block ×3, first 2 shown]
	v_pk_add_f32 v[134:135], v[134:135], v[148:149] neg_lo:[0,1] neg_hi:[0,1]
	v_mov_b32_e32 v147, v132
	v_pk_add_f32 v[132:133], v[146:147], v[134:135] neg_lo:[0,1] neg_hi:[0,1]
	v_mov_b32_e32 v162, v150
	v_pk_add_f32 v[134:135], v[162:163], v[132:133]
	s_nop 0
	v_mov_b32_e32 v146, v135
	v_pk_add_f32 v[146:147], v[134:135], v[146:147]
	s_nop 0
	v_pk_add_f32 v[144:145], v[144:145], v[146:147]
	v_mov_b32_e32 v133, v146
	v_mov_b32_e32 v135, v144
	v_pk_add_f32 v[148:149], v[134:135], v[150:151] neg_lo:[0,1] neg_hi:[0,1]
	s_nop 0
	v_sub_f32_e32 v37, v134, v148
	v_pk_add_f32 v[132:133], v[132:133], v[148:149] neg_lo:[0,1] neg_hi:[0,1]
	v_sub_f32_e32 v37, v150, v37
	v_add_f32_e32 v37, v132, v37
	v_add_f32_e32 v37, v37, v133
	;; [unrolled: 1-line block ×3, first 2 shown]
	v_cndmask_b32_e32 v37, v37, v164, vcc
	v_add_f32_e32 v37, v39, v37
	v_cvt_f16_f32_e32 v133, v37
.LBB360_180:                            ;   in Loop: Header=BB360_172 Depth=1
	s_or_b64 exec, exec, s[56:57]
	v_and_b32_e32 v37, 0xffff, v133
	v_mov_b32_e32 v132, v133
.LBB360_181:                            ;   in Loop: Header=BB360_172 Depth=1
	s_or_b64 exec, exec, s[62:63]
	s_waitcnt lgkmcnt(0)
	ds_bpermute_b32 v133, v102, v37
	v_cmp_le_u32_e32 vcc, v103, v38
	s_and_saveexec_b64 s[62:63], vcc
	s_cbranch_execz .LBB360_185
; %bb.182:                              ;   in Loop: Header=BB360_172 Depth=1
	s_waitcnt lgkmcnt(0)
	v_cvt_f32_f16_e32 v39, v133
	v_cvt_f32_f16_e32 v134, v132
	v_cmp_u_f16_e32 vcc, v133, v133
	v_cmp_u_f16_e64 s[56:57], v132, v132
	v_min_f32_e32 v37, v39, v134
	v_max_f32_e32 v132, v39, v134
	v_cndmask_b32_e32 v37, v37, v39, vcc
	v_cndmask_b32_e32 v39, v132, v39, vcc
	v_cndmask_b32_e64 v37, v37, v134, s[56:57]
	v_cndmask_b32_e64 v39, v39, v134, s[56:57]
	v_cmp_neq_f32_e32 vcc, v37, v39
	v_cmp_class_f32_e64 s[56:57], v37, s13
	s_or_b64 vcc, vcc, s[56:57]
	s_and_saveexec_b64 s[56:57], vcc
	s_cbranch_execz .LBB360_184
; %bb.183:                              ;   in Loop: Header=BB360_172 Depth=1
	v_sub_f32_e32 v37, v37, v39
	v_mul_f32_e32 v132, 0x3fb8aa3b, v37
	v_fma_f32 v133, v37, s64, -v132
	v_rndne_f32_e32 v134, v132
	v_fmac_f32_e32 v133, 0x32a5705f, v37
	v_sub_f32_e32 v132, v132, v134
	v_add_f32_e32 v132, v132, v133
	v_cvt_i32_f32_e32 v133, v134
	v_exp_f32_e32 v132, v132
	v_cmp_ngt_f32_e32 vcc, s65, v37
	v_ldexp_f32 v132, v132, v133
	s_nop 0
	v_cndmask_b32_e32 v132, 0, v132, vcc
	v_cmp_nlt_f32_e32 vcc, s66, v37
	s_nop 1
	v_cndmask_b32_e32 v164, v131, v132, vcc
	v_add_f32_e32 v37, 1.0, v164
	v_add_f32_e32 v132, -1.0, v37
	v_sub_f32_e32 v133, v132, v37
	v_add_f32_e32 v133, 1.0, v133
	v_sub_f32_e32 v132, v164, v132
	v_add_f32_e32 v134, v132, v133
	v_frexp_mant_f32_e32 v135, v37
	v_cvt_f64_f32_e32 v[132:133], v37
	v_frexp_exp_i32_f64_e32 v132, v[132:133]
	v_cmp_gt_f32_e32 vcc, s68, v135
	v_cmp_lt_f32_e64 s[72:73], |v164|, s70
	s_nop 0
	v_subbrev_co_u32_e32 v148, vcc, 0, v132, vcc
	v_sub_u32_e32 v132, 0, v148
	v_ldexp_f32 v37, v37, v132
	v_ldexp_f32 v132, v134, v132
	v_add_f32_e32 v134, -1.0, v37
	v_add_f32_e32 v133, 1.0, v134
	v_sub_f32_e32 v133, v37, v133
	v_add_f32_e32 v135, v132, v133
	v_add_f32_e32 v133, 1.0, v37
	v_add_f32_e32 v144, -1.0, v133
	v_sub_f32_e32 v37, v37, v144
	v_add_f32_e32 v37, v132, v37
	v_add_f32_e32 v149, v133, v37
	v_rcp_f32_e32 v150, v149
	v_sub_f32_e32 v132, v133, v149
	v_add_f32_e32 v133, v134, v135
	v_add_f32_e32 v37, v37, v132
	v_mul_f32_e32 v160, v133, v150
	v_sub_f32_e32 v132, v134, v133
	v_mul_f32_e32 v134, v149, v160
	v_fma_f32 v144, v160, v149, -v134
	v_fmac_f32_e32 v144, v160, v37
	v_add_f32_e32 v151, v135, v132
	v_add_f32_e32 v132, v134, v144
	v_sub_f32_e32 v135, v133, v132
	v_pk_add_f32 v[146:147], v[132:133], v[134:135] neg_lo:[0,1] neg_hi:[0,1]
	v_mov_b32_e32 v145, v132
	v_pk_add_f32 v[132:133], v[146:147], v[144:145] neg_lo:[0,1] neg_hi:[0,1]
	v_cmp_eq_f32_e32 vcc, s67, v164
	v_add_f32_e32 v133, v151, v133
	v_add_f32_e32 v132, v132, v133
	v_add_f32_e32 v133, v135, v132
	v_mul_f32_e32 v151, v150, v133
	v_mul_f32_e32 v134, v149, v151
	v_fma_f32 v144, v151, v149, -v134
	v_fmac_f32_e32 v144, v151, v37
	v_sub_f32_e32 v37, v135, v133
	v_add_f32_e32 v37, v132, v37
	v_add_f32_e32 v132, v134, v144
	v_sub_f32_e32 v135, v133, v132
	v_pk_add_f32 v[146:147], v[132:133], v[134:135] neg_lo:[0,1] neg_hi:[0,1]
	v_mov_b32_e32 v145, v132
	v_pk_add_f32 v[132:133], v[146:147], v[144:145] neg_lo:[0,1] neg_hi:[0,1]
	s_or_b64 vcc, vcc, s[72:73]
	v_add_f32_e32 v37, v37, v133
	v_add_f32_e32 v37, v132, v37
	;; [unrolled: 1-line block ×4, first 2 shown]
	v_sub_f32_e32 v132, v133, v160
	v_mul_f32_e32 v37, v150, v37
	v_sub_f32_e32 v132, v151, v132
	v_add_f32_e32 v134, v132, v37
	v_add_f32_e32 v144, v133, v134
	v_cvt_f32_i32_e32 v132, v148
	v_mul_f32_e32 v145, v144, v144
	v_sub_f32_e32 v133, v144, v133
	v_fmamk_f32 v37, v145, 0x3e9b6dac, v129
	v_sub_f32_e32 v133, v134, v133
	v_fmaak_f32 v37, v145, v37, 0x3f2aaada
	v_ldexp_f32 v146, v133, 1
	v_mul_f32_e32 v133, v144, v145
	v_ldexp_f32 v135, v144, 1
	v_pk_mul_f32 v[144:145], v[132:133], v[36:37]
	s_nop 0
	v_fma_f32 v134, v132, s69, -v144
	v_fmac_f32_e32 v134, 0xb102e308, v132
	v_pk_add_f32 v[132:133], v[144:145], v[134:135]
	s_nop 0
	v_sub_f32_e32 v37, v133, v135
	v_sub_f32_e32 v37, v145, v37
	v_add_f32_e32 v147, v146, v37
	v_mov_b32_e32 v146, v144
	v_pk_add_f32 v[144:145], v[132:133], v[144:145] neg_lo:[0,1] neg_hi:[0,1]
	v_pk_add_f32 v[148:149], v[132:133], v[146:147]
	v_mov_b32_e32 v135, v132
	v_mov_b32_e32 v145, v149
	v_pk_add_f32 v[150:151], v[134:135], v[144:145] neg_lo:[0,1] neg_hi:[0,1]
	v_pk_add_f32 v[134:135], v[134:135], v[144:145]
	v_mov_b32_e32 v146, v147
	v_mov_b32_e32 v144, v135
	v_pk_add_f32 v[160:161], v[144:145], v[132:133] neg_lo:[0,1] neg_hi:[0,1]
	v_mov_b32_e32 v134, v149
	v_mov_b32_e32 v37, v160
	v_pk_add_f32 v[162:163], v[148:149], v[36:37] neg_lo:[0,1] neg_hi:[0,1]
	v_mov_b32_e32 v148, v133
	v_mov_b32_e32 v149, v160
	v_mov_b32_e32 v151, v135
	v_pk_add_f32 v[134:135], v[134:135], v[148:149] neg_lo:[0,1] neg_hi:[0,1]
	v_mov_b32_e32 v147, v132
	v_pk_add_f32 v[132:133], v[146:147], v[134:135] neg_lo:[0,1] neg_hi:[0,1]
	v_mov_b32_e32 v162, v150
	v_pk_add_f32 v[134:135], v[162:163], v[132:133]
	s_nop 0
	v_mov_b32_e32 v146, v135
	v_pk_add_f32 v[146:147], v[134:135], v[146:147]
	s_nop 0
	v_pk_add_f32 v[144:145], v[144:145], v[146:147]
	v_mov_b32_e32 v133, v146
	v_mov_b32_e32 v135, v144
	v_pk_add_f32 v[148:149], v[134:135], v[150:151] neg_lo:[0,1] neg_hi:[0,1]
	s_nop 0
	v_sub_f32_e32 v37, v134, v148
	v_pk_add_f32 v[132:133], v[132:133], v[148:149] neg_lo:[0,1] neg_hi:[0,1]
	v_sub_f32_e32 v37, v150, v37
	v_add_f32_e32 v37, v132, v37
	v_add_f32_e32 v37, v37, v133
	;; [unrolled: 1-line block ×3, first 2 shown]
	v_cndmask_b32_e32 v37, v37, v164, vcc
	v_add_f32_e32 v37, v39, v37
	v_cvt_f16_f32_e32 v133, v37
.LBB360_184:                            ;   in Loop: Header=BB360_172 Depth=1
	s_or_b64 exec, exec, s[56:57]
	v_and_b32_e32 v37, 0xffff, v133
	v_mov_b32_e32 v132, v133
.LBB360_185:                            ;   in Loop: Header=BB360_172 Depth=1
	s_or_b64 exec, exec, s[62:63]
	s_waitcnt lgkmcnt(0)
	ds_bpermute_b32 v133, v112, v37
	v_cmp_le_u32_e32 vcc, v113, v38
	s_and_saveexec_b64 s[62:63], vcc
	s_cbranch_execz .LBB360_189
; %bb.186:                              ;   in Loop: Header=BB360_172 Depth=1
	s_waitcnt lgkmcnt(0)
	v_cvt_f32_f16_e32 v39, v133
	v_cvt_f32_f16_e32 v134, v132
	v_cmp_u_f16_e32 vcc, v133, v133
	v_cmp_u_f16_e64 s[56:57], v132, v132
	v_min_f32_e32 v37, v39, v134
	v_max_f32_e32 v132, v39, v134
	v_cndmask_b32_e32 v37, v37, v39, vcc
	v_cndmask_b32_e32 v39, v132, v39, vcc
	v_cndmask_b32_e64 v37, v37, v134, s[56:57]
	v_cndmask_b32_e64 v39, v39, v134, s[56:57]
	v_cmp_neq_f32_e32 vcc, v37, v39
	v_cmp_class_f32_e64 s[56:57], v37, s13
	s_or_b64 vcc, vcc, s[56:57]
	s_and_saveexec_b64 s[56:57], vcc
	s_cbranch_execz .LBB360_188
; %bb.187:                              ;   in Loop: Header=BB360_172 Depth=1
	v_sub_f32_e32 v37, v37, v39
	v_mul_f32_e32 v132, 0x3fb8aa3b, v37
	v_fma_f32 v133, v37, s64, -v132
	v_rndne_f32_e32 v134, v132
	v_fmac_f32_e32 v133, 0x32a5705f, v37
	v_sub_f32_e32 v132, v132, v134
	v_add_f32_e32 v132, v132, v133
	v_cvt_i32_f32_e32 v133, v134
	v_exp_f32_e32 v132, v132
	v_cmp_ngt_f32_e32 vcc, s65, v37
	v_ldexp_f32 v132, v132, v133
	s_nop 0
	v_cndmask_b32_e32 v132, 0, v132, vcc
	v_cmp_nlt_f32_e32 vcc, s66, v37
	s_nop 1
	v_cndmask_b32_e32 v164, v131, v132, vcc
	v_add_f32_e32 v37, 1.0, v164
	v_add_f32_e32 v132, -1.0, v37
	v_sub_f32_e32 v133, v132, v37
	v_add_f32_e32 v133, 1.0, v133
	v_sub_f32_e32 v132, v164, v132
	v_add_f32_e32 v134, v132, v133
	v_frexp_mant_f32_e32 v135, v37
	v_cvt_f64_f32_e32 v[132:133], v37
	v_frexp_exp_i32_f64_e32 v132, v[132:133]
	v_cmp_gt_f32_e32 vcc, s68, v135
	v_cmp_lt_f32_e64 s[72:73], |v164|, s70
	s_nop 0
	v_subbrev_co_u32_e32 v148, vcc, 0, v132, vcc
	v_sub_u32_e32 v132, 0, v148
	v_ldexp_f32 v37, v37, v132
	v_ldexp_f32 v132, v134, v132
	v_add_f32_e32 v134, -1.0, v37
	v_add_f32_e32 v133, 1.0, v134
	v_sub_f32_e32 v133, v37, v133
	v_add_f32_e32 v135, v132, v133
	v_add_f32_e32 v133, 1.0, v37
	v_add_f32_e32 v144, -1.0, v133
	v_sub_f32_e32 v37, v37, v144
	v_add_f32_e32 v37, v132, v37
	v_add_f32_e32 v149, v133, v37
	v_rcp_f32_e32 v150, v149
	v_sub_f32_e32 v132, v133, v149
	v_add_f32_e32 v133, v134, v135
	v_add_f32_e32 v37, v37, v132
	v_mul_f32_e32 v160, v133, v150
	v_sub_f32_e32 v132, v134, v133
	v_mul_f32_e32 v134, v149, v160
	v_fma_f32 v144, v160, v149, -v134
	v_fmac_f32_e32 v144, v160, v37
	v_add_f32_e32 v151, v135, v132
	v_add_f32_e32 v132, v134, v144
	v_sub_f32_e32 v135, v133, v132
	v_pk_add_f32 v[146:147], v[132:133], v[134:135] neg_lo:[0,1] neg_hi:[0,1]
	v_mov_b32_e32 v145, v132
	v_pk_add_f32 v[132:133], v[146:147], v[144:145] neg_lo:[0,1] neg_hi:[0,1]
	v_cmp_eq_f32_e32 vcc, s67, v164
	v_add_f32_e32 v133, v151, v133
	v_add_f32_e32 v132, v132, v133
	;; [unrolled: 1-line block ×3, first 2 shown]
	v_mul_f32_e32 v151, v150, v133
	v_mul_f32_e32 v134, v149, v151
	v_fma_f32 v144, v151, v149, -v134
	v_fmac_f32_e32 v144, v151, v37
	v_sub_f32_e32 v37, v135, v133
	v_add_f32_e32 v37, v132, v37
	v_add_f32_e32 v132, v134, v144
	v_sub_f32_e32 v135, v133, v132
	v_pk_add_f32 v[146:147], v[132:133], v[134:135] neg_lo:[0,1] neg_hi:[0,1]
	v_mov_b32_e32 v145, v132
	v_pk_add_f32 v[132:133], v[146:147], v[144:145] neg_lo:[0,1] neg_hi:[0,1]
	s_or_b64 vcc, vcc, s[72:73]
	v_add_f32_e32 v37, v37, v133
	v_add_f32_e32 v37, v132, v37
	;; [unrolled: 1-line block ×4, first 2 shown]
	v_sub_f32_e32 v132, v133, v160
	v_mul_f32_e32 v37, v150, v37
	v_sub_f32_e32 v132, v151, v132
	v_add_f32_e32 v134, v132, v37
	v_add_f32_e32 v144, v133, v134
	v_cvt_f32_i32_e32 v132, v148
	v_mul_f32_e32 v145, v144, v144
	v_sub_f32_e32 v133, v144, v133
	v_fmamk_f32 v37, v145, 0x3e9b6dac, v129
	v_sub_f32_e32 v133, v134, v133
	v_fmaak_f32 v37, v145, v37, 0x3f2aaada
	v_ldexp_f32 v146, v133, 1
	v_mul_f32_e32 v133, v144, v145
	v_ldexp_f32 v135, v144, 1
	v_pk_mul_f32 v[144:145], v[132:133], v[36:37]
	s_nop 0
	v_fma_f32 v134, v132, s69, -v144
	v_fmac_f32_e32 v134, 0xb102e308, v132
	v_pk_add_f32 v[132:133], v[144:145], v[134:135]
	s_nop 0
	v_sub_f32_e32 v37, v133, v135
	v_sub_f32_e32 v37, v145, v37
	v_add_f32_e32 v147, v146, v37
	v_mov_b32_e32 v146, v144
	v_pk_add_f32 v[144:145], v[132:133], v[144:145] neg_lo:[0,1] neg_hi:[0,1]
	v_pk_add_f32 v[148:149], v[132:133], v[146:147]
	v_mov_b32_e32 v135, v132
	v_mov_b32_e32 v145, v149
	v_pk_add_f32 v[150:151], v[134:135], v[144:145] neg_lo:[0,1] neg_hi:[0,1]
	v_pk_add_f32 v[134:135], v[134:135], v[144:145]
	v_mov_b32_e32 v146, v147
	v_mov_b32_e32 v144, v135
	v_pk_add_f32 v[160:161], v[144:145], v[132:133] neg_lo:[0,1] neg_hi:[0,1]
	v_mov_b32_e32 v134, v149
	v_mov_b32_e32 v37, v160
	v_pk_add_f32 v[162:163], v[148:149], v[36:37] neg_lo:[0,1] neg_hi:[0,1]
	v_mov_b32_e32 v148, v133
	v_mov_b32_e32 v149, v160
	;; [unrolled: 1-line block ×3, first 2 shown]
	v_pk_add_f32 v[134:135], v[134:135], v[148:149] neg_lo:[0,1] neg_hi:[0,1]
	v_mov_b32_e32 v147, v132
	v_pk_add_f32 v[132:133], v[146:147], v[134:135] neg_lo:[0,1] neg_hi:[0,1]
	v_mov_b32_e32 v162, v150
	v_pk_add_f32 v[134:135], v[162:163], v[132:133]
	s_nop 0
	v_mov_b32_e32 v146, v135
	v_pk_add_f32 v[146:147], v[134:135], v[146:147]
	s_nop 0
	v_pk_add_f32 v[144:145], v[144:145], v[146:147]
	v_mov_b32_e32 v133, v146
	v_mov_b32_e32 v135, v144
	v_pk_add_f32 v[148:149], v[134:135], v[150:151] neg_lo:[0,1] neg_hi:[0,1]
	s_nop 0
	v_sub_f32_e32 v37, v134, v148
	v_pk_add_f32 v[132:133], v[132:133], v[148:149] neg_lo:[0,1] neg_hi:[0,1]
	v_sub_f32_e32 v37, v150, v37
	v_add_f32_e32 v37, v132, v37
	v_add_f32_e32 v37, v37, v133
	;; [unrolled: 1-line block ×3, first 2 shown]
	v_cndmask_b32_e32 v37, v37, v164, vcc
	v_add_f32_e32 v37, v39, v37
	v_cvt_f16_f32_e32 v133, v37
.LBB360_188:                            ;   in Loop: Header=BB360_172 Depth=1
	s_or_b64 exec, exec, s[56:57]
	v_and_b32_e32 v37, 0xffff, v133
	v_mov_b32_e32 v132, v133
.LBB360_189:                            ;   in Loop: Header=BB360_172 Depth=1
	s_or_b64 exec, exec, s[62:63]
	s_waitcnt lgkmcnt(0)
	ds_bpermute_b32 v133, v114, v37
	v_cmp_le_u32_e32 vcc, v115, v38
	s_and_saveexec_b64 s[62:63], vcc
	s_cbranch_execz .LBB360_193
; %bb.190:                              ;   in Loop: Header=BB360_172 Depth=1
	s_waitcnt lgkmcnt(0)
	v_cvt_f32_f16_e32 v39, v133
	v_cvt_f32_f16_e32 v134, v132
	v_cmp_u_f16_e32 vcc, v133, v133
	v_cmp_u_f16_e64 s[56:57], v132, v132
	v_min_f32_e32 v37, v39, v134
	v_max_f32_e32 v132, v39, v134
	v_cndmask_b32_e32 v37, v37, v39, vcc
	v_cndmask_b32_e32 v39, v132, v39, vcc
	v_cndmask_b32_e64 v37, v37, v134, s[56:57]
	v_cndmask_b32_e64 v39, v39, v134, s[56:57]
	v_cmp_neq_f32_e32 vcc, v37, v39
	v_cmp_class_f32_e64 s[56:57], v37, s13
	s_or_b64 vcc, vcc, s[56:57]
	s_and_saveexec_b64 s[56:57], vcc
	s_cbranch_execz .LBB360_192
; %bb.191:                              ;   in Loop: Header=BB360_172 Depth=1
	v_sub_f32_e32 v37, v37, v39
	v_mul_f32_e32 v132, 0x3fb8aa3b, v37
	v_fma_f32 v133, v37, s64, -v132
	v_rndne_f32_e32 v134, v132
	v_fmac_f32_e32 v133, 0x32a5705f, v37
	v_sub_f32_e32 v132, v132, v134
	v_add_f32_e32 v132, v132, v133
	v_cvt_i32_f32_e32 v133, v134
	v_exp_f32_e32 v132, v132
	v_cmp_ngt_f32_e32 vcc, s65, v37
	v_ldexp_f32 v132, v132, v133
	s_nop 0
	v_cndmask_b32_e32 v132, 0, v132, vcc
	v_cmp_nlt_f32_e32 vcc, s66, v37
	s_nop 1
	v_cndmask_b32_e32 v164, v131, v132, vcc
	v_add_f32_e32 v37, 1.0, v164
	v_add_f32_e32 v132, -1.0, v37
	v_sub_f32_e32 v133, v132, v37
	v_add_f32_e32 v133, 1.0, v133
	v_sub_f32_e32 v132, v164, v132
	v_add_f32_e32 v134, v132, v133
	v_frexp_mant_f32_e32 v135, v37
	v_cvt_f64_f32_e32 v[132:133], v37
	v_frexp_exp_i32_f64_e32 v132, v[132:133]
	v_cmp_gt_f32_e32 vcc, s68, v135
	v_cmp_lt_f32_e64 s[72:73], |v164|, s70
	s_nop 0
	v_subbrev_co_u32_e32 v148, vcc, 0, v132, vcc
	v_sub_u32_e32 v132, 0, v148
	v_ldexp_f32 v37, v37, v132
	v_ldexp_f32 v132, v134, v132
	v_add_f32_e32 v134, -1.0, v37
	v_add_f32_e32 v133, 1.0, v134
	v_sub_f32_e32 v133, v37, v133
	v_add_f32_e32 v135, v132, v133
	v_add_f32_e32 v133, 1.0, v37
	v_add_f32_e32 v144, -1.0, v133
	v_sub_f32_e32 v37, v37, v144
	v_add_f32_e32 v37, v132, v37
	v_add_f32_e32 v149, v133, v37
	v_rcp_f32_e32 v150, v149
	v_sub_f32_e32 v132, v133, v149
	v_add_f32_e32 v133, v134, v135
	v_add_f32_e32 v37, v37, v132
	v_mul_f32_e32 v160, v133, v150
	v_sub_f32_e32 v132, v134, v133
	v_mul_f32_e32 v134, v149, v160
	v_fma_f32 v144, v160, v149, -v134
	v_fmac_f32_e32 v144, v160, v37
	v_add_f32_e32 v151, v135, v132
	v_add_f32_e32 v132, v134, v144
	v_sub_f32_e32 v135, v133, v132
	v_pk_add_f32 v[146:147], v[132:133], v[134:135] neg_lo:[0,1] neg_hi:[0,1]
	v_mov_b32_e32 v145, v132
	v_pk_add_f32 v[132:133], v[146:147], v[144:145] neg_lo:[0,1] neg_hi:[0,1]
	v_cmp_eq_f32_e32 vcc, s67, v164
	v_add_f32_e32 v133, v151, v133
	v_add_f32_e32 v132, v132, v133
	;; [unrolled: 1-line block ×3, first 2 shown]
	v_mul_f32_e32 v151, v150, v133
	v_mul_f32_e32 v134, v149, v151
	v_fma_f32 v144, v151, v149, -v134
	v_fmac_f32_e32 v144, v151, v37
	v_sub_f32_e32 v37, v135, v133
	v_add_f32_e32 v37, v132, v37
	v_add_f32_e32 v132, v134, v144
	v_sub_f32_e32 v135, v133, v132
	v_pk_add_f32 v[146:147], v[132:133], v[134:135] neg_lo:[0,1] neg_hi:[0,1]
	v_mov_b32_e32 v145, v132
	v_pk_add_f32 v[132:133], v[146:147], v[144:145] neg_lo:[0,1] neg_hi:[0,1]
	s_or_b64 vcc, vcc, s[72:73]
	v_add_f32_e32 v37, v37, v133
	v_add_f32_e32 v37, v132, v37
	;; [unrolled: 1-line block ×4, first 2 shown]
	v_sub_f32_e32 v132, v133, v160
	v_mul_f32_e32 v37, v150, v37
	v_sub_f32_e32 v132, v151, v132
	v_add_f32_e32 v134, v132, v37
	v_add_f32_e32 v144, v133, v134
	v_cvt_f32_i32_e32 v132, v148
	v_mul_f32_e32 v145, v144, v144
	v_sub_f32_e32 v133, v144, v133
	v_fmamk_f32 v37, v145, 0x3e9b6dac, v129
	v_sub_f32_e32 v133, v134, v133
	v_fmaak_f32 v37, v145, v37, 0x3f2aaada
	v_ldexp_f32 v146, v133, 1
	v_mul_f32_e32 v133, v144, v145
	v_ldexp_f32 v135, v144, 1
	v_pk_mul_f32 v[144:145], v[132:133], v[36:37]
	s_nop 0
	v_fma_f32 v134, v132, s69, -v144
	v_fmac_f32_e32 v134, 0xb102e308, v132
	v_pk_add_f32 v[132:133], v[144:145], v[134:135]
	s_nop 0
	v_sub_f32_e32 v37, v133, v135
	v_sub_f32_e32 v37, v145, v37
	v_add_f32_e32 v147, v146, v37
	v_mov_b32_e32 v146, v144
	v_pk_add_f32 v[144:145], v[132:133], v[144:145] neg_lo:[0,1] neg_hi:[0,1]
	v_pk_add_f32 v[148:149], v[132:133], v[146:147]
	v_mov_b32_e32 v135, v132
	v_mov_b32_e32 v145, v149
	v_pk_add_f32 v[150:151], v[134:135], v[144:145] neg_lo:[0,1] neg_hi:[0,1]
	v_pk_add_f32 v[134:135], v[134:135], v[144:145]
	v_mov_b32_e32 v146, v147
	v_mov_b32_e32 v144, v135
	v_pk_add_f32 v[160:161], v[144:145], v[132:133] neg_lo:[0,1] neg_hi:[0,1]
	v_mov_b32_e32 v134, v149
	v_mov_b32_e32 v37, v160
	v_pk_add_f32 v[162:163], v[148:149], v[36:37] neg_lo:[0,1] neg_hi:[0,1]
	v_mov_b32_e32 v148, v133
	v_mov_b32_e32 v149, v160
	;; [unrolled: 1-line block ×3, first 2 shown]
	v_pk_add_f32 v[134:135], v[134:135], v[148:149] neg_lo:[0,1] neg_hi:[0,1]
	v_mov_b32_e32 v147, v132
	v_pk_add_f32 v[132:133], v[146:147], v[134:135] neg_lo:[0,1] neg_hi:[0,1]
	v_mov_b32_e32 v162, v150
	v_pk_add_f32 v[134:135], v[162:163], v[132:133]
	s_nop 0
	v_mov_b32_e32 v146, v135
	v_pk_add_f32 v[146:147], v[134:135], v[146:147]
	s_nop 0
	v_pk_add_f32 v[144:145], v[144:145], v[146:147]
	v_mov_b32_e32 v133, v146
	v_mov_b32_e32 v135, v144
	v_pk_add_f32 v[148:149], v[134:135], v[150:151] neg_lo:[0,1] neg_hi:[0,1]
	s_nop 0
	v_sub_f32_e32 v37, v134, v148
	v_pk_add_f32 v[132:133], v[132:133], v[148:149] neg_lo:[0,1] neg_hi:[0,1]
	v_sub_f32_e32 v37, v150, v37
	v_add_f32_e32 v37, v132, v37
	v_add_f32_e32 v37, v37, v133
	v_add_f32_e32 v37, v144, v37
	v_cndmask_b32_e32 v37, v37, v164, vcc
	v_add_f32_e32 v37, v39, v37
	v_cvt_f16_f32_e32 v133, v37
.LBB360_192:                            ;   in Loop: Header=BB360_172 Depth=1
	s_or_b64 exec, exec, s[56:57]
	v_and_b32_e32 v37, 0xffff, v133
	v_mov_b32_e32 v132, v133
.LBB360_193:                            ;   in Loop: Header=BB360_172 Depth=1
	s_or_b64 exec, exec, s[62:63]
	s_waitcnt lgkmcnt(0)
	ds_bpermute_b32 v133, v116, v37
	v_cmp_le_u32_e32 vcc, v117, v38
	s_and_saveexec_b64 s[62:63], vcc
	s_cbranch_execz .LBB360_197
; %bb.194:                              ;   in Loop: Header=BB360_172 Depth=1
	s_waitcnt lgkmcnt(0)
	v_cvt_f32_f16_e32 v39, v133
	v_cvt_f32_f16_e32 v134, v132
	v_cmp_u_f16_e32 vcc, v133, v133
	v_cmp_u_f16_e64 s[56:57], v132, v132
	v_min_f32_e32 v37, v39, v134
	v_max_f32_e32 v132, v39, v134
	v_cndmask_b32_e32 v37, v37, v39, vcc
	v_cndmask_b32_e32 v39, v132, v39, vcc
	v_cndmask_b32_e64 v37, v37, v134, s[56:57]
	v_cndmask_b32_e64 v39, v39, v134, s[56:57]
	v_cmp_neq_f32_e32 vcc, v37, v39
	v_cmp_class_f32_e64 s[56:57], v37, s13
	s_or_b64 vcc, vcc, s[56:57]
	s_and_saveexec_b64 s[56:57], vcc
	s_cbranch_execz .LBB360_196
; %bb.195:                              ;   in Loop: Header=BB360_172 Depth=1
	v_sub_f32_e32 v37, v37, v39
	v_mul_f32_e32 v132, 0x3fb8aa3b, v37
	v_fma_f32 v133, v37, s64, -v132
	v_rndne_f32_e32 v134, v132
	v_fmac_f32_e32 v133, 0x32a5705f, v37
	v_sub_f32_e32 v132, v132, v134
	v_add_f32_e32 v132, v132, v133
	v_cvt_i32_f32_e32 v133, v134
	v_exp_f32_e32 v132, v132
	v_cmp_ngt_f32_e32 vcc, s65, v37
	v_ldexp_f32 v132, v132, v133
	s_nop 0
	v_cndmask_b32_e32 v132, 0, v132, vcc
	v_cmp_nlt_f32_e32 vcc, s66, v37
	s_nop 1
	v_cndmask_b32_e32 v164, v131, v132, vcc
	v_add_f32_e32 v37, 1.0, v164
	v_add_f32_e32 v132, -1.0, v37
	v_sub_f32_e32 v133, v132, v37
	v_add_f32_e32 v133, 1.0, v133
	v_sub_f32_e32 v132, v164, v132
	v_add_f32_e32 v134, v132, v133
	v_frexp_mant_f32_e32 v135, v37
	v_cvt_f64_f32_e32 v[132:133], v37
	v_frexp_exp_i32_f64_e32 v132, v[132:133]
	v_cmp_gt_f32_e32 vcc, s68, v135
	v_cmp_lt_f32_e64 s[72:73], |v164|, s70
	s_nop 0
	v_subbrev_co_u32_e32 v148, vcc, 0, v132, vcc
	v_sub_u32_e32 v132, 0, v148
	v_ldexp_f32 v37, v37, v132
	v_ldexp_f32 v132, v134, v132
	v_add_f32_e32 v134, -1.0, v37
	v_add_f32_e32 v133, 1.0, v134
	v_sub_f32_e32 v133, v37, v133
	v_add_f32_e32 v135, v132, v133
	v_add_f32_e32 v133, 1.0, v37
	v_add_f32_e32 v144, -1.0, v133
	v_sub_f32_e32 v37, v37, v144
	v_add_f32_e32 v37, v132, v37
	v_add_f32_e32 v149, v133, v37
	v_rcp_f32_e32 v150, v149
	v_sub_f32_e32 v132, v133, v149
	v_add_f32_e32 v133, v134, v135
	v_add_f32_e32 v37, v37, v132
	v_mul_f32_e32 v160, v133, v150
	v_sub_f32_e32 v132, v134, v133
	v_mul_f32_e32 v134, v149, v160
	v_fma_f32 v144, v160, v149, -v134
	v_fmac_f32_e32 v144, v160, v37
	v_add_f32_e32 v151, v135, v132
	v_add_f32_e32 v132, v134, v144
	v_sub_f32_e32 v135, v133, v132
	v_pk_add_f32 v[146:147], v[132:133], v[134:135] neg_lo:[0,1] neg_hi:[0,1]
	v_mov_b32_e32 v145, v132
	v_pk_add_f32 v[132:133], v[146:147], v[144:145] neg_lo:[0,1] neg_hi:[0,1]
	v_cmp_eq_f32_e32 vcc, s67, v164
	v_add_f32_e32 v133, v151, v133
	v_add_f32_e32 v132, v132, v133
	;; [unrolled: 1-line block ×3, first 2 shown]
	v_mul_f32_e32 v151, v150, v133
	v_mul_f32_e32 v134, v149, v151
	v_fma_f32 v144, v151, v149, -v134
	v_fmac_f32_e32 v144, v151, v37
	v_sub_f32_e32 v37, v135, v133
	v_add_f32_e32 v37, v132, v37
	v_add_f32_e32 v132, v134, v144
	v_sub_f32_e32 v135, v133, v132
	v_pk_add_f32 v[146:147], v[132:133], v[134:135] neg_lo:[0,1] neg_hi:[0,1]
	v_mov_b32_e32 v145, v132
	v_pk_add_f32 v[132:133], v[146:147], v[144:145] neg_lo:[0,1] neg_hi:[0,1]
	s_or_b64 vcc, vcc, s[72:73]
	v_add_f32_e32 v37, v37, v133
	v_add_f32_e32 v37, v132, v37
	;; [unrolled: 1-line block ×4, first 2 shown]
	v_sub_f32_e32 v132, v133, v160
	v_mul_f32_e32 v37, v150, v37
	v_sub_f32_e32 v132, v151, v132
	v_add_f32_e32 v134, v132, v37
	v_add_f32_e32 v144, v133, v134
	v_cvt_f32_i32_e32 v132, v148
	v_mul_f32_e32 v145, v144, v144
	v_sub_f32_e32 v133, v144, v133
	v_fmamk_f32 v37, v145, 0x3e9b6dac, v129
	v_sub_f32_e32 v133, v134, v133
	v_fmaak_f32 v37, v145, v37, 0x3f2aaada
	v_ldexp_f32 v146, v133, 1
	v_mul_f32_e32 v133, v144, v145
	v_ldexp_f32 v135, v144, 1
	v_pk_mul_f32 v[144:145], v[132:133], v[36:37]
	s_nop 0
	v_fma_f32 v134, v132, s69, -v144
	v_fmac_f32_e32 v134, 0xb102e308, v132
	v_pk_add_f32 v[132:133], v[144:145], v[134:135]
	s_nop 0
	v_sub_f32_e32 v37, v133, v135
	v_sub_f32_e32 v37, v145, v37
	v_add_f32_e32 v147, v146, v37
	v_mov_b32_e32 v146, v144
	v_pk_add_f32 v[144:145], v[132:133], v[144:145] neg_lo:[0,1] neg_hi:[0,1]
	v_pk_add_f32 v[148:149], v[132:133], v[146:147]
	v_mov_b32_e32 v135, v132
	v_mov_b32_e32 v145, v149
	v_pk_add_f32 v[150:151], v[134:135], v[144:145] neg_lo:[0,1] neg_hi:[0,1]
	v_pk_add_f32 v[134:135], v[134:135], v[144:145]
	v_mov_b32_e32 v146, v147
	v_mov_b32_e32 v144, v135
	v_pk_add_f32 v[160:161], v[144:145], v[132:133] neg_lo:[0,1] neg_hi:[0,1]
	v_mov_b32_e32 v134, v149
	v_mov_b32_e32 v37, v160
	v_pk_add_f32 v[162:163], v[148:149], v[36:37] neg_lo:[0,1] neg_hi:[0,1]
	v_mov_b32_e32 v148, v133
	v_mov_b32_e32 v149, v160
	;; [unrolled: 1-line block ×3, first 2 shown]
	v_pk_add_f32 v[134:135], v[134:135], v[148:149] neg_lo:[0,1] neg_hi:[0,1]
	v_mov_b32_e32 v147, v132
	v_pk_add_f32 v[132:133], v[146:147], v[134:135] neg_lo:[0,1] neg_hi:[0,1]
	v_mov_b32_e32 v162, v150
	v_pk_add_f32 v[134:135], v[162:163], v[132:133]
	s_nop 0
	v_mov_b32_e32 v146, v135
	v_pk_add_f32 v[146:147], v[134:135], v[146:147]
	s_nop 0
	v_pk_add_f32 v[144:145], v[144:145], v[146:147]
	v_mov_b32_e32 v133, v146
	v_mov_b32_e32 v135, v144
	v_pk_add_f32 v[148:149], v[134:135], v[150:151] neg_lo:[0,1] neg_hi:[0,1]
	s_nop 0
	v_sub_f32_e32 v37, v134, v148
	v_pk_add_f32 v[132:133], v[132:133], v[148:149] neg_lo:[0,1] neg_hi:[0,1]
	v_sub_f32_e32 v37, v150, v37
	v_add_f32_e32 v37, v132, v37
	v_add_f32_e32 v37, v37, v133
	v_add_f32_e32 v37, v144, v37
	v_cndmask_b32_e32 v37, v37, v164, vcc
	v_add_f32_e32 v37, v39, v37
	v_cvt_f16_f32_e32 v133, v37
.LBB360_196:                            ;   in Loop: Header=BB360_172 Depth=1
	s_or_b64 exec, exec, s[56:57]
	v_and_b32_e32 v37, 0xffff, v133
	v_mov_b32_e32 v132, v133
.LBB360_197:                            ;   in Loop: Header=BB360_172 Depth=1
	s_or_b64 exec, exec, s[62:63]
	ds_bpermute_b32 v37, v118, v37
	v_cmp_le_u32_e32 vcc, v119, v38
	s_and_saveexec_b64 s[62:63], vcc
	s_cbranch_execz .LBB360_201
; %bb.198:                              ;   in Loop: Header=BB360_172 Depth=1
	s_waitcnt lgkmcnt(0)
	v_cvt_f32_f16_e32 v38, v37
	v_cvt_f32_f16_e32 v133, v132
	v_cmp_u_f16_e32 vcc, v37, v37
	v_cmp_u_f16_e64 s[56:57], v132, v132
	v_min_f32_e32 v39, v38, v133
	v_max_f32_e32 v132, v38, v133
	v_cndmask_b32_e32 v39, v39, v38, vcc
	v_cndmask_b32_e32 v38, v132, v38, vcc
	v_cndmask_b32_e64 v39, v39, v133, s[56:57]
	v_cndmask_b32_e64 v38, v38, v133, s[56:57]
	v_cmp_neq_f32_e32 vcc, v39, v38
	v_cmp_class_f32_e64 s[56:57], v39, s13
	s_or_b64 vcc, vcc, s[56:57]
	s_and_saveexec_b64 s[56:57], vcc
	s_cbranch_execz .LBB360_200
; %bb.199:                              ;   in Loop: Header=BB360_172 Depth=1
	v_sub_f32_e32 v37, v39, v38
	v_mul_f32_e32 v39, 0x3fb8aa3b, v37
	v_fma_f32 v132, v37, s64, -v39
	v_rndne_f32_e32 v133, v39
	v_fmac_f32_e32 v132, 0x32a5705f, v37
	v_sub_f32_e32 v39, v39, v133
	v_add_f32_e32 v39, v39, v132
	v_cvt_i32_f32_e32 v132, v133
	v_exp_f32_e32 v39, v39
	v_cmp_ngt_f32_e32 vcc, s65, v37
	v_ldexp_f32 v39, v39, v132
	s_nop 0
	v_cndmask_b32_e32 v39, 0, v39, vcc
	v_cmp_nlt_f32_e32 vcc, s66, v37
	s_nop 1
	v_cndmask_b32_e32 v39, v131, v39, vcc
	v_add_f32_e32 v37, 1.0, v39
	v_add_f32_e32 v132, -1.0, v37
	v_sub_f32_e32 v133, v132, v37
	v_add_f32_e32 v133, 1.0, v133
	v_sub_f32_e32 v132, v39, v132
	v_add_f32_e32 v134, v132, v133
	v_frexp_mant_f32_e32 v135, v37
	v_cvt_f64_f32_e32 v[132:133], v37
	v_frexp_exp_i32_f64_e32 v132, v[132:133]
	v_cmp_gt_f32_e32 vcc, s68, v135
	v_cmp_lt_f32_e64 s[72:73], |v39|, s70
	s_nop 0
	v_subbrev_co_u32_e32 v148, vcc, 0, v132, vcc
	v_sub_u32_e32 v132, 0, v148
	v_ldexp_f32 v37, v37, v132
	v_ldexp_f32 v132, v134, v132
	v_add_f32_e32 v134, -1.0, v37
	v_add_f32_e32 v133, 1.0, v134
	v_sub_f32_e32 v133, v37, v133
	v_add_f32_e32 v135, v132, v133
	v_add_f32_e32 v133, 1.0, v37
	v_add_f32_e32 v144, -1.0, v133
	v_sub_f32_e32 v37, v37, v144
	v_add_f32_e32 v37, v132, v37
	v_add_f32_e32 v149, v133, v37
	v_rcp_f32_e32 v150, v149
	v_sub_f32_e32 v132, v133, v149
	v_add_f32_e32 v133, v134, v135
	v_add_f32_e32 v37, v37, v132
	v_mul_f32_e32 v160, v133, v150
	v_sub_f32_e32 v132, v134, v133
	v_mul_f32_e32 v134, v149, v160
	v_fma_f32 v144, v160, v149, -v134
	v_fmac_f32_e32 v144, v160, v37
	v_add_f32_e32 v151, v135, v132
	v_add_f32_e32 v132, v134, v144
	v_sub_f32_e32 v135, v133, v132
	v_pk_add_f32 v[146:147], v[132:133], v[134:135] neg_lo:[0,1] neg_hi:[0,1]
	v_mov_b32_e32 v145, v132
	v_pk_add_f32 v[132:133], v[146:147], v[144:145] neg_lo:[0,1] neg_hi:[0,1]
	v_cmp_eq_f32_e32 vcc, s67, v39
	v_add_f32_e32 v133, v151, v133
	v_add_f32_e32 v132, v132, v133
	;; [unrolled: 1-line block ×3, first 2 shown]
	v_mul_f32_e32 v151, v150, v133
	v_mul_f32_e32 v134, v149, v151
	v_fma_f32 v144, v151, v149, -v134
	v_fmac_f32_e32 v144, v151, v37
	v_sub_f32_e32 v37, v135, v133
	v_add_f32_e32 v37, v132, v37
	v_add_f32_e32 v132, v134, v144
	v_sub_f32_e32 v135, v133, v132
	v_pk_add_f32 v[146:147], v[132:133], v[134:135] neg_lo:[0,1] neg_hi:[0,1]
	v_mov_b32_e32 v145, v132
	v_pk_add_f32 v[132:133], v[146:147], v[144:145] neg_lo:[0,1] neg_hi:[0,1]
	s_or_b64 vcc, vcc, s[72:73]
	v_add_f32_e32 v37, v37, v133
	v_add_f32_e32 v37, v132, v37
	;; [unrolled: 1-line block ×4, first 2 shown]
	v_sub_f32_e32 v132, v133, v160
	v_mul_f32_e32 v37, v150, v37
	v_sub_f32_e32 v132, v151, v132
	v_add_f32_e32 v134, v132, v37
	v_add_f32_e32 v144, v133, v134
	v_cvt_f32_i32_e32 v132, v148
	v_mul_f32_e32 v145, v144, v144
	v_sub_f32_e32 v133, v144, v133
	v_fmamk_f32 v37, v145, 0x3e9b6dac, v129
	v_sub_f32_e32 v133, v134, v133
	v_fmaak_f32 v37, v145, v37, 0x3f2aaada
	v_ldexp_f32 v146, v133, 1
	v_mul_f32_e32 v133, v144, v145
	v_ldexp_f32 v135, v144, 1
	v_pk_mul_f32 v[144:145], v[132:133], v[36:37]
	s_nop 0
	v_fma_f32 v134, v132, s69, -v144
	v_fmac_f32_e32 v134, 0xb102e308, v132
	v_pk_add_f32 v[132:133], v[144:145], v[134:135]
	s_nop 0
	v_sub_f32_e32 v37, v133, v135
	v_sub_f32_e32 v37, v145, v37
	v_add_f32_e32 v147, v146, v37
	v_mov_b32_e32 v146, v144
	v_pk_add_f32 v[144:145], v[132:133], v[144:145] neg_lo:[0,1] neg_hi:[0,1]
	v_pk_add_f32 v[148:149], v[132:133], v[146:147]
	v_mov_b32_e32 v135, v132
	v_mov_b32_e32 v145, v149
	v_pk_add_f32 v[150:151], v[134:135], v[144:145] neg_lo:[0,1] neg_hi:[0,1]
	v_pk_add_f32 v[134:135], v[134:135], v[144:145]
	v_mov_b32_e32 v146, v147
	v_mov_b32_e32 v144, v135
	v_pk_add_f32 v[160:161], v[144:145], v[132:133] neg_lo:[0,1] neg_hi:[0,1]
	v_mov_b32_e32 v134, v149
	v_mov_b32_e32 v37, v160
	v_pk_add_f32 v[162:163], v[148:149], v[36:37] neg_lo:[0,1] neg_hi:[0,1]
	v_mov_b32_e32 v148, v133
	v_mov_b32_e32 v149, v160
	;; [unrolled: 1-line block ×3, first 2 shown]
	v_pk_add_f32 v[134:135], v[134:135], v[148:149] neg_lo:[0,1] neg_hi:[0,1]
	v_mov_b32_e32 v147, v132
	v_pk_add_f32 v[132:133], v[146:147], v[134:135] neg_lo:[0,1] neg_hi:[0,1]
	v_mov_b32_e32 v162, v150
	v_pk_add_f32 v[134:135], v[162:163], v[132:133]
	s_nop 0
	v_mov_b32_e32 v146, v135
	v_pk_add_f32 v[146:147], v[134:135], v[146:147]
	s_nop 0
	v_pk_add_f32 v[144:145], v[144:145], v[146:147]
	v_mov_b32_e32 v133, v146
	v_mov_b32_e32 v135, v144
	v_pk_add_f32 v[148:149], v[134:135], v[150:151] neg_lo:[0,1] neg_hi:[0,1]
	s_nop 0
	v_sub_f32_e32 v37, v134, v148
	v_pk_add_f32 v[132:133], v[132:133], v[148:149] neg_lo:[0,1] neg_hi:[0,1]
	v_sub_f32_e32 v37, v150, v37
	v_add_f32_e32 v37, v132, v37
	v_add_f32_e32 v37, v37, v133
	;; [unrolled: 1-line block ×3, first 2 shown]
	v_cndmask_b32_e32 v37, v37, v39, vcc
	v_add_f32_e32 v37, v38, v37
	v_cvt_f16_f32_e32 v37, v37
.LBB360_200:                            ;   in Loop: Header=BB360_172 Depth=1
	s_or_b64 exec, exec, s[56:57]
	v_mov_b32_e32 v132, v37
.LBB360_201:                            ;   in Loop: Header=BB360_172 Depth=1
	s_or_b64 exec, exec, s[62:63]
	v_cvt_f32_f16_e32 v38, v132
	v_cvt_f32_f16_e32 v39, v128
	v_cmp_u_f16_e32 vcc, v132, v132
	v_cmp_u_f16_e64 s[56:57], v128, v128
	s_waitcnt lgkmcnt(0)
	v_min_f32_e32 v37, v38, v39
	v_max_f32_e32 v133, v38, v39
	v_cndmask_b32_e32 v37, v37, v38, vcc
	v_cndmask_b32_e32 v38, v133, v38, vcc
	v_cndmask_b32_e64 v37, v37, v39, s[56:57]
	v_cndmask_b32_e64 v38, v38, v39, s[56:57]
	v_cmp_neq_f32_e32 vcc, v37, v38
	v_cmp_class_f32_e64 s[56:57], v37, s13
	s_or_b64 vcc, vcc, s[56:57]
	s_and_saveexec_b64 s[56:57], vcc
	s_xor_b64 s[56:57], exec, s[56:57]
	s_cbranch_execz .LBB360_171
; %bb.202:                              ;   in Loop: Header=BB360_172 Depth=1
	v_sub_f32_e32 v37, v37, v38
	v_mul_f32_e32 v39, 0x3fb8aa3b, v37
	v_fma_f32 v132, v37, s64, -v39
	v_rndne_f32_e32 v133, v39
	v_fmac_f32_e32 v132, 0x32a5705f, v37
	v_sub_f32_e32 v39, v39, v133
	v_add_f32_e32 v39, v39, v132
	v_cvt_i32_f32_e32 v132, v133
	v_exp_f32_e32 v39, v39
	v_cmp_ngt_f32_e32 vcc, s65, v37
	v_ldexp_f32 v39, v39, v132
	s_nop 0
	v_cndmask_b32_e32 v39, 0, v39, vcc
	v_cmp_nlt_f32_e32 vcc, s66, v37
	s_nop 1
	v_cndmask_b32_e32 v39, v131, v39, vcc
	v_add_f32_e32 v37, 1.0, v39
	v_add_f32_e32 v132, -1.0, v37
	v_sub_f32_e32 v133, v132, v37
	v_add_f32_e32 v133, 1.0, v133
	v_sub_f32_e32 v132, v39, v132
	v_add_f32_e32 v134, v132, v133
	v_frexp_mant_f32_e32 v135, v37
	v_cvt_f64_f32_e32 v[132:133], v37
	v_frexp_exp_i32_f64_e32 v132, v[132:133]
	v_cmp_gt_f32_e32 vcc, s68, v135
	v_cmp_lt_f32_e64 s[62:63], |v39|, s70
	s_nop 0
	v_subbrev_co_u32_e32 v132, vcc, 0, v132, vcc
	v_sub_u32_e32 v133, 0, v132
	v_ldexp_f32 v37, v37, v133
	v_ldexp_f32 v133, v134, v133
	v_add_f32_e32 v134, -1.0, v37
	v_add_f32_e32 v145, 1.0, v37
	v_add_f32_e32 v135, 1.0, v134
	v_add_f32_e32 v146, -1.0, v145
	v_sub_f32_e32 v135, v37, v135
	v_sub_f32_e32 v37, v37, v146
	v_add_f32_e32 v37, v133, v37
	v_add_f32_e32 v135, v133, v135
	;; [unrolled: 1-line block ×3, first 2 shown]
	v_rcp_f32_e32 v146, v133
	v_add_f32_e32 v144, v134, v135
	v_sub_f32_e32 v134, v134, v144
	v_add_f32_e32 v134, v135, v134
	v_sub_f32_e32 v135, v145, v133
	v_add_f32_e32 v37, v37, v135
	v_mul_f32_e32 v135, v144, v146
	v_mul_f32_e32 v145, v133, v135
	v_fma_f32 v147, v135, v133, -v145
	v_fmac_f32_e32 v147, v135, v37
	v_add_f32_e32 v148, v145, v147
	v_sub_f32_e32 v149, v144, v148
	v_sub_f32_e32 v144, v144, v149
	;; [unrolled: 1-line block ×4, first 2 shown]
	v_add_f32_e32 v134, v134, v144
	v_sub_f32_e32 v144, v145, v147
	v_add_f32_e32 v134, v144, v134
	v_add_f32_e32 v144, v149, v134
	v_mul_f32_e32 v145, v146, v144
	v_mul_f32_e32 v147, v133, v145
	v_fma_f32 v133, v145, v133, -v147
	v_fmac_f32_e32 v133, v145, v37
	v_sub_f32_e32 v37, v149, v144
	v_add_f32_e32 v37, v134, v37
	v_add_f32_e32 v134, v147, v133
	v_sub_f32_e32 v148, v144, v134
	v_sub_f32_e32 v144, v144, v148
	;; [unrolled: 1-line block ×4, first 2 shown]
	v_add_f32_e32 v37, v37, v134
	v_sub_f32_e32 v133, v147, v133
	v_add_f32_e32 v37, v133, v37
	v_add_f32_e32 v133, v135, v145
	;; [unrolled: 1-line block ×3, first 2 shown]
	v_sub_f32_e32 v134, v133, v135
	v_mul_f32_e32 v37, v146, v37
	v_sub_f32_e32 v134, v145, v134
	v_add_f32_e32 v134, v134, v37
	v_add_f32_e32 v144, v133, v134
	v_cvt_f32_i32_e32 v132, v132
	v_mul_f32_e32 v145, v144, v144
	v_sub_f32_e32 v133, v144, v133
	v_fmamk_f32 v37, v145, 0x3e9b6dac, v129
	v_sub_f32_e32 v133, v134, v133
	v_fmaak_f32 v37, v145, v37, 0x3f2aaada
	v_ldexp_f32 v146, v133, 1
	v_mul_f32_e32 v133, v144, v145
	v_ldexp_f32 v135, v144, 1
	v_pk_mul_f32 v[144:145], v[132:133], v[36:37]
	v_cmp_eq_f32_e32 vcc, s67, v39
	v_fma_f32 v134, v132, s69, -v144
	v_fmac_f32_e32 v134, 0xb102e308, v132
	v_pk_add_f32 v[132:133], v[144:145], v[134:135]
	s_or_b64 vcc, vcc, s[62:63]
	v_sub_f32_e32 v37, v133, v135
	v_sub_f32_e32 v37, v145, v37
	v_add_f32_e32 v147, v146, v37
	v_mov_b32_e32 v146, v144
	v_pk_add_f32 v[144:145], v[132:133], v[144:145] neg_lo:[0,1] neg_hi:[0,1]
	v_pk_add_f32 v[148:149], v[132:133], v[146:147]
	v_mov_b32_e32 v135, v132
	v_mov_b32_e32 v145, v149
	v_pk_add_f32 v[150:151], v[134:135], v[144:145] neg_lo:[0,1] neg_hi:[0,1]
	v_pk_add_f32 v[134:135], v[134:135], v[144:145]
	v_mov_b32_e32 v146, v147
	v_mov_b32_e32 v144, v135
	v_pk_add_f32 v[160:161], v[144:145], v[132:133] neg_lo:[0,1] neg_hi:[0,1]
	v_mov_b32_e32 v134, v149
	v_mov_b32_e32 v37, v160
	v_pk_add_f32 v[162:163], v[148:149], v[36:37] neg_lo:[0,1] neg_hi:[0,1]
	v_mov_b32_e32 v148, v133
	v_mov_b32_e32 v149, v160
	;; [unrolled: 1-line block ×3, first 2 shown]
	v_pk_add_f32 v[134:135], v[134:135], v[148:149] neg_lo:[0,1] neg_hi:[0,1]
	v_mov_b32_e32 v147, v132
	v_pk_add_f32 v[132:133], v[146:147], v[134:135] neg_lo:[0,1] neg_hi:[0,1]
	v_mov_b32_e32 v162, v150
	v_pk_add_f32 v[134:135], v[162:163], v[132:133]
	s_nop 0
	v_mov_b32_e32 v146, v135
	v_pk_add_f32 v[146:147], v[134:135], v[146:147]
	s_nop 0
	v_pk_add_f32 v[144:145], v[144:145], v[146:147]
	v_mov_b32_e32 v133, v146
	v_mov_b32_e32 v135, v144
	v_pk_add_f32 v[148:149], v[134:135], v[150:151] neg_lo:[0,1] neg_hi:[0,1]
	s_nop 0
	v_sub_f32_e32 v37, v134, v148
	v_pk_add_f32 v[132:133], v[132:133], v[148:149] neg_lo:[0,1] neg_hi:[0,1]
	v_sub_f32_e32 v37, v150, v37
	v_add_f32_e32 v37, v132, v37
	v_add_f32_e32 v37, v37, v133
	;; [unrolled: 1-line block ×3, first 2 shown]
	v_cndmask_b32_e32 v37, v37, v39, vcc
	v_add_f32_e32 v37, v38, v37
	v_cvt_f16_f32_e32 v132, v37
	s_branch .LBB360_171
.LBB360_203:                            ;   in Loop: Header=BB360_172 Depth=1
                                        ; implicit-def: $vgpr132
                                        ; implicit-def: $vgpr99
	s_cbranch_execz .LBB360_172
; %bb.204:
	s_and_saveexec_b64 s[62:63], s[52:53]
	s_cbranch_execz .LBB360_208
; %bb.205:
	v_cvt_f32_f16_e32 v32, v128
	v_cvt_f32_f16_e32 v33, v98
	v_cmp_u_f16_e32 vcc, v128, v128
	v_cmp_u_f16_e64 s[56:57], v98, v98
	s_movk_i32 s13, 0x1f8
	v_min_f32_e32 v34, v32, v33
	v_max_f32_e32 v35, v32, v33
	v_cndmask_b32_e32 v34, v34, v32, vcc
	v_cndmask_b32_e32 v32, v35, v32, vcc
	v_cndmask_b32_e64 v34, v34, v33, s[56:57]
	v_cndmask_b32_e64 v32, v32, v33, s[56:57]
	v_cmp_neq_f32_e32 vcc, v34, v32
	v_cmp_class_f32_e64 s[56:57], v34, s13
	s_or_b64 vcc, vcc, s[56:57]
	v_mov_b32_e32 v33, v128
	s_and_saveexec_b64 s[56:57], vcc
	s_cbranch_execz .LBB360_207
; %bb.206:
	v_sub_f32_e32 v33, v34, v32
	s_mov_b32 s13, 0x3fb8aa3b
	v_mul_f32_e32 v34, 0x3fb8aa3b, v33
	v_fma_f32 v35, v33, s13, -v34
	v_rndne_f32_e32 v36, v34
	v_fmamk_f32 v35, v33, 0x32a5705f, v35
	v_sub_f32_e32 v34, v34, v36
	v_add_f32_e32 v34, v34, v35
	v_exp_f32_e32 v34, v34
	v_cvt_i32_f32_e32 v35, v36
	s_mov_b32 s13, 0xc2ce8ed0
	v_cmp_ngt_f32_e32 vcc, s13, v33
	s_mov_b32 s13, 0x42b17218
	v_ldexp_f32 v34, v34, v35
	v_cndmask_b32_e32 v34, 0, v34, vcc
	v_mov_b32_e32 v35, 0x7f800000
	v_cmp_nlt_f32_e32 vcc, s13, v33
	s_mov_b32 s13, 0x3f2aaaab
	s_mov_b32 s64, 0x7f800000
	v_cndmask_b32_e32 v116, v35, v34, vcc
	v_add_f32_e32 v33, 1.0, v116
	v_add_f32_e32 v34, -1.0, v33
	v_sub_f32_e32 v35, v34, v33
	v_add_f32_e32 v35, 1.0, v35
	v_sub_f32_e32 v34, v116, v34
	v_add_f32_e32 v36, v34, v35
	v_frexp_mant_f32_e32 v37, v33
	v_cvt_f64_f32_e32 v[34:35], v33
	v_frexp_exp_i32_f64_e32 v34, v[34:35]
	v_cmp_gt_f32_e32 vcc, s13, v37
	s_mov_b32 s13, 0x3f317218
	s_nop 0
	v_subbrev_co_u32_e32 v100, vcc, 0, v34, vcc
	v_sub_u32_e32 v34, 0, v100
	v_ldexp_f32 v33, v33, v34
	v_ldexp_f32 v34, v36, v34
	v_add_f32_e32 v36, -1.0, v33
	v_add_f32_e32 v35, 1.0, v36
	v_sub_f32_e32 v35, v33, v35
	v_add_f32_e32 v37, v34, v35
	v_add_f32_e32 v35, 1.0, v33
	v_add_f32_e32 v38, -1.0, v35
	v_sub_f32_e32 v33, v33, v38
	v_add_f32_e32 v33, v34, v33
	v_add_f32_e32 v101, v35, v33
	v_rcp_f32_e32 v102, v101
	v_sub_f32_e32 v34, v35, v101
	v_add_f32_e32 v35, v36, v37
	v_add_f32_e32 v33, v33, v34
	v_mul_f32_e32 v112, v35, v102
	v_sub_f32_e32 v34, v36, v35
	v_mul_f32_e32 v36, v101, v112
	v_fma_f32 v38, v112, v101, -v36
	v_fmac_f32_e32 v38, v112, v33
	v_add_f32_e32 v103, v37, v34
	v_add_f32_e32 v34, v36, v38
	v_sub_f32_e32 v37, v35, v34
	v_pk_add_f32 v[98:99], v[34:35], v[36:37] neg_lo:[0,1] neg_hi:[0,1]
	v_mov_b32_e32 v39, v34
	v_pk_add_f32 v[34:35], v[98:99], v[38:39] neg_lo:[0,1] neg_hi:[0,1]
	v_cmp_eq_f32_e32 vcc, s64, v116
	v_add_f32_e32 v35, v103, v35
	v_add_f32_e32 v34, v34, v35
	;; [unrolled: 1-line block ×3, first 2 shown]
	v_mul_f32_e32 v103, v102, v35
	v_mul_f32_e32 v36, v101, v103
	v_fma_f32 v38, v103, v101, -v36
	v_fmac_f32_e32 v38, v103, v33
	v_sub_f32_e32 v33, v37, v35
	v_add_f32_e32 v33, v34, v33
	v_add_f32_e32 v34, v36, v38
	v_sub_f32_e32 v37, v35, v34
	v_pk_add_f32 v[98:99], v[34:35], v[36:37] neg_lo:[0,1] neg_hi:[0,1]
	v_mov_b32_e32 v39, v34
	v_pk_add_f32 v[34:35], v[98:99], v[38:39] neg_lo:[0,1] neg_hi:[0,1]
	v_cvt_f32_i32_e32 v36, v100
	v_add_f32_e32 v33, v33, v35
	v_add_f32_e32 v33, v34, v33
	;; [unrolled: 1-line block ×4, first 2 shown]
	v_sub_f32_e32 v35, v34, v112
	v_mul_f32_e32 v33, v102, v33
	v_sub_f32_e32 v35, v103, v35
	v_add_f32_e32 v33, v35, v33
	v_add_f32_e32 v37, v34, v33
	v_mul_f32_e32 v38, v37, v37
	v_mov_b32_e32 v35, 0x3ecc95a3
	v_fmac_f32_e32 v35, 0x3e9b6dac, v38
	v_sub_f32_e32 v34, v37, v34
	v_fmaak_f32 v35, v38, v35, 0x3f2aaada
	v_sub_f32_e32 v33, v33, v34
	v_ldexp_f32 v39, v37, 1
	v_mul_f32_e32 v37, v37, v38
	v_mov_b32_e32 v34, 0x3f317218
	v_pk_mul_f32 v[34:35], v[36:37], v[34:35]
	v_ldexp_f32 v33, v33, 1
	v_fma_f32 v37, v36, s13, -v34
	v_fmamk_f32 v38, v36, 0xb102e308, v37
	v_pk_add_f32 v[36:37], v[34:35], v[38:39]
	v_mov_b32_e32 v98, v34
	v_sub_f32_e32 v39, v37, v39
	v_sub_f32_e32 v39, v35, v39
	v_add_f32_e32 v99, v33, v39
	v_pk_add_f32 v[34:35], v[36:37], v[34:35] neg_lo:[0,1] neg_hi:[0,1]
	v_pk_add_f32 v[100:101], v[36:37], v[98:99]
	v_mov_b32_e32 v39, v36
	v_mov_b32_e32 v35, v101
	v_pk_add_f32 v[102:103], v[38:39], v[34:35] neg_lo:[0,1] neg_hi:[0,1]
	v_pk_add_f32 v[34:35], v[38:39], v[34:35]
	v_mov_b32_e32 v98, v99
	v_mov_b32_e32 v38, v35
	v_pk_add_f32 v[112:113], v[38:39], v[36:37] neg_lo:[0,1] neg_hi:[0,1]
	v_mov_b32_e32 v34, v101
	v_mov_b32_e32 v33, v112
	v_pk_add_f32 v[114:115], v[100:101], v[32:33] neg_lo:[0,1] neg_hi:[0,1]
	v_mov_b32_e32 v100, v37
	v_mov_b32_e32 v101, v112
	;; [unrolled: 1-line block ×3, first 2 shown]
	v_pk_add_f32 v[34:35], v[34:35], v[100:101] neg_lo:[0,1] neg_hi:[0,1]
	v_mov_b32_e32 v99, v36
	v_pk_add_f32 v[34:35], v[98:99], v[34:35] neg_lo:[0,1] neg_hi:[0,1]
	v_mov_b32_e32 v114, v102
	v_pk_add_f32 v[36:37], v[114:115], v[34:35]
	s_mov_b32 s13, 0x33800000
	v_mov_b32_e32 v98, v37
	v_pk_add_f32 v[98:99], v[36:37], v[98:99]
	v_cmp_lt_f32_e64 s[64:65], |v116|, s13
	v_pk_add_f32 v[38:39], v[38:39], v[98:99]
	v_mov_b32_e32 v35, v98
	v_mov_b32_e32 v37, v38
	v_pk_add_f32 v[100:101], v[36:37], v[102:103] neg_lo:[0,1] neg_hi:[0,1]
	s_or_b64 vcc, vcc, s[64:65]
	v_sub_f32_e32 v33, v36, v100
	v_pk_add_f32 v[34:35], v[34:35], v[100:101] neg_lo:[0,1] neg_hi:[0,1]
	v_sub_f32_e32 v33, v102, v33
	v_add_f32_e32 v33, v34, v33
	v_add_f32_e32 v33, v33, v35
	;; [unrolled: 1-line block ×3, first 2 shown]
	v_cndmask_b32_e32 v33, v33, v116, vcc
	v_add_f32_e32 v32, v32, v33
	v_cvt_f16_f32_e32 v33, v32
.LBB360_207:
	s_or_b64 exec, exec, s[56:57]
	s_add_i32 s12, s12, 64
	s_mov_b32 s13, 0
	v_lshl_add_u64 v[34:35], s[12:13], 2, v[28:29]
	s_mov_b32 s12, 0x20000
	v_or_b32_sdwa v32, v33, s12 dst_sel:DWORD dst_unused:UNUSED_PAD src0_sel:WORD_0 src1_sel:DWORD
	flat_store_dword v[34:35], v32 sc1
.LBB360_208:
	s_or_b64 exec, exec, s[62:63]
	v_cmp_eq_u32_e32 vcc, 0, v0
	s_and_b64 exec, exec, vcc
	s_cbranch_execz .LBB360_210
; %bb.209:
	v_mov_b32_e32 v32, 0
	ds_write_b16 v32, v128 offset:6
.LBB360_210:
	s_or_b64 exec, exec, s[60:61]
	v_mov_b32_e32 v32, 0
	s_waitcnt lgkmcnt(0)
	s_barrier
	ds_read_u16 v32, v32 offset:6
	v_cmp_ne_u32_e32 vcc, 0, v0
	v_mov_b32_e32 v34, v24
	s_and_saveexec_b64 s[12:13], vcc
	s_cbranch_execz .LBB360_214
; %bb.211:
	v_cndmask_b32_e64 v34, v97, v96, s[52:53]
	v_cvt_f32_f16_e32 v35, v34
	v_max_f32_e32 v33, v87, v87
	v_cmp_u_f16_e32 vcc, v34, v34
	v_min_f32_e32 v36, v35, v33
	v_max_f32_e32 v33, v35, v33
	v_cndmask_b32_e32 v36, v36, v35, vcc
	v_cndmask_b32_e32 v33, v33, v35, vcc
	v_cndmask_b32_e64 v36, v36, v87, s[50:51]
	v_cndmask_b32_e64 v33, v33, v87, s[50:51]
	s_movk_i32 s50, 0x1f8
	v_cmp_neq_f32_e32 vcc, v36, v33
	v_cmp_class_f32_e64 s[50:51], v36, s50
	s_or_b64 vcc, vcc, s[50:51]
	s_and_saveexec_b64 s[50:51], vcc
	s_cbranch_execz .LBB360_213
; %bb.212:
	v_sub_f32_e32 v34, v36, v33
	s_mov_b32 s52, 0x3fb8aa3b
	v_mul_f32_e32 v35, 0x3fb8aa3b, v34
	v_fma_f32 v36, v34, s52, -v35
	v_rndne_f32_e32 v37, v35
	v_fmamk_f32 v36, v34, 0x32a5705f, v36
	v_sub_f32_e32 v35, v35, v37
	v_add_f32_e32 v35, v35, v36
	v_exp_f32_e32 v35, v35
	v_cvt_i32_f32_e32 v36, v37
	s_mov_b32 s52, 0xc2ce8ed0
	v_cmp_ngt_f32_e32 vcc, s52, v34
	s_mov_b32 s52, 0x42b17218
	v_ldexp_f32 v35, v35, v36
	v_cndmask_b32_e32 v35, 0, v35, vcc
	v_mov_b32_e32 v36, 0x7f800000
	v_cmp_nlt_f32_e32 vcc, s52, v34
	s_mov_b32 s52, 0x3f2aaaab
	s_mov_b32 s53, 0x7f800000
	v_cndmask_b32_e32 v87, v36, v35, vcc
	v_add_f32_e32 v36, 1.0, v87
	v_add_f32_e32 v34, -1.0, v36
	v_sub_f32_e32 v35, v34, v36
	v_add_f32_e32 v35, 1.0, v35
	v_sub_f32_e32 v34, v87, v34
	v_add_f32_e32 v37, v34, v35
	v_frexp_mant_f32_e32 v38, v36
	v_cvt_f64_f32_e32 v[34:35], v36
	v_frexp_exp_i32_f64_e32 v34, v[34:35]
	v_cmp_gt_f32_e32 vcc, s52, v38
	s_mov_b32 s52, 0x3f317218
	s_nop 0
	v_subbrev_co_u32_e32 v98, vcc, 0, v34, vcc
	v_sub_u32_e32 v34, 0, v98
	v_ldexp_f32 v35, v36, v34
	v_add_f32_e32 v36, -1.0, v35
	v_add_f32_e32 v38, 1.0, v35
	v_ldexp_f32 v34, v37, v34
	v_add_f32_e32 v37, 1.0, v36
	v_add_f32_e32 v39, -1.0, v38
	v_sub_f32_e32 v37, v35, v37
	v_sub_f32_e32 v35, v35, v39
	v_add_f32_e32 v37, v34, v37
	v_add_f32_e32 v34, v34, v35
	v_add_f32_e32 v99, v38, v34
	v_rcp_f32_e32 v101, v99
	v_sub_f32_e32 v35, v38, v99
	v_add_f32_e32 v100, v34, v35
	v_add_f32_e32 v35, v36, v37
	v_mul_f32_e32 v103, v35, v101
	v_sub_f32_e32 v34, v36, v35
	v_mul_f32_e32 v36, v99, v103
	v_fma_f32 v38, v103, v99, -v36
	v_fmac_f32_e32 v38, v103, v100
	v_add_f32_e32 v102, v37, v34
	v_add_f32_e32 v34, v36, v38
	v_sub_f32_e32 v37, v35, v34
	v_pk_add_f32 v[96:97], v[34:35], v[36:37] neg_lo:[0,1] neg_hi:[0,1]
	v_mov_b32_e32 v39, v34
	v_pk_add_f32 v[34:35], v[96:97], v[38:39] neg_lo:[0,1] neg_hi:[0,1]
	v_cmp_eq_f32_e32 vcc, s53, v87
	v_add_f32_e32 v35, v102, v35
	v_add_f32_e32 v34, v34, v35
	;; [unrolled: 1-line block ×3, first 2 shown]
	v_mul_f32_e32 v102, v101, v35
	v_mul_f32_e32 v36, v99, v102
	v_fma_f32 v38, v102, v99, -v36
	v_fmac_f32_e32 v38, v102, v100
	v_sub_f32_e32 v37, v37, v35
	v_add_f32_e32 v99, v34, v37
	v_add_f32_e32 v34, v36, v38
	v_sub_f32_e32 v37, v35, v34
	v_pk_add_f32 v[96:97], v[34:35], v[36:37] neg_lo:[0,1] neg_hi:[0,1]
	v_mov_b32_e32 v39, v34
	v_pk_add_f32 v[34:35], v[96:97], v[38:39] neg_lo:[0,1] neg_hi:[0,1]
	v_cvt_f32_i32_e32 v36, v98
	v_add_f32_e32 v35, v99, v35
	v_add_f32_e32 v34, v34, v35
	;; [unrolled: 1-line block ×4, first 2 shown]
	v_sub_f32_e32 v35, v37, v103
	v_mul_f32_e32 v34, v101, v34
	v_sub_f32_e32 v35, v102, v35
	v_add_f32_e32 v34, v35, v34
	v_add_f32_e32 v38, v37, v34
	v_mul_f32_e32 v96, v38, v38
	v_mov_b32_e32 v35, 0x3ecc95a3
	v_sub_f32_e32 v37, v38, v37
	v_fmac_f32_e32 v35, 0x3e9b6dac, v96
	v_sub_f32_e32 v34, v34, v37
	v_fmaak_f32 v35, v96, v35, 0x3f2aaada
	v_ldexp_f32 v97, v34, 1
	v_mul_f32_e32 v37, v38, v96
	v_mov_b32_e32 v34, 0x3f317218
	v_pk_mul_f32 v[34:35], v[36:37], v[34:35]
	v_ldexp_f32 v39, v38, 1
	v_fma_f32 v37, v36, s52, -v34
	v_fmamk_f32 v38, v36, 0xb102e308, v37
	v_pk_add_f32 v[36:37], v[34:35], v[38:39]
	v_mov_b32_e32 v96, v34
	v_sub_f32_e32 v39, v37, v39
	v_sub_f32_e32 v39, v35, v39
	v_add_f32_e32 v97, v97, v39
	v_pk_add_f32 v[34:35], v[36:37], v[34:35] neg_lo:[0,1] neg_hi:[0,1]
	v_pk_add_f32 v[98:99], v[36:37], v[96:97]
	v_mov_b32_e32 v39, v36
	v_mov_b32_e32 v35, v99
	v_pk_add_f32 v[100:101], v[38:39], v[34:35] neg_lo:[0,1] neg_hi:[0,1]
	v_pk_add_f32 v[34:35], v[38:39], v[34:35]
	v_mov_b32_e32 v96, v97
	v_mov_b32_e32 v38, v35
	v_pk_add_f32 v[102:103], v[38:39], v[36:37] neg_lo:[0,1] neg_hi:[0,1]
	v_mov_b32_e32 v34, v99
	v_mov_b32_e32 v39, v102
	v_pk_add_f32 v[112:113], v[98:99], v[38:39] neg_lo:[0,1] neg_hi:[0,1]
	v_mov_b32_e32 v98, v37
	v_mov_b32_e32 v99, v102
	;; [unrolled: 1-line block ×3, first 2 shown]
	v_pk_add_f32 v[34:35], v[34:35], v[98:99] neg_lo:[0,1] neg_hi:[0,1]
	v_mov_b32_e32 v97, v36
	v_pk_add_f32 v[34:35], v[96:97], v[34:35] neg_lo:[0,1] neg_hi:[0,1]
	v_mov_b32_e32 v112, v100
	v_pk_add_f32 v[36:37], v[112:113], v[34:35]
	s_mov_b32 s52, 0x33800000
	v_mov_b32_e32 v96, v37
	v_pk_add_f32 v[96:97], v[36:37], v[96:97]
	v_cmp_lt_f32_e64 s[52:53], |v87|, s52
	v_pk_add_f32 v[38:39], v[38:39], v[96:97]
	v_mov_b32_e32 v35, v96
	v_mov_b32_e32 v37, v38
	v_pk_add_f32 v[98:99], v[36:37], v[100:101] neg_lo:[0,1] neg_hi:[0,1]
	s_or_b64 vcc, vcc, s[52:53]
	v_sub_f32_e32 v36, v36, v98
	v_pk_add_f32 v[34:35], v[34:35], v[98:99] neg_lo:[0,1] neg_hi:[0,1]
	v_sub_f32_e32 v36, v100, v36
	v_add_f32_e32 v34, v34, v36
	v_add_f32_e32 v34, v34, v35
	;; [unrolled: 1-line block ×3, first 2 shown]
	v_cndmask_b32_e32 v34, v34, v87, vcc
	v_add_f32_e32 v33, v33, v34
	v_cvt_f16_f32_e32 v34, v33
	v_cvt_f32_f16_e32 v35, v34
.LBB360_213:
	s_or_b64 exec, exec, s[50:51]
	v_mov_b32_e32 v87, v35
.LBB360_214:
	s_or_b64 exec, exec, s[12:13]
	s_waitcnt lgkmcnt(0)
	v_cvt_f32_f16_e32 v97, v32
	v_max_f32_e32 v33, v87, v87
	v_cmp_u_f16_e32 vcc, v32, v32
	v_cmp_u_f16_e64 s[12:13], v34, v34
	v_min_f32_e32 v35, v97, v33
	v_max_f32_e32 v33, v97, v33
	v_cndmask_b32_e32 v35, v35, v97, vcc
	v_cndmask_b32_e32 v33, v33, v97, vcc
	v_cndmask_b32_e64 v34, v35, v87, s[12:13]
	v_cndmask_b32_e64 v33, v33, v87, s[12:13]
	s_movk_i32 s50, 0x1f8
	v_cmp_neq_f32_e32 vcc, v34, v33
	v_cmp_class_f32_e64 s[12:13], v34, s50
	s_or_b64 vcc, vcc, s[12:13]
	s_and_saveexec_b64 s[12:13], vcc
	s_cbranch_execz .LBB360_216
; %bb.215:
	v_sub_f32_e32 v32, v34, v33
	s_mov_b32 s51, 0x3fb8aa3b
	v_mul_f32_e32 v34, 0x3fb8aa3b, v32
	v_fma_f32 v35, v32, s51, -v34
	v_rndne_f32_e32 v36, v34
	v_fmamk_f32 v35, v32, 0x32a5705f, v35
	v_sub_f32_e32 v34, v34, v36
	v_add_f32_e32 v34, v34, v35
	v_exp_f32_e32 v34, v34
	v_cvt_i32_f32_e32 v35, v36
	s_mov_b32 s51, 0xc2ce8ed0
	v_cmp_ngt_f32_e32 vcc, s51, v32
	s_mov_b32 s51, 0x42b17218
	v_ldexp_f32 v34, v34, v35
	v_cndmask_b32_e32 v34, 0, v34, vcc
	v_mov_b32_e32 v35, 0x7f800000
	v_cmp_nlt_f32_e32 vcc, s51, v32
	s_mov_b32 s51, 0x3f2aaaab
	s_mov_b32 s52, 0x7f800000
	v_cndmask_b32_e32 v87, v35, v34, vcc
	v_add_f32_e32 v32, 1.0, v87
	v_add_f32_e32 v34, -1.0, v32
	v_sub_f32_e32 v35, v34, v32
	v_add_f32_e32 v35, 1.0, v35
	v_sub_f32_e32 v34, v87, v34
	v_add_f32_e32 v36, v34, v35
	v_frexp_mant_f32_e32 v37, v32
	v_cvt_f64_f32_e32 v[34:35], v32
	v_frexp_exp_i32_f64_e32 v34, v[34:35]
	v_cmp_gt_f32_e32 vcc, s51, v37
	s_mov_b32 s51, 0x3f317218
	s_nop 0
	v_subbrev_co_u32_e32 v98, vcc, 0, v34, vcc
	v_sub_u32_e32 v34, 0, v98
	v_ldexp_f32 v32, v32, v34
	v_ldexp_f32 v34, v36, v34
	v_add_f32_e32 v36, -1.0, v32
	v_add_f32_e32 v35, 1.0, v36
	v_sub_f32_e32 v35, v32, v35
	v_add_f32_e32 v37, v34, v35
	v_add_f32_e32 v35, 1.0, v32
	v_add_f32_e32 v38, -1.0, v35
	v_sub_f32_e32 v32, v32, v38
	v_add_f32_e32 v32, v34, v32
	v_add_f32_e32 v99, v35, v32
	v_rcp_f32_e32 v100, v99
	v_sub_f32_e32 v34, v35, v99
	v_add_f32_e32 v35, v36, v37
	v_add_f32_e32 v32, v32, v34
	v_mul_f32_e32 v102, v35, v100
	v_sub_f32_e32 v34, v36, v35
	v_mul_f32_e32 v36, v99, v102
	v_fma_f32 v38, v102, v99, -v36
	v_fmac_f32_e32 v38, v102, v32
	v_add_f32_e32 v101, v37, v34
	v_add_f32_e32 v34, v36, v38
	v_sub_f32_e32 v37, v35, v34
	v_pk_add_f32 v[96:97], v[34:35], v[36:37] neg_lo:[0,1] neg_hi:[0,1]
	v_mov_b32_e32 v39, v34
	v_pk_add_f32 v[34:35], v[96:97], v[38:39] neg_lo:[0,1] neg_hi:[0,1]
	v_cmp_eq_f32_e32 vcc, s52, v87
	v_add_f32_e32 v35, v101, v35
	v_add_f32_e32 v34, v34, v35
	;; [unrolled: 1-line block ×3, first 2 shown]
	v_mul_f32_e32 v101, v100, v35
	v_mul_f32_e32 v36, v99, v101
	v_fma_f32 v38, v101, v99, -v36
	v_fmac_f32_e32 v38, v101, v32
	v_sub_f32_e32 v32, v37, v35
	v_add_f32_e32 v32, v34, v32
	v_add_f32_e32 v34, v36, v38
	v_sub_f32_e32 v37, v35, v34
	v_pk_add_f32 v[96:97], v[34:35], v[36:37] neg_lo:[0,1] neg_hi:[0,1]
	v_mov_b32_e32 v39, v34
	v_pk_add_f32 v[34:35], v[96:97], v[38:39] neg_lo:[0,1] neg_hi:[0,1]
	v_cvt_f32_i32_e32 v36, v98
	v_add_f32_e32 v32, v32, v35
	v_add_f32_e32 v32, v34, v32
	;; [unrolled: 1-line block ×4, first 2 shown]
	v_sub_f32_e32 v35, v34, v102
	v_mul_f32_e32 v32, v100, v32
	v_sub_f32_e32 v35, v101, v35
	v_add_f32_e32 v32, v35, v32
	v_add_f32_e32 v37, v34, v32
	v_mul_f32_e32 v38, v37, v37
	v_mov_b32_e32 v35, 0x3ecc95a3
	v_fmac_f32_e32 v35, 0x3e9b6dac, v38
	v_sub_f32_e32 v34, v37, v34
	v_fmaak_f32 v35, v38, v35, 0x3f2aaada
	v_sub_f32_e32 v32, v32, v34
	v_ldexp_f32 v39, v37, 1
	v_mul_f32_e32 v37, v37, v38
	v_mov_b32_e32 v34, 0x3f317218
	v_pk_mul_f32 v[34:35], v[36:37], v[34:35]
	v_ldexp_f32 v32, v32, 1
	v_fma_f32 v37, v36, s51, -v34
	v_fmamk_f32 v38, v36, 0xb102e308, v37
	v_pk_add_f32 v[36:37], v[34:35], v[38:39]
	v_mov_b32_e32 v96, v34
	v_sub_f32_e32 v39, v37, v39
	v_sub_f32_e32 v39, v35, v39
	v_add_f32_e32 v97, v32, v39
	v_pk_add_f32 v[34:35], v[36:37], v[34:35] neg_lo:[0,1] neg_hi:[0,1]
	v_pk_add_f32 v[98:99], v[36:37], v[96:97]
	v_mov_b32_e32 v39, v36
	v_mov_b32_e32 v35, v99
	v_pk_add_f32 v[100:101], v[38:39], v[34:35] neg_lo:[0,1] neg_hi:[0,1]
	v_pk_add_f32 v[34:35], v[38:39], v[34:35]
	s_mov_b32 s51, 0x33800000
	v_mov_b32_e32 v32, v35
	v_pk_add_f32 v[38:39], v[32:33], v[36:37] neg_lo:[0,1] neg_hi:[0,1]
	v_mov_b32_e32 v34, v99
	v_mov_b32_e32 v39, v38
	v_pk_add_f32 v[102:103], v[98:99], v[38:39] neg_lo:[0,1] neg_hi:[0,1]
	v_mov_b32_e32 v98, v37
	v_mov_b32_e32 v99, v38
	;; [unrolled: 1-line block ×3, first 2 shown]
	v_pk_add_f32 v[34:35], v[34:35], v[98:99] neg_lo:[0,1] neg_hi:[0,1]
	v_mov_b32_e32 v38, v97
	v_mov_b32_e32 v39, v36
	v_pk_add_f32 v[34:35], v[38:39], v[34:35] neg_lo:[0,1] neg_hi:[0,1]
	v_mov_b32_e32 v102, v100
	v_pk_add_f32 v[36:37], v[102:103], v[34:35]
	v_cmp_lt_f32_e64 s[52:53], |v87|, s51
	v_mov_b32_e32 v38, v37
	v_pk_add_f32 v[38:39], v[36:37], v[38:39]
	s_or_b64 vcc, vcc, s[52:53]
	v_pk_add_f32 v[96:97], v[32:33], v[38:39]
	v_mov_b32_e32 v35, v38
	v_mov_b32_e32 v37, v96
	v_pk_add_f32 v[98:99], v[36:37], v[100:101] neg_lo:[0,1] neg_hi:[0,1]
	s_nop 0
	v_sub_f32_e32 v32, v36, v98
	v_pk_add_f32 v[34:35], v[34:35], v[98:99] neg_lo:[0,1] neg_hi:[0,1]
	v_sub_f32_e32 v32, v100, v32
	v_add_f32_e32 v32, v34, v32
	v_add_f32_e32 v32, v32, v35
	;; [unrolled: 1-line block ×3, first 2 shown]
	v_cndmask_b32_e32 v32, v32, v87, vcc
	v_add_f32_e32 v32, v33, v32
	v_cvt_f16_f32_e32 v32, v32
	v_cvt_f32_f16_e32 v97, v32
.LBB360_216:
	s_or_b64 exec, exec, s[12:13]
	v_max_f32_e32 v33, v11, v11
	v_max_f32_e32 v34, v97, v97
	v_min_f32_e32 v35, v34, v33
	v_cmp_u_f16_e32 vcc, v32, v32
	v_max_f32_e32 v33, v34, v33
	v_mov_b32_e32 v98, v32
	v_cndmask_b32_e32 v35, v35, v97, vcc
	v_cndmask_b32_e32 v33, v33, v97, vcc
	v_cndmask_b32_e64 v35, v35, v11, s[2:3]
	v_cndmask_b32_e64 v34, v33, v11, s[2:3]
	v_cmp_neq_f32_e32 vcc, v35, v34
	v_cmp_class_f32_e64 s[2:3], v35, s50
	s_or_b64 s[12:13], vcc, s[2:3]
	v_mov_b32_e32 v33, v32
	s_and_saveexec_b64 s[2:3], s[12:13]
	s_cbranch_execz .LBB360_218
; %bb.217:
	v_sub_f32_e32 v33, v35, v34
	s_mov_b32 s12, 0x3fb8aa3b
	v_mul_f32_e32 v35, 0x3fb8aa3b, v33
	v_fma_f32 v36, v33, s12, -v35
	v_rndne_f32_e32 v37, v35
	v_fmamk_f32 v36, v33, 0x32a5705f, v36
	v_sub_f32_e32 v35, v35, v37
	v_add_f32_e32 v35, v35, v36
	v_exp_f32_e32 v35, v35
	v_cvt_i32_f32_e32 v36, v37
	s_mov_b32 s12, 0xc2ce8ed0
	v_cmp_ngt_f32_e32 vcc, s12, v33
	s_mov_b32 s12, 0x42b17218
	v_ldexp_f32 v35, v35, v36
	v_cndmask_b32_e32 v35, 0, v35, vcc
	v_mov_b32_e32 v36, 0x7f800000
	v_cmp_nlt_f32_e32 vcc, s12, v33
	s_mov_b32 s12, 0x3f2aaaab
	s_mov_b32 s13, 0x7f800000
	v_cndmask_b32_e32 v35, v36, v35, vcc
	v_add_f32_e32 v33, 1.0, v35
	v_add_f32_e32 v36, -1.0, v33
	v_sub_f32_e32 v37, v36, v33
	v_add_f32_e32 v37, 1.0, v37
	v_sub_f32_e32 v36, v35, v36
	v_add_f32_e32 v38, v36, v37
	v_frexp_mant_f32_e32 v39, v33
	v_cvt_f64_f32_e32 v[36:37], v33
	v_frexp_exp_i32_f64_e32 v36, v[36:37]
	v_cmp_gt_f32_e32 vcc, s12, v39
	s_mov_b32 s12, 0x3f317218
	s_nop 0
	v_subbrev_co_u32_e32 v87, vcc, 0, v36, vcc
	v_sub_u32_e32 v36, 0, v87
	v_ldexp_f32 v33, v33, v36
	v_ldexp_f32 v36, v38, v36
	v_add_f32_e32 v38, -1.0, v33
	v_add_f32_e32 v37, 1.0, v38
	v_sub_f32_e32 v37, v33, v37
	v_add_f32_e32 v39, v36, v37
	v_add_f32_e32 v37, 1.0, v33
	v_add_f32_e32 v96, -1.0, v37
	v_sub_f32_e32 v33, v33, v96
	v_add_f32_e32 v33, v36, v33
	v_add_f32_e32 v100, v37, v33
	v_rcp_f32_e32 v101, v100
	v_sub_f32_e32 v36, v37, v100
	v_add_f32_e32 v37, v38, v39
	v_add_f32_e32 v33, v33, v36
	v_mul_f32_e32 v103, v37, v101
	v_sub_f32_e32 v36, v38, v37
	v_mul_f32_e32 v38, v100, v103
	v_fma_f32 v96, v103, v100, -v38
	v_fmac_f32_e32 v96, v103, v33
	v_add_f32_e32 v102, v39, v36
	v_add_f32_e32 v36, v38, v96
	v_sub_f32_e32 v39, v37, v36
	v_pk_add_f32 v[98:99], v[36:37], v[38:39] neg_lo:[0,1] neg_hi:[0,1]
	v_mov_b32_e32 v97, v36
	v_pk_add_f32 v[36:37], v[98:99], v[96:97] neg_lo:[0,1] neg_hi:[0,1]
	v_cmp_eq_f32_e32 vcc, s13, v35
	v_add_f32_e32 v37, v102, v37
	v_add_f32_e32 v36, v36, v37
	v_add_f32_e32 v37, v39, v36
	v_mul_f32_e32 v102, v101, v37
	v_mul_f32_e32 v38, v100, v102
	v_fma_f32 v96, v102, v100, -v38
	v_fmac_f32_e32 v96, v102, v33
	v_sub_f32_e32 v33, v39, v37
	v_add_f32_e32 v33, v36, v33
	v_add_f32_e32 v36, v38, v96
	v_sub_f32_e32 v39, v37, v36
	v_pk_add_f32 v[98:99], v[36:37], v[38:39] neg_lo:[0,1] neg_hi:[0,1]
	v_mov_b32_e32 v97, v36
	v_pk_add_f32 v[36:37], v[98:99], v[96:97] neg_lo:[0,1] neg_hi:[0,1]
	v_cvt_f32_i32_e32 v38, v87
	v_add_f32_e32 v33, v33, v37
	v_add_f32_e32 v33, v36, v33
	;; [unrolled: 1-line block ×4, first 2 shown]
	v_sub_f32_e32 v37, v36, v103
	v_mul_f32_e32 v33, v101, v33
	v_sub_f32_e32 v37, v102, v37
	v_add_f32_e32 v33, v37, v33
	v_add_f32_e32 v39, v36, v33
	v_mul_f32_e32 v96, v39, v39
	v_mov_b32_e32 v37, 0x3ecc95a3
	v_fmac_f32_e32 v37, 0x3e9b6dac, v96
	v_sub_f32_e32 v36, v39, v36
	v_fmaak_f32 v37, v96, v37, 0x3f2aaada
	v_sub_f32_e32 v33, v33, v36
	v_ldexp_f32 v97, v39, 1
	v_mul_f32_e32 v39, v39, v96
	v_mov_b32_e32 v36, 0x3f317218
	v_pk_mul_f32 v[36:37], v[38:39], v[36:37]
	v_ldexp_f32 v33, v33, 1
	v_fma_f32 v39, v38, s12, -v36
	v_fmamk_f32 v96, v38, 0xb102e308, v39
	v_pk_add_f32 v[38:39], v[36:37], v[96:97]
	v_mov_b32_e32 v98, v36
	v_sub_f32_e32 v87, v39, v97
	v_sub_f32_e32 v87, v37, v87
	v_add_f32_e32 v99, v33, v87
	v_pk_add_f32 v[36:37], v[38:39], v[36:37] neg_lo:[0,1] neg_hi:[0,1]
	v_pk_add_f32 v[100:101], v[38:39], v[98:99]
	v_mov_b32_e32 v97, v38
	v_mov_b32_e32 v37, v101
	v_pk_add_f32 v[102:103], v[96:97], v[36:37] neg_lo:[0,1] neg_hi:[0,1]
	v_pk_add_f32 v[36:37], v[96:97], v[36:37]
	v_mov_b32_e32 v98, v99
	v_mov_b32_e32 v96, v37
	v_pk_add_f32 v[112:113], v[96:97], v[38:39] neg_lo:[0,1] neg_hi:[0,1]
	v_mov_b32_e32 v36, v101
	v_mov_b32_e32 v33, v112
	v_pk_add_f32 v[114:115], v[100:101], v[32:33] neg_lo:[0,1] neg_hi:[0,1]
	v_mov_b32_e32 v100, v39
	v_mov_b32_e32 v101, v112
	;; [unrolled: 1-line block ×3, first 2 shown]
	v_pk_add_f32 v[36:37], v[36:37], v[100:101] neg_lo:[0,1] neg_hi:[0,1]
	v_mov_b32_e32 v99, v38
	v_pk_add_f32 v[36:37], v[98:99], v[36:37] neg_lo:[0,1] neg_hi:[0,1]
	v_mov_b32_e32 v114, v102
	v_pk_add_f32 v[38:39], v[114:115], v[36:37]
	s_mov_b32 s12, 0x33800000
	v_mov_b32_e32 v98, v39
	v_pk_add_f32 v[98:99], v[38:39], v[98:99]
	v_cmp_lt_f32_e64 s[12:13], |v35|, s12
	v_pk_add_f32 v[96:97], v[96:97], v[98:99]
	v_mov_b32_e32 v37, v98
	v_mov_b32_e32 v39, v96
	v_pk_add_f32 v[100:101], v[38:39], v[102:103] neg_lo:[0,1] neg_hi:[0,1]
	s_or_b64 vcc, vcc, s[12:13]
	v_sub_f32_e32 v33, v38, v100
	v_pk_add_f32 v[36:37], v[36:37], v[100:101] neg_lo:[0,1] neg_hi:[0,1]
	v_sub_f32_e32 v33, v102, v33
	v_add_f32_e32 v33, v36, v33
	v_add_f32_e32 v33, v33, v37
	;; [unrolled: 1-line block ×3, first 2 shown]
	v_cndmask_b32_e32 v33, v33, v35, vcc
	v_add_f32_e32 v33, v34, v33
	v_cvt_f16_f32_e32 v98, v33
	v_cvt_f32_f16_e32 v97, v98
	v_mov_b32_e32 v33, v98
.LBB360_218:
	s_or_b64 exec, exec, s[2:3]
	v_max_f32_e32 v34, v49, v49
	v_max_f32_e32 v35, v97, v97
	v_min_f32_e32 v36, v35, v34
	v_cmp_u_f16_e32 vcc, v98, v98
	v_max_f32_e32 v34, v35, v34
	s_nop 0
	v_cndmask_b32_e32 v36, v36, v97, vcc
	v_cndmask_b32_e32 v34, v34, v97, vcc
	v_cndmask_b32_e64 v36, v36, v49, s[4:5]
	v_cndmask_b32_e64 v35, v34, v49, s[4:5]
	s_movk_i32 s4, 0x1f8
	v_cmp_neq_f32_e32 vcc, v36, v35
	v_cmp_class_f32_e64 s[2:3], v36, s4
	s_or_b64 s[12:13], vcc, s[2:3]
	v_mov_b32_e32 v34, v33
	s_and_saveexec_b64 s[2:3], s[12:13]
	s_cbranch_execz .LBB360_220
; %bb.219:
	v_sub_f32_e32 v34, v36, v35
	s_mov_b32 s5, 0x3fb8aa3b
	v_mul_f32_e32 v36, 0x3fb8aa3b, v34
	v_fma_f32 v37, v34, s5, -v36
	v_rndne_f32_e32 v38, v36
	v_fmamk_f32 v37, v34, 0x32a5705f, v37
	v_sub_f32_e32 v36, v36, v38
	v_add_f32_e32 v36, v36, v37
	v_exp_f32_e32 v36, v36
	v_cvt_i32_f32_e32 v37, v38
	s_mov_b32 s5, 0xc2ce8ed0
	v_cmp_ngt_f32_e32 vcc, s5, v34
	s_mov_b32 s5, 0x42b17218
	v_ldexp_f32 v36, v36, v37
	v_cndmask_b32_e32 v36, 0, v36, vcc
	v_mov_b32_e32 v37, 0x7f800000
	v_cmp_nlt_f32_e32 vcc, s5, v34
	s_mov_b32 s5, 0x3f2aaaab
	s_mov_b32 s12, 0x7f800000
	v_cndmask_b32_e32 v87, v37, v36, vcc
	v_add_f32_e32 v34, 1.0, v87
	v_add_f32_e32 v36, -1.0, v34
	v_sub_f32_e32 v37, v36, v34
	v_add_f32_e32 v37, 1.0, v37
	v_sub_f32_e32 v36, v87, v36
	v_add_f32_e32 v38, v36, v37
	v_frexp_mant_f32_e32 v39, v34
	v_cvt_f64_f32_e32 v[36:37], v34
	v_frexp_exp_i32_f64_e32 v36, v[36:37]
	v_cmp_gt_f32_e32 vcc, s5, v39
	s_mov_b32 s5, 0x3f317218
	s_nop 0
	v_subbrev_co_u32_e32 v49, vcc, 0, v36, vcc
	v_sub_u32_e32 v36, 0, v49
	v_ldexp_f32 v34, v34, v36
	v_ldexp_f32 v36, v38, v36
	v_add_f32_e32 v38, -1.0, v34
	v_add_f32_e32 v37, 1.0, v38
	v_sub_f32_e32 v37, v34, v37
	v_add_f32_e32 v39, v36, v37
	v_add_f32_e32 v37, 1.0, v34
	v_add_f32_e32 v96, -1.0, v37
	v_sub_f32_e32 v34, v34, v96
	v_add_f32_e32 v34, v36, v34
	v_add_f32_e32 v100, v37, v34
	v_rcp_f32_e32 v101, v100
	v_sub_f32_e32 v36, v37, v100
	v_add_f32_e32 v37, v38, v39
	v_add_f32_e32 v34, v34, v36
	v_mul_f32_e32 v103, v37, v101
	v_sub_f32_e32 v36, v38, v37
	v_mul_f32_e32 v38, v100, v103
	v_fma_f32 v96, v103, v100, -v38
	v_fmac_f32_e32 v96, v103, v34
	v_add_f32_e32 v102, v39, v36
	v_add_f32_e32 v36, v38, v96
	v_sub_f32_e32 v39, v37, v36
	v_pk_add_f32 v[98:99], v[36:37], v[38:39] neg_lo:[0,1] neg_hi:[0,1]
	v_mov_b32_e32 v97, v36
	v_pk_add_f32 v[36:37], v[98:99], v[96:97] neg_lo:[0,1] neg_hi:[0,1]
	v_cmp_eq_f32_e32 vcc, s12, v87
	v_add_f32_e32 v37, v102, v37
	v_add_f32_e32 v36, v36, v37
	;; [unrolled: 1-line block ×3, first 2 shown]
	v_mul_f32_e32 v102, v101, v37
	v_mul_f32_e32 v38, v100, v102
	v_fma_f32 v96, v102, v100, -v38
	v_fmac_f32_e32 v96, v102, v34
	v_sub_f32_e32 v34, v39, v37
	v_add_f32_e32 v34, v36, v34
	v_add_f32_e32 v36, v38, v96
	v_sub_f32_e32 v39, v37, v36
	v_pk_add_f32 v[98:99], v[36:37], v[38:39] neg_lo:[0,1] neg_hi:[0,1]
	v_mov_b32_e32 v97, v36
	v_pk_add_f32 v[36:37], v[98:99], v[96:97] neg_lo:[0,1] neg_hi:[0,1]
	v_cvt_f32_i32_e32 v38, v49
	v_add_f32_e32 v34, v34, v37
	v_add_f32_e32 v34, v36, v34
	;; [unrolled: 1-line block ×4, first 2 shown]
	v_sub_f32_e32 v37, v36, v103
	v_mul_f32_e32 v34, v101, v34
	v_sub_f32_e32 v37, v102, v37
	v_add_f32_e32 v34, v37, v34
	v_add_f32_e32 v39, v36, v34
	v_mul_f32_e32 v96, v39, v39
	v_mov_b32_e32 v37, 0x3ecc95a3
	v_fmac_f32_e32 v37, 0x3e9b6dac, v96
	v_sub_f32_e32 v36, v39, v36
	v_fmaak_f32 v37, v96, v37, 0x3f2aaada
	v_sub_f32_e32 v34, v34, v36
	v_ldexp_f32 v97, v39, 1
	v_mul_f32_e32 v39, v39, v96
	v_mov_b32_e32 v36, 0x3f317218
	v_pk_mul_f32 v[36:37], v[38:39], v[36:37]
	v_ldexp_f32 v34, v34, 1
	v_fma_f32 v39, v38, s5, -v36
	v_fmamk_f32 v96, v38, 0xb102e308, v39
	v_pk_add_f32 v[38:39], v[36:37], v[96:97]
	v_mov_b32_e32 v98, v36
	v_sub_f32_e32 v49, v39, v97
	v_sub_f32_e32 v49, v37, v49
	v_add_f32_e32 v99, v34, v49
	v_pk_add_f32 v[36:37], v[38:39], v[36:37] neg_lo:[0,1] neg_hi:[0,1]
	v_pk_add_f32 v[100:101], v[38:39], v[98:99]
	v_mov_b32_e32 v97, v38
	v_mov_b32_e32 v37, v101
	v_pk_add_f32 v[102:103], v[96:97], v[36:37] neg_lo:[0,1] neg_hi:[0,1]
	v_pk_add_f32 v[36:37], v[96:97], v[36:37]
	s_mov_b32 s5, 0x33800000
	v_mov_b32_e32 v34, v37
	v_pk_add_f32 v[96:97], v[34:35], v[38:39] neg_lo:[0,1] neg_hi:[0,1]
	v_mov_b32_e32 v36, v101
	v_mov_b32_e32 v49, v96
	v_pk_add_f32 v[112:113], v[100:101], v[48:49] neg_lo:[0,1] neg_hi:[0,1]
	v_mov_b32_e32 v100, v39
	v_mov_b32_e32 v101, v96
	;; [unrolled: 1-line block ×3, first 2 shown]
	v_pk_add_f32 v[36:37], v[36:37], v[100:101] neg_lo:[0,1] neg_hi:[0,1]
	v_mov_b32_e32 v96, v99
	v_mov_b32_e32 v97, v38
	v_pk_add_f32 v[36:37], v[96:97], v[36:37] neg_lo:[0,1] neg_hi:[0,1]
	v_mov_b32_e32 v112, v102
	v_pk_add_f32 v[38:39], v[112:113], v[36:37]
	v_cmp_lt_f32_e64 s[12:13], |v87|, s5
	v_mov_b32_e32 v96, v39
	v_pk_add_f32 v[96:97], v[38:39], v[96:97]
	s_or_b64 vcc, vcc, s[12:13]
	v_pk_add_f32 v[98:99], v[34:35], v[96:97]
	v_mov_b32_e32 v37, v96
	v_mov_b32_e32 v39, v98
	v_pk_add_f32 v[100:101], v[38:39], v[102:103] neg_lo:[0,1] neg_hi:[0,1]
	s_nop 0
	v_sub_f32_e32 v34, v38, v100
	v_pk_add_f32 v[36:37], v[36:37], v[100:101] neg_lo:[0,1] neg_hi:[0,1]
	v_sub_f32_e32 v34, v102, v34
	v_add_f32_e32 v34, v36, v34
	v_add_f32_e32 v34, v34, v37
	v_add_f32_e32 v34, v98, v34
	v_cndmask_b32_e32 v34, v34, v87, vcc
	v_add_f32_e32 v34, v35, v34
	v_cvt_f16_f32_e32 v98, v34
	v_cvt_f32_f16_e32 v97, v98
	v_mov_b32_e32 v34, v98
.LBB360_220:
	s_or_b64 exec, exec, s[2:3]
	v_max_f32_e32 v35, v50, v50
	v_max_f32_e32 v36, v97, v97
	v_min_f32_e32 v37, v36, v35
	v_cmp_u_f16_e32 vcc, v98, v98
	v_max_f32_e32 v35, v36, v35
	s_nop 0
	v_cndmask_b32_e32 v37, v37, v97, vcc
	v_cndmask_b32_e32 v35, v35, v97, vcc
	v_cndmask_b32_e64 v37, v37, v50, s[6:7]
	v_cndmask_b32_e64 v36, v35, v50, s[6:7]
	v_cmp_neq_f32_e32 vcc, v37, v36
	v_cmp_class_f32_e64 s[2:3], v37, s4
	s_or_b64 s[4:5], vcc, s[2:3]
	v_mov_b32_e32 v35, v34
	s_and_saveexec_b64 s[2:3], s[4:5]
	s_cbranch_execz .LBB360_222
; %bb.221:
	v_sub_f32_e32 v35, v37, v36
	s_mov_b32 s4, 0x3fb8aa3b
	v_mul_f32_e32 v37, 0x3fb8aa3b, v35
	v_fma_f32 v38, v35, s4, -v37
	v_rndne_f32_e32 v39, v37
	v_fmamk_f32 v38, v35, 0x32a5705f, v38
	v_sub_f32_e32 v37, v37, v39
	v_add_f32_e32 v37, v37, v38
	v_exp_f32_e32 v37, v37
	v_cvt_i32_f32_e32 v38, v39
	s_mov_b32 s4, 0xc2ce8ed0
	v_cmp_ngt_f32_e32 vcc, s4, v35
	s_mov_b32 s4, 0x42b17218
	v_ldexp_f32 v37, v37, v38
	v_cndmask_b32_e32 v37, 0, v37, vcc
	v_mov_b32_e32 v38, 0x7f800000
	v_cmp_nlt_f32_e32 vcc, s4, v35
	s_mov_b32 s4, 0x3f2aaaab
	s_mov_b32 s5, 0x7f800000
	v_cndmask_b32_e32 v37, v38, v37, vcc
	v_add_f32_e32 v35, 1.0, v37
	v_add_f32_e32 v38, -1.0, v35
	v_sub_f32_e32 v39, v38, v35
	v_add_f32_e32 v39, 1.0, v39
	v_sub_f32_e32 v38, v37, v38
	v_add_f32_e32 v49, v38, v39
	v_frexp_mant_f32_e32 v50, v35
	v_cvt_f64_f32_e32 v[38:39], v35
	v_frexp_exp_i32_f64_e32 v38, v[38:39]
	v_cmp_gt_f32_e32 vcc, s4, v50
	s_mov_b32 s4, 0x3f317218
	s_nop 0
	v_subbrev_co_u32_e32 v50, vcc, 0, v38, vcc
	v_sub_u32_e32 v38, 0, v50
	v_ldexp_f32 v35, v35, v38
	v_ldexp_f32 v38, v49, v38
	v_add_f32_e32 v49, -1.0, v35
	v_add_f32_e32 v39, 1.0, v49
	v_sub_f32_e32 v39, v35, v39
	v_add_f32_e32 v87, v38, v39
	v_add_f32_e32 v39, 1.0, v35
	v_add_f32_e32 v96, -1.0, v39
	v_sub_f32_e32 v35, v35, v96
	v_add_f32_e32 v35, v38, v35
	v_add_f32_e32 v102, v39, v35
	v_rcp_f32_e32 v103, v102
	v_sub_f32_e32 v38, v39, v102
	v_add_f32_e32 v39, v49, v87
	v_add_f32_e32 v35, v35, v38
	v_sub_f32_e32 v38, v49, v39
	v_add_f32_e32 v49, v87, v38
	v_mul_f32_e32 v87, v39, v103
	v_mul_f32_e32 v96, v102, v87
	v_fma_f32 v98, v87, v102, -v96
	v_fmac_f32_e32 v98, v87, v35
	v_add_f32_e32 v38, v96, v98
	v_sub_f32_e32 v97, v39, v38
	v_pk_add_f32 v[100:101], v[38:39], v[96:97] neg_lo:[0,1] neg_hi:[0,1]
	v_mov_b32_e32 v99, v38
	v_pk_add_f32 v[38:39], v[100:101], v[98:99] neg_lo:[0,1] neg_hi:[0,1]
	v_cmp_eq_f32_e32 vcc, s5, v37
	v_add_f32_e32 v39, v49, v39
	v_add_f32_e32 v38, v38, v39
	;; [unrolled: 1-line block ×3, first 2 shown]
	v_mul_f32_e32 v49, v103, v39
	v_mul_f32_e32 v96, v102, v49
	v_fma_f32 v98, v49, v102, -v96
	v_fmac_f32_e32 v98, v49, v35
	v_sub_f32_e32 v35, v97, v39
	v_add_f32_e32 v35, v38, v35
	v_add_f32_e32 v38, v96, v98
	v_sub_f32_e32 v97, v39, v38
	v_pk_add_f32 v[100:101], v[38:39], v[96:97] neg_lo:[0,1] neg_hi:[0,1]
	v_mov_b32_e32 v99, v38
	v_pk_add_f32 v[38:39], v[100:101], v[98:99] neg_lo:[0,1] neg_hi:[0,1]
	v_cvt_f32_i32_e32 v96, v50
	v_add_f32_e32 v35, v35, v39
	v_add_f32_e32 v35, v38, v35
	;; [unrolled: 1-line block ×4, first 2 shown]
	v_sub_f32_e32 v39, v38, v87
	v_mul_f32_e32 v35, v103, v35
	v_sub_f32_e32 v39, v49, v39
	v_add_f32_e32 v35, v39, v35
	v_add_f32_e32 v49, v38, v35
	v_mul_f32_e32 v87, v49, v49
	v_mov_b32_e32 v39, 0x3ecc95a3
	v_fmac_f32_e32 v39, 0x3e9b6dac, v87
	v_sub_f32_e32 v38, v49, v38
	v_fmaak_f32 v39, v87, v39, 0x3f2aaada
	v_sub_f32_e32 v35, v35, v38
	v_mul_f32_e32 v97, v49, v87
	v_mov_b32_e32 v38, 0x3f317218
	v_pk_mul_f32 v[38:39], v[96:97], v[38:39]
	v_ldexp_f32 v99, v49, 1
	v_fma_f32 v49, v96, s4, -v38
	v_fmamk_f32 v98, v96, 0xb102e308, v49
	v_pk_add_f32 v[96:97], v[38:39], v[98:99]
	v_ldexp_f32 v35, v35, 1
	v_sub_f32_e32 v49, v97, v99
	v_sub_f32_e32 v49, v39, v49
	v_add_f32_e32 v101, v35, v49
	v_mov_b32_e32 v100, v38
	v_pk_add_f32 v[38:39], v[96:97], v[38:39] neg_lo:[0,1] neg_hi:[0,1]
	v_pk_add_f32 v[102:103], v[96:97], v[100:101]
	v_mov_b32_e32 v99, v96
	v_mov_b32_e32 v39, v103
	v_pk_add_f32 v[112:113], v[98:99], v[38:39] neg_lo:[0,1] neg_hi:[0,1]
	v_pk_add_f32 v[38:39], v[98:99], v[38:39]
	s_mov_b32 s4, 0x33800000
	v_mov_b32_e32 v50, v39
	v_pk_add_f32 v[98:99], v[50:51], v[96:97] neg_lo:[0,1] neg_hi:[0,1]
	v_mov_b32_e32 v38, v103
	v_mov_b32_e32 v35, v98
	v_pk_add_f32 v[114:115], v[102:103], v[34:35] neg_lo:[0,1] neg_hi:[0,1]
	v_mov_b32_e32 v102, v97
	v_mov_b32_e32 v103, v98
	;; [unrolled: 1-line block ×3, first 2 shown]
	v_pk_add_f32 v[38:39], v[38:39], v[102:103] neg_lo:[0,1] neg_hi:[0,1]
	v_mov_b32_e32 v98, v101
	v_mov_b32_e32 v99, v96
	v_pk_add_f32 v[38:39], v[98:99], v[38:39] neg_lo:[0,1] neg_hi:[0,1]
	v_mov_b32_e32 v114, v112
	v_pk_add_f32 v[96:97], v[114:115], v[38:39]
	v_cmp_lt_f32_e64 s[4:5], |v37|, s4
	v_mov_b32_e32 v98, v97
	v_pk_add_f32 v[98:99], v[96:97], v[98:99]
	s_or_b64 vcc, vcc, s[4:5]
	v_pk_add_f32 v[100:101], v[50:51], v[98:99]
	v_mov_b32_e32 v39, v98
	v_mov_b32_e32 v97, v100
	v_pk_add_f32 v[102:103], v[96:97], v[112:113] neg_lo:[0,1] neg_hi:[0,1]
	s_nop 0
	v_sub_f32_e32 v35, v96, v102
	v_pk_add_f32 v[38:39], v[38:39], v[102:103] neg_lo:[0,1] neg_hi:[0,1]
	v_sub_f32_e32 v35, v112, v35
	v_add_f32_e32 v35, v38, v35
	v_add_f32_e32 v35, v35, v39
	v_add_f32_e32 v35, v100, v35
	v_cndmask_b32_e32 v35, v35, v37, vcc
	v_add_f32_e32 v35, v36, v35
	v_cvt_f16_f32_e32 v98, v35
	v_cvt_f32_f16_e32 v97, v98
	v_mov_b32_e32 v35, v98
.LBB360_222:
	s_or_b64 exec, exec, s[2:3]
	v_max_f32_e32 v36, v51, v51
	v_max_f32_e32 v37, v97, v97
	v_min_f32_e32 v38, v37, v36
	v_cmp_u_f16_e32 vcc, v98, v98
	v_max_f32_e32 v36, v37, v36
	s_movk_i32 s4, 0x1f8
	v_cndmask_b32_e32 v38, v38, v97, vcc
	v_cndmask_b32_e32 v36, v36, v97, vcc
	v_cndmask_b32_e64 v38, v38, v51, s[8:9]
	v_cndmask_b32_e64 v37, v36, v51, s[8:9]
	v_cmp_neq_f32_e32 vcc, v38, v37
	v_cmp_class_f32_e64 s[2:3], v38, s4
	s_or_b64 s[6:7], vcc, s[2:3]
	v_mov_b32_e32 v36, v35
	s_and_saveexec_b64 s[2:3], s[6:7]
	s_cbranch_execz .LBB360_224
; %bb.223:
	v_sub_f32_e32 v36, v38, v37
	s_mov_b32 s5, 0x3fb8aa3b
	v_mul_f32_e32 v38, 0x3fb8aa3b, v36
	v_fma_f32 v39, v36, s5, -v38
	v_rndne_f32_e32 v49, v38
	v_fmamk_f32 v39, v36, 0x32a5705f, v39
	v_sub_f32_e32 v38, v38, v49
	v_add_f32_e32 v38, v38, v39
	v_exp_f32_e32 v38, v38
	v_cvt_i32_f32_e32 v39, v49
	s_mov_b32 s5, 0xc2ce8ed0
	v_cmp_ngt_f32_e32 vcc, s5, v36
	s_mov_b32 s5, 0x42b17218
	v_ldexp_f32 v38, v38, v39
	v_cndmask_b32_e32 v38, 0, v38, vcc
	v_mov_b32_e32 v39, 0x7f800000
	v_cmp_nlt_f32_e32 vcc, s5, v36
	s_mov_b32 s5, 0x3f2aaaab
	s_mov_b32 s6, 0x7f800000
	v_cndmask_b32_e32 v87, v39, v38, vcc
	v_add_f32_e32 v36, 1.0, v87
	v_add_f32_e32 v38, -1.0, v36
	v_sub_f32_e32 v39, v38, v36
	v_add_f32_e32 v39, 1.0, v39
	v_sub_f32_e32 v38, v87, v38
	v_add_f32_e32 v49, v38, v39
	v_frexp_mant_f32_e32 v50, v36
	v_cvt_f64_f32_e32 v[38:39], v36
	v_frexp_exp_i32_f64_e32 v38, v[38:39]
	v_cmp_gt_f32_e32 vcc, s5, v50
	s_mov_b32 s5, 0x3f317218
	s_nop 0
	v_subbrev_co_u32_e32 v100, vcc, 0, v38, vcc
	v_sub_u32_e32 v38, 0, v100
	v_ldexp_f32 v36, v36, v38
	v_ldexp_f32 v38, v49, v38
	v_add_f32_e32 v49, -1.0, v36
	v_add_f32_e32 v39, 1.0, v49
	v_sub_f32_e32 v39, v36, v39
	v_add_f32_e32 v50, v38, v39
	v_add_f32_e32 v39, 1.0, v36
	v_add_f32_e32 v51, -1.0, v39
	v_sub_f32_e32 v36, v36, v51
	v_add_f32_e32 v36, v38, v36
	v_add_f32_e32 v101, v39, v36
	v_rcp_f32_e32 v102, v101
	v_sub_f32_e32 v38, v39, v101
	v_add_f32_e32 v39, v49, v50
	v_add_f32_e32 v36, v36, v38
	v_sub_f32_e32 v38, v49, v39
	v_mul_f32_e32 v103, v39, v102
	v_add_f32_e32 v49, v50, v38
	v_mul_f32_e32 v50, v101, v103
	v_fma_f32 v96, v103, v101, -v50
	v_fmac_f32_e32 v96, v103, v36
	v_add_f32_e32 v38, v50, v96
	v_sub_f32_e32 v51, v39, v38
	v_pk_add_f32 v[98:99], v[38:39], v[50:51] neg_lo:[0,1] neg_hi:[0,1]
	v_mov_b32_e32 v97, v38
	v_pk_add_f32 v[38:39], v[98:99], v[96:97] neg_lo:[0,1] neg_hi:[0,1]
	v_cmp_eq_f32_e32 vcc, s6, v87
	v_add_f32_e32 v39, v49, v39
	v_add_f32_e32 v38, v38, v39
	;; [unrolled: 1-line block ×3, first 2 shown]
	v_mul_f32_e32 v49, v102, v39
	v_mul_f32_e32 v50, v101, v49
	v_fma_f32 v96, v49, v101, -v50
	v_fmac_f32_e32 v96, v49, v36
	v_sub_f32_e32 v36, v51, v39
	v_add_f32_e32 v36, v38, v36
	v_add_f32_e32 v38, v50, v96
	v_sub_f32_e32 v51, v39, v38
	v_pk_add_f32 v[98:99], v[38:39], v[50:51] neg_lo:[0,1] neg_hi:[0,1]
	v_mov_b32_e32 v97, v38
	v_pk_add_f32 v[38:39], v[98:99], v[96:97] neg_lo:[0,1] neg_hi:[0,1]
	v_cvt_f32_i32_e32 v50, v100
	v_add_f32_e32 v36, v36, v39
	v_add_f32_e32 v36, v38, v36
	v_add_f32_e32 v38, v103, v49
	v_add_f32_e32 v36, v51, v36
	v_sub_f32_e32 v39, v38, v103
	v_mul_f32_e32 v36, v102, v36
	v_sub_f32_e32 v39, v49, v39
	v_add_f32_e32 v36, v39, v36
	v_add_f32_e32 v49, v38, v36
	v_mul_f32_e32 v51, v49, v49
	v_mov_b32_e32 v39, 0x3ecc95a3
	v_fmac_f32_e32 v39, 0x3e9b6dac, v51
	v_sub_f32_e32 v38, v49, v38
	v_fmaak_f32 v39, v51, v39, 0x3f2aaada
	v_sub_f32_e32 v36, v36, v38
	v_mul_f32_e32 v51, v49, v51
	v_mov_b32_e32 v38, 0x3f317218
	v_pk_mul_f32 v[38:39], v[50:51], v[38:39]
	v_ldexp_f32 v97, v49, 1
	v_fma_f32 v49, v50, s5, -v38
	v_fmamk_f32 v96, v50, 0xb102e308, v49
	v_pk_add_f32 v[50:51], v[38:39], v[96:97]
	v_ldexp_f32 v36, v36, 1
	v_sub_f32_e32 v49, v51, v97
	v_sub_f32_e32 v49, v39, v49
	v_add_f32_e32 v99, v36, v49
	v_mov_b32_e32 v98, v38
	v_pk_add_f32 v[38:39], v[50:51], v[38:39] neg_lo:[0,1] neg_hi:[0,1]
	v_pk_add_f32 v[100:101], v[50:51], v[98:99]
	v_mov_b32_e32 v97, v50
	v_mov_b32_e32 v39, v101
	v_pk_add_f32 v[102:103], v[96:97], v[38:39] neg_lo:[0,1] neg_hi:[0,1]
	v_pk_add_f32 v[38:39], v[96:97], v[38:39]
	s_mov_b32 s5, 0x33800000
	v_mov_b32_e32 v36, v39
	v_pk_add_f32 v[96:97], v[36:37], v[50:51] neg_lo:[0,1] neg_hi:[0,1]
	v_mov_b32_e32 v38, v101
	v_mov_b32_e32 v49, v96
	v_pk_add_f32 v[112:113], v[100:101], v[48:49] neg_lo:[0,1] neg_hi:[0,1]
	v_mov_b32_e32 v100, v51
	v_mov_b32_e32 v101, v96
	v_mov_b32_e32 v103, v39
	v_pk_add_f32 v[38:39], v[38:39], v[100:101] neg_lo:[0,1] neg_hi:[0,1]
	v_mov_b32_e32 v96, v99
	v_mov_b32_e32 v97, v50
	v_pk_add_f32 v[38:39], v[96:97], v[38:39] neg_lo:[0,1] neg_hi:[0,1]
	v_mov_b32_e32 v112, v102
	v_pk_add_f32 v[50:51], v[112:113], v[38:39]
	v_cmp_lt_f32_e64 s[6:7], |v87|, s5
	v_mov_b32_e32 v96, v51
	v_pk_add_f32 v[96:97], v[50:51], v[96:97]
	s_or_b64 vcc, vcc, s[6:7]
	v_pk_add_f32 v[98:99], v[36:37], v[96:97]
	v_mov_b32_e32 v39, v96
	v_mov_b32_e32 v51, v98
	v_pk_add_f32 v[100:101], v[50:51], v[102:103] neg_lo:[0,1] neg_hi:[0,1]
	s_nop 0
	v_sub_f32_e32 v36, v50, v100
	v_pk_add_f32 v[38:39], v[38:39], v[100:101] neg_lo:[0,1] neg_hi:[0,1]
	v_sub_f32_e32 v36, v102, v36
	v_add_f32_e32 v36, v38, v36
	v_add_f32_e32 v36, v36, v39
	;; [unrolled: 1-line block ×3, first 2 shown]
	v_cndmask_b32_e32 v36, v36, v87, vcc
	v_add_f32_e32 v36, v37, v36
	v_cvt_f16_f32_e32 v98, v36
	v_cvt_f32_f16_e32 v97, v98
	v_mov_b32_e32 v36, v98
.LBB360_224:
	s_or_b64 exec, exec, s[2:3]
	v_max_f32_e32 v37, v52, v52
	v_max_f32_e32 v38, v97, v97
	v_min_f32_e32 v39, v38, v37
	v_cmp_u_f16_e32 vcc, v98, v98
	v_max_f32_e32 v37, v38, v37
	s_nop 0
	v_cndmask_b32_e32 v39, v39, v97, vcc
	v_cndmask_b32_e32 v37, v37, v97, vcc
	v_cndmask_b32_e64 v39, v39, v52, s[10:11]
	v_cndmask_b32_e64 v38, v37, v52, s[10:11]
	v_cmp_neq_f32_e32 vcc, v39, v38
	v_cmp_class_f32_e64 s[2:3], v39, s4
	s_or_b64 s[4:5], vcc, s[2:3]
	v_mov_b32_e32 v37, v36
	s_and_saveexec_b64 s[2:3], s[4:5]
	s_cbranch_execz .LBB360_226
; %bb.225:
	v_sub_f32_e32 v37, v39, v38
	s_mov_b32 s4, 0x3fb8aa3b
	v_mul_f32_e32 v39, 0x3fb8aa3b, v37
	v_fma_f32 v49, v37, s4, -v39
	v_rndne_f32_e32 v50, v39
	v_fmamk_f32 v49, v37, 0x32a5705f, v49
	v_sub_f32_e32 v39, v39, v50
	v_add_f32_e32 v39, v39, v49
	v_exp_f32_e32 v39, v39
	v_cvt_i32_f32_e32 v49, v50
	s_mov_b32 s4, 0xc2ce8ed0
	v_cmp_ngt_f32_e32 vcc, s4, v37
	s_mov_b32 s4, 0x42b17218
	v_ldexp_f32 v39, v39, v49
	v_cndmask_b32_e32 v39, 0, v39, vcc
	v_mov_b32_e32 v49, 0x7f800000
	v_cmp_nlt_f32_e32 vcc, s4, v37
	s_mov_b32 s4, 0x3f2aaaab
	s_mov_b32 s5, 0x7f800000
	v_cndmask_b32_e32 v39, v49, v39, vcc
	v_add_f32_e32 v37, 1.0, v39
	v_add_f32_e32 v49, -1.0, v37
	v_sub_f32_e32 v50, v49, v37
	v_add_f32_e32 v50, 1.0, v50
	v_sub_f32_e32 v49, v39, v49
	v_add_f32_e32 v49, v49, v50
	v_frexp_mant_f32_e32 v52, v37
	v_cvt_f64_f32_e32 v[50:51], v37
	v_frexp_exp_i32_f64_e32 v50, v[50:51]
	v_cmp_gt_f32_e32 vcc, s4, v52
	s_mov_b32 s4, 0x3f317218
	s_nop 0
	v_subbrev_co_u32_e32 v52, vcc, 0, v50, vcc
	v_sub_u32_e32 v50, 0, v52
	v_ldexp_f32 v37, v37, v50
	v_ldexp_f32 v49, v49, v50
	v_add_f32_e32 v50, -1.0, v37
	v_add_f32_e32 v51, 1.0, v50
	v_sub_f32_e32 v51, v37, v51
	v_add_f32_e32 v87, v49, v51
	v_add_f32_e32 v51, 1.0, v37
	v_add_f32_e32 v96, -1.0, v51
	v_sub_f32_e32 v37, v37, v96
	v_add_f32_e32 v37, v49, v37
	v_add_f32_e32 v49, v51, v37
	v_rcp_f32_e32 v102, v49
	v_sub_f32_e32 v51, v51, v49
	v_add_f32_e32 v37, v37, v51
	v_add_f32_e32 v51, v50, v87
	v_mul_f32_e32 v103, v51, v102
	v_mul_f32_e32 v96, v49, v103
	v_fma_f32 v98, v103, v49, -v96
	v_sub_f32_e32 v50, v50, v51
	v_fmac_f32_e32 v98, v103, v37
	v_add_f32_e32 v87, v87, v50
	v_add_f32_e32 v50, v96, v98
	v_sub_f32_e32 v97, v51, v50
	v_pk_add_f32 v[100:101], v[50:51], v[96:97] neg_lo:[0,1] neg_hi:[0,1]
	v_mov_b32_e32 v99, v50
	v_pk_add_f32 v[50:51], v[100:101], v[98:99] neg_lo:[0,1] neg_hi:[0,1]
	v_cmp_eq_f32_e32 vcc, s5, v39
	v_add_f32_e32 v51, v87, v51
	v_add_f32_e32 v50, v50, v51
	;; [unrolled: 1-line block ×3, first 2 shown]
	v_mul_f32_e32 v87, v102, v51
	v_mul_f32_e32 v96, v49, v87
	v_fma_f32 v98, v87, v49, -v96
	v_fmac_f32_e32 v98, v87, v37
	v_sub_f32_e32 v37, v97, v51
	v_add_f32_e32 v37, v50, v37
	v_add_f32_e32 v50, v96, v98
	v_sub_f32_e32 v97, v51, v50
	v_pk_add_f32 v[100:101], v[50:51], v[96:97] neg_lo:[0,1] neg_hi:[0,1]
	v_mov_b32_e32 v99, v50
	v_pk_add_f32 v[50:51], v[100:101], v[98:99] neg_lo:[0,1] neg_hi:[0,1]
	v_add_f32_e32 v49, v103, v87
	v_add_f32_e32 v37, v37, v51
	;; [unrolled: 1-line block ×4, first 2 shown]
	v_sub_f32_e32 v50, v49, v103
	v_mul_f32_e32 v37, v102, v37
	v_sub_f32_e32 v50, v87, v50
	v_add_f32_e32 v37, v50, v37
	v_add_f32_e32 v50, v49, v37
	v_cvt_f32_i32_e32 v96, v52
	v_mul_f32_e32 v87, v50, v50
	v_mov_b32_e32 v51, 0x3ecc95a3
	v_fmac_f32_e32 v51, 0x3e9b6dac, v87
	v_fmaak_f32 v51, v87, v51, 0x3f2aaada
	v_sub_f32_e32 v49, v50, v49
	v_ldexp_f32 v99, v50, 1
	v_mul_f32_e32 v97, v50, v87
	v_mov_b32_e32 v50, 0x3f317218
	v_pk_mul_f32 v[50:51], v[96:97], v[50:51]
	v_sub_f32_e32 v37, v37, v49
	v_fma_f32 v49, v96, s4, -v50
	v_fmamk_f32 v98, v96, 0xb102e308, v49
	v_pk_add_f32 v[96:97], v[50:51], v[98:99]
	v_ldexp_f32 v37, v37, 1
	v_sub_f32_e32 v49, v97, v99
	v_sub_f32_e32 v49, v51, v49
	v_add_f32_e32 v101, v37, v49
	v_mov_b32_e32 v100, v50
	v_pk_add_f32 v[50:51], v[96:97], v[50:51] neg_lo:[0,1] neg_hi:[0,1]
	v_pk_add_f32 v[102:103], v[96:97], v[100:101]
	v_mov_b32_e32 v99, v96
	v_mov_b32_e32 v51, v103
	v_pk_add_f32 v[112:113], v[98:99], v[50:51] neg_lo:[0,1] neg_hi:[0,1]
	v_pk_add_f32 v[50:51], v[98:99], v[50:51]
	s_mov_b32 s4, 0x33800000
	v_mov_b32_e32 v52, v51
	v_pk_add_f32 v[98:99], v[52:53], v[96:97] neg_lo:[0,1] neg_hi:[0,1]
	v_mov_b32_e32 v50, v103
	v_mov_b32_e32 v37, v98
	v_pk_add_f32 v[114:115], v[102:103], v[36:37] neg_lo:[0,1] neg_hi:[0,1]
	v_mov_b32_e32 v102, v97
	v_mov_b32_e32 v103, v98
	;; [unrolled: 1-line block ×3, first 2 shown]
	v_pk_add_f32 v[50:51], v[50:51], v[102:103] neg_lo:[0,1] neg_hi:[0,1]
	v_mov_b32_e32 v98, v101
	v_mov_b32_e32 v99, v96
	v_pk_add_f32 v[50:51], v[98:99], v[50:51] neg_lo:[0,1] neg_hi:[0,1]
	v_mov_b32_e32 v114, v112
	v_pk_add_f32 v[96:97], v[114:115], v[50:51]
	v_cmp_lt_f32_e64 s[4:5], |v39|, s4
	v_mov_b32_e32 v98, v97
	v_pk_add_f32 v[98:99], v[96:97], v[98:99]
	s_or_b64 vcc, vcc, s[4:5]
	v_pk_add_f32 v[100:101], v[52:53], v[98:99]
	v_mov_b32_e32 v51, v98
	v_mov_b32_e32 v97, v100
	v_pk_add_f32 v[102:103], v[96:97], v[112:113] neg_lo:[0,1] neg_hi:[0,1]
	s_nop 0
	v_sub_f32_e32 v37, v96, v102
	v_pk_add_f32 v[50:51], v[50:51], v[102:103] neg_lo:[0,1] neg_hi:[0,1]
	v_sub_f32_e32 v37, v112, v37
	v_add_f32_e32 v37, v50, v37
	v_add_f32_e32 v37, v37, v51
	;; [unrolled: 1-line block ×3, first 2 shown]
	v_cndmask_b32_e32 v37, v37, v39, vcc
	v_add_f32_e32 v37, v38, v37
	v_cvt_f16_f32_e32 v98, v37
	v_cvt_f32_f16_e32 v97, v98
	v_mov_b32_e32 v37, v98
.LBB360_226:
	s_or_b64 exec, exec, s[2:3]
	v_max_f32_e32 v38, v53, v53
	v_max_f32_e32 v39, v97, v97
	v_min_f32_e32 v49, v39, v38
	v_cmp_u_f16_e32 vcc, v98, v98
	v_max_f32_e32 v38, v39, v38
	s_movk_i32 s4, 0x1f8
	v_cndmask_b32_e32 v49, v49, v97, vcc
	v_cndmask_b32_e32 v38, v38, v97, vcc
	v_cndmask_b32_e64 v49, v49, v53, s[54:55]
	v_cndmask_b32_e64 v39, v38, v53, s[54:55]
	v_cmp_neq_f32_e32 vcc, v49, v39
	v_cmp_class_f32_e64 s[2:3], v49, s4
	s_or_b64 s[6:7], vcc, s[2:3]
	v_mov_b32_e32 v38, v37
	s_and_saveexec_b64 s[2:3], s[6:7]
	s_cbranch_execz .LBB360_228
; %bb.227:
	v_sub_f32_e32 v38, v49, v39
	s_mov_b32 s5, 0x3fb8aa3b
	v_mul_f32_e32 v49, 0x3fb8aa3b, v38
	v_fma_f32 v50, v38, s5, -v49
	v_rndne_f32_e32 v51, v49
	v_fmamk_f32 v50, v38, 0x32a5705f, v50
	v_sub_f32_e32 v49, v49, v51
	v_add_f32_e32 v49, v49, v50
	v_exp_f32_e32 v49, v49
	v_cvt_i32_f32_e32 v50, v51
	s_mov_b32 s5, 0xc2ce8ed0
	v_cmp_ngt_f32_e32 vcc, s5, v38
	s_mov_b32 s5, 0x42b17218
	v_ldexp_f32 v49, v49, v50
	v_cndmask_b32_e32 v49, 0, v49, vcc
	v_mov_b32_e32 v50, 0x7f800000
	v_cmp_nlt_f32_e32 vcc, s5, v38
	s_mov_b32 s5, 0x3f2aaaab
	s_mov_b32 s6, 0x7f800000
	v_cndmask_b32_e32 v87, v50, v49, vcc
	v_add_f32_e32 v38, 1.0, v87
	v_add_f32_e32 v49, -1.0, v38
	v_sub_f32_e32 v50, v49, v38
	v_add_f32_e32 v50, 1.0, v50
	v_sub_f32_e32 v49, v87, v49
	v_add_f32_e32 v49, v49, v50
	v_frexp_mant_f32_e32 v52, v38
	v_cvt_f64_f32_e32 v[50:51], v38
	v_frexp_exp_i32_f64_e32 v50, v[50:51]
	v_cmp_gt_f32_e32 vcc, s5, v52
	s_mov_b32 s5, 0x3f317218
	s_nop 0
	v_subbrev_co_u32_e32 v100, vcc, 0, v50, vcc
	v_sub_u32_e32 v50, 0, v100
	v_ldexp_f32 v38, v38, v50
	v_ldexp_f32 v49, v49, v50
	v_add_f32_e32 v50, -1.0, v38
	v_add_f32_e32 v51, 1.0, v50
	v_sub_f32_e32 v51, v38, v51
	v_add_f32_e32 v52, v49, v51
	v_add_f32_e32 v51, 1.0, v38
	v_add_f32_e32 v53, -1.0, v51
	v_sub_f32_e32 v38, v38, v53
	v_add_f32_e32 v38, v49, v38
	v_add_f32_e32 v49, v51, v38
	v_rcp_f32_e32 v101, v49
	v_sub_f32_e32 v51, v51, v49
	v_add_f32_e32 v38, v38, v51
	v_add_f32_e32 v51, v50, v52
	v_sub_f32_e32 v50, v50, v51
	v_mul_f32_e32 v103, v51, v101
	v_add_f32_e32 v102, v52, v50
	v_mul_f32_e32 v52, v49, v103
	v_fma_f32 v96, v103, v49, -v52
	v_fmac_f32_e32 v96, v103, v38
	v_add_f32_e32 v50, v52, v96
	v_sub_f32_e32 v53, v51, v50
	v_pk_add_f32 v[98:99], v[50:51], v[52:53] neg_lo:[0,1] neg_hi:[0,1]
	v_mov_b32_e32 v97, v50
	v_pk_add_f32 v[50:51], v[98:99], v[96:97] neg_lo:[0,1] neg_hi:[0,1]
	v_cmp_eq_f32_e32 vcc, s6, v87
	v_add_f32_e32 v51, v102, v51
	v_add_f32_e32 v50, v50, v51
	;; [unrolled: 1-line block ×3, first 2 shown]
	v_mul_f32_e32 v102, v101, v51
	v_mul_f32_e32 v52, v49, v102
	v_fma_f32 v96, v102, v49, -v52
	v_fmac_f32_e32 v96, v102, v38
	v_sub_f32_e32 v38, v53, v51
	v_add_f32_e32 v38, v50, v38
	v_add_f32_e32 v50, v52, v96
	v_sub_f32_e32 v53, v51, v50
	v_pk_add_f32 v[98:99], v[50:51], v[52:53] neg_lo:[0,1] neg_hi:[0,1]
	v_mov_b32_e32 v97, v50
	v_pk_add_f32 v[50:51], v[98:99], v[96:97] neg_lo:[0,1] neg_hi:[0,1]
	v_add_f32_e32 v49, v103, v102
	v_add_f32_e32 v38, v38, v51
	;; [unrolled: 1-line block ×4, first 2 shown]
	v_sub_f32_e32 v50, v49, v103
	v_mul_f32_e32 v38, v101, v38
	v_sub_f32_e32 v50, v102, v50
	v_add_f32_e32 v38, v50, v38
	v_add_f32_e32 v50, v49, v38
	v_cvt_f32_i32_e32 v52, v100
	v_mul_f32_e32 v53, v50, v50
	v_mov_b32_e32 v51, 0x3ecc95a3
	v_fmac_f32_e32 v51, 0x3e9b6dac, v53
	v_fmaak_f32 v51, v53, v51, 0x3f2aaada
	v_sub_f32_e32 v49, v50, v49
	v_ldexp_f32 v97, v50, 1
	v_mul_f32_e32 v53, v50, v53
	v_mov_b32_e32 v50, 0x3f317218
	v_pk_mul_f32 v[50:51], v[52:53], v[50:51]
	v_sub_f32_e32 v38, v38, v49
	v_fma_f32 v49, v52, s5, -v50
	v_fmamk_f32 v96, v52, 0xb102e308, v49
	v_pk_add_f32 v[52:53], v[50:51], v[96:97]
	v_ldexp_f32 v38, v38, 1
	v_sub_f32_e32 v49, v53, v97
	v_sub_f32_e32 v49, v51, v49
	v_add_f32_e32 v99, v38, v49
	v_mov_b32_e32 v98, v50
	v_pk_add_f32 v[50:51], v[52:53], v[50:51] neg_lo:[0,1] neg_hi:[0,1]
	v_pk_add_f32 v[100:101], v[52:53], v[98:99]
	v_mov_b32_e32 v97, v52
	v_mov_b32_e32 v51, v101
	v_pk_add_f32 v[102:103], v[96:97], v[50:51] neg_lo:[0,1] neg_hi:[0,1]
	v_pk_add_f32 v[50:51], v[96:97], v[50:51]
	s_mov_b32 s5, 0x33800000
	v_mov_b32_e32 v38, v51
	v_pk_add_f32 v[96:97], v[38:39], v[52:53] neg_lo:[0,1] neg_hi:[0,1]
	v_mov_b32_e32 v50, v101
	v_mov_b32_e32 v49, v96
	v_pk_add_f32 v[112:113], v[100:101], v[48:49] neg_lo:[0,1] neg_hi:[0,1]
	v_mov_b32_e32 v100, v53
	v_mov_b32_e32 v101, v96
	;; [unrolled: 1-line block ×3, first 2 shown]
	v_pk_add_f32 v[50:51], v[50:51], v[100:101] neg_lo:[0,1] neg_hi:[0,1]
	v_mov_b32_e32 v96, v99
	v_mov_b32_e32 v97, v52
	v_pk_add_f32 v[50:51], v[96:97], v[50:51] neg_lo:[0,1] neg_hi:[0,1]
	v_mov_b32_e32 v112, v102
	v_pk_add_f32 v[52:53], v[112:113], v[50:51]
	v_cmp_lt_f32_e64 s[6:7], |v87|, s5
	v_mov_b32_e32 v96, v53
	v_pk_add_f32 v[96:97], v[52:53], v[96:97]
	s_or_b64 vcc, vcc, s[6:7]
	v_pk_add_f32 v[98:99], v[38:39], v[96:97]
	v_mov_b32_e32 v51, v96
	v_mov_b32_e32 v53, v98
	v_pk_add_f32 v[100:101], v[52:53], v[102:103] neg_lo:[0,1] neg_hi:[0,1]
	s_nop 0
	v_sub_f32_e32 v38, v52, v100
	v_pk_add_f32 v[50:51], v[50:51], v[100:101] neg_lo:[0,1] neg_hi:[0,1]
	v_sub_f32_e32 v38, v102, v38
	v_add_f32_e32 v38, v50, v38
	v_add_f32_e32 v38, v38, v51
	;; [unrolled: 1-line block ×3, first 2 shown]
	v_cndmask_b32_e32 v38, v38, v87, vcc
	v_add_f32_e32 v38, v39, v38
	v_cvt_f16_f32_e32 v98, v38
	v_cvt_f32_f16_e32 v97, v98
	v_mov_b32_e32 v38, v98
.LBB360_228:
	s_or_b64 exec, exec, s[2:3]
	v_max_f32_e32 v39, v54, v54
	v_max_f32_e32 v50, v97, v97
	v_min_f32_e32 v49, v50, v39
	v_cmp_u_f16_e32 vcc, v98, v98
	v_max_f32_e32 v39, v50, v39
	v_mov_b32_e32 v87, v38
	v_cndmask_b32_e32 v49, v49, v97, vcc
	v_cndmask_b32_e32 v39, v39, v97, vcc
	v_cndmask_b32_e64 v49, v49, v54, s[14:15]
	v_cndmask_b32_e64 v39, v39, v54, s[14:15]
	v_cmp_neq_f32_e32 vcc, v49, v39
	v_cmp_class_f32_e64 s[2:3], v49, s4
	s_or_b64 s[4:5], vcc, s[2:3]
	s_and_saveexec_b64 s[2:3], s[4:5]
	s_cbranch_execz .LBB360_230
; %bb.229:
	v_sub_f32_e32 v49, v49, v39
	s_mov_b32 s4, 0x3fb8aa3b
	v_mul_f32_e32 v50, 0x3fb8aa3b, v49
	v_fma_f32 v51, v49, s4, -v50
	v_rndne_f32_e32 v52, v50
	v_fmamk_f32 v51, v49, 0x32a5705f, v51
	v_sub_f32_e32 v50, v50, v52
	v_add_f32_e32 v50, v50, v51
	v_exp_f32_e32 v50, v50
	v_cvt_i32_f32_e32 v51, v52
	s_mov_b32 s4, 0xc2ce8ed0
	v_cmp_ngt_f32_e32 vcc, s4, v49
	s_mov_b32 s4, 0x42b17218
	v_ldexp_f32 v50, v50, v51
	v_cndmask_b32_e32 v50, 0, v50, vcc
	v_mov_b32_e32 v51, 0x7f800000
	v_cmp_nlt_f32_e32 vcc, s4, v49
	s_mov_b32 s4, 0x3f2aaaab
	s_mov_b32 s5, 0x7f800000
	v_cndmask_b32_e32 v87, v51, v50, vcc
	v_add_f32_e32 v49, 1.0, v87
	v_add_f32_e32 v50, -1.0, v49
	v_sub_f32_e32 v51, v50, v49
	v_add_f32_e32 v51, 1.0, v51
	v_sub_f32_e32 v50, v87, v50
	v_add_f32_e32 v52, v50, v51
	v_frexp_mant_f32_e32 v53, v49
	v_cvt_f64_f32_e32 v[50:51], v49
	v_frexp_exp_i32_f64_e32 v50, v[50:51]
	v_cmp_gt_f32_e32 vcc, s4, v53
	s_mov_b32 s4, 0x3f317218
	s_nop 0
	v_subbrev_co_u32_e32 v54, vcc, 0, v50, vcc
	v_sub_u32_e32 v50, 0, v54
	v_ldexp_f32 v49, v49, v50
	v_ldexp_f32 v50, v52, v50
	v_add_f32_e32 v52, -1.0, v49
	v_add_f32_e32 v51, 1.0, v52
	v_sub_f32_e32 v51, v49, v51
	v_add_f32_e32 v53, v50, v51
	v_add_f32_e32 v51, 1.0, v49
	v_add_f32_e32 v96, -1.0, v51
	v_sub_f32_e32 v49, v49, v96
	v_add_f32_e32 v49, v50, v49
	v_add_f32_e32 v100, v51, v49
	v_rcp_f32_e32 v101, v100
	v_sub_f32_e32 v50, v51, v100
	v_add_f32_e32 v51, v52, v53
	v_add_f32_e32 v49, v49, v50
	v_mul_f32_e32 v103, v51, v101
	v_sub_f32_e32 v50, v52, v51
	v_mul_f32_e32 v52, v100, v103
	v_fma_f32 v96, v103, v100, -v52
	v_fmac_f32_e32 v96, v103, v49
	v_add_f32_e32 v102, v53, v50
	v_add_f32_e32 v50, v52, v96
	v_sub_f32_e32 v53, v51, v50
	v_pk_add_f32 v[98:99], v[50:51], v[52:53] neg_lo:[0,1] neg_hi:[0,1]
	v_mov_b32_e32 v97, v50
	v_pk_add_f32 v[50:51], v[98:99], v[96:97] neg_lo:[0,1] neg_hi:[0,1]
	v_cmp_eq_f32_e32 vcc, s5, v87
	v_add_f32_e32 v51, v102, v51
	v_add_f32_e32 v50, v50, v51
	;; [unrolled: 1-line block ×3, first 2 shown]
	v_mul_f32_e32 v102, v101, v51
	v_mul_f32_e32 v52, v100, v102
	v_fma_f32 v96, v102, v100, -v52
	v_fmac_f32_e32 v96, v102, v49
	v_sub_f32_e32 v49, v53, v51
	v_add_f32_e32 v49, v50, v49
	v_add_f32_e32 v50, v52, v96
	v_sub_f32_e32 v53, v51, v50
	v_pk_add_f32 v[98:99], v[50:51], v[52:53] neg_lo:[0,1] neg_hi:[0,1]
	v_mov_b32_e32 v97, v50
	v_pk_add_f32 v[50:51], v[98:99], v[96:97] neg_lo:[0,1] neg_hi:[0,1]
	v_cvt_f32_i32_e32 v52, v54
	v_add_f32_e32 v49, v49, v51
	v_add_f32_e32 v49, v50, v49
	;; [unrolled: 1-line block ×4, first 2 shown]
	v_sub_f32_e32 v51, v50, v103
	v_mul_f32_e32 v49, v101, v49
	v_sub_f32_e32 v51, v102, v51
	v_add_f32_e32 v49, v51, v49
	v_add_f32_e32 v53, v50, v49
	v_mul_f32_e32 v96, v53, v53
	v_mov_b32_e32 v51, 0x3ecc95a3
	v_fmac_f32_e32 v51, 0x3e9b6dac, v96
	v_sub_f32_e32 v50, v53, v50
	v_fmaak_f32 v51, v96, v51, 0x3f2aaada
	v_sub_f32_e32 v49, v49, v50
	v_ldexp_f32 v97, v53, 1
	v_mul_f32_e32 v53, v53, v96
	v_mov_b32_e32 v50, 0x3f317218
	v_pk_mul_f32 v[50:51], v[52:53], v[50:51]
	v_ldexp_f32 v49, v49, 1
	v_fma_f32 v53, v52, s4, -v50
	v_fmamk_f32 v96, v52, 0xb102e308, v53
	v_pk_add_f32 v[52:53], v[50:51], v[96:97]
	v_mov_b32_e32 v98, v50
	v_sub_f32_e32 v54, v53, v97
	v_sub_f32_e32 v54, v51, v54
	v_add_f32_e32 v99, v49, v54
	v_pk_add_f32 v[50:51], v[52:53], v[50:51] neg_lo:[0,1] neg_hi:[0,1]
	v_pk_add_f32 v[100:101], v[52:53], v[98:99]
	v_mov_b32_e32 v97, v52
	v_mov_b32_e32 v51, v101
	v_pk_add_f32 v[102:103], v[96:97], v[50:51] neg_lo:[0,1] neg_hi:[0,1]
	v_pk_add_f32 v[50:51], v[96:97], v[50:51]
	s_mov_b32 s4, 0x33800000
	v_mov_b32_e32 v54, v51
	v_pk_add_f32 v[96:97], v[54:55], v[52:53] neg_lo:[0,1] neg_hi:[0,1]
	v_mov_b32_e32 v50, v101
	v_mov_b32_e32 v49, v96
	v_pk_add_f32 v[112:113], v[100:101], v[48:49] neg_lo:[0,1] neg_hi:[0,1]
	v_mov_b32_e32 v100, v53
	v_mov_b32_e32 v101, v96
	;; [unrolled: 1-line block ×3, first 2 shown]
	v_pk_add_f32 v[50:51], v[50:51], v[100:101] neg_lo:[0,1] neg_hi:[0,1]
	v_mov_b32_e32 v96, v99
	v_mov_b32_e32 v97, v52
	v_pk_add_f32 v[50:51], v[96:97], v[50:51] neg_lo:[0,1] neg_hi:[0,1]
	v_mov_b32_e32 v112, v102
	v_pk_add_f32 v[52:53], v[112:113], v[50:51]
	v_cmp_lt_f32_e64 s[4:5], |v87|, s4
	v_mov_b32_e32 v96, v53
	v_pk_add_f32 v[96:97], v[52:53], v[96:97]
	s_or_b64 vcc, vcc, s[4:5]
	v_pk_add_f32 v[98:99], v[54:55], v[96:97]
	v_mov_b32_e32 v51, v96
	v_mov_b32_e32 v53, v98
	v_pk_add_f32 v[100:101], v[52:53], v[102:103] neg_lo:[0,1] neg_hi:[0,1]
	s_nop 0
	v_sub_f32_e32 v49, v52, v100
	v_pk_add_f32 v[50:51], v[50:51], v[100:101] neg_lo:[0,1] neg_hi:[0,1]
	v_sub_f32_e32 v49, v102, v49
	v_add_f32_e32 v49, v50, v49
	v_add_f32_e32 v49, v49, v51
	;; [unrolled: 1-line block ×3, first 2 shown]
	v_cndmask_b32_e32 v49, v49, v87, vcc
	v_add_f32_e32 v39, v39, v49
	v_cvt_f16_f32_e32 v98, v39
	v_cvt_f32_f16_e32 v97, v98
	v_mov_b32_e32 v87, v98
.LBB360_230:
	s_or_b64 exec, exec, s[2:3]
	v_max_f32_e32 v39, v55, v55
	v_max_f32_e32 v50, v97, v97
	v_min_f32_e32 v49, v50, v39
	v_cmp_u_f16_e32 vcc, v98, v98
	v_max_f32_e32 v39, v50, v39
	s_movk_i32 s4, 0x1f8
	v_cndmask_b32_e32 v49, v49, v97, vcc
	v_cndmask_b32_e32 v39, v39, v97, vcc
	v_cndmask_b32_e64 v49, v49, v55, s[16:17]
	v_cndmask_b32_e64 v39, v39, v55, s[16:17]
	v_cmp_neq_f32_e32 vcc, v49, v39
	v_cmp_class_f32_e64 s[2:3], v49, s4
	s_or_b64 s[6:7], vcc, s[2:3]
	v_mov_b32_e32 v96, v87
	s_and_saveexec_b64 s[2:3], s[6:7]
	s_cbranch_execz .LBB360_232
; %bb.231:
	v_sub_f32_e32 v49, v49, v39
	s_mov_b32 s5, 0x3fb8aa3b
	v_mul_f32_e32 v50, 0x3fb8aa3b, v49
	v_fma_f32 v51, v49, s5, -v50
	v_rndne_f32_e32 v52, v50
	v_fmamk_f32 v51, v49, 0x32a5705f, v51
	v_sub_f32_e32 v50, v50, v52
	v_add_f32_e32 v50, v50, v51
	v_exp_f32_e32 v50, v50
	v_cvt_i32_f32_e32 v51, v52
	s_mov_b32 s5, 0xc2ce8ed0
	v_cmp_ngt_f32_e32 vcc, s5, v49
	s_mov_b32 s5, 0x42b17218
	v_ldexp_f32 v50, v50, v51
	v_cndmask_b32_e32 v50, 0, v50, vcc
	v_mov_b32_e32 v51, 0x7f800000
	v_cmp_nlt_f32_e32 vcc, s5, v49
	s_mov_b32 s5, 0x3f2aaaab
	s_mov_b32 s6, 0x7f800000
	v_cndmask_b32_e32 v114, v51, v50, vcc
	v_add_f32_e32 v49, 1.0, v114
	v_add_f32_e32 v50, -1.0, v49
	v_sub_f32_e32 v51, v50, v49
	v_add_f32_e32 v51, 1.0, v51
	v_sub_f32_e32 v50, v114, v50
	v_add_f32_e32 v52, v50, v51
	v_frexp_mant_f32_e32 v53, v49
	v_cvt_f64_f32_e32 v[50:51], v49
	v_frexp_exp_i32_f64_e32 v50, v[50:51]
	v_cmp_gt_f32_e32 vcc, s5, v53
	s_mov_b32 s5, 0x3f317218
	s_nop 0
	v_subbrev_co_u32_e32 v98, vcc, 0, v50, vcc
	v_sub_u32_e32 v50, 0, v98
	v_ldexp_f32 v49, v49, v50
	v_ldexp_f32 v50, v52, v50
	v_add_f32_e32 v52, -1.0, v49
	v_add_f32_e32 v51, 1.0, v52
	v_sub_f32_e32 v51, v49, v51
	v_add_f32_e32 v53, v50, v51
	v_add_f32_e32 v51, 1.0, v49
	v_add_f32_e32 v54, -1.0, v51
	v_sub_f32_e32 v49, v49, v54
	v_add_f32_e32 v49, v50, v49
	v_add_f32_e32 v99, v51, v49
	v_rcp_f32_e32 v100, v99
	v_sub_f32_e32 v50, v51, v99
	v_add_f32_e32 v51, v52, v53
	v_add_f32_e32 v49, v49, v50
	v_mul_f32_e32 v102, v51, v100
	v_sub_f32_e32 v50, v52, v51
	v_mul_f32_e32 v52, v99, v102
	v_fma_f32 v54, v102, v99, -v52
	v_fmac_f32_e32 v54, v102, v49
	v_add_f32_e32 v101, v53, v50
	v_add_f32_e32 v50, v52, v54
	v_sub_f32_e32 v53, v51, v50
	v_pk_add_f32 v[96:97], v[50:51], v[52:53] neg_lo:[0,1] neg_hi:[0,1]
	v_mov_b32_e32 v55, v50
	v_pk_add_f32 v[50:51], v[96:97], v[54:55] neg_lo:[0,1] neg_hi:[0,1]
	v_cmp_eq_f32_e32 vcc, s6, v114
	v_add_f32_e32 v51, v101, v51
	v_add_f32_e32 v50, v50, v51
	v_add_f32_e32 v51, v53, v50
	v_mul_f32_e32 v101, v100, v51
	v_mul_f32_e32 v52, v99, v101
	v_fma_f32 v54, v101, v99, -v52
	v_fmac_f32_e32 v54, v101, v49
	v_sub_f32_e32 v49, v53, v51
	v_add_f32_e32 v49, v50, v49
	v_add_f32_e32 v50, v52, v54
	v_sub_f32_e32 v53, v51, v50
	v_pk_add_f32 v[96:97], v[50:51], v[52:53] neg_lo:[0,1] neg_hi:[0,1]
	v_mov_b32_e32 v55, v50
	v_pk_add_f32 v[50:51], v[96:97], v[54:55] neg_lo:[0,1] neg_hi:[0,1]
	v_cvt_f32_i32_e32 v52, v98
	v_add_f32_e32 v49, v49, v51
	v_add_f32_e32 v49, v50, v49
	;; [unrolled: 1-line block ×4, first 2 shown]
	v_sub_f32_e32 v51, v50, v102
	v_mul_f32_e32 v49, v100, v49
	v_sub_f32_e32 v51, v101, v51
	v_add_f32_e32 v49, v51, v49
	v_add_f32_e32 v53, v50, v49
	v_mul_f32_e32 v54, v53, v53
	v_mov_b32_e32 v51, 0x3ecc95a3
	v_fmac_f32_e32 v51, 0x3e9b6dac, v54
	v_sub_f32_e32 v50, v53, v50
	v_fmaak_f32 v51, v54, v51, 0x3f2aaada
	v_sub_f32_e32 v49, v49, v50
	v_ldexp_f32 v55, v53, 1
	v_mul_f32_e32 v53, v53, v54
	v_mov_b32_e32 v50, 0x3f317218
	v_pk_mul_f32 v[50:51], v[52:53], v[50:51]
	v_ldexp_f32 v49, v49, 1
	v_fma_f32 v53, v52, s5, -v50
	v_fmamk_f32 v54, v52, 0xb102e308, v53
	v_pk_add_f32 v[52:53], v[50:51], v[54:55]
	v_mov_b32_e32 v96, v50
	v_sub_f32_e32 v55, v53, v55
	v_sub_f32_e32 v55, v51, v55
	v_add_f32_e32 v97, v49, v55
	v_pk_add_f32 v[50:51], v[52:53], v[50:51] neg_lo:[0,1] neg_hi:[0,1]
	v_pk_add_f32 v[98:99], v[52:53], v[96:97]
	v_mov_b32_e32 v55, v52
	v_mov_b32_e32 v51, v99
	v_pk_add_f32 v[100:101], v[54:55], v[50:51] neg_lo:[0,1] neg_hi:[0,1]
	v_pk_add_f32 v[50:51], v[54:55], v[50:51]
	v_mov_b32_e32 v96, v97
	v_mov_b32_e32 v54, v51
	v_pk_add_f32 v[102:103], v[54:55], v[52:53] neg_lo:[0,1] neg_hi:[0,1]
	v_mov_b32_e32 v50, v99
	v_mov_b32_e32 v49, v102
	v_pk_add_f32 v[112:113], v[98:99], v[48:49] neg_lo:[0,1] neg_hi:[0,1]
	v_mov_b32_e32 v98, v53
	v_mov_b32_e32 v99, v102
	;; [unrolled: 1-line block ×3, first 2 shown]
	v_pk_add_f32 v[50:51], v[50:51], v[98:99] neg_lo:[0,1] neg_hi:[0,1]
	v_mov_b32_e32 v97, v52
	v_pk_add_f32 v[50:51], v[96:97], v[50:51] neg_lo:[0,1] neg_hi:[0,1]
	v_mov_b32_e32 v112, v100
	v_pk_add_f32 v[52:53], v[112:113], v[50:51]
	s_mov_b32 s5, 0x33800000
	v_mov_b32_e32 v96, v53
	v_pk_add_f32 v[96:97], v[52:53], v[96:97]
	v_cmp_lt_f32_e64 s[6:7], |v114|, s5
	v_pk_add_f32 v[54:55], v[54:55], v[96:97]
	v_mov_b32_e32 v51, v96
	v_mov_b32_e32 v53, v54
	v_pk_add_f32 v[98:99], v[52:53], v[100:101] neg_lo:[0,1] neg_hi:[0,1]
	s_or_b64 vcc, vcc, s[6:7]
	v_sub_f32_e32 v49, v52, v98
	v_pk_add_f32 v[50:51], v[50:51], v[98:99] neg_lo:[0,1] neg_hi:[0,1]
	v_sub_f32_e32 v49, v100, v49
	v_add_f32_e32 v49, v50, v49
	v_add_f32_e32 v49, v49, v51
	;; [unrolled: 1-line block ×3, first 2 shown]
	v_cndmask_b32_e32 v49, v49, v114, vcc
	v_add_f32_e32 v39, v39, v49
	v_cvt_f16_f32_e32 v98, v39
	v_cvt_f32_f16_e32 v97, v98
	v_mov_b32_e32 v96, v98
.LBB360_232:
	s_or_b64 exec, exec, s[2:3]
	v_max_f32_e32 v39, v64, v64
	v_max_f32_e32 v49, v97, v97
	v_min_f32_e32 v50, v49, v39
	v_cmp_u_f16_e32 vcc, v98, v98
	v_max_f32_e32 v39, v49, v39
	s_nop 0
	v_cndmask_b32_e32 v50, v50, v97, vcc
	v_cndmask_b32_e32 v39, v39, v97, vcc
	v_cndmask_b32_e64 v50, v50, v64, s[18:19]
	v_cndmask_b32_e64 v49, v39, v64, s[18:19]
	v_cmp_neq_f32_e32 vcc, v50, v49
	v_cmp_class_f32_e64 s[2:3], v50, s4
	s_or_b64 s[4:5], vcc, s[2:3]
	v_mov_b32_e32 v39, v96
	s_and_saveexec_b64 s[2:3], s[4:5]
	s_cbranch_execz .LBB360_234
; %bb.233:
	v_sub_f32_e32 v39, v50, v49
	s_mov_b32 s4, 0x3fb8aa3b
	v_mul_f32_e32 v50, 0x3fb8aa3b, v39
	v_fma_f32 v51, v39, s4, -v50
	v_rndne_f32_e32 v52, v50
	v_fmamk_f32 v51, v39, 0x32a5705f, v51
	v_sub_f32_e32 v50, v50, v52
	v_add_f32_e32 v50, v50, v51
	v_exp_f32_e32 v50, v50
	v_cvt_i32_f32_e32 v51, v52
	s_mov_b32 s4, 0xc2ce8ed0
	v_cmp_ngt_f32_e32 vcc, s4, v39
	s_mov_b32 s4, 0x42b17218
	v_ldexp_f32 v50, v50, v51
	v_cndmask_b32_e32 v50, 0, v50, vcc
	v_mov_b32_e32 v51, 0x7f800000
	v_cmp_nlt_f32_e32 vcc, s4, v39
	s_mov_b32 s4, 0x3f2aaaab
	s_mov_b32 s5, 0x7f800000
	v_cndmask_b32_e32 v97, v51, v50, vcc
	v_add_f32_e32 v39, 1.0, v97
	v_add_f32_e32 v50, -1.0, v39
	v_sub_f32_e32 v51, v50, v39
	v_add_f32_e32 v51, 1.0, v51
	v_sub_f32_e32 v50, v97, v50
	v_add_f32_e32 v52, v50, v51
	v_frexp_mant_f32_e32 v53, v39
	v_cvt_f64_f32_e32 v[50:51], v39
	v_frexp_exp_i32_f64_e32 v50, v[50:51]
	v_cmp_gt_f32_e32 vcc, s4, v53
	s_mov_b32 s4, 0x3f317218
	s_nop 0
	v_subbrev_co_u32_e32 v64, vcc, 0, v50, vcc
	v_sub_u32_e32 v50, 0, v64
	v_ldexp_f32 v39, v39, v50
	v_ldexp_f32 v50, v52, v50
	v_add_f32_e32 v52, -1.0, v39
	v_add_f32_e32 v51, 1.0, v52
	v_sub_f32_e32 v51, v39, v51
	v_add_f32_e32 v53, v50, v51
	v_add_f32_e32 v51, 1.0, v39
	v_add_f32_e32 v54, -1.0, v51
	v_sub_f32_e32 v39, v39, v54
	v_add_f32_e32 v39, v50, v39
	v_add_f32_e32 v100, v51, v39
	v_rcp_f32_e32 v101, v100
	v_sub_f32_e32 v50, v51, v100
	v_add_f32_e32 v51, v52, v53
	v_add_f32_e32 v39, v39, v50
	v_mul_f32_e32 v103, v51, v101
	v_sub_f32_e32 v50, v52, v51
	v_mul_f32_e32 v52, v100, v103
	v_fma_f32 v54, v103, v100, -v52
	v_fmac_f32_e32 v54, v103, v39
	v_add_f32_e32 v102, v53, v50
	v_add_f32_e32 v50, v52, v54
	v_sub_f32_e32 v53, v51, v50
	v_pk_add_f32 v[98:99], v[50:51], v[52:53] neg_lo:[0,1] neg_hi:[0,1]
	v_mov_b32_e32 v55, v50
	v_pk_add_f32 v[50:51], v[98:99], v[54:55] neg_lo:[0,1] neg_hi:[0,1]
	v_cmp_eq_f32_e32 vcc, s5, v97
	v_add_f32_e32 v51, v102, v51
	v_add_f32_e32 v50, v50, v51
	;; [unrolled: 1-line block ×3, first 2 shown]
	v_mul_f32_e32 v102, v101, v51
	v_mul_f32_e32 v52, v100, v102
	v_fma_f32 v54, v102, v100, -v52
	v_fmac_f32_e32 v54, v102, v39
	v_sub_f32_e32 v39, v53, v51
	v_add_f32_e32 v39, v50, v39
	v_add_f32_e32 v50, v52, v54
	v_sub_f32_e32 v53, v51, v50
	v_pk_add_f32 v[98:99], v[50:51], v[52:53] neg_lo:[0,1] neg_hi:[0,1]
	v_mov_b32_e32 v55, v50
	v_pk_add_f32 v[50:51], v[98:99], v[54:55] neg_lo:[0,1] neg_hi:[0,1]
	v_cvt_f32_i32_e32 v52, v64
	v_add_f32_e32 v39, v39, v51
	v_add_f32_e32 v39, v50, v39
	;; [unrolled: 1-line block ×4, first 2 shown]
	v_sub_f32_e32 v51, v50, v103
	v_mul_f32_e32 v39, v101, v39
	v_sub_f32_e32 v51, v102, v51
	v_add_f32_e32 v39, v51, v39
	v_add_f32_e32 v53, v50, v39
	v_mul_f32_e32 v54, v53, v53
	v_mov_b32_e32 v51, 0x3ecc95a3
	v_fmac_f32_e32 v51, 0x3e9b6dac, v54
	v_sub_f32_e32 v50, v53, v50
	v_fmaak_f32 v51, v54, v51, 0x3f2aaada
	v_sub_f32_e32 v39, v39, v50
	v_ldexp_f32 v55, v53, 1
	v_mul_f32_e32 v53, v53, v54
	v_mov_b32_e32 v50, 0x3f317218
	v_pk_mul_f32 v[50:51], v[52:53], v[50:51]
	v_ldexp_f32 v39, v39, 1
	v_fma_f32 v53, v52, s4, -v50
	v_fmamk_f32 v54, v52, 0xb102e308, v53
	v_pk_add_f32 v[52:53], v[50:51], v[54:55]
	v_mov_b32_e32 v98, v50
	v_sub_f32_e32 v55, v53, v55
	v_sub_f32_e32 v55, v51, v55
	v_add_f32_e32 v99, v39, v55
	v_pk_add_f32 v[50:51], v[52:53], v[50:51] neg_lo:[0,1] neg_hi:[0,1]
	v_pk_add_f32 v[100:101], v[52:53], v[98:99]
	v_mov_b32_e32 v55, v52
	v_mov_b32_e32 v51, v101
	v_pk_add_f32 v[102:103], v[54:55], v[50:51] neg_lo:[0,1] neg_hi:[0,1]
	v_pk_add_f32 v[50:51], v[54:55], v[50:51]
	v_mov_b32_e32 v98, v99
	v_mov_b32_e32 v54, v51
	v_pk_add_f32 v[112:113], v[54:55], v[52:53] neg_lo:[0,1] neg_hi:[0,1]
	v_mov_b32_e32 v50, v101
	v_mov_b32_e32 v39, v112
	v_pk_add_f32 v[114:115], v[100:101], v[38:39] neg_lo:[0,1] neg_hi:[0,1]
	v_mov_b32_e32 v100, v53
	v_mov_b32_e32 v101, v112
	;; [unrolled: 1-line block ×3, first 2 shown]
	v_pk_add_f32 v[50:51], v[50:51], v[100:101] neg_lo:[0,1] neg_hi:[0,1]
	v_mov_b32_e32 v99, v52
	v_pk_add_f32 v[50:51], v[98:99], v[50:51] neg_lo:[0,1] neg_hi:[0,1]
	v_mov_b32_e32 v114, v102
	v_pk_add_f32 v[52:53], v[114:115], v[50:51]
	s_mov_b32 s4, 0x33800000
	v_mov_b32_e32 v64, v53
	v_pk_add_f32 v[98:99], v[52:53], v[64:65]
	v_cmp_lt_f32_e64 s[4:5], |v97|, s4
	v_pk_add_f32 v[54:55], v[54:55], v[98:99]
	v_mov_b32_e32 v51, v98
	v_mov_b32_e32 v53, v54
	v_pk_add_f32 v[100:101], v[52:53], v[102:103] neg_lo:[0,1] neg_hi:[0,1]
	s_or_b64 vcc, vcc, s[4:5]
	v_sub_f32_e32 v39, v52, v100
	v_pk_add_f32 v[50:51], v[50:51], v[100:101] neg_lo:[0,1] neg_hi:[0,1]
	v_sub_f32_e32 v39, v102, v39
	v_add_f32_e32 v39, v50, v39
	v_add_f32_e32 v39, v39, v51
	;; [unrolled: 1-line block ×3, first 2 shown]
	v_cndmask_b32_e32 v39, v39, v97, vcc
	v_add_f32_e32 v39, v49, v39
	v_cvt_f16_f32_e32 v98, v39
	v_cvt_f32_f16_e32 v97, v98
	v_mov_b32_e32 v39, v98
.LBB360_234:
	s_or_b64 exec, exec, s[2:3]
	v_max_f32_e32 v49, v65, v65
	v_max_f32_e32 v51, v97, v97
	v_min_f32_e32 v50, v51, v49
	v_cmp_u_f16_e32 vcc, v98, v98
	v_max_f32_e32 v49, v51, v49
	s_movk_i32 s4, 0x1f8
	v_cndmask_b32_e32 v50, v50, v97, vcc
	v_cndmask_b32_e32 v49, v49, v97, vcc
	v_cndmask_b32_e64 v50, v50, v65, s[20:21]
	v_cndmask_b32_e64 v49, v49, v65, s[20:21]
	v_cmp_neq_f32_e32 vcc, v50, v49
	v_cmp_class_f32_e64 s[2:3], v50, s4
	s_or_b64 s[6:7], vcc, s[2:3]
	v_mov_b32_e32 v64, v39
	s_and_saveexec_b64 s[2:3], s[6:7]
	s_cbranch_execz .LBB360_236
; %bb.235:
	v_sub_f32_e32 v50, v50, v49
	s_mov_b32 s5, 0x3fb8aa3b
	v_mul_f32_e32 v51, 0x3fb8aa3b, v50
	v_fma_f32 v52, v50, s5, -v51
	v_rndne_f32_e32 v53, v51
	v_fmamk_f32 v52, v50, 0x32a5705f, v52
	v_sub_f32_e32 v51, v51, v53
	v_add_f32_e32 v51, v51, v52
	v_exp_f32_e32 v51, v51
	v_cvt_i32_f32_e32 v52, v53
	s_mov_b32 s5, 0xc2ce8ed0
	v_cmp_ngt_f32_e32 vcc, s5, v50
	s_mov_b32 s5, 0x42b17218
	v_ldexp_f32 v51, v51, v52
	v_cndmask_b32_e32 v51, 0, v51, vcc
	v_mov_b32_e32 v52, 0x7f800000
	v_cmp_nlt_f32_e32 vcc, s5, v50
	s_mov_b32 s5, 0x3f2aaaab
	s_mov_b32 s6, 0x7f800000
	v_cndmask_b32_e32 v97, v52, v51, vcc
	v_add_f32_e32 v52, 1.0, v97
	v_add_f32_e32 v50, -1.0, v52
	v_sub_f32_e32 v51, v50, v52
	v_add_f32_e32 v51, 1.0, v51
	v_sub_f32_e32 v50, v97, v50
	v_add_f32_e32 v53, v50, v51
	v_frexp_mant_f32_e32 v54, v52
	v_cvt_f64_f32_e32 v[50:51], v52
	v_frexp_exp_i32_f64_e32 v50, v[50:51]
	v_cmp_gt_f32_e32 vcc, s5, v54
	s_mov_b32 s5, 0x3f317218
	s_nop 0
	v_subbrev_co_u32_e32 v98, vcc, 0, v50, vcc
	v_sub_u32_e32 v50, 0, v98
	v_ldexp_f32 v51, v52, v50
	v_add_f32_e32 v52, -1.0, v51
	v_add_f32_e32 v54, 1.0, v51
	v_ldexp_f32 v50, v53, v50
	v_add_f32_e32 v53, 1.0, v52
	v_add_f32_e32 v55, -1.0, v54
	v_sub_f32_e32 v53, v51, v53
	v_sub_f32_e32 v51, v51, v55
	v_add_f32_e32 v53, v50, v53
	v_add_f32_e32 v50, v50, v51
	;; [unrolled: 1-line block ×3, first 2 shown]
	v_rcp_f32_e32 v101, v99
	v_sub_f32_e32 v51, v54, v99
	v_add_f32_e32 v100, v50, v51
	v_add_f32_e32 v51, v52, v53
	v_mul_f32_e32 v103, v51, v101
	v_sub_f32_e32 v50, v52, v51
	v_mul_f32_e32 v52, v99, v103
	v_fma_f32 v54, v103, v99, -v52
	v_fmac_f32_e32 v54, v103, v100
	v_add_f32_e32 v102, v53, v50
	v_add_f32_e32 v50, v52, v54
	v_sub_f32_e32 v53, v51, v50
	v_pk_add_f32 v[64:65], v[50:51], v[52:53] neg_lo:[0,1] neg_hi:[0,1]
	v_mov_b32_e32 v55, v50
	v_pk_add_f32 v[50:51], v[64:65], v[54:55] neg_lo:[0,1] neg_hi:[0,1]
	v_cmp_eq_f32_e32 vcc, s6, v97
	v_add_f32_e32 v51, v102, v51
	v_add_f32_e32 v50, v50, v51
	;; [unrolled: 1-line block ×3, first 2 shown]
	v_mul_f32_e32 v102, v101, v51
	v_mul_f32_e32 v52, v99, v102
	v_fma_f32 v54, v102, v99, -v52
	v_fmac_f32_e32 v54, v102, v100
	v_sub_f32_e32 v53, v53, v51
	v_add_f32_e32 v99, v50, v53
	v_add_f32_e32 v50, v52, v54
	v_sub_f32_e32 v53, v51, v50
	v_pk_add_f32 v[64:65], v[50:51], v[52:53] neg_lo:[0,1] neg_hi:[0,1]
	v_mov_b32_e32 v55, v50
	v_pk_add_f32 v[50:51], v[64:65], v[54:55] neg_lo:[0,1] neg_hi:[0,1]
	v_cvt_f32_i32_e32 v52, v98
	v_add_f32_e32 v51, v99, v51
	v_add_f32_e32 v50, v50, v51
	;; [unrolled: 1-line block ×4, first 2 shown]
	v_sub_f32_e32 v51, v53, v103
	v_mul_f32_e32 v50, v101, v50
	v_sub_f32_e32 v51, v102, v51
	v_add_f32_e32 v50, v51, v50
	v_add_f32_e32 v54, v53, v50
	v_mul_f32_e32 v64, v54, v54
	v_mov_b32_e32 v51, 0x3ecc95a3
	v_sub_f32_e32 v53, v54, v53
	v_fmac_f32_e32 v51, 0x3e9b6dac, v64
	v_sub_f32_e32 v50, v50, v53
	v_fmaak_f32 v51, v64, v51, 0x3f2aaada
	v_ldexp_f32 v65, v50, 1
	v_mul_f32_e32 v53, v54, v64
	v_mov_b32_e32 v50, 0x3f317218
	v_pk_mul_f32 v[50:51], v[52:53], v[50:51]
	v_ldexp_f32 v55, v54, 1
	v_fma_f32 v53, v52, s5, -v50
	v_fmamk_f32 v54, v52, 0xb102e308, v53
	v_pk_add_f32 v[52:53], v[50:51], v[54:55]
	v_mov_b32_e32 v64, v50
	v_sub_f32_e32 v55, v53, v55
	v_sub_f32_e32 v55, v51, v55
	v_add_f32_e32 v65, v65, v55
	v_pk_add_f32 v[50:51], v[52:53], v[50:51] neg_lo:[0,1] neg_hi:[0,1]
	v_pk_add_f32 v[98:99], v[52:53], v[64:65]
	v_mov_b32_e32 v55, v52
	v_mov_b32_e32 v51, v99
	v_pk_add_f32 v[100:101], v[54:55], v[50:51] neg_lo:[0,1] neg_hi:[0,1]
	v_pk_add_f32 v[50:51], v[54:55], v[50:51]
	v_mov_b32_e32 v64, v65
	v_mov_b32_e32 v54, v51
	v_pk_add_f32 v[102:103], v[54:55], v[52:53] neg_lo:[0,1] neg_hi:[0,1]
	v_mov_b32_e32 v50, v99
	v_mov_b32_e32 v55, v102
	v_pk_add_f32 v[112:113], v[98:99], v[54:55] neg_lo:[0,1] neg_hi:[0,1]
	v_mov_b32_e32 v98, v53
	v_mov_b32_e32 v99, v102
	;; [unrolled: 1-line block ×3, first 2 shown]
	v_pk_add_f32 v[50:51], v[50:51], v[98:99] neg_lo:[0,1] neg_hi:[0,1]
	v_mov_b32_e32 v65, v52
	v_pk_add_f32 v[50:51], v[64:65], v[50:51] neg_lo:[0,1] neg_hi:[0,1]
	v_mov_b32_e32 v112, v100
	v_pk_add_f32 v[52:53], v[112:113], v[50:51]
	s_mov_b32 s5, 0x33800000
	v_mov_b32_e32 v64, v53
	v_pk_add_f32 v[64:65], v[52:53], v[64:65]
	v_cmp_lt_f32_e64 s[6:7], |v97|, s5
	v_pk_add_f32 v[54:55], v[54:55], v[64:65]
	v_mov_b32_e32 v51, v64
	v_mov_b32_e32 v53, v54
	v_pk_add_f32 v[98:99], v[52:53], v[100:101] neg_lo:[0,1] neg_hi:[0,1]
	s_or_b64 vcc, vcc, s[6:7]
	v_sub_f32_e32 v52, v52, v98
	v_pk_add_f32 v[50:51], v[50:51], v[98:99] neg_lo:[0,1] neg_hi:[0,1]
	v_sub_f32_e32 v52, v100, v52
	v_add_f32_e32 v50, v50, v52
	v_add_f32_e32 v50, v50, v51
	;; [unrolled: 1-line block ×3, first 2 shown]
	v_cndmask_b32_e32 v50, v50, v97, vcc
	v_add_f32_e32 v49, v49, v50
	v_cvt_f16_f32_e32 v98, v49
	v_cvt_f32_f16_e32 v97, v98
	v_mov_b32_e32 v64, v98
.LBB360_236:
	s_or_b64 exec, exec, s[2:3]
	v_max_f32_e32 v49, v66, v66
	v_max_f32_e32 v50, v97, v97
	v_min_f32_e32 v51, v50, v49
	v_cmp_u_f16_e32 vcc, v98, v98
	v_max_f32_e32 v49, v50, v49
	s_nop 0
	v_cndmask_b32_e32 v51, v51, v97, vcc
	v_cndmask_b32_e32 v49, v49, v97, vcc
	v_cndmask_b32_e64 v51, v51, v66, s[22:23]
	v_cndmask_b32_e64 v50, v49, v66, s[22:23]
	v_cmp_neq_f32_e32 vcc, v51, v50
	v_cmp_class_f32_e64 s[2:3], v51, s4
	s_or_b64 s[4:5], vcc, s[2:3]
	v_mov_b32_e32 v49, v64
	s_and_saveexec_b64 s[2:3], s[4:5]
	s_cbranch_execz .LBB360_238
; %bb.237:
	v_sub_f32_e32 v49, v51, v50
	s_mov_b32 s4, 0x3fb8aa3b
	v_mul_f32_e32 v51, 0x3fb8aa3b, v49
	v_fma_f32 v52, v49, s4, -v51
	v_rndne_f32_e32 v53, v51
	v_fmamk_f32 v52, v49, 0x32a5705f, v52
	v_sub_f32_e32 v51, v51, v53
	v_add_f32_e32 v51, v51, v52
	v_exp_f32_e32 v51, v51
	v_cvt_i32_f32_e32 v52, v53
	s_mov_b32 s4, 0xc2ce8ed0
	v_cmp_ngt_f32_e32 vcc, s4, v49
	s_mov_b32 s4, 0x42b17218
	v_ldexp_f32 v51, v51, v52
	v_cndmask_b32_e32 v51, 0, v51, vcc
	v_mov_b32_e32 v52, 0x7f800000
	v_cmp_nlt_f32_e32 vcc, s4, v49
	s_mov_b32 s4, 0x3f2aaaab
	s_mov_b32 s5, 0x7f800000
	v_cndmask_b32_e32 v51, v52, v51, vcc
	v_add_f32_e32 v49, 1.0, v51
	v_add_f32_e32 v52, -1.0, v49
	v_sub_f32_e32 v53, v52, v49
	v_add_f32_e32 v53, 1.0, v53
	v_sub_f32_e32 v52, v51, v52
	v_add_f32_e32 v54, v52, v53
	v_frexp_mant_f32_e32 v55, v49
	v_cvt_f64_f32_e32 v[52:53], v49
	v_frexp_exp_i32_f64_e32 v52, v[52:53]
	v_cmp_gt_f32_e32 vcc, s4, v55
	s_mov_b32 s4, 0x3f317218
	s_nop 0
	v_subbrev_co_u32_e32 v65, vcc, 0, v52, vcc
	v_sub_u32_e32 v52, 0, v65
	v_ldexp_f32 v49, v49, v52
	v_ldexp_f32 v52, v54, v52
	v_add_f32_e32 v54, -1.0, v49
	v_add_f32_e32 v53, 1.0, v54
	v_sub_f32_e32 v53, v49, v53
	v_add_f32_e32 v55, v52, v53
	v_add_f32_e32 v53, 1.0, v49
	v_add_f32_e32 v66, -1.0, v53
	v_sub_f32_e32 v49, v49, v66
	v_add_f32_e32 v49, v52, v49
	v_add_f32_e32 v66, v53, v49
	v_rcp_f32_e32 v97, v66
	v_sub_f32_e32 v52, v53, v66
	v_add_f32_e32 v53, v54, v55
	v_add_f32_e32 v49, v49, v52
	v_mul_f32_e32 v103, v53, v97
	v_sub_f32_e32 v52, v54, v53
	v_mul_f32_e32 v54, v66, v103
	v_fma_f32 v98, v103, v66, -v54
	v_fmac_f32_e32 v98, v103, v49
	v_add_f32_e32 v102, v55, v52
	v_add_f32_e32 v52, v54, v98
	v_sub_f32_e32 v55, v53, v52
	v_pk_add_f32 v[100:101], v[52:53], v[54:55] neg_lo:[0,1] neg_hi:[0,1]
	v_mov_b32_e32 v99, v52
	v_pk_add_f32 v[52:53], v[100:101], v[98:99] neg_lo:[0,1] neg_hi:[0,1]
	v_cmp_eq_f32_e32 vcc, s5, v51
	v_add_f32_e32 v53, v102, v53
	v_add_f32_e32 v52, v52, v53
	;; [unrolled: 1-line block ×3, first 2 shown]
	v_mul_f32_e32 v102, v97, v53
	v_mul_f32_e32 v54, v66, v102
	v_fma_f32 v98, v102, v66, -v54
	v_fmac_f32_e32 v98, v102, v49
	v_sub_f32_e32 v49, v55, v53
	v_add_f32_e32 v49, v52, v49
	v_add_f32_e32 v52, v54, v98
	v_sub_f32_e32 v55, v53, v52
	v_pk_add_f32 v[100:101], v[52:53], v[54:55] neg_lo:[0,1] neg_hi:[0,1]
	v_mov_b32_e32 v99, v52
	v_pk_add_f32 v[52:53], v[100:101], v[98:99] neg_lo:[0,1] neg_hi:[0,1]
	v_cvt_f32_i32_e32 v54, v65
	v_add_f32_e32 v49, v49, v53
	v_add_f32_e32 v49, v52, v49
	v_add_f32_e32 v52, v103, v102
	v_add_f32_e32 v49, v55, v49
	v_sub_f32_e32 v53, v52, v103
	v_mul_f32_e32 v49, v97, v49
	v_sub_f32_e32 v53, v102, v53
	v_add_f32_e32 v49, v53, v49
	v_add_f32_e32 v55, v52, v49
	v_mul_f32_e32 v66, v55, v55
	v_mov_b32_e32 v53, 0x3ecc95a3
	v_fmac_f32_e32 v53, 0x3e9b6dac, v66
	v_sub_f32_e32 v52, v55, v52
	v_fmaak_f32 v53, v66, v53, 0x3f2aaada
	v_sub_f32_e32 v49, v49, v52
	v_ldexp_f32 v99, v55, 1
	v_mul_f32_e32 v55, v55, v66
	v_mov_b32_e32 v52, 0x3f317218
	v_pk_mul_f32 v[52:53], v[54:55], v[52:53]
	v_ldexp_f32 v49, v49, 1
	v_fma_f32 v55, v54, s4, -v52
	v_fmamk_f32 v98, v54, 0xb102e308, v55
	v_pk_add_f32 v[54:55], v[52:53], v[98:99]
	v_mov_b32_e32 v100, v52
	v_sub_f32_e32 v65, v55, v99
	v_sub_f32_e32 v65, v53, v65
	v_add_f32_e32 v101, v49, v65
	v_pk_add_f32 v[52:53], v[54:55], v[52:53] neg_lo:[0,1] neg_hi:[0,1]
	v_pk_add_f32 v[102:103], v[54:55], v[100:101]
	v_mov_b32_e32 v99, v54
	v_mov_b32_e32 v53, v103
	v_pk_add_f32 v[112:113], v[98:99], v[52:53] neg_lo:[0,1] neg_hi:[0,1]
	v_pk_add_f32 v[52:53], v[98:99], v[52:53]
	s_mov_b32 s4, 0x33800000
	v_mov_b32_e32 v66, v53
	v_pk_add_f32 v[98:99], v[66:67], v[54:55] neg_lo:[0,1] neg_hi:[0,1]
	v_mov_b32_e32 v52, v103
	v_mov_b32_e32 v49, v98
	v_pk_add_f32 v[114:115], v[102:103], v[48:49] neg_lo:[0,1] neg_hi:[0,1]
	v_mov_b32_e32 v102, v55
	v_mov_b32_e32 v103, v98
	;; [unrolled: 1-line block ×3, first 2 shown]
	v_pk_add_f32 v[52:53], v[52:53], v[102:103] neg_lo:[0,1] neg_hi:[0,1]
	v_mov_b32_e32 v98, v101
	v_mov_b32_e32 v99, v54
	v_pk_add_f32 v[52:53], v[98:99], v[52:53] neg_lo:[0,1] neg_hi:[0,1]
	v_mov_b32_e32 v114, v112
	v_pk_add_f32 v[54:55], v[114:115], v[52:53]
	v_cmp_lt_f32_e64 s[4:5], |v51|, s4
	v_mov_b32_e32 v98, v55
	v_pk_add_f32 v[98:99], v[54:55], v[98:99]
	s_or_b64 vcc, vcc, s[4:5]
	v_pk_add_f32 v[100:101], v[66:67], v[98:99]
	v_mov_b32_e32 v53, v98
	v_mov_b32_e32 v55, v100
	v_pk_add_f32 v[102:103], v[54:55], v[112:113] neg_lo:[0,1] neg_hi:[0,1]
	s_nop 0
	v_sub_f32_e32 v49, v54, v102
	v_pk_add_f32 v[52:53], v[52:53], v[102:103] neg_lo:[0,1] neg_hi:[0,1]
	v_sub_f32_e32 v49, v112, v49
	v_add_f32_e32 v49, v52, v49
	v_add_f32_e32 v49, v49, v53
	;; [unrolled: 1-line block ×3, first 2 shown]
	v_cndmask_b32_e32 v49, v49, v51, vcc
	v_add_f32_e32 v49, v50, v49
	v_cvt_f16_f32_e32 v98, v49
	v_cvt_f32_f16_e32 v97, v98
	v_mov_b32_e32 v49, v98
.LBB360_238:
	s_or_b64 exec, exec, s[2:3]
	v_max_f32_e32 v50, v67, v67
	v_max_f32_e32 v52, v97, v97
	v_min_f32_e32 v51, v52, v50
	v_cmp_u_f16_e32 vcc, v98, v98
	v_max_f32_e32 v50, v52, v50
	s_movk_i32 s4, 0x1f8
	v_cndmask_b32_e32 v51, v51, v97, vcc
	v_cndmask_b32_e32 v50, v50, v97, vcc
	v_cndmask_b32_e64 v51, v51, v67, s[24:25]
	v_cndmask_b32_e64 v50, v50, v67, s[24:25]
	v_cmp_neq_f32_e32 vcc, v51, v50
	v_cmp_class_f32_e64 s[2:3], v51, s4
	s_or_b64 s[6:7], vcc, s[2:3]
	v_mov_b32_e32 v65, v49
	s_and_saveexec_b64 s[2:3], s[6:7]
	s_cbranch_execz .LBB360_240
; %bb.239:
	v_sub_f32_e32 v51, v51, v50
	s_mov_b32 s5, 0x3fb8aa3b
	v_mul_f32_e32 v52, 0x3fb8aa3b, v51
	v_fma_f32 v53, v51, s5, -v52
	v_rndne_f32_e32 v54, v52
	v_fmamk_f32 v53, v51, 0x32a5705f, v53
	v_sub_f32_e32 v52, v52, v54
	v_add_f32_e32 v52, v52, v53
	v_exp_f32_e32 v52, v52
	v_cvt_i32_f32_e32 v53, v54
	s_mov_b32 s5, 0xc2ce8ed0
	v_cmp_ngt_f32_e32 vcc, s5, v51
	s_mov_b32 s5, 0x42b17218
	v_ldexp_f32 v52, v52, v53
	v_cndmask_b32_e32 v52, 0, v52, vcc
	v_mov_b32_e32 v53, 0x7f800000
	v_cmp_nlt_f32_e32 vcc, s5, v51
	s_mov_b32 s5, 0x3f2aaaab
	s_mov_b32 s6, 0x7f800000
	v_cndmask_b32_e32 v65, v53, v52, vcc
	v_add_f32_e32 v51, 1.0, v65
	v_add_f32_e32 v52, -1.0, v51
	v_sub_f32_e32 v53, v52, v51
	v_add_f32_e32 v53, 1.0, v53
	v_sub_f32_e32 v52, v65, v52
	v_add_f32_e32 v54, v52, v53
	v_frexp_mant_f32_e32 v55, v51
	v_cvt_f64_f32_e32 v[52:53], v51
	v_frexp_exp_i32_f64_e32 v52, v[52:53]
	v_cmp_gt_f32_e32 vcc, s5, v55
	s_mov_b32 s5, 0x3f317218
	s_nop 0
	v_subbrev_co_u32_e32 v97, vcc, 0, v52, vcc
	v_sub_u32_e32 v52, 0, v97
	v_ldexp_f32 v51, v51, v52
	v_ldexp_f32 v52, v54, v52
	v_add_f32_e32 v54, -1.0, v51
	v_add_f32_e32 v53, 1.0, v54
	v_sub_f32_e32 v53, v51, v53
	v_add_f32_e32 v55, v52, v53
	v_add_f32_e32 v53, 1.0, v51
	v_add_f32_e32 v66, -1.0, v53
	v_sub_f32_e32 v51, v51, v66
	v_add_f32_e32 v51, v52, v51
	v_add_f32_e32 v100, v53, v51
	v_rcp_f32_e32 v101, v100
	v_sub_f32_e32 v52, v53, v100
	v_add_f32_e32 v53, v54, v55
	v_add_f32_e32 v51, v51, v52
	v_mul_f32_e32 v103, v53, v101
	v_sub_f32_e32 v52, v54, v53
	v_mul_f32_e32 v54, v100, v103
	v_fma_f32 v66, v103, v100, -v54
	v_fmac_f32_e32 v66, v103, v51
	v_add_f32_e32 v102, v55, v52
	v_add_f32_e32 v52, v54, v66
	v_sub_f32_e32 v55, v53, v52
	v_pk_add_f32 v[98:99], v[52:53], v[54:55] neg_lo:[0,1] neg_hi:[0,1]
	v_mov_b32_e32 v67, v52
	v_pk_add_f32 v[52:53], v[98:99], v[66:67] neg_lo:[0,1] neg_hi:[0,1]
	v_cmp_eq_f32_e32 vcc, s6, v65
	v_add_f32_e32 v53, v102, v53
	v_add_f32_e32 v52, v52, v53
	;; [unrolled: 1-line block ×3, first 2 shown]
	v_mul_f32_e32 v102, v101, v53
	v_mul_f32_e32 v54, v100, v102
	v_fma_f32 v66, v102, v100, -v54
	v_fmac_f32_e32 v66, v102, v51
	v_sub_f32_e32 v51, v55, v53
	v_add_f32_e32 v51, v52, v51
	v_add_f32_e32 v52, v54, v66
	v_sub_f32_e32 v55, v53, v52
	v_pk_add_f32 v[98:99], v[52:53], v[54:55] neg_lo:[0,1] neg_hi:[0,1]
	v_mov_b32_e32 v67, v52
	v_pk_add_f32 v[52:53], v[98:99], v[66:67] neg_lo:[0,1] neg_hi:[0,1]
	v_cvt_f32_i32_e32 v54, v97
	v_add_f32_e32 v51, v51, v53
	v_add_f32_e32 v51, v52, v51
	;; [unrolled: 1-line block ×4, first 2 shown]
	v_sub_f32_e32 v53, v52, v103
	v_mul_f32_e32 v51, v101, v51
	v_sub_f32_e32 v53, v102, v53
	v_add_f32_e32 v51, v53, v51
	v_add_f32_e32 v55, v52, v51
	v_mul_f32_e32 v66, v55, v55
	v_mov_b32_e32 v53, 0x3ecc95a3
	v_fmac_f32_e32 v53, 0x3e9b6dac, v66
	v_sub_f32_e32 v52, v55, v52
	v_fmaak_f32 v53, v66, v53, 0x3f2aaada
	v_sub_f32_e32 v51, v51, v52
	v_ldexp_f32 v67, v55, 1
	v_mul_f32_e32 v55, v55, v66
	v_mov_b32_e32 v52, 0x3f317218
	v_pk_mul_f32 v[52:53], v[54:55], v[52:53]
	v_ldexp_f32 v51, v51, 1
	v_fma_f32 v55, v54, s5, -v52
	v_fmamk_f32 v66, v54, 0xb102e308, v55
	v_pk_add_f32 v[54:55], v[52:53], v[66:67]
	v_mov_b32_e32 v98, v52
	v_sub_f32_e32 v67, v55, v67
	v_sub_f32_e32 v67, v53, v67
	v_add_f32_e32 v99, v51, v67
	v_pk_add_f32 v[52:53], v[54:55], v[52:53] neg_lo:[0,1] neg_hi:[0,1]
	v_pk_add_f32 v[100:101], v[54:55], v[98:99]
	v_mov_b32_e32 v67, v54
	v_mov_b32_e32 v53, v101
	v_pk_add_f32 v[102:103], v[66:67], v[52:53] neg_lo:[0,1] neg_hi:[0,1]
	v_pk_add_f32 v[52:53], v[66:67], v[52:53]
	v_mov_b32_e32 v98, v99
	v_mov_b32_e32 v66, v53
	v_pk_add_f32 v[112:113], v[66:67], v[54:55] neg_lo:[0,1] neg_hi:[0,1]
	v_mov_b32_e32 v52, v101
	v_mov_b32_e32 v51, v112
	v_pk_add_f32 v[114:115], v[100:101], v[50:51] neg_lo:[0,1] neg_hi:[0,1]
	v_mov_b32_e32 v100, v55
	v_mov_b32_e32 v101, v112
	;; [unrolled: 1-line block ×3, first 2 shown]
	v_pk_add_f32 v[52:53], v[52:53], v[100:101] neg_lo:[0,1] neg_hi:[0,1]
	v_mov_b32_e32 v99, v54
	v_pk_add_f32 v[52:53], v[98:99], v[52:53] neg_lo:[0,1] neg_hi:[0,1]
	v_mov_b32_e32 v114, v102
	v_pk_add_f32 v[54:55], v[114:115], v[52:53]
	s_mov_b32 s5, 0x33800000
	v_mov_b32_e32 v98, v55
	v_pk_add_f32 v[98:99], v[54:55], v[98:99]
	v_cmp_lt_f32_e64 s[6:7], |v65|, s5
	v_pk_add_f32 v[66:67], v[66:67], v[98:99]
	v_mov_b32_e32 v53, v98
	v_mov_b32_e32 v55, v66
	v_pk_add_f32 v[100:101], v[54:55], v[102:103] neg_lo:[0,1] neg_hi:[0,1]
	s_or_b64 vcc, vcc, s[6:7]
	v_sub_f32_e32 v51, v54, v100
	v_pk_add_f32 v[52:53], v[52:53], v[100:101] neg_lo:[0,1] neg_hi:[0,1]
	v_sub_f32_e32 v51, v102, v51
	v_add_f32_e32 v51, v52, v51
	v_add_f32_e32 v51, v51, v53
	;; [unrolled: 1-line block ×3, first 2 shown]
	v_cndmask_b32_e32 v51, v51, v65, vcc
	v_add_f32_e32 v50, v50, v51
	v_cvt_f16_f32_e32 v98, v50
	v_cvt_f32_f16_e32 v97, v98
	v_mov_b32_e32 v65, v98
.LBB360_240:
	s_or_b64 exec, exec, s[2:3]
	v_max_f32_e32 v50, v68, v68
	v_max_f32_e32 v51, v97, v97
	v_min_f32_e32 v52, v51, v50
	v_cmp_u_f16_e32 vcc, v98, v98
	v_max_f32_e32 v50, v51, v50
	s_nop 0
	v_cndmask_b32_e32 v52, v52, v97, vcc
	v_cndmask_b32_e32 v50, v50, v97, vcc
	v_cndmask_b32_e64 v52, v52, v68, s[26:27]
	v_cndmask_b32_e64 v51, v50, v68, s[26:27]
	v_cmp_neq_f32_e32 vcc, v52, v51
	v_cmp_class_f32_e64 s[2:3], v52, s4
	s_or_b64 s[4:5], vcc, s[2:3]
	v_mov_b32_e32 v50, v65
	s_and_saveexec_b64 s[2:3], s[4:5]
	s_cbranch_execz .LBB360_242
; %bb.241:
	v_sub_f32_e32 v50, v52, v51
	s_mov_b32 s4, 0x3fb8aa3b
	v_mul_f32_e32 v52, 0x3fb8aa3b, v50
	v_fma_f32 v53, v50, s4, -v52
	v_rndne_f32_e32 v54, v52
	v_fmamk_f32 v53, v50, 0x32a5705f, v53
	v_sub_f32_e32 v52, v52, v54
	v_add_f32_e32 v52, v52, v53
	v_exp_f32_e32 v52, v52
	v_cvt_i32_f32_e32 v53, v54
	s_mov_b32 s4, 0xc2ce8ed0
	v_cmp_ngt_f32_e32 vcc, s4, v50
	s_mov_b32 s4, 0x42b17218
	v_ldexp_f32 v52, v52, v53
	v_cndmask_b32_e32 v52, 0, v52, vcc
	v_mov_b32_e32 v53, 0x7f800000
	v_cmp_nlt_f32_e32 vcc, s4, v50
	s_mov_b32 s4, 0x3f2aaaab
	s_mov_b32 s5, 0x7f800000
	v_cndmask_b32_e32 v68, v53, v52, vcc
	v_add_f32_e32 v50, 1.0, v68
	v_add_f32_e32 v52, -1.0, v50
	v_sub_f32_e32 v53, v52, v50
	v_add_f32_e32 v53, 1.0, v53
	v_sub_f32_e32 v52, v68, v52
	v_add_f32_e32 v54, v52, v53
	v_frexp_mant_f32_e32 v55, v50
	v_cvt_f64_f32_e32 v[52:53], v50
	v_frexp_exp_i32_f64_e32 v52, v[52:53]
	v_cmp_gt_f32_e32 vcc, s4, v55
	s_mov_b32 s4, 0x3f317218
	s_nop 0
	v_subbrev_co_u32_e32 v97, vcc, 0, v52, vcc
	v_sub_u32_e32 v52, 0, v97
	v_ldexp_f32 v50, v50, v52
	v_ldexp_f32 v52, v54, v52
	v_add_f32_e32 v54, -1.0, v50
	v_add_f32_e32 v53, 1.0, v54
	v_sub_f32_e32 v53, v50, v53
	v_add_f32_e32 v55, v52, v53
	v_add_f32_e32 v53, 1.0, v50
	v_add_f32_e32 v66, -1.0, v53
	v_sub_f32_e32 v50, v50, v66
	v_add_f32_e32 v50, v52, v50
	v_add_f32_e32 v100, v53, v50
	v_rcp_f32_e32 v101, v100
	v_sub_f32_e32 v52, v53, v100
	v_add_f32_e32 v53, v54, v55
	v_add_f32_e32 v50, v50, v52
	v_mul_f32_e32 v103, v53, v101
	v_sub_f32_e32 v52, v54, v53
	v_mul_f32_e32 v54, v100, v103
	v_fma_f32 v66, v103, v100, -v54
	v_fmac_f32_e32 v66, v103, v50
	v_add_f32_e32 v102, v55, v52
	v_add_f32_e32 v52, v54, v66
	v_sub_f32_e32 v55, v53, v52
	v_pk_add_f32 v[98:99], v[52:53], v[54:55] neg_lo:[0,1] neg_hi:[0,1]
	v_mov_b32_e32 v67, v52
	v_pk_add_f32 v[52:53], v[98:99], v[66:67] neg_lo:[0,1] neg_hi:[0,1]
	v_cmp_eq_f32_e32 vcc, s5, v68
	v_add_f32_e32 v53, v102, v53
	v_add_f32_e32 v52, v52, v53
	;; [unrolled: 1-line block ×3, first 2 shown]
	v_mul_f32_e32 v102, v101, v53
	v_mul_f32_e32 v54, v100, v102
	v_fma_f32 v66, v102, v100, -v54
	v_fmac_f32_e32 v66, v102, v50
	v_sub_f32_e32 v50, v55, v53
	v_add_f32_e32 v50, v52, v50
	v_add_f32_e32 v52, v54, v66
	v_sub_f32_e32 v55, v53, v52
	v_pk_add_f32 v[98:99], v[52:53], v[54:55] neg_lo:[0,1] neg_hi:[0,1]
	v_mov_b32_e32 v67, v52
	v_pk_add_f32 v[52:53], v[98:99], v[66:67] neg_lo:[0,1] neg_hi:[0,1]
	v_cvt_f32_i32_e32 v54, v97
	v_add_f32_e32 v50, v50, v53
	v_add_f32_e32 v50, v52, v50
	;; [unrolled: 1-line block ×4, first 2 shown]
	v_sub_f32_e32 v53, v52, v103
	v_mul_f32_e32 v50, v101, v50
	v_sub_f32_e32 v53, v102, v53
	v_add_f32_e32 v50, v53, v50
	v_add_f32_e32 v55, v52, v50
	v_mul_f32_e32 v66, v55, v55
	v_mov_b32_e32 v53, 0x3ecc95a3
	v_fmac_f32_e32 v53, 0x3e9b6dac, v66
	v_sub_f32_e32 v52, v55, v52
	v_fmaak_f32 v53, v66, v53, 0x3f2aaada
	v_sub_f32_e32 v50, v50, v52
	v_ldexp_f32 v67, v55, 1
	v_mul_f32_e32 v55, v55, v66
	v_mov_b32_e32 v52, 0x3f317218
	v_pk_mul_f32 v[52:53], v[54:55], v[52:53]
	v_ldexp_f32 v50, v50, 1
	v_fma_f32 v55, v54, s4, -v52
	v_fmamk_f32 v66, v54, 0xb102e308, v55
	v_pk_add_f32 v[54:55], v[52:53], v[66:67]
	v_mov_b32_e32 v98, v52
	v_sub_f32_e32 v67, v55, v67
	v_sub_f32_e32 v67, v53, v67
	v_add_f32_e32 v99, v50, v67
	v_pk_add_f32 v[52:53], v[54:55], v[52:53] neg_lo:[0,1] neg_hi:[0,1]
	v_pk_add_f32 v[100:101], v[54:55], v[98:99]
	v_mov_b32_e32 v67, v54
	v_mov_b32_e32 v53, v101
	v_pk_add_f32 v[102:103], v[66:67], v[52:53] neg_lo:[0,1] neg_hi:[0,1]
	v_pk_add_f32 v[52:53], v[66:67], v[52:53]
	s_mov_b32 s4, 0x33800000
	v_mov_b32_e32 v50, v53
	v_pk_add_f32 v[66:67], v[50:51], v[54:55] neg_lo:[0,1] neg_hi:[0,1]
	v_mov_b32_e32 v52, v101
	v_mov_b32_e32 v67, v66
	v_pk_add_f32 v[112:113], v[100:101], v[66:67] neg_lo:[0,1] neg_hi:[0,1]
	v_mov_b32_e32 v100, v55
	v_mov_b32_e32 v101, v66
	v_mov_b32_e32 v103, v53
	v_pk_add_f32 v[52:53], v[52:53], v[100:101] neg_lo:[0,1] neg_hi:[0,1]
	v_mov_b32_e32 v66, v99
	v_mov_b32_e32 v67, v54
	v_pk_add_f32 v[52:53], v[66:67], v[52:53] neg_lo:[0,1] neg_hi:[0,1]
	v_mov_b32_e32 v112, v102
	v_pk_add_f32 v[54:55], v[112:113], v[52:53]
	v_cmp_lt_f32_e64 s[4:5], |v68|, s4
	v_mov_b32_e32 v66, v55
	v_pk_add_f32 v[66:67], v[54:55], v[66:67]
	s_or_b64 vcc, vcc, s[4:5]
	v_pk_add_f32 v[98:99], v[50:51], v[66:67]
	v_mov_b32_e32 v53, v66
	v_mov_b32_e32 v55, v98
	v_pk_add_f32 v[100:101], v[54:55], v[102:103] neg_lo:[0,1] neg_hi:[0,1]
	s_nop 0
	v_sub_f32_e32 v50, v54, v100
	v_pk_add_f32 v[52:53], v[52:53], v[100:101] neg_lo:[0,1] neg_hi:[0,1]
	v_sub_f32_e32 v50, v102, v50
	v_add_f32_e32 v50, v52, v50
	v_add_f32_e32 v50, v50, v53
	;; [unrolled: 1-line block ×3, first 2 shown]
	v_cndmask_b32_e32 v50, v50, v68, vcc
	v_add_f32_e32 v50, v51, v50
	v_cvt_f16_f32_e32 v98, v50
	v_cvt_f32_f16_e32 v97, v98
	v_mov_b32_e32 v50, v98
.LBB360_242:
	s_or_b64 exec, exec, s[2:3]
	v_max_f32_e32 v51, v69, v69
	v_max_f32_e32 v53, v97, v97
	v_min_f32_e32 v52, v53, v51
	v_cmp_u_f16_e32 vcc, v98, v98
	v_max_f32_e32 v51, v53, v51
	s_movk_i32 s4, 0x1f8
	v_cndmask_b32_e32 v52, v52, v97, vcc
	v_cndmask_b32_e32 v51, v51, v97, vcc
	v_cndmask_b32_e64 v52, v52, v69, s[28:29]
	v_cndmask_b32_e64 v51, v51, v69, s[28:29]
	v_cmp_neq_f32_e32 vcc, v52, v51
	v_cmp_class_f32_e64 s[2:3], v52, s4
	s_or_b64 s[6:7], vcc, s[2:3]
	v_mov_b32_e32 v66, v50
	s_and_saveexec_b64 s[2:3], s[6:7]
	s_cbranch_execz .LBB360_244
; %bb.243:
	v_sub_f32_e32 v52, v52, v51
	s_mov_b32 s5, 0x3fb8aa3b
	v_mul_f32_e32 v53, 0x3fb8aa3b, v52
	v_fma_f32 v54, v52, s5, -v53
	v_rndne_f32_e32 v55, v53
	v_fmamk_f32 v54, v52, 0x32a5705f, v54
	v_sub_f32_e32 v53, v53, v55
	v_add_f32_e32 v53, v53, v54
	v_exp_f32_e32 v53, v53
	v_cvt_i32_f32_e32 v54, v55
	s_mov_b32 s5, 0xc2ce8ed0
	v_cmp_ngt_f32_e32 vcc, s5, v52
	s_mov_b32 s5, 0x42b17218
	v_ldexp_f32 v53, v53, v54
	v_cndmask_b32_e32 v53, 0, v53, vcc
	v_mov_b32_e32 v54, 0x7f800000
	v_cmp_nlt_f32_e32 vcc, s5, v52
	s_mov_b32 s5, 0x3f2aaaab
	s_mov_b32 s6, 0x7f800000
	v_cndmask_b32_e32 v97, v54, v53, vcc
	v_add_f32_e32 v54, 1.0, v97
	v_add_f32_e32 v52, -1.0, v54
	v_sub_f32_e32 v53, v52, v54
	v_add_f32_e32 v53, 1.0, v53
	v_sub_f32_e32 v52, v97, v52
	v_add_f32_e32 v55, v52, v53
	v_frexp_mant_f32_e32 v66, v54
	v_cvt_f64_f32_e32 v[52:53], v54
	v_frexp_exp_i32_f64_e32 v52, v[52:53]
	v_cmp_gt_f32_e32 vcc, s5, v66
	s_mov_b32 s5, 0x3f317218
	s_nop 0
	v_subbrev_co_u32_e32 v98, vcc, 0, v52, vcc
	v_sub_u32_e32 v52, 0, v98
	v_ldexp_f32 v53, v54, v52
	v_add_f32_e32 v54, -1.0, v53
	v_add_f32_e32 v66, 1.0, v53
	v_ldexp_f32 v52, v55, v52
	v_add_f32_e32 v55, 1.0, v54
	v_add_f32_e32 v67, -1.0, v66
	v_sub_f32_e32 v55, v53, v55
	v_sub_f32_e32 v53, v53, v67
	v_add_f32_e32 v55, v52, v55
	v_add_f32_e32 v52, v52, v53
	;; [unrolled: 1-line block ×3, first 2 shown]
	v_rcp_f32_e32 v101, v99
	v_sub_f32_e32 v53, v66, v99
	v_add_f32_e32 v100, v52, v53
	v_add_f32_e32 v53, v54, v55
	v_mul_f32_e32 v103, v53, v101
	v_sub_f32_e32 v52, v54, v53
	v_mul_f32_e32 v54, v99, v103
	v_fma_f32 v66, v103, v99, -v54
	v_fmac_f32_e32 v66, v103, v100
	v_add_f32_e32 v102, v55, v52
	v_add_f32_e32 v52, v54, v66
	v_sub_f32_e32 v55, v53, v52
	v_pk_add_f32 v[68:69], v[52:53], v[54:55] neg_lo:[0,1] neg_hi:[0,1]
	v_mov_b32_e32 v67, v52
	v_pk_add_f32 v[52:53], v[68:69], v[66:67] neg_lo:[0,1] neg_hi:[0,1]
	v_cmp_eq_f32_e32 vcc, s6, v97
	v_add_f32_e32 v53, v102, v53
	v_add_f32_e32 v52, v52, v53
	;; [unrolled: 1-line block ×3, first 2 shown]
	v_mul_f32_e32 v102, v101, v53
	v_mul_f32_e32 v54, v99, v102
	v_fma_f32 v66, v102, v99, -v54
	v_fmac_f32_e32 v66, v102, v100
	v_sub_f32_e32 v55, v55, v53
	v_add_f32_e32 v99, v52, v55
	v_add_f32_e32 v52, v54, v66
	v_sub_f32_e32 v55, v53, v52
	v_pk_add_f32 v[68:69], v[52:53], v[54:55] neg_lo:[0,1] neg_hi:[0,1]
	v_mov_b32_e32 v67, v52
	v_pk_add_f32 v[52:53], v[68:69], v[66:67] neg_lo:[0,1] neg_hi:[0,1]
	v_cvt_f32_i32_e32 v54, v98
	v_add_f32_e32 v53, v99, v53
	v_add_f32_e32 v52, v52, v53
	v_add_f32_e32 v52, v55, v52
	v_add_f32_e32 v55, v103, v102
	v_sub_f32_e32 v53, v55, v103
	v_mul_f32_e32 v52, v101, v52
	v_sub_f32_e32 v53, v102, v53
	v_add_f32_e32 v52, v53, v52
	v_add_f32_e32 v66, v55, v52
	v_mul_f32_e32 v68, v66, v66
	v_mov_b32_e32 v53, 0x3ecc95a3
	v_sub_f32_e32 v55, v66, v55
	v_fmac_f32_e32 v53, 0x3e9b6dac, v68
	v_sub_f32_e32 v52, v52, v55
	v_fmaak_f32 v53, v68, v53, 0x3f2aaada
	v_ldexp_f32 v69, v52, 1
	v_mul_f32_e32 v55, v66, v68
	v_mov_b32_e32 v52, 0x3f317218
	v_pk_mul_f32 v[52:53], v[54:55], v[52:53]
	v_ldexp_f32 v67, v66, 1
	v_fma_f32 v55, v54, s5, -v52
	v_fmamk_f32 v66, v54, 0xb102e308, v55
	v_pk_add_f32 v[54:55], v[52:53], v[66:67]
	v_mov_b32_e32 v68, v52
	v_sub_f32_e32 v67, v55, v67
	v_sub_f32_e32 v67, v53, v67
	v_add_f32_e32 v69, v69, v67
	v_pk_add_f32 v[52:53], v[54:55], v[52:53] neg_lo:[0,1] neg_hi:[0,1]
	v_pk_add_f32 v[98:99], v[54:55], v[68:69]
	v_mov_b32_e32 v67, v54
	v_mov_b32_e32 v53, v99
	v_pk_add_f32 v[100:101], v[66:67], v[52:53] neg_lo:[0,1] neg_hi:[0,1]
	v_pk_add_f32 v[52:53], v[66:67], v[52:53]
	v_mov_b32_e32 v68, v69
	v_mov_b32_e32 v66, v53
	v_pk_add_f32 v[102:103], v[66:67], v[54:55] neg_lo:[0,1] neg_hi:[0,1]
	v_mov_b32_e32 v52, v99
	v_mov_b32_e32 v67, v102
	v_pk_add_f32 v[112:113], v[98:99], v[66:67] neg_lo:[0,1] neg_hi:[0,1]
	v_mov_b32_e32 v98, v55
	v_mov_b32_e32 v99, v102
	;; [unrolled: 1-line block ×3, first 2 shown]
	v_pk_add_f32 v[52:53], v[52:53], v[98:99] neg_lo:[0,1] neg_hi:[0,1]
	v_mov_b32_e32 v69, v54
	v_pk_add_f32 v[52:53], v[68:69], v[52:53] neg_lo:[0,1] neg_hi:[0,1]
	v_mov_b32_e32 v112, v100
	v_pk_add_f32 v[54:55], v[112:113], v[52:53]
	s_mov_b32 s5, 0x33800000
	v_mov_b32_e32 v68, v55
	v_pk_add_f32 v[68:69], v[54:55], v[68:69]
	v_cmp_lt_f32_e64 s[6:7], |v97|, s5
	v_pk_add_f32 v[66:67], v[66:67], v[68:69]
	v_mov_b32_e32 v53, v68
	v_mov_b32_e32 v55, v66
	v_pk_add_f32 v[98:99], v[54:55], v[100:101] neg_lo:[0,1] neg_hi:[0,1]
	s_or_b64 vcc, vcc, s[6:7]
	v_sub_f32_e32 v54, v54, v98
	v_pk_add_f32 v[52:53], v[52:53], v[98:99] neg_lo:[0,1] neg_hi:[0,1]
	v_sub_f32_e32 v54, v100, v54
	v_add_f32_e32 v52, v52, v54
	v_add_f32_e32 v52, v52, v53
	;; [unrolled: 1-line block ×3, first 2 shown]
	v_cndmask_b32_e32 v52, v52, v97, vcc
	v_add_f32_e32 v51, v51, v52
	v_cvt_f16_f32_e32 v98, v51
	v_cvt_f32_f16_e32 v97, v98
	v_mov_b32_e32 v66, v98
.LBB360_244:
	s_or_b64 exec, exec, s[2:3]
	v_max_f32_e32 v51, v70, v70
	v_max_f32_e32 v52, v97, v97
	v_min_f32_e32 v53, v52, v51
	v_cmp_u_f16_e32 vcc, v98, v98
	v_max_f32_e32 v51, v52, v51
	s_nop 0
	v_cndmask_b32_e32 v53, v53, v97, vcc
	v_cndmask_b32_e32 v51, v51, v97, vcc
	v_cndmask_b32_e64 v53, v53, v70, s[30:31]
	v_cndmask_b32_e64 v52, v51, v70, s[30:31]
	v_cmp_neq_f32_e32 vcc, v53, v52
	v_cmp_class_f32_e64 s[2:3], v53, s4
	s_or_b64 s[4:5], vcc, s[2:3]
	v_mov_b32_e32 v51, v66
	s_and_saveexec_b64 s[2:3], s[4:5]
	s_cbranch_execz .LBB360_246
; %bb.245:
	v_sub_f32_e32 v51, v53, v52
	s_mov_b32 s4, 0x3fb8aa3b
	v_mul_f32_e32 v53, 0x3fb8aa3b, v51
	v_fma_f32 v54, v51, s4, -v53
	v_rndne_f32_e32 v55, v53
	v_fmamk_f32 v54, v51, 0x32a5705f, v54
	v_sub_f32_e32 v53, v53, v55
	v_add_f32_e32 v53, v53, v54
	v_exp_f32_e32 v53, v53
	v_cvt_i32_f32_e32 v54, v55
	s_mov_b32 s4, 0xc2ce8ed0
	v_cmp_ngt_f32_e32 vcc, s4, v51
	s_mov_b32 s4, 0x42b17218
	v_ldexp_f32 v53, v53, v54
	v_cndmask_b32_e32 v53, 0, v53, vcc
	v_mov_b32_e32 v54, 0x7f800000
	v_cmp_nlt_f32_e32 vcc, s4, v51
	s_mov_b32 s4, 0x3f2aaaab
	s_mov_b32 s5, 0x7f800000
	v_cndmask_b32_e32 v53, v54, v53, vcc
	v_add_f32_e32 v51, 1.0, v53
	v_add_f32_e32 v54, -1.0, v51
	v_sub_f32_e32 v55, v54, v51
	v_add_f32_e32 v55, 1.0, v55
	v_sub_f32_e32 v54, v53, v54
	v_add_f32_e32 v67, v54, v55
	v_frexp_mant_f32_e32 v68, v51
	v_cvt_f64_f32_e32 v[54:55], v51
	v_frexp_exp_i32_f64_e32 v54, v[54:55]
	v_cmp_gt_f32_e32 vcc, s4, v68
	s_mov_b32 s4, 0x3f317218
	s_nop 0
	v_subbrev_co_u32_e32 v70, vcc, 0, v54, vcc
	v_sub_u32_e32 v54, 0, v70
	v_ldexp_f32 v51, v51, v54
	v_ldexp_f32 v54, v67, v54
	v_add_f32_e32 v67, -1.0, v51
	v_add_f32_e32 v55, 1.0, v67
	v_sub_f32_e32 v55, v51, v55
	v_add_f32_e32 v68, v54, v55
	v_add_f32_e32 v55, 1.0, v51
	v_add_f32_e32 v69, -1.0, v55
	v_sub_f32_e32 v51, v51, v69
	v_add_f32_e32 v51, v54, v51
	v_add_f32_e32 v97, v55, v51
	v_rcp_f32_e32 v102, v97
	v_sub_f32_e32 v54, v55, v97
	v_add_f32_e32 v55, v67, v68
	v_add_f32_e32 v51, v51, v54
	v_sub_f32_e32 v54, v67, v55
	v_mul_f32_e32 v103, v55, v102
	v_add_f32_e32 v67, v68, v54
	v_mul_f32_e32 v68, v97, v103
	v_fma_f32 v98, v103, v97, -v68
	v_fmac_f32_e32 v98, v103, v51
	v_add_f32_e32 v54, v68, v98
	v_sub_f32_e32 v69, v55, v54
	v_pk_add_f32 v[100:101], v[54:55], v[68:69] neg_lo:[0,1] neg_hi:[0,1]
	v_mov_b32_e32 v99, v54
	v_pk_add_f32 v[54:55], v[100:101], v[98:99] neg_lo:[0,1] neg_hi:[0,1]
	v_cmp_eq_f32_e32 vcc, s5, v53
	v_add_f32_e32 v55, v67, v55
	v_add_f32_e32 v54, v54, v55
	;; [unrolled: 1-line block ×3, first 2 shown]
	v_mul_f32_e32 v67, v102, v55
	v_mul_f32_e32 v68, v97, v67
	v_fma_f32 v98, v67, v97, -v68
	v_fmac_f32_e32 v98, v67, v51
	v_sub_f32_e32 v51, v69, v55
	v_add_f32_e32 v51, v54, v51
	v_add_f32_e32 v54, v68, v98
	v_sub_f32_e32 v69, v55, v54
	v_pk_add_f32 v[100:101], v[54:55], v[68:69] neg_lo:[0,1] neg_hi:[0,1]
	v_mov_b32_e32 v99, v54
	v_pk_add_f32 v[54:55], v[100:101], v[98:99] neg_lo:[0,1] neg_hi:[0,1]
	v_cvt_f32_i32_e32 v68, v70
	v_add_f32_e32 v51, v51, v55
	v_add_f32_e32 v51, v54, v51
	;; [unrolled: 1-line block ×4, first 2 shown]
	v_sub_f32_e32 v55, v54, v103
	v_mul_f32_e32 v51, v102, v51
	v_sub_f32_e32 v55, v67, v55
	v_add_f32_e32 v51, v55, v51
	v_add_f32_e32 v67, v54, v51
	v_mul_f32_e32 v69, v67, v67
	v_mov_b32_e32 v55, 0x3ecc95a3
	v_fmac_f32_e32 v55, 0x3e9b6dac, v69
	v_sub_f32_e32 v54, v67, v54
	v_fmaak_f32 v55, v69, v55, 0x3f2aaada
	v_sub_f32_e32 v51, v51, v54
	v_mul_f32_e32 v69, v67, v69
	v_mov_b32_e32 v54, 0x3f317218
	v_pk_mul_f32 v[54:55], v[68:69], v[54:55]
	v_ldexp_f32 v99, v67, 1
	v_fma_f32 v67, v68, s4, -v54
	v_fmamk_f32 v98, v68, 0xb102e308, v67
	v_pk_add_f32 v[68:69], v[54:55], v[98:99]
	v_ldexp_f32 v51, v51, 1
	v_sub_f32_e32 v67, v69, v99
	v_sub_f32_e32 v67, v55, v67
	v_add_f32_e32 v101, v51, v67
	v_mov_b32_e32 v100, v54
	v_pk_add_f32 v[54:55], v[68:69], v[54:55] neg_lo:[0,1] neg_hi:[0,1]
	v_pk_add_f32 v[102:103], v[68:69], v[100:101]
	v_mov_b32_e32 v99, v68
	v_mov_b32_e32 v55, v103
	v_pk_add_f32 v[112:113], v[98:99], v[54:55] neg_lo:[0,1] neg_hi:[0,1]
	v_pk_add_f32 v[54:55], v[98:99], v[54:55]
	s_mov_b32 s4, 0x33800000
	v_mov_b32_e32 v70, v55
	v_pk_add_f32 v[98:99], v[70:71], v[68:69] neg_lo:[0,1] neg_hi:[0,1]
	v_mov_b32_e32 v54, v103
	v_mov_b32_e32 v51, v98
	v_pk_add_f32 v[114:115], v[102:103], v[50:51] neg_lo:[0,1] neg_hi:[0,1]
	v_mov_b32_e32 v102, v69
	v_mov_b32_e32 v103, v98
	;; [unrolled: 1-line block ×3, first 2 shown]
	v_pk_add_f32 v[54:55], v[54:55], v[102:103] neg_lo:[0,1] neg_hi:[0,1]
	v_mov_b32_e32 v98, v101
	v_mov_b32_e32 v99, v68
	v_pk_add_f32 v[54:55], v[98:99], v[54:55] neg_lo:[0,1] neg_hi:[0,1]
	v_mov_b32_e32 v114, v112
	v_pk_add_f32 v[68:69], v[114:115], v[54:55]
	v_cmp_lt_f32_e64 s[4:5], |v53|, s4
	v_mov_b32_e32 v98, v69
	v_pk_add_f32 v[98:99], v[68:69], v[98:99]
	s_or_b64 vcc, vcc, s[4:5]
	v_pk_add_f32 v[100:101], v[70:71], v[98:99]
	v_mov_b32_e32 v55, v98
	v_mov_b32_e32 v69, v100
	v_pk_add_f32 v[102:103], v[68:69], v[112:113] neg_lo:[0,1] neg_hi:[0,1]
	s_nop 0
	v_sub_f32_e32 v51, v68, v102
	v_pk_add_f32 v[54:55], v[54:55], v[102:103] neg_lo:[0,1] neg_hi:[0,1]
	v_sub_f32_e32 v51, v112, v51
	v_add_f32_e32 v51, v54, v51
	v_add_f32_e32 v51, v51, v55
	;; [unrolled: 1-line block ×3, first 2 shown]
	v_cndmask_b32_e32 v51, v51, v53, vcc
	v_add_f32_e32 v51, v52, v51
	v_cvt_f16_f32_e32 v98, v51
	v_cvt_f32_f16_e32 v97, v98
	v_mov_b32_e32 v51, v98
.LBB360_246:
	s_or_b64 exec, exec, s[2:3]
	v_max_f32_e32 v52, v71, v71
	v_max_f32_e32 v54, v97, v97
	v_min_f32_e32 v53, v54, v52
	v_cmp_u_f16_e32 vcc, v98, v98
	v_max_f32_e32 v52, v54, v52
	s_movk_i32 s4, 0x1f8
	v_cndmask_b32_e32 v53, v53, v97, vcc
	v_cndmask_b32_e32 v52, v52, v97, vcc
	v_cndmask_b32_e64 v53, v53, v71, s[34:35]
	v_cndmask_b32_e64 v52, v52, v71, s[34:35]
	v_cmp_neq_f32_e32 vcc, v53, v52
	v_cmp_class_f32_e64 s[2:3], v53, s4
	s_or_b64 s[6:7], vcc, s[2:3]
	v_mov_b32_e32 v67, v51
	s_and_saveexec_b64 s[2:3], s[6:7]
	s_cbranch_execz .LBB360_248
; %bb.247:
	v_sub_f32_e32 v53, v53, v52
	s_mov_b32 s5, 0x3fb8aa3b
	v_mul_f32_e32 v54, 0x3fb8aa3b, v53
	v_fma_f32 v55, v53, s5, -v54
	v_rndne_f32_e32 v67, v54
	v_fmamk_f32 v55, v53, 0x32a5705f, v55
	v_sub_f32_e32 v54, v54, v67
	v_add_f32_e32 v54, v54, v55
	v_exp_f32_e32 v54, v54
	v_cvt_i32_f32_e32 v55, v67
	s_mov_b32 s5, 0xc2ce8ed0
	v_cmp_ngt_f32_e32 vcc, s5, v53
	s_mov_b32 s5, 0x42b17218
	v_ldexp_f32 v54, v54, v55
	v_cndmask_b32_e32 v54, 0, v54, vcc
	v_mov_b32_e32 v55, 0x7f800000
	v_cmp_nlt_f32_e32 vcc, s5, v53
	s_mov_b32 s5, 0x3f2aaaab
	s_mov_b32 s6, 0x7f800000
	v_cndmask_b32_e32 v67, v55, v54, vcc
	v_add_f32_e32 v53, 1.0, v67
	v_add_f32_e32 v54, -1.0, v53
	v_sub_f32_e32 v55, v54, v53
	v_add_f32_e32 v55, 1.0, v55
	v_sub_f32_e32 v54, v67, v54
	v_add_f32_e32 v68, v54, v55
	v_frexp_mant_f32_e32 v69, v53
	v_cvt_f64_f32_e32 v[54:55], v53
	v_frexp_exp_i32_f64_e32 v54, v[54:55]
	v_cmp_gt_f32_e32 vcc, s5, v69
	s_mov_b32 s5, 0x3f317218
	s_nop 0
	v_subbrev_co_u32_e32 v97, vcc, 0, v54, vcc
	v_sub_u32_e32 v54, 0, v97
	v_ldexp_f32 v53, v53, v54
	v_ldexp_f32 v54, v68, v54
	v_add_f32_e32 v68, -1.0, v53
	v_add_f32_e32 v55, 1.0, v68
	v_sub_f32_e32 v55, v53, v55
	v_add_f32_e32 v69, v54, v55
	v_add_f32_e32 v55, 1.0, v53
	v_add_f32_e32 v70, -1.0, v55
	v_sub_f32_e32 v53, v53, v70
	v_add_f32_e32 v53, v54, v53
	v_add_f32_e32 v100, v55, v53
	v_rcp_f32_e32 v101, v100
	v_sub_f32_e32 v54, v55, v100
	v_add_f32_e32 v55, v68, v69
	v_add_f32_e32 v53, v53, v54
	v_mul_f32_e32 v103, v55, v101
	v_sub_f32_e32 v54, v68, v55
	v_mul_f32_e32 v68, v100, v103
	v_fma_f32 v70, v103, v100, -v68
	v_fmac_f32_e32 v70, v103, v53
	v_add_f32_e32 v102, v69, v54
	v_add_f32_e32 v54, v68, v70
	v_sub_f32_e32 v69, v55, v54
	v_pk_add_f32 v[98:99], v[54:55], v[68:69] neg_lo:[0,1] neg_hi:[0,1]
	v_mov_b32_e32 v71, v54
	v_pk_add_f32 v[54:55], v[98:99], v[70:71] neg_lo:[0,1] neg_hi:[0,1]
	v_cmp_eq_f32_e32 vcc, s6, v67
	v_add_f32_e32 v55, v102, v55
	v_add_f32_e32 v54, v54, v55
	;; [unrolled: 1-line block ×3, first 2 shown]
	v_mul_f32_e32 v102, v101, v55
	v_mul_f32_e32 v68, v100, v102
	v_fma_f32 v70, v102, v100, -v68
	v_fmac_f32_e32 v70, v102, v53
	v_sub_f32_e32 v53, v69, v55
	v_add_f32_e32 v53, v54, v53
	v_add_f32_e32 v54, v68, v70
	v_sub_f32_e32 v69, v55, v54
	v_pk_add_f32 v[98:99], v[54:55], v[68:69] neg_lo:[0,1] neg_hi:[0,1]
	v_mov_b32_e32 v71, v54
	v_pk_add_f32 v[54:55], v[98:99], v[70:71] neg_lo:[0,1] neg_hi:[0,1]
	v_cvt_f32_i32_e32 v68, v97
	v_add_f32_e32 v53, v53, v55
	v_add_f32_e32 v53, v54, v53
	;; [unrolled: 1-line block ×4, first 2 shown]
	v_sub_f32_e32 v55, v54, v103
	v_mul_f32_e32 v53, v101, v53
	v_sub_f32_e32 v55, v102, v55
	v_add_f32_e32 v53, v55, v53
	v_add_f32_e32 v69, v54, v53
	v_mul_f32_e32 v70, v69, v69
	v_mov_b32_e32 v55, 0x3ecc95a3
	v_fmac_f32_e32 v55, 0x3e9b6dac, v70
	v_sub_f32_e32 v54, v69, v54
	v_fmaak_f32 v55, v70, v55, 0x3f2aaada
	v_sub_f32_e32 v53, v53, v54
	v_ldexp_f32 v71, v69, 1
	v_mul_f32_e32 v69, v69, v70
	v_mov_b32_e32 v54, 0x3f317218
	v_pk_mul_f32 v[54:55], v[68:69], v[54:55]
	v_ldexp_f32 v53, v53, 1
	v_fma_f32 v69, v68, s5, -v54
	v_fmamk_f32 v70, v68, 0xb102e308, v69
	v_pk_add_f32 v[68:69], v[54:55], v[70:71]
	v_mov_b32_e32 v98, v54
	v_sub_f32_e32 v71, v69, v71
	v_sub_f32_e32 v71, v55, v71
	v_add_f32_e32 v99, v53, v71
	v_pk_add_f32 v[54:55], v[68:69], v[54:55] neg_lo:[0,1] neg_hi:[0,1]
	v_pk_add_f32 v[100:101], v[68:69], v[98:99]
	v_mov_b32_e32 v71, v68
	v_mov_b32_e32 v55, v101
	v_pk_add_f32 v[102:103], v[70:71], v[54:55] neg_lo:[0,1] neg_hi:[0,1]
	v_pk_add_f32 v[54:55], v[70:71], v[54:55]
	v_mov_b32_e32 v98, v99
	v_mov_b32_e32 v70, v55
	v_pk_add_f32 v[112:113], v[70:71], v[68:69] neg_lo:[0,1] neg_hi:[0,1]
	v_mov_b32_e32 v54, v101
	v_mov_b32_e32 v53, v112
	v_pk_add_f32 v[114:115], v[100:101], v[52:53] neg_lo:[0,1] neg_hi:[0,1]
	v_mov_b32_e32 v100, v69
	v_mov_b32_e32 v101, v112
	;; [unrolled: 1-line block ×3, first 2 shown]
	v_pk_add_f32 v[54:55], v[54:55], v[100:101] neg_lo:[0,1] neg_hi:[0,1]
	v_mov_b32_e32 v99, v68
	v_pk_add_f32 v[54:55], v[98:99], v[54:55] neg_lo:[0,1] neg_hi:[0,1]
	v_mov_b32_e32 v114, v102
	v_pk_add_f32 v[68:69], v[114:115], v[54:55]
	s_mov_b32 s5, 0x33800000
	v_mov_b32_e32 v98, v69
	v_pk_add_f32 v[98:99], v[68:69], v[98:99]
	v_cmp_lt_f32_e64 s[6:7], |v67|, s5
	v_pk_add_f32 v[70:71], v[70:71], v[98:99]
	v_mov_b32_e32 v55, v98
	v_mov_b32_e32 v69, v70
	v_pk_add_f32 v[100:101], v[68:69], v[102:103] neg_lo:[0,1] neg_hi:[0,1]
	s_or_b64 vcc, vcc, s[6:7]
	v_sub_f32_e32 v53, v68, v100
	v_pk_add_f32 v[54:55], v[54:55], v[100:101] neg_lo:[0,1] neg_hi:[0,1]
	v_sub_f32_e32 v53, v102, v53
	v_add_f32_e32 v53, v54, v53
	v_add_f32_e32 v53, v53, v55
	;; [unrolled: 1-line block ×3, first 2 shown]
	v_cndmask_b32_e32 v53, v53, v67, vcc
	v_add_f32_e32 v52, v52, v53
	v_cvt_f16_f32_e32 v98, v52
	v_cvt_f32_f16_e32 v97, v98
	v_mov_b32_e32 v67, v98
.LBB360_248:
	s_or_b64 exec, exec, s[2:3]
	v_max_f32_e32 v52, v80, v80
	v_max_f32_e32 v53, v97, v97
	v_min_f32_e32 v54, v53, v52
	v_cmp_u_f16_e32 vcc, v98, v98
	v_max_f32_e32 v52, v53, v52
	s_nop 0
	v_cndmask_b32_e32 v54, v54, v97, vcc
	v_cndmask_b32_e32 v52, v52, v97, vcc
	v_cndmask_b32_e64 v54, v54, v80, s[36:37]
	v_cndmask_b32_e64 v53, v52, v80, s[36:37]
	v_cmp_neq_f32_e32 vcc, v54, v53
	v_cmp_class_f32_e64 s[2:3], v54, s4
	s_or_b64 s[4:5], vcc, s[2:3]
	v_mov_b32_e32 v52, v67
	s_and_saveexec_b64 s[2:3], s[4:5]
	s_cbranch_execz .LBB360_250
; %bb.249:
	v_sub_f32_e32 v52, v54, v53
	s_mov_b32 s4, 0x3fb8aa3b
	v_mul_f32_e32 v54, 0x3fb8aa3b, v52
	v_fma_f32 v55, v52, s4, -v54
	v_rndne_f32_e32 v68, v54
	v_fmamk_f32 v55, v52, 0x32a5705f, v55
	v_sub_f32_e32 v54, v54, v68
	v_add_f32_e32 v54, v54, v55
	v_exp_f32_e32 v54, v54
	v_cvt_i32_f32_e32 v55, v68
	s_mov_b32 s4, 0xc2ce8ed0
	v_cmp_ngt_f32_e32 vcc, s4, v52
	s_mov_b32 s4, 0x42b17218
	v_ldexp_f32 v54, v54, v55
	v_cndmask_b32_e32 v54, 0, v54, vcc
	v_mov_b32_e32 v55, 0x7f800000
	v_cmp_nlt_f32_e32 vcc, s4, v52
	s_mov_b32 s4, 0x3f2aaaab
	s_mov_b32 s5, 0x7f800000
	v_cndmask_b32_e32 v80, v55, v54, vcc
	v_add_f32_e32 v52, 1.0, v80
	v_add_f32_e32 v54, -1.0, v52
	v_sub_f32_e32 v55, v54, v52
	v_add_f32_e32 v55, 1.0, v55
	v_sub_f32_e32 v54, v80, v54
	v_add_f32_e32 v68, v54, v55
	v_frexp_mant_f32_e32 v69, v52
	v_cvt_f64_f32_e32 v[54:55], v52
	v_frexp_exp_i32_f64_e32 v54, v[54:55]
	v_cmp_gt_f32_e32 vcc, s4, v69
	s_mov_b32 s4, 0x3f317218
	s_nop 0
	v_subbrev_co_u32_e32 v97, vcc, 0, v54, vcc
	v_sub_u32_e32 v54, 0, v97
	v_ldexp_f32 v52, v52, v54
	v_ldexp_f32 v54, v68, v54
	v_add_f32_e32 v68, -1.0, v52
	v_add_f32_e32 v55, 1.0, v68
	v_sub_f32_e32 v55, v52, v55
	v_add_f32_e32 v69, v54, v55
	v_add_f32_e32 v55, 1.0, v52
	v_add_f32_e32 v70, -1.0, v55
	v_sub_f32_e32 v52, v52, v70
	v_add_f32_e32 v52, v54, v52
	v_add_f32_e32 v100, v55, v52
	v_rcp_f32_e32 v101, v100
	v_sub_f32_e32 v54, v55, v100
	v_add_f32_e32 v55, v68, v69
	v_add_f32_e32 v52, v52, v54
	v_mul_f32_e32 v103, v55, v101
	v_sub_f32_e32 v54, v68, v55
	v_mul_f32_e32 v68, v100, v103
	v_fma_f32 v70, v103, v100, -v68
	v_fmac_f32_e32 v70, v103, v52
	v_add_f32_e32 v102, v69, v54
	v_add_f32_e32 v54, v68, v70
	v_sub_f32_e32 v69, v55, v54
	v_pk_add_f32 v[98:99], v[54:55], v[68:69] neg_lo:[0,1] neg_hi:[0,1]
	v_mov_b32_e32 v71, v54
	v_pk_add_f32 v[54:55], v[98:99], v[70:71] neg_lo:[0,1] neg_hi:[0,1]
	v_cmp_eq_f32_e32 vcc, s5, v80
	v_add_f32_e32 v55, v102, v55
	v_add_f32_e32 v54, v54, v55
	;; [unrolled: 1-line block ×3, first 2 shown]
	v_mul_f32_e32 v102, v101, v55
	v_mul_f32_e32 v68, v100, v102
	v_fma_f32 v70, v102, v100, -v68
	v_fmac_f32_e32 v70, v102, v52
	v_sub_f32_e32 v52, v69, v55
	v_add_f32_e32 v52, v54, v52
	v_add_f32_e32 v54, v68, v70
	v_sub_f32_e32 v69, v55, v54
	v_pk_add_f32 v[98:99], v[54:55], v[68:69] neg_lo:[0,1] neg_hi:[0,1]
	v_mov_b32_e32 v71, v54
	v_pk_add_f32 v[54:55], v[98:99], v[70:71] neg_lo:[0,1] neg_hi:[0,1]
	v_cvt_f32_i32_e32 v68, v97
	v_add_f32_e32 v52, v52, v55
	v_add_f32_e32 v52, v54, v52
	;; [unrolled: 1-line block ×4, first 2 shown]
	v_sub_f32_e32 v55, v54, v103
	v_mul_f32_e32 v52, v101, v52
	v_sub_f32_e32 v55, v102, v55
	v_add_f32_e32 v52, v55, v52
	v_add_f32_e32 v69, v54, v52
	v_mul_f32_e32 v70, v69, v69
	v_mov_b32_e32 v55, 0x3ecc95a3
	v_fmac_f32_e32 v55, 0x3e9b6dac, v70
	v_sub_f32_e32 v54, v69, v54
	v_fmaak_f32 v55, v70, v55, 0x3f2aaada
	v_sub_f32_e32 v52, v52, v54
	v_ldexp_f32 v71, v69, 1
	v_mul_f32_e32 v69, v69, v70
	v_mov_b32_e32 v54, 0x3f317218
	v_pk_mul_f32 v[54:55], v[68:69], v[54:55]
	v_ldexp_f32 v52, v52, 1
	v_fma_f32 v69, v68, s4, -v54
	v_fmamk_f32 v70, v68, 0xb102e308, v69
	v_pk_add_f32 v[68:69], v[54:55], v[70:71]
	v_mov_b32_e32 v98, v54
	v_sub_f32_e32 v71, v69, v71
	v_sub_f32_e32 v71, v55, v71
	v_add_f32_e32 v99, v52, v71
	v_pk_add_f32 v[54:55], v[68:69], v[54:55] neg_lo:[0,1] neg_hi:[0,1]
	v_pk_add_f32 v[100:101], v[68:69], v[98:99]
	v_mov_b32_e32 v71, v68
	v_mov_b32_e32 v55, v101
	v_pk_add_f32 v[102:103], v[70:71], v[54:55] neg_lo:[0,1] neg_hi:[0,1]
	v_pk_add_f32 v[54:55], v[70:71], v[54:55]
	s_mov_b32 s4, 0x33800000
	v_mov_b32_e32 v52, v55
	v_pk_add_f32 v[70:71], v[52:53], v[68:69] neg_lo:[0,1] neg_hi:[0,1]
	v_mov_b32_e32 v54, v101
	v_mov_b32_e32 v71, v70
	v_pk_add_f32 v[112:113], v[100:101], v[70:71] neg_lo:[0,1] neg_hi:[0,1]
	v_mov_b32_e32 v100, v69
	v_mov_b32_e32 v101, v70
	;; [unrolled: 1-line block ×3, first 2 shown]
	v_pk_add_f32 v[54:55], v[54:55], v[100:101] neg_lo:[0,1] neg_hi:[0,1]
	v_mov_b32_e32 v70, v99
	v_mov_b32_e32 v71, v68
	v_pk_add_f32 v[54:55], v[70:71], v[54:55] neg_lo:[0,1] neg_hi:[0,1]
	v_mov_b32_e32 v112, v102
	v_pk_add_f32 v[68:69], v[112:113], v[54:55]
	v_cmp_lt_f32_e64 s[4:5], |v80|, s4
	v_mov_b32_e32 v70, v69
	v_pk_add_f32 v[70:71], v[68:69], v[70:71]
	s_or_b64 vcc, vcc, s[4:5]
	v_pk_add_f32 v[98:99], v[52:53], v[70:71]
	v_mov_b32_e32 v55, v70
	v_mov_b32_e32 v69, v98
	v_pk_add_f32 v[100:101], v[68:69], v[102:103] neg_lo:[0,1] neg_hi:[0,1]
	s_nop 0
	v_sub_f32_e32 v52, v68, v100
	v_pk_add_f32 v[54:55], v[54:55], v[100:101] neg_lo:[0,1] neg_hi:[0,1]
	v_sub_f32_e32 v52, v102, v52
	v_add_f32_e32 v52, v54, v52
	v_add_f32_e32 v52, v52, v55
	;; [unrolled: 1-line block ×3, first 2 shown]
	v_cndmask_b32_e32 v52, v52, v80, vcc
	v_add_f32_e32 v52, v53, v52
	v_cvt_f16_f32_e32 v98, v52
	v_cvt_f32_f16_e32 v97, v98
	v_mov_b32_e32 v52, v98
.LBB360_250:
	s_or_b64 exec, exec, s[2:3]
	v_max_f32_e32 v53, v81, v81
	v_max_f32_e32 v55, v97, v97
	v_min_f32_e32 v54, v55, v53
	v_cmp_u_f16_e32 vcc, v98, v98
	v_max_f32_e32 v53, v55, v53
	s_movk_i32 s4, 0x1f8
	v_cndmask_b32_e32 v54, v54, v97, vcc
	v_cndmask_b32_e32 v53, v53, v97, vcc
	v_cndmask_b32_e64 v54, v54, v81, s[38:39]
	v_cndmask_b32_e64 v53, v53, v81, s[38:39]
	v_cmp_neq_f32_e32 vcc, v54, v53
	v_cmp_class_f32_e64 s[2:3], v54, s4
	s_or_b64 s[6:7], vcc, s[2:3]
	v_mov_b32_e32 v68, v52
	s_and_saveexec_b64 s[2:3], s[6:7]
	s_cbranch_execz .LBB360_252
; %bb.251:
	v_sub_f32_e32 v54, v54, v53
	s_mov_b32 s5, 0x3fb8aa3b
	v_mul_f32_e32 v55, 0x3fb8aa3b, v54
	v_fma_f32 v68, v54, s5, -v55
	v_rndne_f32_e32 v69, v55
	v_fmamk_f32 v68, v54, 0x32a5705f, v68
	v_sub_f32_e32 v55, v55, v69
	v_add_f32_e32 v55, v55, v68
	v_exp_f32_e32 v55, v55
	v_cvt_i32_f32_e32 v68, v69
	s_mov_b32 s5, 0xc2ce8ed0
	v_cmp_ngt_f32_e32 vcc, s5, v54
	s_mov_b32 s5, 0x42b17218
	v_ldexp_f32 v55, v55, v68
	v_cndmask_b32_e32 v55, 0, v55, vcc
	v_mov_b32_e32 v68, 0x7f800000
	v_cmp_nlt_f32_e32 vcc, s5, v54
	s_mov_b32 s5, 0x3f2aaaab
	s_mov_b32 s6, 0x7f800000
	v_cndmask_b32_e32 v97, v68, v55, vcc
	v_add_f32_e32 v68, 1.0, v97
	v_add_f32_e32 v54, -1.0, v68
	v_sub_f32_e32 v55, v54, v68
	v_add_f32_e32 v55, 1.0, v55
	v_sub_f32_e32 v54, v97, v54
	v_add_f32_e32 v69, v54, v55
	v_frexp_mant_f32_e32 v70, v68
	v_cvt_f64_f32_e32 v[54:55], v68
	v_frexp_exp_i32_f64_e32 v54, v[54:55]
	v_cmp_gt_f32_e32 vcc, s5, v70
	s_mov_b32 s5, 0x3f317218
	s_nop 0
	v_subbrev_co_u32_e32 v98, vcc, 0, v54, vcc
	v_sub_u32_e32 v54, 0, v98
	v_ldexp_f32 v55, v68, v54
	v_add_f32_e32 v68, -1.0, v55
	v_add_f32_e32 v70, 1.0, v55
	v_ldexp_f32 v54, v69, v54
	v_add_f32_e32 v69, 1.0, v68
	v_add_f32_e32 v71, -1.0, v70
	v_sub_f32_e32 v69, v55, v69
	v_sub_f32_e32 v55, v55, v71
	v_add_f32_e32 v69, v54, v69
	v_add_f32_e32 v54, v54, v55
	;; [unrolled: 1-line block ×3, first 2 shown]
	v_rcp_f32_e32 v101, v99
	v_sub_f32_e32 v55, v70, v99
	v_add_f32_e32 v100, v54, v55
	v_add_f32_e32 v55, v68, v69
	v_mul_f32_e32 v103, v55, v101
	v_sub_f32_e32 v54, v68, v55
	v_mul_f32_e32 v68, v99, v103
	v_fma_f32 v70, v103, v99, -v68
	v_fmac_f32_e32 v70, v103, v100
	v_add_f32_e32 v102, v69, v54
	v_add_f32_e32 v54, v68, v70
	v_sub_f32_e32 v69, v55, v54
	v_pk_add_f32 v[80:81], v[54:55], v[68:69] neg_lo:[0,1] neg_hi:[0,1]
	v_mov_b32_e32 v71, v54
	v_pk_add_f32 v[54:55], v[80:81], v[70:71] neg_lo:[0,1] neg_hi:[0,1]
	v_cmp_eq_f32_e32 vcc, s6, v97
	v_add_f32_e32 v55, v102, v55
	v_add_f32_e32 v54, v54, v55
	;; [unrolled: 1-line block ×3, first 2 shown]
	v_mul_f32_e32 v102, v101, v55
	v_mul_f32_e32 v68, v99, v102
	v_fma_f32 v70, v102, v99, -v68
	v_fmac_f32_e32 v70, v102, v100
	v_sub_f32_e32 v69, v69, v55
	v_add_f32_e32 v99, v54, v69
	v_add_f32_e32 v54, v68, v70
	v_sub_f32_e32 v69, v55, v54
	v_pk_add_f32 v[80:81], v[54:55], v[68:69] neg_lo:[0,1] neg_hi:[0,1]
	v_mov_b32_e32 v71, v54
	v_pk_add_f32 v[54:55], v[80:81], v[70:71] neg_lo:[0,1] neg_hi:[0,1]
	v_cvt_f32_i32_e32 v68, v98
	v_add_f32_e32 v55, v99, v55
	v_add_f32_e32 v54, v54, v55
	;; [unrolled: 1-line block ×4, first 2 shown]
	v_sub_f32_e32 v55, v69, v103
	v_mul_f32_e32 v54, v101, v54
	v_sub_f32_e32 v55, v102, v55
	v_add_f32_e32 v54, v55, v54
	v_add_f32_e32 v70, v69, v54
	v_mul_f32_e32 v80, v70, v70
	v_mov_b32_e32 v55, 0x3ecc95a3
	v_sub_f32_e32 v69, v70, v69
	v_fmac_f32_e32 v55, 0x3e9b6dac, v80
	v_sub_f32_e32 v54, v54, v69
	v_fmaak_f32 v55, v80, v55, 0x3f2aaada
	v_ldexp_f32 v81, v54, 1
	v_mul_f32_e32 v69, v70, v80
	v_mov_b32_e32 v54, 0x3f317218
	v_pk_mul_f32 v[54:55], v[68:69], v[54:55]
	v_ldexp_f32 v71, v70, 1
	v_fma_f32 v69, v68, s5, -v54
	v_fmamk_f32 v70, v68, 0xb102e308, v69
	v_pk_add_f32 v[68:69], v[54:55], v[70:71]
	v_mov_b32_e32 v80, v54
	v_sub_f32_e32 v71, v69, v71
	v_sub_f32_e32 v71, v55, v71
	v_add_f32_e32 v81, v81, v71
	v_pk_add_f32 v[54:55], v[68:69], v[54:55] neg_lo:[0,1] neg_hi:[0,1]
	v_pk_add_f32 v[98:99], v[68:69], v[80:81]
	v_mov_b32_e32 v71, v68
	v_mov_b32_e32 v55, v99
	v_pk_add_f32 v[100:101], v[70:71], v[54:55] neg_lo:[0,1] neg_hi:[0,1]
	v_pk_add_f32 v[54:55], v[70:71], v[54:55]
	v_mov_b32_e32 v80, v81
	v_mov_b32_e32 v70, v55
	v_pk_add_f32 v[102:103], v[70:71], v[68:69] neg_lo:[0,1] neg_hi:[0,1]
	v_mov_b32_e32 v54, v99
	v_mov_b32_e32 v71, v102
	v_pk_add_f32 v[112:113], v[98:99], v[70:71] neg_lo:[0,1] neg_hi:[0,1]
	v_mov_b32_e32 v98, v69
	v_mov_b32_e32 v99, v102
	;; [unrolled: 1-line block ×3, first 2 shown]
	v_pk_add_f32 v[54:55], v[54:55], v[98:99] neg_lo:[0,1] neg_hi:[0,1]
	v_mov_b32_e32 v81, v68
	v_pk_add_f32 v[54:55], v[80:81], v[54:55] neg_lo:[0,1] neg_hi:[0,1]
	v_mov_b32_e32 v112, v100
	v_pk_add_f32 v[68:69], v[112:113], v[54:55]
	s_mov_b32 s5, 0x33800000
	v_mov_b32_e32 v80, v69
	v_pk_add_f32 v[80:81], v[68:69], v[80:81]
	v_cmp_lt_f32_e64 s[6:7], |v97|, s5
	v_pk_add_f32 v[70:71], v[70:71], v[80:81]
	v_mov_b32_e32 v55, v80
	v_mov_b32_e32 v69, v70
	v_pk_add_f32 v[98:99], v[68:69], v[100:101] neg_lo:[0,1] neg_hi:[0,1]
	s_or_b64 vcc, vcc, s[6:7]
	v_sub_f32_e32 v68, v68, v98
	v_pk_add_f32 v[54:55], v[54:55], v[98:99] neg_lo:[0,1] neg_hi:[0,1]
	v_sub_f32_e32 v68, v100, v68
	v_add_f32_e32 v54, v54, v68
	v_add_f32_e32 v54, v54, v55
	;; [unrolled: 1-line block ×3, first 2 shown]
	v_cndmask_b32_e32 v54, v54, v97, vcc
	v_add_f32_e32 v53, v53, v54
	v_cvt_f16_f32_e32 v98, v53
	v_cvt_f32_f16_e32 v97, v98
	v_mov_b32_e32 v68, v98
.LBB360_252:
	s_or_b64 exec, exec, s[2:3]
	v_max_f32_e32 v53, v82, v82
	v_max_f32_e32 v54, v97, v97
	v_min_f32_e32 v55, v54, v53
	v_cmp_u_f16_e32 vcc, v98, v98
	v_max_f32_e32 v53, v54, v53
	s_nop 0
	v_cndmask_b32_e32 v55, v55, v97, vcc
	v_cndmask_b32_e32 v53, v53, v97, vcc
	v_cndmask_b32_e64 v55, v55, v82, s[40:41]
	v_cndmask_b32_e64 v54, v53, v82, s[40:41]
	v_cmp_neq_f32_e32 vcc, v55, v54
	v_cmp_class_f32_e64 s[2:3], v55, s4
	s_or_b64 s[4:5], vcc, s[2:3]
	v_mov_b32_e32 v53, v68
	s_and_saveexec_b64 s[2:3], s[4:5]
	s_cbranch_execz .LBB360_254
; %bb.253:
	v_sub_f32_e32 v53, v55, v54
	s_mov_b32 s4, 0x3fb8aa3b
	v_mul_f32_e32 v55, 0x3fb8aa3b, v53
	v_fma_f32 v69, v53, s4, -v55
	v_rndne_f32_e32 v70, v55
	v_fmamk_f32 v69, v53, 0x32a5705f, v69
	v_sub_f32_e32 v55, v55, v70
	v_add_f32_e32 v55, v55, v69
	v_exp_f32_e32 v55, v55
	v_cvt_i32_f32_e32 v69, v70
	s_mov_b32 s4, 0xc2ce8ed0
	v_cmp_ngt_f32_e32 vcc, s4, v53
	s_mov_b32 s4, 0x42b17218
	v_ldexp_f32 v55, v55, v69
	v_cndmask_b32_e32 v55, 0, v55, vcc
	v_mov_b32_e32 v69, 0x7f800000
	v_cmp_nlt_f32_e32 vcc, s4, v53
	s_mov_b32 s4, 0x3f2aaaab
	s_mov_b32 s5, 0x7f800000
	v_cndmask_b32_e32 v55, v69, v55, vcc
	v_add_f32_e32 v53, 1.0, v55
	v_add_f32_e32 v69, -1.0, v53
	v_sub_f32_e32 v70, v69, v53
	v_add_f32_e32 v70, 1.0, v70
	v_sub_f32_e32 v69, v55, v69
	v_add_f32_e32 v69, v69, v70
	v_frexp_mant_f32_e32 v80, v53
	v_cvt_f64_f32_e32 v[70:71], v53
	v_frexp_exp_i32_f64_e32 v70, v[70:71]
	v_cmp_gt_f32_e32 vcc, s4, v80
	s_mov_b32 s4, 0x3f317218
	s_nop 0
	v_subbrev_co_u32_e32 v82, vcc, 0, v70, vcc
	v_sub_u32_e32 v70, 0, v82
	v_ldexp_f32 v53, v53, v70
	v_ldexp_f32 v69, v69, v70
	v_add_f32_e32 v70, -1.0, v53
	v_add_f32_e32 v71, 1.0, v70
	v_sub_f32_e32 v71, v53, v71
	v_add_f32_e32 v80, v69, v71
	v_add_f32_e32 v71, 1.0, v53
	v_add_f32_e32 v81, -1.0, v71
	v_sub_f32_e32 v53, v53, v81
	v_add_f32_e32 v53, v69, v53
	v_add_f32_e32 v69, v71, v53
	v_rcp_f32_e32 v97, v69
	v_sub_f32_e32 v71, v71, v69
	v_add_f32_e32 v53, v53, v71
	v_add_f32_e32 v71, v70, v80
	v_sub_f32_e32 v70, v70, v71
	v_mul_f32_e32 v103, v71, v97
	v_add_f32_e32 v102, v80, v70
	v_mul_f32_e32 v80, v69, v103
	v_fma_f32 v98, v103, v69, -v80
	v_fmac_f32_e32 v98, v103, v53
	v_add_f32_e32 v70, v80, v98
	v_sub_f32_e32 v81, v71, v70
	v_pk_add_f32 v[100:101], v[70:71], v[80:81] neg_lo:[0,1] neg_hi:[0,1]
	v_mov_b32_e32 v99, v70
	v_pk_add_f32 v[70:71], v[100:101], v[98:99] neg_lo:[0,1] neg_hi:[0,1]
	v_cmp_eq_f32_e32 vcc, s5, v55
	v_add_f32_e32 v71, v102, v71
	v_add_f32_e32 v70, v70, v71
	;; [unrolled: 1-line block ×3, first 2 shown]
	v_mul_f32_e32 v102, v97, v71
	v_mul_f32_e32 v80, v69, v102
	v_fma_f32 v98, v102, v69, -v80
	v_fmac_f32_e32 v98, v102, v53
	v_sub_f32_e32 v53, v81, v71
	v_add_f32_e32 v53, v70, v53
	v_add_f32_e32 v70, v80, v98
	v_sub_f32_e32 v81, v71, v70
	v_pk_add_f32 v[100:101], v[70:71], v[80:81] neg_lo:[0,1] neg_hi:[0,1]
	v_mov_b32_e32 v99, v70
	v_pk_add_f32 v[70:71], v[100:101], v[98:99] neg_lo:[0,1] neg_hi:[0,1]
	v_add_f32_e32 v69, v103, v102
	v_add_f32_e32 v53, v53, v71
	;; [unrolled: 1-line block ×4, first 2 shown]
	v_sub_f32_e32 v70, v69, v103
	v_mul_f32_e32 v53, v97, v53
	v_sub_f32_e32 v70, v102, v70
	v_add_f32_e32 v53, v70, v53
	v_add_f32_e32 v70, v69, v53
	v_cvt_f32_i32_e32 v80, v82
	v_mul_f32_e32 v81, v70, v70
	v_mov_b32_e32 v71, 0x3ecc95a3
	v_fmac_f32_e32 v71, 0x3e9b6dac, v81
	v_fmaak_f32 v71, v81, v71, 0x3f2aaada
	v_sub_f32_e32 v69, v70, v69
	v_ldexp_f32 v99, v70, 1
	v_mul_f32_e32 v81, v70, v81
	v_mov_b32_e32 v70, 0x3f317218
	v_pk_mul_f32 v[70:71], v[80:81], v[70:71]
	v_sub_f32_e32 v53, v53, v69
	v_fma_f32 v69, v80, s4, -v70
	v_fmamk_f32 v98, v80, 0xb102e308, v69
	v_pk_add_f32 v[80:81], v[70:71], v[98:99]
	v_ldexp_f32 v53, v53, 1
	v_sub_f32_e32 v69, v81, v99
	v_sub_f32_e32 v69, v71, v69
	v_add_f32_e32 v101, v53, v69
	v_mov_b32_e32 v100, v70
	v_pk_add_f32 v[70:71], v[80:81], v[70:71] neg_lo:[0,1] neg_hi:[0,1]
	v_pk_add_f32 v[102:103], v[80:81], v[100:101]
	v_mov_b32_e32 v99, v80
	v_mov_b32_e32 v71, v103
	v_pk_add_f32 v[112:113], v[98:99], v[70:71] neg_lo:[0,1] neg_hi:[0,1]
	v_pk_add_f32 v[70:71], v[98:99], v[70:71]
	s_mov_b32 s4, 0x33800000
	v_mov_b32_e32 v82, v71
	v_pk_add_f32 v[98:99], v[82:83], v[80:81] neg_lo:[0,1] neg_hi:[0,1]
	v_mov_b32_e32 v70, v103
	v_mov_b32_e32 v53, v98
	v_pk_add_f32 v[114:115], v[102:103], v[52:53] neg_lo:[0,1] neg_hi:[0,1]
	v_mov_b32_e32 v102, v81
	v_mov_b32_e32 v103, v98
	;; [unrolled: 1-line block ×3, first 2 shown]
	v_pk_add_f32 v[70:71], v[70:71], v[102:103] neg_lo:[0,1] neg_hi:[0,1]
	v_mov_b32_e32 v98, v101
	v_mov_b32_e32 v99, v80
	v_pk_add_f32 v[70:71], v[98:99], v[70:71] neg_lo:[0,1] neg_hi:[0,1]
	v_mov_b32_e32 v114, v112
	v_pk_add_f32 v[80:81], v[114:115], v[70:71]
	v_cmp_lt_f32_e64 s[4:5], |v55|, s4
	v_mov_b32_e32 v98, v81
	v_pk_add_f32 v[98:99], v[80:81], v[98:99]
	s_or_b64 vcc, vcc, s[4:5]
	v_pk_add_f32 v[100:101], v[82:83], v[98:99]
	v_mov_b32_e32 v71, v98
	v_mov_b32_e32 v81, v100
	v_pk_add_f32 v[102:103], v[80:81], v[112:113] neg_lo:[0,1] neg_hi:[0,1]
	s_nop 0
	v_sub_f32_e32 v53, v80, v102
	v_pk_add_f32 v[70:71], v[70:71], v[102:103] neg_lo:[0,1] neg_hi:[0,1]
	v_sub_f32_e32 v53, v112, v53
	v_add_f32_e32 v53, v70, v53
	v_add_f32_e32 v53, v53, v71
	;; [unrolled: 1-line block ×3, first 2 shown]
	v_cndmask_b32_e32 v53, v53, v55, vcc
	v_add_f32_e32 v53, v54, v53
	v_cvt_f16_f32_e32 v98, v53
	v_cvt_f32_f16_e32 v97, v98
	v_mov_b32_e32 v53, v98
.LBB360_254:
	s_or_b64 exec, exec, s[2:3]
	v_max_f32_e32 v54, v83, v83
	v_max_f32_e32 v69, v97, v97
	v_min_f32_e32 v55, v69, v54
	v_cmp_u_f16_e32 vcc, v98, v98
	v_max_f32_e32 v54, v69, v54
	s_movk_i32 s4, 0x1f8
	v_cndmask_b32_e32 v55, v55, v97, vcc
	v_cndmask_b32_e32 v54, v54, v97, vcc
	v_cndmask_b32_e64 v55, v55, v83, s[42:43]
	v_cndmask_b32_e64 v54, v54, v83, s[42:43]
	v_cmp_neq_f32_e32 vcc, v55, v54
	v_cmp_class_f32_e64 s[2:3], v55, s4
	s_or_b64 s[6:7], vcc, s[2:3]
	v_mov_b32_e32 v69, v53
	s_and_saveexec_b64 s[2:3], s[6:7]
	s_cbranch_execz .LBB360_256
; %bb.255:
	v_sub_f32_e32 v55, v55, v54
	s_mov_b32 s5, 0x3fb8aa3b
	v_mul_f32_e32 v69, 0x3fb8aa3b, v55
	v_fma_f32 v70, v55, s5, -v69
	v_rndne_f32_e32 v71, v69
	v_fmamk_f32 v70, v55, 0x32a5705f, v70
	v_sub_f32_e32 v69, v69, v71
	v_add_f32_e32 v69, v69, v70
	v_exp_f32_e32 v69, v69
	v_cvt_i32_f32_e32 v70, v71
	s_mov_b32 s5, 0xc2ce8ed0
	v_cmp_ngt_f32_e32 vcc, s5, v55
	s_mov_b32 s5, 0x42b17218
	v_ldexp_f32 v69, v69, v70
	v_cndmask_b32_e32 v69, 0, v69, vcc
	v_mov_b32_e32 v70, 0x7f800000
	v_cmp_nlt_f32_e32 vcc, s5, v55
	s_mov_b32 s5, 0x3f2aaaab
	s_mov_b32 s6, 0x7f800000
	v_cndmask_b32_e32 v69, v70, v69, vcc
	v_add_f32_e32 v55, 1.0, v69
	v_add_f32_e32 v70, -1.0, v55
	v_sub_f32_e32 v71, v70, v55
	v_add_f32_e32 v71, 1.0, v71
	v_sub_f32_e32 v70, v69, v70
	v_add_f32_e32 v80, v70, v71
	v_frexp_mant_f32_e32 v81, v55
	v_cvt_f64_f32_e32 v[70:71], v55
	v_frexp_exp_i32_f64_e32 v70, v[70:71]
	v_cmp_gt_f32_e32 vcc, s5, v81
	s_mov_b32 s5, 0x3f317218
	s_nop 0
	v_subbrev_co_u32_e32 v97, vcc, 0, v70, vcc
	v_sub_u32_e32 v70, 0, v97
	v_ldexp_f32 v55, v55, v70
	v_ldexp_f32 v70, v80, v70
	v_add_f32_e32 v80, -1.0, v55
	v_add_f32_e32 v71, 1.0, v80
	v_sub_f32_e32 v71, v55, v71
	v_add_f32_e32 v81, v70, v71
	v_add_f32_e32 v71, 1.0, v55
	v_add_f32_e32 v82, -1.0, v71
	v_sub_f32_e32 v55, v55, v82
	v_add_f32_e32 v55, v70, v55
	v_add_f32_e32 v100, v71, v55
	v_rcp_f32_e32 v101, v100
	v_sub_f32_e32 v70, v71, v100
	v_add_f32_e32 v71, v80, v81
	v_add_f32_e32 v55, v55, v70
	v_mul_f32_e32 v103, v71, v101
	v_sub_f32_e32 v70, v80, v71
	v_mul_f32_e32 v80, v100, v103
	v_fma_f32 v82, v103, v100, -v80
	v_fmac_f32_e32 v82, v103, v55
	v_add_f32_e32 v102, v81, v70
	v_add_f32_e32 v70, v80, v82
	v_sub_f32_e32 v81, v71, v70
	v_pk_add_f32 v[98:99], v[70:71], v[80:81] neg_lo:[0,1] neg_hi:[0,1]
	v_mov_b32_e32 v83, v70
	v_pk_add_f32 v[70:71], v[98:99], v[82:83] neg_lo:[0,1] neg_hi:[0,1]
	v_cmp_eq_f32_e32 vcc, s6, v69
	v_add_f32_e32 v71, v102, v71
	v_add_f32_e32 v70, v70, v71
	;; [unrolled: 1-line block ×3, first 2 shown]
	v_mul_f32_e32 v102, v101, v71
	v_mul_f32_e32 v80, v100, v102
	v_fma_f32 v82, v102, v100, -v80
	v_fmac_f32_e32 v82, v102, v55
	v_sub_f32_e32 v55, v81, v71
	v_add_f32_e32 v55, v70, v55
	v_add_f32_e32 v70, v80, v82
	v_sub_f32_e32 v81, v71, v70
	v_pk_add_f32 v[98:99], v[70:71], v[80:81] neg_lo:[0,1] neg_hi:[0,1]
	v_mov_b32_e32 v83, v70
	v_pk_add_f32 v[70:71], v[98:99], v[82:83] neg_lo:[0,1] neg_hi:[0,1]
	v_cvt_f32_i32_e32 v80, v97
	v_add_f32_e32 v55, v55, v71
	v_add_f32_e32 v55, v70, v55
	;; [unrolled: 1-line block ×4, first 2 shown]
	v_sub_f32_e32 v71, v70, v103
	v_mul_f32_e32 v55, v101, v55
	v_sub_f32_e32 v71, v102, v71
	v_add_f32_e32 v55, v71, v55
	v_add_f32_e32 v81, v70, v55
	v_mul_f32_e32 v82, v81, v81
	v_mov_b32_e32 v71, 0x3ecc95a3
	v_fmac_f32_e32 v71, 0x3e9b6dac, v82
	v_sub_f32_e32 v70, v81, v70
	v_fmaak_f32 v71, v82, v71, 0x3f2aaada
	v_sub_f32_e32 v55, v55, v70
	v_ldexp_f32 v83, v81, 1
	v_mul_f32_e32 v81, v81, v82
	v_mov_b32_e32 v70, 0x3f317218
	v_pk_mul_f32 v[70:71], v[80:81], v[70:71]
	v_ldexp_f32 v55, v55, 1
	v_fma_f32 v81, v80, s5, -v70
	v_fmamk_f32 v82, v80, 0xb102e308, v81
	v_pk_add_f32 v[80:81], v[70:71], v[82:83]
	v_mov_b32_e32 v98, v70
	v_sub_f32_e32 v83, v81, v83
	v_sub_f32_e32 v83, v71, v83
	v_add_f32_e32 v99, v55, v83
	v_pk_add_f32 v[70:71], v[80:81], v[70:71] neg_lo:[0,1] neg_hi:[0,1]
	v_pk_add_f32 v[100:101], v[80:81], v[98:99]
	v_mov_b32_e32 v83, v80
	v_mov_b32_e32 v71, v101
	v_pk_add_f32 v[102:103], v[82:83], v[70:71] neg_lo:[0,1] neg_hi:[0,1]
	v_pk_add_f32 v[70:71], v[82:83], v[70:71]
	v_mov_b32_e32 v98, v99
	v_mov_b32_e32 v82, v71
	v_pk_add_f32 v[112:113], v[82:83], v[80:81] neg_lo:[0,1] neg_hi:[0,1]
	v_mov_b32_e32 v70, v101
	v_mov_b32_e32 v55, v112
	v_pk_add_f32 v[114:115], v[100:101], v[54:55] neg_lo:[0,1] neg_hi:[0,1]
	v_mov_b32_e32 v100, v81
	v_mov_b32_e32 v101, v112
	;; [unrolled: 1-line block ×3, first 2 shown]
	v_pk_add_f32 v[70:71], v[70:71], v[100:101] neg_lo:[0,1] neg_hi:[0,1]
	v_mov_b32_e32 v99, v80
	v_pk_add_f32 v[70:71], v[98:99], v[70:71] neg_lo:[0,1] neg_hi:[0,1]
	v_mov_b32_e32 v114, v102
	v_pk_add_f32 v[80:81], v[114:115], v[70:71]
	s_mov_b32 s5, 0x33800000
	v_mov_b32_e32 v98, v81
	v_pk_add_f32 v[98:99], v[80:81], v[98:99]
	v_cmp_lt_f32_e64 s[6:7], |v69|, s5
	v_pk_add_f32 v[82:83], v[82:83], v[98:99]
	v_mov_b32_e32 v71, v98
	v_mov_b32_e32 v81, v82
	v_pk_add_f32 v[100:101], v[80:81], v[102:103] neg_lo:[0,1] neg_hi:[0,1]
	s_or_b64 vcc, vcc, s[6:7]
	v_sub_f32_e32 v55, v80, v100
	v_pk_add_f32 v[70:71], v[70:71], v[100:101] neg_lo:[0,1] neg_hi:[0,1]
	v_sub_f32_e32 v55, v102, v55
	v_add_f32_e32 v55, v70, v55
	v_add_f32_e32 v55, v55, v71
	;; [unrolled: 1-line block ×3, first 2 shown]
	v_cndmask_b32_e32 v55, v55, v69, vcc
	v_add_f32_e32 v54, v54, v55
	v_cvt_f16_f32_e32 v98, v54
	v_cvt_f32_f16_e32 v97, v98
	v_mov_b32_e32 v69, v98
.LBB360_256:
	s_or_b64 exec, exec, s[2:3]
	v_max_f32_e32 v54, v84, v84
	v_max_f32_e32 v55, v97, v97
	v_min_f32_e32 v70, v55, v54
	v_cmp_u_f16_e32 vcc, v98, v98
	v_max_f32_e32 v54, v55, v54
	s_nop 0
	v_cndmask_b32_e32 v70, v70, v97, vcc
	v_cndmask_b32_e32 v54, v54, v97, vcc
	v_cndmask_b32_e64 v70, v70, v84, s[44:45]
	v_cndmask_b32_e64 v55, v54, v84, s[44:45]
	v_cmp_neq_f32_e32 vcc, v70, v55
	v_cmp_class_f32_e64 s[2:3], v70, s4
	s_or_b64 s[4:5], vcc, s[2:3]
	v_mov_b32_e32 v54, v69
	s_and_saveexec_b64 s[2:3], s[4:5]
	s_cbranch_execz .LBB360_258
; %bb.257:
	v_sub_f32_e32 v54, v70, v55
	s_mov_b32 s4, 0x3fb8aa3b
	v_mul_f32_e32 v70, 0x3fb8aa3b, v54
	v_fma_f32 v71, v54, s4, -v70
	v_rndne_f32_e32 v80, v70
	v_fmamk_f32 v71, v54, 0x32a5705f, v71
	v_sub_f32_e32 v70, v70, v80
	v_add_f32_e32 v70, v70, v71
	v_exp_f32_e32 v70, v70
	v_cvt_i32_f32_e32 v71, v80
	s_mov_b32 s4, 0xc2ce8ed0
	v_cmp_ngt_f32_e32 vcc, s4, v54
	s_mov_b32 s4, 0x42b17218
	v_ldexp_f32 v70, v70, v71
	v_cndmask_b32_e32 v70, 0, v70, vcc
	v_mov_b32_e32 v71, 0x7f800000
	v_cmp_nlt_f32_e32 vcc, s4, v54
	s_mov_b32 s4, 0x3f2aaaab
	s_mov_b32 s5, 0x7f800000
	v_cndmask_b32_e32 v84, v71, v70, vcc
	v_add_f32_e32 v54, 1.0, v84
	v_add_f32_e32 v70, -1.0, v54
	v_sub_f32_e32 v71, v70, v54
	v_add_f32_e32 v71, 1.0, v71
	v_sub_f32_e32 v70, v84, v70
	v_add_f32_e32 v80, v70, v71
	v_frexp_mant_f32_e32 v81, v54
	v_cvt_f64_f32_e32 v[70:71], v54
	v_frexp_exp_i32_f64_e32 v70, v[70:71]
	v_cmp_gt_f32_e32 vcc, s4, v81
	s_mov_b32 s4, 0x3f317218
	s_nop 0
	v_subbrev_co_u32_e32 v97, vcc, 0, v70, vcc
	v_sub_u32_e32 v70, 0, v97
	v_ldexp_f32 v54, v54, v70
	v_ldexp_f32 v70, v80, v70
	v_add_f32_e32 v80, -1.0, v54
	v_add_f32_e32 v71, 1.0, v80
	v_sub_f32_e32 v71, v54, v71
	v_add_f32_e32 v81, v70, v71
	v_add_f32_e32 v71, 1.0, v54
	v_add_f32_e32 v82, -1.0, v71
	v_sub_f32_e32 v54, v54, v82
	v_add_f32_e32 v54, v70, v54
	v_add_f32_e32 v100, v71, v54
	v_rcp_f32_e32 v101, v100
	v_sub_f32_e32 v70, v71, v100
	v_add_f32_e32 v71, v80, v81
	v_add_f32_e32 v54, v54, v70
	v_mul_f32_e32 v103, v71, v101
	v_sub_f32_e32 v70, v80, v71
	v_mul_f32_e32 v80, v100, v103
	v_fma_f32 v82, v103, v100, -v80
	v_fmac_f32_e32 v82, v103, v54
	v_add_f32_e32 v102, v81, v70
	v_add_f32_e32 v70, v80, v82
	v_sub_f32_e32 v81, v71, v70
	v_pk_add_f32 v[98:99], v[70:71], v[80:81] neg_lo:[0,1] neg_hi:[0,1]
	v_mov_b32_e32 v83, v70
	v_pk_add_f32 v[70:71], v[98:99], v[82:83] neg_lo:[0,1] neg_hi:[0,1]
	v_cmp_eq_f32_e32 vcc, s5, v84
	v_add_f32_e32 v71, v102, v71
	v_add_f32_e32 v70, v70, v71
	;; [unrolled: 1-line block ×3, first 2 shown]
	v_mul_f32_e32 v102, v101, v71
	v_mul_f32_e32 v80, v100, v102
	v_fma_f32 v82, v102, v100, -v80
	v_fmac_f32_e32 v82, v102, v54
	v_sub_f32_e32 v54, v81, v71
	v_add_f32_e32 v54, v70, v54
	v_add_f32_e32 v70, v80, v82
	v_sub_f32_e32 v81, v71, v70
	v_pk_add_f32 v[98:99], v[70:71], v[80:81] neg_lo:[0,1] neg_hi:[0,1]
	v_mov_b32_e32 v83, v70
	v_pk_add_f32 v[70:71], v[98:99], v[82:83] neg_lo:[0,1] neg_hi:[0,1]
	v_cvt_f32_i32_e32 v80, v97
	v_add_f32_e32 v54, v54, v71
	v_add_f32_e32 v54, v70, v54
	v_add_f32_e32 v70, v103, v102
	v_add_f32_e32 v54, v81, v54
	v_sub_f32_e32 v71, v70, v103
	v_mul_f32_e32 v54, v101, v54
	v_sub_f32_e32 v71, v102, v71
	v_add_f32_e32 v54, v71, v54
	v_add_f32_e32 v81, v70, v54
	v_mul_f32_e32 v82, v81, v81
	v_mov_b32_e32 v71, 0x3ecc95a3
	v_fmac_f32_e32 v71, 0x3e9b6dac, v82
	v_sub_f32_e32 v70, v81, v70
	v_fmaak_f32 v71, v82, v71, 0x3f2aaada
	v_sub_f32_e32 v54, v54, v70
	v_ldexp_f32 v83, v81, 1
	v_mul_f32_e32 v81, v81, v82
	v_mov_b32_e32 v70, 0x3f317218
	v_pk_mul_f32 v[70:71], v[80:81], v[70:71]
	v_ldexp_f32 v54, v54, 1
	v_fma_f32 v81, v80, s4, -v70
	v_fmamk_f32 v82, v80, 0xb102e308, v81
	v_pk_add_f32 v[80:81], v[70:71], v[82:83]
	v_mov_b32_e32 v98, v70
	v_sub_f32_e32 v83, v81, v83
	v_sub_f32_e32 v83, v71, v83
	v_add_f32_e32 v99, v54, v83
	v_pk_add_f32 v[70:71], v[80:81], v[70:71] neg_lo:[0,1] neg_hi:[0,1]
	v_pk_add_f32 v[100:101], v[80:81], v[98:99]
	v_mov_b32_e32 v83, v80
	v_mov_b32_e32 v71, v101
	v_pk_add_f32 v[102:103], v[82:83], v[70:71] neg_lo:[0,1] neg_hi:[0,1]
	v_pk_add_f32 v[70:71], v[82:83], v[70:71]
	s_mov_b32 s4, 0x33800000
	v_mov_b32_e32 v54, v71
	v_pk_add_f32 v[82:83], v[54:55], v[80:81] neg_lo:[0,1] neg_hi:[0,1]
	v_mov_b32_e32 v70, v101
	v_mov_b32_e32 v83, v82
	v_pk_add_f32 v[112:113], v[100:101], v[82:83] neg_lo:[0,1] neg_hi:[0,1]
	v_mov_b32_e32 v100, v81
	v_mov_b32_e32 v101, v82
	;; [unrolled: 1-line block ×3, first 2 shown]
	v_pk_add_f32 v[70:71], v[70:71], v[100:101] neg_lo:[0,1] neg_hi:[0,1]
	v_mov_b32_e32 v82, v99
	v_mov_b32_e32 v83, v80
	v_pk_add_f32 v[70:71], v[82:83], v[70:71] neg_lo:[0,1] neg_hi:[0,1]
	v_mov_b32_e32 v112, v102
	v_pk_add_f32 v[80:81], v[112:113], v[70:71]
	v_cmp_lt_f32_e64 s[4:5], |v84|, s4
	v_mov_b32_e32 v82, v81
	v_pk_add_f32 v[82:83], v[80:81], v[82:83]
	s_or_b64 vcc, vcc, s[4:5]
	v_pk_add_f32 v[98:99], v[54:55], v[82:83]
	v_mov_b32_e32 v71, v82
	v_mov_b32_e32 v81, v98
	v_pk_add_f32 v[100:101], v[80:81], v[102:103] neg_lo:[0,1] neg_hi:[0,1]
	s_nop 0
	v_sub_f32_e32 v54, v80, v100
	v_pk_add_f32 v[70:71], v[70:71], v[100:101] neg_lo:[0,1] neg_hi:[0,1]
	v_sub_f32_e32 v54, v102, v54
	v_add_f32_e32 v54, v70, v54
	v_add_f32_e32 v54, v54, v71
	;; [unrolled: 1-line block ×3, first 2 shown]
	v_cndmask_b32_e32 v54, v54, v84, vcc
	v_add_f32_e32 v54, v55, v54
	v_cvt_f16_f32_e32 v98, v54
	v_cvt_f32_f16_e32 v97, v98
	v_mov_b32_e32 v54, v98
.LBB360_258:
	s_or_b64 exec, exec, s[2:3]
	v_max_f32_e32 v55, v85, v85
	v_max_f32_e32 v71, v97, v97
	v_min_f32_e32 v70, v71, v55
	v_cmp_u_f16_e32 vcc, v98, v98
	v_max_f32_e32 v55, v71, v55
	s_movk_i32 s4, 0x1f8
	v_cndmask_b32_e32 v70, v70, v97, vcc
	v_cndmask_b32_e32 v55, v55, v97, vcc
	v_cndmask_b32_e64 v70, v70, v85, s[46:47]
	v_cndmask_b32_e64 v55, v55, v85, s[46:47]
	v_cmp_neq_f32_e32 vcc, v70, v55
	v_cmp_class_f32_e64 s[2:3], v70, s4
	s_or_b64 s[6:7], vcc, s[2:3]
	v_mov_b32_e32 v71, v54
	s_and_saveexec_b64 s[2:3], s[6:7]
	s_cbranch_execz .LBB360_260
; %bb.259:
	v_sub_f32_e32 v70, v70, v55
	s_mov_b32 s5, 0x3fb8aa3b
	v_mul_f32_e32 v71, 0x3fb8aa3b, v70
	v_fma_f32 v80, v70, s5, -v71
	v_rndne_f32_e32 v81, v71
	v_fmamk_f32 v80, v70, 0x32a5705f, v80
	v_sub_f32_e32 v71, v71, v81
	v_add_f32_e32 v71, v71, v80
	v_exp_f32_e32 v71, v71
	v_cvt_i32_f32_e32 v80, v81
	s_mov_b32 s5, 0xc2ce8ed0
	v_cmp_ngt_f32_e32 vcc, s5, v70
	s_mov_b32 s5, 0x42b17218
	v_ldexp_f32 v71, v71, v80
	v_cndmask_b32_e32 v71, 0, v71, vcc
	v_mov_b32_e32 v80, 0x7f800000
	v_cmp_nlt_f32_e32 vcc, s5, v70
	s_mov_b32 s5, 0x3f2aaaab
	s_mov_b32 s6, 0x7f800000
	v_cndmask_b32_e32 v97, v80, v71, vcc
	v_add_f32_e32 v80, 1.0, v97
	v_add_f32_e32 v70, -1.0, v80
	v_sub_f32_e32 v71, v70, v80
	v_add_f32_e32 v71, 1.0, v71
	v_sub_f32_e32 v70, v97, v70
	v_add_f32_e32 v81, v70, v71
	v_frexp_mant_f32_e32 v82, v80
	v_cvt_f64_f32_e32 v[70:71], v80
	v_frexp_exp_i32_f64_e32 v70, v[70:71]
	v_cmp_gt_f32_e32 vcc, s5, v82
	s_mov_b32 s5, 0x3f317218
	s_nop 0
	v_subbrev_co_u32_e32 v98, vcc, 0, v70, vcc
	v_sub_u32_e32 v70, 0, v98
	v_ldexp_f32 v71, v80, v70
	v_add_f32_e32 v80, -1.0, v71
	v_add_f32_e32 v82, 1.0, v71
	v_ldexp_f32 v70, v81, v70
	v_add_f32_e32 v81, 1.0, v80
	v_add_f32_e32 v83, -1.0, v82
	v_sub_f32_e32 v81, v71, v81
	v_sub_f32_e32 v71, v71, v83
	v_add_f32_e32 v81, v70, v81
	v_add_f32_e32 v70, v70, v71
	;; [unrolled: 1-line block ×3, first 2 shown]
	v_rcp_f32_e32 v101, v99
	v_sub_f32_e32 v71, v82, v99
	v_add_f32_e32 v100, v70, v71
	v_add_f32_e32 v71, v80, v81
	v_mul_f32_e32 v103, v71, v101
	v_sub_f32_e32 v70, v80, v71
	v_mul_f32_e32 v80, v99, v103
	v_fma_f32 v82, v103, v99, -v80
	v_fmac_f32_e32 v82, v103, v100
	v_add_f32_e32 v102, v81, v70
	v_add_f32_e32 v70, v80, v82
	v_sub_f32_e32 v81, v71, v70
	v_pk_add_f32 v[84:85], v[70:71], v[80:81] neg_lo:[0,1] neg_hi:[0,1]
	v_mov_b32_e32 v83, v70
	v_pk_add_f32 v[70:71], v[84:85], v[82:83] neg_lo:[0,1] neg_hi:[0,1]
	v_cmp_eq_f32_e32 vcc, s6, v97
	v_add_f32_e32 v71, v102, v71
	v_add_f32_e32 v70, v70, v71
	;; [unrolled: 1-line block ×3, first 2 shown]
	v_mul_f32_e32 v102, v101, v71
	v_mul_f32_e32 v80, v99, v102
	v_fma_f32 v82, v102, v99, -v80
	v_fmac_f32_e32 v82, v102, v100
	v_sub_f32_e32 v81, v81, v71
	v_add_f32_e32 v99, v70, v81
	v_add_f32_e32 v70, v80, v82
	v_sub_f32_e32 v81, v71, v70
	v_pk_add_f32 v[84:85], v[70:71], v[80:81] neg_lo:[0,1] neg_hi:[0,1]
	v_mov_b32_e32 v83, v70
	v_pk_add_f32 v[70:71], v[84:85], v[82:83] neg_lo:[0,1] neg_hi:[0,1]
	v_cvt_f32_i32_e32 v80, v98
	v_add_f32_e32 v71, v99, v71
	v_add_f32_e32 v70, v70, v71
	;; [unrolled: 1-line block ×4, first 2 shown]
	v_sub_f32_e32 v71, v81, v103
	v_mul_f32_e32 v70, v101, v70
	v_sub_f32_e32 v71, v102, v71
	v_add_f32_e32 v70, v71, v70
	v_add_f32_e32 v82, v81, v70
	v_mul_f32_e32 v84, v82, v82
	v_mov_b32_e32 v71, 0x3ecc95a3
	v_sub_f32_e32 v81, v82, v81
	v_fmac_f32_e32 v71, 0x3e9b6dac, v84
	v_sub_f32_e32 v70, v70, v81
	v_fmaak_f32 v71, v84, v71, 0x3f2aaada
	v_ldexp_f32 v85, v70, 1
	v_mul_f32_e32 v81, v82, v84
	v_mov_b32_e32 v70, 0x3f317218
	v_pk_mul_f32 v[70:71], v[80:81], v[70:71]
	v_ldexp_f32 v83, v82, 1
	v_fma_f32 v81, v80, s5, -v70
	v_fmamk_f32 v82, v80, 0xb102e308, v81
	v_pk_add_f32 v[80:81], v[70:71], v[82:83]
	v_mov_b32_e32 v84, v70
	v_sub_f32_e32 v83, v81, v83
	v_sub_f32_e32 v83, v71, v83
	v_add_f32_e32 v85, v85, v83
	v_pk_add_f32 v[70:71], v[80:81], v[70:71] neg_lo:[0,1] neg_hi:[0,1]
	v_pk_add_f32 v[98:99], v[80:81], v[84:85]
	v_mov_b32_e32 v83, v80
	v_mov_b32_e32 v71, v99
	v_pk_add_f32 v[100:101], v[82:83], v[70:71] neg_lo:[0,1] neg_hi:[0,1]
	v_pk_add_f32 v[70:71], v[82:83], v[70:71]
	v_mov_b32_e32 v84, v85
	v_mov_b32_e32 v82, v71
	v_pk_add_f32 v[102:103], v[82:83], v[80:81] neg_lo:[0,1] neg_hi:[0,1]
	v_mov_b32_e32 v70, v99
	v_mov_b32_e32 v83, v102
	v_pk_add_f32 v[112:113], v[98:99], v[82:83] neg_lo:[0,1] neg_hi:[0,1]
	v_mov_b32_e32 v98, v81
	v_mov_b32_e32 v99, v102
	;; [unrolled: 1-line block ×3, first 2 shown]
	v_pk_add_f32 v[70:71], v[70:71], v[98:99] neg_lo:[0,1] neg_hi:[0,1]
	v_mov_b32_e32 v85, v80
	v_pk_add_f32 v[70:71], v[84:85], v[70:71] neg_lo:[0,1] neg_hi:[0,1]
	v_mov_b32_e32 v112, v100
	v_pk_add_f32 v[80:81], v[112:113], v[70:71]
	s_mov_b32 s5, 0x33800000
	v_mov_b32_e32 v84, v81
	v_pk_add_f32 v[84:85], v[80:81], v[84:85]
	v_cmp_lt_f32_e64 s[6:7], |v97|, s5
	v_pk_add_f32 v[82:83], v[82:83], v[84:85]
	v_mov_b32_e32 v71, v84
	v_mov_b32_e32 v81, v82
	v_pk_add_f32 v[98:99], v[80:81], v[100:101] neg_lo:[0,1] neg_hi:[0,1]
	s_or_b64 vcc, vcc, s[6:7]
	v_sub_f32_e32 v80, v80, v98
	v_pk_add_f32 v[70:71], v[70:71], v[98:99] neg_lo:[0,1] neg_hi:[0,1]
	v_sub_f32_e32 v80, v100, v80
	v_add_f32_e32 v70, v70, v80
	v_add_f32_e32 v70, v70, v71
	;; [unrolled: 1-line block ×3, first 2 shown]
	v_cndmask_b32_e32 v70, v70, v97, vcc
	v_add_f32_e32 v55, v55, v70
	v_cvt_f16_f32_e32 v98, v55
	v_cvt_f32_f16_e32 v97, v98
	v_mov_b32_e32 v71, v98
.LBB360_260:
	s_or_b64 exec, exec, s[2:3]
	v_max_f32_e32 v55, v86, v86
	v_max_f32_e32 v70, v97, v97
	v_min_f32_e32 v80, v70, v55
	v_cmp_u_f16_e32 vcc, v98, v98
	v_max_f32_e32 v55, v70, v55
	s_nop 0
	v_cndmask_b32_e32 v80, v80, v97, vcc
	v_cndmask_b32_e32 v55, v55, v97, vcc
	v_cndmask_b32_e64 v80, v80, v86, s[48:49]
	v_cndmask_b32_e64 v70, v55, v86, s[48:49]
	v_cmp_neq_f32_e32 vcc, v80, v70
	v_cmp_class_f32_e64 s[2:3], v80, s4
	s_or_b64 s[4:5], vcc, s[2:3]
	v_mov_b32_e32 v55, v71
	s_and_saveexec_b64 s[2:3], s[4:5]
	s_cbranch_execz .LBB360_262
; %bb.261:
	v_sub_f32_e32 v55, v80, v70
	s_mov_b32 s4, 0x3fb8aa3b
	v_mul_f32_e32 v80, 0x3fb8aa3b, v55
	v_fma_f32 v81, v55, s4, -v80
	v_rndne_f32_e32 v82, v80
	v_fmamk_f32 v81, v55, 0x32a5705f, v81
	v_sub_f32_e32 v80, v80, v82
	v_add_f32_e32 v80, v80, v81
	v_exp_f32_e32 v80, v80
	v_cvt_i32_f32_e32 v81, v82
	s_mov_b32 s4, 0xc2ce8ed0
	v_cmp_ngt_f32_e32 vcc, s4, v55
	s_mov_b32 s4, 0x42b17218
	v_ldexp_f32 v80, v80, v81
	v_cndmask_b32_e32 v80, 0, v80, vcc
	v_mov_b32_e32 v81, 0x7f800000
	v_cmp_nlt_f32_e32 vcc, s4, v55
	s_mov_b32 s4, 0x3f2aaaab
	s_mov_b32 s5, 0x7f800000
	v_cndmask_b32_e32 v97, v81, v80, vcc
	v_add_f32_e32 v55, 1.0, v97
	v_add_f32_e32 v80, -1.0, v55
	v_sub_f32_e32 v81, v80, v55
	v_add_f32_e32 v81, 1.0, v81
	v_sub_f32_e32 v80, v97, v80
	v_add_f32_e32 v82, v80, v81
	v_frexp_mant_f32_e32 v83, v55
	v_cvt_f64_f32_e32 v[80:81], v55
	v_frexp_exp_i32_f64_e32 v80, v[80:81]
	v_cmp_gt_f32_e32 vcc, s4, v83
	s_mov_b32 s4, 0x3f317218
	s_nop 0
	v_subbrev_co_u32_e32 v86, vcc, 0, v80, vcc
	v_sub_u32_e32 v80, 0, v86
	v_ldexp_f32 v55, v55, v80
	v_ldexp_f32 v80, v82, v80
	v_add_f32_e32 v82, -1.0, v55
	v_add_f32_e32 v81, 1.0, v82
	v_sub_f32_e32 v81, v55, v81
	v_add_f32_e32 v83, v80, v81
	v_add_f32_e32 v81, 1.0, v55
	v_add_f32_e32 v84, -1.0, v81
	v_sub_f32_e32 v55, v55, v84
	v_add_f32_e32 v55, v80, v55
	v_add_f32_e32 v100, v81, v55
	v_rcp_f32_e32 v101, v100
	v_sub_f32_e32 v80, v81, v100
	v_add_f32_e32 v81, v82, v83
	v_add_f32_e32 v55, v55, v80
	v_mul_f32_e32 v103, v81, v101
	v_sub_f32_e32 v80, v82, v81
	v_mul_f32_e32 v82, v100, v103
	v_fma_f32 v84, v103, v100, -v82
	v_fmac_f32_e32 v84, v103, v55
	v_add_f32_e32 v102, v83, v80
	v_add_f32_e32 v80, v82, v84
	v_sub_f32_e32 v83, v81, v80
	v_pk_add_f32 v[98:99], v[80:81], v[82:83] neg_lo:[0,1] neg_hi:[0,1]
	v_mov_b32_e32 v85, v80
	v_pk_add_f32 v[80:81], v[98:99], v[84:85] neg_lo:[0,1] neg_hi:[0,1]
	v_cmp_eq_f32_e32 vcc, s5, v97
	v_add_f32_e32 v81, v102, v81
	v_add_f32_e32 v80, v80, v81
	;; [unrolled: 1-line block ×3, first 2 shown]
	v_mul_f32_e32 v102, v101, v81
	v_mul_f32_e32 v82, v100, v102
	v_fma_f32 v84, v102, v100, -v82
	v_fmac_f32_e32 v84, v102, v55
	v_sub_f32_e32 v55, v83, v81
	v_add_f32_e32 v55, v80, v55
	v_add_f32_e32 v80, v82, v84
	v_sub_f32_e32 v83, v81, v80
	v_pk_add_f32 v[98:99], v[80:81], v[82:83] neg_lo:[0,1] neg_hi:[0,1]
	v_mov_b32_e32 v85, v80
	v_pk_add_f32 v[80:81], v[98:99], v[84:85] neg_lo:[0,1] neg_hi:[0,1]
	v_cvt_f32_i32_e32 v82, v86
	v_add_f32_e32 v55, v55, v81
	v_add_f32_e32 v55, v80, v55
	;; [unrolled: 1-line block ×4, first 2 shown]
	v_sub_f32_e32 v81, v80, v103
	v_mul_f32_e32 v55, v101, v55
	v_sub_f32_e32 v81, v102, v81
	v_add_f32_e32 v55, v81, v55
	v_add_f32_e32 v83, v80, v55
	v_mul_f32_e32 v84, v83, v83
	v_mov_b32_e32 v81, 0x3ecc95a3
	v_fmac_f32_e32 v81, 0x3e9b6dac, v84
	v_sub_f32_e32 v80, v83, v80
	v_fmaak_f32 v81, v84, v81, 0x3f2aaada
	v_sub_f32_e32 v55, v55, v80
	v_ldexp_f32 v85, v83, 1
	v_mul_f32_e32 v83, v83, v84
	v_mov_b32_e32 v80, 0x3f317218
	v_pk_mul_f32 v[80:81], v[82:83], v[80:81]
	v_ldexp_f32 v55, v55, 1
	v_fma_f32 v83, v82, s4, -v80
	v_fmamk_f32 v84, v82, 0xb102e308, v83
	v_pk_add_f32 v[82:83], v[80:81], v[84:85]
	v_mov_b32_e32 v98, v80
	v_sub_f32_e32 v85, v83, v85
	v_sub_f32_e32 v85, v81, v85
	v_add_f32_e32 v99, v55, v85
	v_pk_add_f32 v[80:81], v[82:83], v[80:81] neg_lo:[0,1] neg_hi:[0,1]
	v_pk_add_f32 v[100:101], v[82:83], v[98:99]
	v_mov_b32_e32 v85, v82
	v_mov_b32_e32 v81, v101
	v_pk_add_f32 v[102:103], v[84:85], v[80:81] neg_lo:[0,1] neg_hi:[0,1]
	v_pk_add_f32 v[80:81], v[84:85], v[80:81]
	v_mov_b32_e32 v98, v99
	v_mov_b32_e32 v84, v81
	v_pk_add_f32 v[112:113], v[84:85], v[82:83] neg_lo:[0,1] neg_hi:[0,1]
	v_mov_b32_e32 v80, v101
	v_mov_b32_e32 v55, v112
	v_pk_add_f32 v[114:115], v[100:101], v[54:55] neg_lo:[0,1] neg_hi:[0,1]
	v_mov_b32_e32 v100, v83
	v_mov_b32_e32 v101, v112
	;; [unrolled: 1-line block ×3, first 2 shown]
	v_pk_add_f32 v[80:81], v[80:81], v[100:101] neg_lo:[0,1] neg_hi:[0,1]
	v_mov_b32_e32 v99, v82
	v_pk_add_f32 v[80:81], v[98:99], v[80:81] neg_lo:[0,1] neg_hi:[0,1]
	v_mov_b32_e32 v114, v102
	v_pk_add_f32 v[82:83], v[114:115], v[80:81]
	s_mov_b32 s4, 0x33800000
	v_mov_b32_e32 v86, v83
	v_pk_add_f32 v[98:99], v[82:83], v[86:87]
	v_cmp_lt_f32_e64 s[4:5], |v97|, s4
	v_pk_add_f32 v[84:85], v[84:85], v[98:99]
	v_mov_b32_e32 v81, v98
	v_mov_b32_e32 v83, v84
	v_pk_add_f32 v[100:101], v[82:83], v[102:103] neg_lo:[0,1] neg_hi:[0,1]
	s_or_b64 vcc, vcc, s[4:5]
	v_sub_f32_e32 v55, v82, v100
	v_pk_add_f32 v[80:81], v[80:81], v[100:101] neg_lo:[0,1] neg_hi:[0,1]
	v_sub_f32_e32 v55, v102, v55
	v_add_f32_e32 v55, v80, v55
	v_add_f32_e32 v55, v55, v81
	;; [unrolled: 1-line block ×3, first 2 shown]
	v_cndmask_b32_e32 v55, v55, v97, vcc
	v_add_f32_e32 v55, v70, v55
	v_cvt_f16_f32_e32 v55, v55
.LBB360_262:
	s_or_b64 exec, exec, s[2:3]
	s_branch .LBB360_407
.LBB360_263:
                                        ; implicit-def: $vgpr32
                                        ; implicit-def: $vgpr33
                                        ; implicit-def: $vgpr34
                                        ; implicit-def: $vgpr35
                                        ; implicit-def: $vgpr36
                                        ; implicit-def: $vgpr37
                                        ; implicit-def: $vgpr38
                                        ; implicit-def: $vgpr87
                                        ; implicit-def: $vgpr96
                                        ; implicit-def: $vgpr39
                                        ; implicit-def: $vgpr64
                                        ; implicit-def: $vgpr49
                                        ; implicit-def: $vgpr65
                                        ; implicit-def: $vgpr50
                                        ; implicit-def: $vgpr66
                                        ; implicit-def: $vgpr51
                                        ; implicit-def: $vgpr67
                                        ; implicit-def: $vgpr52
                                        ; implicit-def: $vgpr68
                                        ; implicit-def: $vgpr53
                                        ; implicit-def: $vgpr69
                                        ; implicit-def: $vgpr54
                                        ; implicit-def: $vgpr71
                                        ; implicit-def: $vgpr55
	s_cbranch_execz .LBB360_407
; %bb.264:
	v_cmp_ne_u64_e32 vcc, 0, v[6:7]
	v_cmp_eq_u32_e64 s[4:5], 0, v0
	v_cmp_ne_u32_e64 s[2:3], 0, v0
	s_and_b64 s[6:7], s[4:5], vcc
	v_mov_b32_e32 v32, v24
	s_and_saveexec_b64 s[4:5], s[6:7]
	s_cbranch_execz .LBB360_268
; %bb.265:
	flat_load_ushort v32, v[2:3]
	v_cvt_f32_f16_e32 v2, v24
	s_movk_i32 s6, 0x1f8
	s_waitcnt vmcnt(0) lgkmcnt(0)
	v_cvt_f32_f16_e32 v3, v32
	v_cmp_u_f16_e32 vcc, v32, v32
	v_min_f32_e32 v6, v3, v2
	v_max_f32_e32 v7, v3, v2
	v_cndmask_b32_e32 v6, v6, v3, vcc
	v_cndmask_b32_e32 v7, v7, v3, vcc
	v_cmp_u_f16_e32 vcc, v24, v24
	s_nop 1
	v_cndmask_b32_e32 v3, v6, v2, vcc
	v_cndmask_b32_e32 v2, v7, v2, vcc
	v_cmp_neq_f32_e32 vcc, v3, v2
	v_cmp_class_f32_e64 s[6:7], v3, s6
	s_or_b64 s[8:9], vcc, s[6:7]
	s_and_saveexec_b64 s[6:7], s[8:9]
	s_cbranch_execz .LBB360_267
; %bb.266:
	v_sub_f32_e32 v3, v3, v2
	s_mov_b32 s8, 0x3fb8aa3b
	v_mul_f32_e32 v6, 0x3fb8aa3b, v3
	v_fma_f32 v7, v3, s8, -v6
	v_rndne_f32_e32 v32, v6
	v_fmamk_f32 v7, v3, 0x32a5705f, v7
	v_sub_f32_e32 v6, v6, v32
	v_add_f32_e32 v6, v6, v7
	v_exp_f32_e32 v6, v6
	v_cvt_i32_f32_e32 v7, v32
	s_mov_b32 s8, 0xc2ce8ed0
	v_cmp_ngt_f32_e32 vcc, s8, v3
	s_mov_b32 s8, 0x42b17218
	v_ldexp_f32 v6, v6, v7
	v_cndmask_b32_e32 v6, 0, v6, vcc
	v_mov_b32_e32 v7, 0x7f800000
	v_cmp_nlt_f32_e32 vcc, s8, v3
	s_mov_b32 s8, 0x3f2aaaab
	s_mov_b32 s9, 0x7f800000
	v_cndmask_b32_e32 v49, v7, v6, vcc
	v_add_f32_e32 v3, 1.0, v49
	v_add_f32_e32 v6, -1.0, v3
	v_sub_f32_e32 v7, v6, v3
	v_add_f32_e32 v7, 1.0, v7
	v_sub_f32_e32 v6, v49, v6
	v_add_f32_e32 v32, v6, v7
	v_frexp_mant_f32_e32 v33, v3
	v_cvt_f64_f32_e32 v[6:7], v3
	v_frexp_exp_i32_f64_e32 v6, v[6:7]
	v_cmp_gt_f32_e32 vcc, s8, v33
	s_mov_b32 s8, 0x3f317218
	s_nop 0
	v_subbrev_co_u32_e32 v38, vcc, 0, v6, vcc
	v_sub_u32_e32 v6, 0, v38
	v_ldexp_f32 v3, v3, v6
	v_ldexp_f32 v6, v32, v6
	v_add_f32_e32 v32, -1.0, v3
	v_add_f32_e32 v7, 1.0, v32
	v_sub_f32_e32 v7, v3, v7
	v_add_f32_e32 v33, v6, v7
	v_add_f32_e32 v7, 1.0, v3
	v_add_f32_e32 v34, -1.0, v7
	v_sub_f32_e32 v3, v3, v34
	v_add_f32_e32 v3, v6, v3
	v_add_f32_e32 v39, v7, v3
	v_rcp_f32_e32 v50, v39
	v_sub_f32_e32 v6, v7, v39
	v_add_f32_e32 v7, v32, v33
	v_add_f32_e32 v3, v3, v6
	v_mul_f32_e32 v52, v7, v50
	v_sub_f32_e32 v6, v32, v7
	v_mul_f32_e32 v32, v39, v52
	v_fma_f32 v34, v52, v39, -v32
	v_fmac_f32_e32 v34, v52, v3
	v_add_f32_e32 v51, v33, v6
	v_add_f32_e32 v6, v32, v34
	v_sub_f32_e32 v33, v7, v6
	v_pk_add_f32 v[36:37], v[6:7], v[32:33] neg_lo:[0,1] neg_hi:[0,1]
	v_mov_b32_e32 v35, v6
	v_pk_add_f32 v[6:7], v[36:37], v[34:35] neg_lo:[0,1] neg_hi:[0,1]
	v_cmp_eq_f32_e32 vcc, s9, v49
	v_add_f32_e32 v7, v51, v7
	v_add_f32_e32 v6, v6, v7
	;; [unrolled: 1-line block ×3, first 2 shown]
	v_mul_f32_e32 v51, v50, v7
	v_mul_f32_e32 v32, v39, v51
	v_fma_f32 v34, v51, v39, -v32
	v_fmac_f32_e32 v34, v51, v3
	v_sub_f32_e32 v3, v33, v7
	v_add_f32_e32 v3, v6, v3
	v_add_f32_e32 v6, v32, v34
	v_sub_f32_e32 v33, v7, v6
	v_pk_add_f32 v[36:37], v[6:7], v[32:33] neg_lo:[0,1] neg_hi:[0,1]
	v_mov_b32_e32 v35, v6
	v_pk_add_f32 v[6:7], v[36:37], v[34:35] neg_lo:[0,1] neg_hi:[0,1]
	v_cvt_f32_i32_e32 v32, v38
	v_add_f32_e32 v3, v3, v7
	v_add_f32_e32 v3, v6, v3
	;; [unrolled: 1-line block ×4, first 2 shown]
	v_sub_f32_e32 v7, v6, v52
	v_mul_f32_e32 v3, v50, v3
	v_sub_f32_e32 v7, v51, v7
	v_add_f32_e32 v3, v7, v3
	v_add_f32_e32 v33, v6, v3
	v_mul_f32_e32 v34, v33, v33
	v_mov_b32_e32 v7, 0x3ecc95a3
	v_fmac_f32_e32 v7, 0x3e9b6dac, v34
	v_sub_f32_e32 v6, v33, v6
	v_fmaak_f32 v7, v34, v7, 0x3f2aaada
	v_sub_f32_e32 v3, v3, v6
	v_ldexp_f32 v35, v33, 1
	v_mul_f32_e32 v33, v33, v34
	v_mov_b32_e32 v6, 0x3f317218
	v_pk_mul_f32 v[6:7], v[32:33], v[6:7]
	v_ldexp_f32 v3, v3, 1
	v_fma_f32 v33, v32, s8, -v6
	v_fmamk_f32 v34, v32, 0xb102e308, v33
	v_pk_add_f32 v[32:33], v[6:7], v[34:35]
	v_mov_b32_e32 v36, v6
	v_sub_f32_e32 v35, v33, v35
	v_sub_f32_e32 v35, v7, v35
	v_add_f32_e32 v37, v3, v35
	v_pk_add_f32 v[6:7], v[32:33], v[6:7] neg_lo:[0,1] neg_hi:[0,1]
	v_pk_add_f32 v[38:39], v[32:33], v[36:37]
	v_mov_b32_e32 v35, v32
	v_mov_b32_e32 v7, v39
	v_pk_add_f32 v[50:51], v[34:35], v[6:7] neg_lo:[0,1] neg_hi:[0,1]
	v_pk_add_f32 v[6:7], v[34:35], v[6:7]
	v_mov_b32_e32 v36, v37
	v_mov_b32_e32 v34, v7
	v_pk_add_f32 v[52:53], v[34:35], v[32:33] neg_lo:[0,1] neg_hi:[0,1]
	v_mov_b32_e32 v6, v39
	v_mov_b32_e32 v3, v52
	v_pk_add_f32 v[54:55], v[38:39], v[2:3] neg_lo:[0,1] neg_hi:[0,1]
	v_mov_b32_e32 v38, v33
	v_mov_b32_e32 v39, v52
	;; [unrolled: 1-line block ×3, first 2 shown]
	v_pk_add_f32 v[6:7], v[6:7], v[38:39] neg_lo:[0,1] neg_hi:[0,1]
	v_mov_b32_e32 v37, v32
	v_pk_add_f32 v[6:7], v[36:37], v[6:7] neg_lo:[0,1] neg_hi:[0,1]
	v_mov_b32_e32 v54, v50
	v_pk_add_f32 v[32:33], v[54:55], v[6:7]
	s_mov_b32 s8, 0x33800000
	v_mov_b32_e32 v36, v33
	v_pk_add_f32 v[36:37], v[32:33], v[36:37]
	v_cmp_lt_f32_e64 s[8:9], |v49|, s8
	v_pk_add_f32 v[34:35], v[34:35], v[36:37]
	v_mov_b32_e32 v7, v36
	v_mov_b32_e32 v33, v34
	v_pk_add_f32 v[38:39], v[32:33], v[50:51] neg_lo:[0,1] neg_hi:[0,1]
	s_or_b64 vcc, vcc, s[8:9]
	v_sub_f32_e32 v3, v32, v38
	v_pk_add_f32 v[6:7], v[6:7], v[38:39] neg_lo:[0,1] neg_hi:[0,1]
	v_sub_f32_e32 v3, v50, v3
	v_add_f32_e32 v3, v6, v3
	v_add_f32_e32 v3, v3, v7
	;; [unrolled: 1-line block ×3, first 2 shown]
	v_cndmask_b32_e32 v3, v3, v49, vcc
	v_add_f32_e32 v2, v2, v3
	v_cvt_f16_f32_e32 v32, v2
.LBB360_267:
	s_or_b64 exec, exec, s[6:7]
.LBB360_268:
	s_or_b64 exec, exec, s[4:5]
	v_cvt_f32_f16_e32 v2, v32
	v_cmp_u_f16_e64 s[50:51], v32, v32
	v_cmp_u_f16_sdwa vcc, v24, v24 src0_sel:WORD_1 src1_sel:WORD_1
	s_movk_i32 s8, 0x1f8
	v_min_f32_e32 v33, v2, v11
	v_max_f32_e32 v34, v2, v11
	v_cndmask_b32_e64 v3, v33, v2, s[50:51]
	v_cndmask_b32_e32 v6, v3, v11, vcc
	v_cndmask_b32_e64 v3, v34, v2, s[50:51]
	v_cndmask_b32_e32 v3, v3, v11, vcc
	v_cmp_neq_f32_e64 s[4:5], v6, v3
	v_cmp_class_f32_e64 s[6:7], v6, s8
	s_or_b64 s[4:5], s[4:5], s[6:7]
	v_mov_b32_e32 v36, v2
	v_mov_b32_e32 v35, v32
	s_and_saveexec_b64 s[6:7], s[4:5]
	s_cbranch_execz .LBB360_270
; %bb.269:
	v_sub_f32_e32 v6, v6, v3
	s_mov_b32 s4, 0x3fb8aa3b
	v_mul_f32_e32 v7, 0x3fb8aa3b, v6
	v_fma_f32 v24, v6, s4, -v7
	v_rndne_f32_e32 v35, v7
	v_fmamk_f32 v24, v6, 0x32a5705f, v24
	v_sub_f32_e32 v7, v7, v35
	v_add_f32_e32 v7, v7, v24
	v_exp_f32_e32 v7, v7
	v_cvt_i32_f32_e32 v24, v35
	s_mov_b32 s4, 0xc2ce8ed0
	v_cmp_ngt_f32_e64 s[4:5], s4, v6
	s_mov_b32 s9, 0x7f800000
	v_ldexp_f32 v7, v7, v24
	v_cndmask_b32_e64 v7, 0, v7, s[4:5]
	s_mov_b32 s4, 0x42b17218
	v_mov_b32_e32 v24, 0x7f800000
	v_cmp_nlt_f32_e64 s[4:5], s4, v6
	s_nop 1
	v_cndmask_b32_e64 v49, v24, v7, s[4:5]
	v_add_f32_e32 v24, 1.0, v49
	v_add_f32_e32 v6, -1.0, v24
	v_sub_f32_e32 v7, v6, v24
	v_add_f32_e32 v7, 1.0, v7
	v_sub_f32_e32 v6, v49, v6
	v_add_f32_e32 v35, v6, v7
	v_frexp_mant_f32_e32 v36, v24
	s_mov_b32 s4, 0x3f2aaaab
	v_cvt_f64_f32_e32 v[6:7], v24
	v_frexp_exp_i32_f64_e32 v6, v[6:7]
	v_cmp_gt_f32_e64 s[4:5], s4, v36
	s_nop 1
	v_subbrev_co_u32_e64 v52, s[4:5], 0, v6, s[4:5]
	v_sub_u32_e32 v6, 0, v52
	v_ldexp_f32 v7, v24, v6
	v_add_f32_e32 v24, -1.0, v7
	v_add_f32_e32 v36, 1.0, v7
	v_ldexp_f32 v6, v35, v6
	v_add_f32_e32 v35, 1.0, v24
	v_add_f32_e32 v37, -1.0, v36
	v_sub_f32_e32 v35, v7, v35
	v_sub_f32_e32 v7, v7, v37
	v_add_f32_e32 v35, v6, v35
	v_add_f32_e32 v6, v6, v7
	;; [unrolled: 1-line block ×3, first 2 shown]
	v_rcp_f32_e32 v55, v53
	v_sub_f32_e32 v7, v36, v53
	v_add_f32_e32 v54, v6, v7
	v_add_f32_e32 v7, v24, v35
	v_sub_f32_e32 v6, v24, v7
	v_add_f32_e32 v24, v35, v6
	v_mul_f32_e32 v35, v7, v55
	v_mul_f32_e32 v36, v53, v35
	v_fma_f32 v38, v35, v53, -v36
	v_fmac_f32_e32 v38, v35, v54
	v_add_f32_e32 v6, v36, v38
	v_sub_f32_e32 v37, v7, v6
	v_pk_add_f32 v[50:51], v[6:7], v[36:37] neg_lo:[0,1] neg_hi:[0,1]
	v_mov_b32_e32 v39, v6
	v_pk_add_f32 v[6:7], v[50:51], v[38:39] neg_lo:[0,1] neg_hi:[0,1]
	s_mov_b32 s4, 0x3f317218
	v_add_f32_e32 v7, v24, v7
	v_add_f32_e32 v6, v6, v7
	;; [unrolled: 1-line block ×3, first 2 shown]
	v_mul_f32_e32 v24, v55, v7
	v_mul_f32_e32 v36, v53, v24
	v_fma_f32 v38, v24, v53, -v36
	v_fmac_f32_e32 v38, v24, v54
	v_sub_f32_e32 v37, v37, v7
	v_add_f32_e32 v53, v6, v37
	v_add_f32_e32 v6, v36, v38
	v_sub_f32_e32 v37, v7, v6
	v_pk_add_f32 v[50:51], v[6:7], v[36:37] neg_lo:[0,1] neg_hi:[0,1]
	v_mov_b32_e32 v39, v6
	v_pk_add_f32 v[6:7], v[50:51], v[38:39] neg_lo:[0,1] neg_hi:[0,1]
	v_cvt_f32_i32_e32 v36, v52
	v_add_f32_e32 v7, v53, v7
	v_add_f32_e32 v6, v6, v7
	;; [unrolled: 1-line block ×4, first 2 shown]
	v_sub_f32_e32 v7, v37, v35
	v_mul_f32_e32 v6, v55, v6
	v_sub_f32_e32 v7, v24, v7
	v_add_f32_e32 v6, v7, v6
	v_add_f32_e32 v24, v37, v6
	v_mul_f32_e32 v35, v24, v24
	v_mov_b32_e32 v7, 0x3ecc95a3
	v_sub_f32_e32 v37, v24, v37
	v_fmac_f32_e32 v7, 0x3e9b6dac, v35
	v_sub_f32_e32 v6, v6, v37
	v_fmaak_f32 v7, v35, v7, 0x3f2aaada
	v_ldexp_f32 v50, v6, 1
	v_mul_f32_e32 v37, v24, v35
	v_mov_b32_e32 v6, 0x3f317218
	v_pk_mul_f32 v[6:7], v[36:37], v[6:7]
	v_ldexp_f32 v39, v24, 1
	v_fma_f32 v24, v36, s4, -v6
	v_fmamk_f32 v38, v36, 0xb102e308, v24
	v_pk_add_f32 v[36:37], v[6:7], v[38:39]
	v_cmp_eq_f32_e64 s[4:5], s9, v49
	v_sub_f32_e32 v24, v37, v39
	v_sub_f32_e32 v24, v7, v24
	v_add_f32_e32 v51, v50, v24
	v_mov_b32_e32 v50, v6
	v_pk_add_f32 v[6:7], v[36:37], v[6:7] neg_lo:[0,1] neg_hi:[0,1]
	v_pk_add_f32 v[52:53], v[36:37], v[50:51]
	v_mov_b32_e32 v39, v36
	v_mov_b32_e32 v7, v53
	v_pk_add_f32 v[54:55], v[38:39], v[6:7] neg_lo:[0,1] neg_hi:[0,1]
	v_pk_add_f32 v[6:7], v[38:39], v[6:7]
	s_mov_b32 s9, 0x33800000
	v_mov_b32_e32 v24, v7
	v_pk_add_f32 v[38:39], v[24:25], v[36:37] neg_lo:[0,1] neg_hi:[0,1]
	v_mov_b32_e32 v6, v53
	v_mov_b32_e32 v35, v38
	v_pk_add_f32 v[64:65], v[52:53], v[34:35] neg_lo:[0,1] neg_hi:[0,1]
	v_mov_b32_e32 v52, v37
	v_mov_b32_e32 v53, v38
	;; [unrolled: 1-line block ×3, first 2 shown]
	v_pk_add_f32 v[6:7], v[6:7], v[52:53] neg_lo:[0,1] neg_hi:[0,1]
	v_mov_b32_e32 v38, v51
	v_mov_b32_e32 v39, v36
	v_pk_add_f32 v[6:7], v[38:39], v[6:7] neg_lo:[0,1] neg_hi:[0,1]
	v_mov_b32_e32 v64, v54
	v_pk_add_f32 v[36:37], v[64:65], v[6:7]
	v_cmp_lt_f32_e64 s[10:11], |v49|, s9
	v_mov_b32_e32 v38, v37
	v_pk_add_f32 v[38:39], v[36:37], v[38:39]
	s_or_b64 s[4:5], s[4:5], s[10:11]
	v_pk_add_f32 v[50:51], v[24:25], v[38:39]
	v_mov_b32_e32 v7, v38
	v_mov_b32_e32 v37, v50
	v_pk_add_f32 v[52:53], v[36:37], v[54:55] neg_lo:[0,1] neg_hi:[0,1]
	s_nop 0
	v_sub_f32_e32 v24, v36, v52
	v_pk_add_f32 v[6:7], v[6:7], v[52:53] neg_lo:[0,1] neg_hi:[0,1]
	v_sub_f32_e32 v24, v54, v24
	v_add_f32_e32 v6, v6, v24
	v_add_f32_e32 v6, v6, v7
	v_add_f32_e32 v6, v50, v6
	v_cndmask_b32_e64 v6, v6, v49, s[4:5]
	v_add_f32_e32 v3, v3, v6
	v_cvt_f16_f32_e32 v35, v3
	v_cvt_f32_f16_e32 v36, v35
.LBB360_270:
	s_or_b64 exec, exec, s[6:7]
	v_cvt_f32_f16_e32 v3, v25
	v_max_f32_e32 v6, v36, v36
	v_cmp_u_f16_e64 s[6:7], v35, v35
	v_cmp_u_f16_e64 s[4:5], v25, v25
	v_min_f32_e32 v7, v6, v3
	v_max_f32_e32 v6, v6, v3
	v_cndmask_b32_e64 v7, v7, v36, s[6:7]
	v_cndmask_b32_e64 v6, v6, v36, s[6:7]
	;; [unrolled: 1-line block ×4, first 2 shown]
	v_cmp_neq_f32_e64 s[6:7], v7, v6
	v_cmp_class_f32_e64 s[8:9], v7, s8
	s_or_b64 s[6:7], s[6:7], s[8:9]
	s_and_saveexec_b64 s[8:9], s[6:7]
	s_cbranch_execz .LBB360_272
; %bb.271:
	v_sub_f32_e32 v7, v7, v6
	s_mov_b32 s6, 0x3fb8aa3b
	v_mul_f32_e32 v24, 0x3fb8aa3b, v7
	v_fma_f32 v35, v7, s6, -v24
	v_rndne_f32_e32 v36, v24
	v_fmamk_f32 v35, v7, 0x32a5705f, v35
	v_sub_f32_e32 v24, v24, v36
	v_add_f32_e32 v24, v24, v35
	v_exp_f32_e32 v24, v24
	v_cvt_i32_f32_e32 v35, v36
	s_mov_b32 s6, 0xc2ce8ed0
	v_cmp_ngt_f32_e64 s[6:7], s6, v7
	s_mov_b32 s10, 0x7f800000
	v_ldexp_f32 v24, v24, v35
	v_cndmask_b32_e64 v24, 0, v24, s[6:7]
	s_mov_b32 s6, 0x42b17218
	v_mov_b32_e32 v35, 0x7f800000
	v_cmp_nlt_f32_e64 s[6:7], s6, v7
	s_nop 1
	v_cndmask_b32_e64 v35, v35, v24, s[6:7]
	v_add_f32_e32 v7, 1.0, v35
	v_add_f32_e32 v24, -1.0, v7
	v_sub_f32_e32 v36, v24, v7
	v_add_f32_e32 v36, 1.0, v36
	v_sub_f32_e32 v24, v35, v24
	v_add_f32_e32 v24, v24, v36
	v_frexp_mant_f32_e32 v38, v7
	s_mov_b32 s6, 0x3f2aaaab
	v_cvt_f64_f32_e32 v[36:37], v7
	v_frexp_exp_i32_f64_e32 v36, v[36:37]
	v_cmp_gt_f32_e64 s[6:7], s6, v38
	s_nop 1
	v_subbrev_co_u32_e64 v49, s[6:7], 0, v36, s[6:7]
	v_sub_u32_e32 v36, 0, v49
	v_ldexp_f32 v7, v7, v36
	v_ldexp_f32 v24, v24, v36
	v_add_f32_e32 v36, -1.0, v7
	v_add_f32_e32 v37, 1.0, v36
	v_sub_f32_e32 v37, v7, v37
	v_add_f32_e32 v38, v24, v37
	v_add_f32_e32 v37, 1.0, v7
	v_add_f32_e32 v39, -1.0, v37
	v_sub_f32_e32 v7, v7, v39
	v_add_f32_e32 v7, v24, v7
	v_add_f32_e32 v24, v37, v7
	v_rcp_f32_e32 v54, v24
	v_sub_f32_e32 v37, v37, v24
	v_add_f32_e32 v7, v7, v37
	v_add_f32_e32 v37, v36, v38
	v_sub_f32_e32 v36, v36, v37
	v_mul_f32_e32 v64, v37, v54
	v_add_f32_e32 v55, v38, v36
	v_mul_f32_e32 v38, v24, v64
	v_fma_f32 v50, v64, v24, -v38
	v_fmac_f32_e32 v50, v64, v7
	v_add_f32_e32 v36, v38, v50
	v_sub_f32_e32 v39, v37, v36
	v_pk_add_f32 v[52:53], v[36:37], v[38:39] neg_lo:[0,1] neg_hi:[0,1]
	v_mov_b32_e32 v51, v36
	v_pk_add_f32 v[36:37], v[52:53], v[50:51] neg_lo:[0,1] neg_hi:[0,1]
	s_mov_b32 s6, 0x3f317218
	v_add_f32_e32 v37, v55, v37
	v_add_f32_e32 v36, v36, v37
	;; [unrolled: 1-line block ×3, first 2 shown]
	v_mul_f32_e32 v55, v54, v37
	v_mul_f32_e32 v38, v24, v55
	v_fma_f32 v50, v55, v24, -v38
	v_fmac_f32_e32 v50, v55, v7
	v_sub_f32_e32 v7, v39, v37
	v_add_f32_e32 v7, v36, v7
	v_add_f32_e32 v36, v38, v50
	v_sub_f32_e32 v39, v37, v36
	v_pk_add_f32 v[52:53], v[36:37], v[38:39] neg_lo:[0,1] neg_hi:[0,1]
	v_mov_b32_e32 v51, v36
	v_pk_add_f32 v[36:37], v[52:53], v[50:51] neg_lo:[0,1] neg_hi:[0,1]
	v_add_f32_e32 v24, v64, v55
	v_add_f32_e32 v7, v7, v37
	;; [unrolled: 1-line block ×4, first 2 shown]
	v_sub_f32_e32 v36, v24, v64
	v_mul_f32_e32 v7, v54, v7
	v_sub_f32_e32 v36, v55, v36
	v_add_f32_e32 v7, v36, v7
	v_add_f32_e32 v36, v24, v7
	v_cvt_f32_i32_e32 v38, v49
	v_mul_f32_e32 v39, v36, v36
	v_mov_b32_e32 v37, 0x3ecc95a3
	v_fmac_f32_e32 v37, 0x3e9b6dac, v39
	v_fmaak_f32 v37, v39, v37, 0x3f2aaada
	v_sub_f32_e32 v24, v36, v24
	v_ldexp_f32 v51, v36, 1
	v_mul_f32_e32 v39, v36, v39
	v_mov_b32_e32 v36, 0x3f317218
	v_pk_mul_f32 v[36:37], v[38:39], v[36:37]
	v_sub_f32_e32 v7, v7, v24
	v_fma_f32 v24, v38, s6, -v36
	v_fmamk_f32 v50, v38, 0xb102e308, v24
	v_pk_add_f32 v[38:39], v[36:37], v[50:51]
	v_ldexp_f32 v7, v7, 1
	v_sub_f32_e32 v24, v39, v51
	v_sub_f32_e32 v24, v37, v24
	v_add_f32_e32 v53, v7, v24
	v_mov_b32_e32 v52, v36
	v_pk_add_f32 v[36:37], v[38:39], v[36:37] neg_lo:[0,1] neg_hi:[0,1]
	v_pk_add_f32 v[54:55], v[38:39], v[52:53]
	v_mov_b32_e32 v51, v38
	v_mov_b32_e32 v37, v55
	v_pk_add_f32 v[64:65], v[50:51], v[36:37] neg_lo:[0,1] neg_hi:[0,1]
	v_pk_add_f32 v[36:37], v[50:51], v[36:37]
	v_cmp_eq_f32_e64 s[6:7], s10, v35
	v_mov_b32_e32 v24, v37
	v_pk_add_f32 v[50:51], v[24:25], v[38:39] neg_lo:[0,1] neg_hi:[0,1]
	v_mov_b32_e32 v36, v55
	v_mov_b32_e32 v7, v50
	v_pk_add_f32 v[66:67], v[54:55], v[6:7] neg_lo:[0,1] neg_hi:[0,1]
	v_mov_b32_e32 v54, v39
	v_mov_b32_e32 v55, v50
	;; [unrolled: 1-line block ×3, first 2 shown]
	v_pk_add_f32 v[36:37], v[36:37], v[54:55] neg_lo:[0,1] neg_hi:[0,1]
	v_mov_b32_e32 v50, v53
	v_mov_b32_e32 v51, v38
	v_pk_add_f32 v[36:37], v[50:51], v[36:37] neg_lo:[0,1] neg_hi:[0,1]
	v_mov_b32_e32 v66, v64
	v_pk_add_f32 v[38:39], v[66:67], v[36:37]
	s_mov_b32 s10, 0x33800000
	v_mov_b32_e32 v50, v39
	v_pk_add_f32 v[50:51], v[38:39], v[50:51]
	v_cmp_lt_f32_e64 s[10:11], |v35|, s10
	v_pk_add_f32 v[52:53], v[24:25], v[50:51]
	v_mov_b32_e32 v37, v50
	v_mov_b32_e32 v39, v52
	v_pk_add_f32 v[54:55], v[38:39], v[64:65] neg_lo:[0,1] neg_hi:[0,1]
	s_or_b64 s[6:7], s[6:7], s[10:11]
	v_sub_f32_e32 v7, v38, v54
	v_pk_add_f32 v[36:37], v[36:37], v[54:55] neg_lo:[0,1] neg_hi:[0,1]
	v_sub_f32_e32 v7, v64, v7
	v_add_f32_e32 v7, v36, v7
	v_add_f32_e32 v7, v7, v37
	;; [unrolled: 1-line block ×3, first 2 shown]
	v_cndmask_b32_e64 v7, v7, v35, s[6:7]
	v_add_f32_e32 v6, v6, v7
	v_cvt_f16_f32_e32 v35, v6
	v_cvt_f32_f16_e32 v36, v35
.LBB360_272:
	s_or_b64 exec, exec, s[8:9]
	v_cvt_f32_f16_sdwa v6, v25 dst_sel:DWORD dst_unused:UNUSED_PAD src0_sel:WORD_1
	v_max_f32_e32 v7, v36, v36
	v_cmp_u_f16_e64 s[8:9], v35, v35
	v_cmp_u_f16_sdwa s[6:7], v25, v25 src0_sel:WORD_1 src1_sel:WORD_1
	v_min_f32_e32 v24, v7, v6
	v_max_f32_e32 v7, v7, v6
	v_cndmask_b32_e64 v24, v24, v36, s[8:9]
	v_cndmask_b32_e64 v7, v7, v36, s[8:9]
	;; [unrolled: 1-line block ×4, first 2 shown]
	s_movk_i32 s12, 0x1f8
	v_cmp_neq_f32_e64 s[8:9], v24, v7
	v_cmp_class_f32_e64 s[10:11], v24, s12
	s_or_b64 s[8:9], s[8:9], s[10:11]
	s_and_saveexec_b64 s[10:11], s[8:9]
	s_cbranch_execz .LBB360_274
; %bb.273:
	v_sub_f32_e32 v24, v24, v7
	s_mov_b32 s8, 0x3fb8aa3b
	v_mul_f32_e32 v25, 0x3fb8aa3b, v24
	v_fma_f32 v35, v24, s8, -v25
	v_rndne_f32_e32 v36, v25
	v_fmamk_f32 v35, v24, 0x32a5705f, v35
	v_sub_f32_e32 v25, v25, v36
	v_add_f32_e32 v25, v25, v35
	v_exp_f32_e32 v25, v25
	v_cvt_i32_f32_e32 v35, v36
	s_mov_b32 s8, 0xc2ce8ed0
	v_cmp_ngt_f32_e64 s[8:9], s8, v24
	s_mov_b32 s13, 0x7f800000
	v_ldexp_f32 v25, v25, v35
	v_cndmask_b32_e64 v25, 0, v25, s[8:9]
	s_mov_b32 s8, 0x42b17218
	v_mov_b32_e32 v35, 0x7f800000
	v_cmp_nlt_f32_e64 s[8:9], s8, v24
	s_nop 1
	v_cndmask_b32_e64 v49, v35, v25, s[8:9]
	v_add_f32_e32 v35, 1.0, v49
	v_add_f32_e32 v24, -1.0, v35
	v_sub_f32_e32 v25, v24, v35
	v_add_f32_e32 v25, 1.0, v25
	v_sub_f32_e32 v24, v49, v24
	v_add_f32_e32 v36, v24, v25
	v_frexp_mant_f32_e32 v37, v35
	s_mov_b32 s8, 0x3f2aaaab
	v_cvt_f64_f32_e32 v[24:25], v35
	v_frexp_exp_i32_f64_e32 v24, v[24:25]
	v_cmp_gt_f32_e64 s[8:9], s8, v37
	s_nop 1
	v_subbrev_co_u32_e64 v52, s[8:9], 0, v24, s[8:9]
	v_sub_u32_e32 v24, 0, v52
	v_ldexp_f32 v25, v35, v24
	v_add_f32_e32 v35, -1.0, v25
	v_add_f32_e32 v37, 1.0, v25
	v_ldexp_f32 v24, v36, v24
	v_add_f32_e32 v36, 1.0, v35
	v_add_f32_e32 v38, -1.0, v37
	v_sub_f32_e32 v36, v25, v36
	v_sub_f32_e32 v25, v25, v38
	v_add_f32_e32 v36, v24, v36
	v_add_f32_e32 v24, v24, v25
	;; [unrolled: 1-line block ×3, first 2 shown]
	v_rcp_f32_e32 v55, v53
	v_sub_f32_e32 v25, v37, v53
	v_add_f32_e32 v54, v24, v25
	v_add_f32_e32 v25, v35, v36
	v_sub_f32_e32 v24, v35, v25
	v_mul_f32_e32 v64, v25, v55
	v_add_f32_e32 v35, v36, v24
	v_mul_f32_e32 v36, v53, v64
	v_fma_f32 v38, v64, v53, -v36
	v_fmac_f32_e32 v38, v64, v54
	v_add_f32_e32 v24, v36, v38
	v_sub_f32_e32 v37, v25, v24
	v_pk_add_f32 v[50:51], v[24:25], v[36:37] neg_lo:[0,1] neg_hi:[0,1]
	v_mov_b32_e32 v39, v24
	v_pk_add_f32 v[24:25], v[50:51], v[38:39] neg_lo:[0,1] neg_hi:[0,1]
	s_mov_b32 s8, 0x3f317218
	v_add_f32_e32 v25, v35, v25
	v_add_f32_e32 v24, v24, v25
	;; [unrolled: 1-line block ×3, first 2 shown]
	v_mul_f32_e32 v35, v55, v25
	v_mul_f32_e32 v36, v53, v35
	v_fma_f32 v38, v35, v53, -v36
	v_fmac_f32_e32 v38, v35, v54
	v_sub_f32_e32 v37, v37, v25
	v_add_f32_e32 v53, v24, v37
	v_add_f32_e32 v24, v36, v38
	v_sub_f32_e32 v37, v25, v24
	v_pk_add_f32 v[50:51], v[24:25], v[36:37] neg_lo:[0,1] neg_hi:[0,1]
	v_mov_b32_e32 v39, v24
	v_pk_add_f32 v[24:25], v[50:51], v[38:39] neg_lo:[0,1] neg_hi:[0,1]
	v_cvt_f32_i32_e32 v36, v52
	v_add_f32_e32 v25, v53, v25
	v_add_f32_e32 v24, v24, v25
	;; [unrolled: 1-line block ×4, first 2 shown]
	v_sub_f32_e32 v25, v37, v64
	v_mul_f32_e32 v24, v55, v24
	v_sub_f32_e32 v25, v35, v25
	v_add_f32_e32 v24, v25, v24
	v_add_f32_e32 v35, v37, v24
	v_mul_f32_e32 v38, v35, v35
	v_mov_b32_e32 v25, 0x3ecc95a3
	v_sub_f32_e32 v37, v35, v37
	v_fmac_f32_e32 v25, 0x3e9b6dac, v38
	v_sub_f32_e32 v24, v24, v37
	v_fmaak_f32 v25, v38, v25, 0x3f2aaada
	v_ldexp_f32 v50, v24, 1
	v_mul_f32_e32 v37, v35, v38
	v_mov_b32_e32 v24, 0x3f317218
	v_pk_mul_f32 v[24:25], v[36:37], v[24:25]
	v_ldexp_f32 v39, v35, 1
	v_fma_f32 v35, v36, s8, -v24
	v_fmamk_f32 v38, v36, 0xb102e308, v35
	v_pk_add_f32 v[36:37], v[24:25], v[38:39]
	v_cmp_eq_f32_e64 s[8:9], s13, v49
	v_sub_f32_e32 v35, v37, v39
	v_sub_f32_e32 v35, v25, v35
	v_add_f32_e32 v51, v50, v35
	v_mov_b32_e32 v50, v24
	v_pk_add_f32 v[24:25], v[36:37], v[24:25] neg_lo:[0,1] neg_hi:[0,1]
	v_pk_add_f32 v[52:53], v[36:37], v[50:51]
	v_mov_b32_e32 v39, v36
	v_mov_b32_e32 v25, v53
	v_pk_add_f32 v[54:55], v[38:39], v[24:25] neg_lo:[0,1] neg_hi:[0,1]
	v_pk_add_f32 v[24:25], v[38:39], v[24:25]
	v_mov_b32_e32 v50, v51
	v_mov_b32_e32 v38, v25
	v_pk_add_f32 v[64:65], v[38:39], v[36:37] neg_lo:[0,1] neg_hi:[0,1]
	v_mov_b32_e32 v24, v53
	v_mov_b32_e32 v35, v64
	v_pk_add_f32 v[66:67], v[52:53], v[34:35] neg_lo:[0,1] neg_hi:[0,1]
	v_mov_b32_e32 v52, v37
	v_mov_b32_e32 v53, v64
	;; [unrolled: 1-line block ×3, first 2 shown]
	v_pk_add_f32 v[24:25], v[24:25], v[52:53] neg_lo:[0,1] neg_hi:[0,1]
	v_mov_b32_e32 v51, v36
	v_pk_add_f32 v[24:25], v[50:51], v[24:25] neg_lo:[0,1] neg_hi:[0,1]
	v_mov_b32_e32 v66, v54
	v_pk_add_f32 v[36:37], v[66:67], v[24:25]
	s_mov_b32 s13, 0x33800000
	v_mov_b32_e32 v50, v37
	v_pk_add_f32 v[50:51], v[36:37], v[50:51]
	v_cmp_lt_f32_e64 s[14:15], |v49|, s13
	v_pk_add_f32 v[38:39], v[38:39], v[50:51]
	v_mov_b32_e32 v25, v50
	v_mov_b32_e32 v37, v38
	v_pk_add_f32 v[52:53], v[36:37], v[54:55] neg_lo:[0,1] neg_hi:[0,1]
	s_or_b64 s[8:9], s[8:9], s[14:15]
	v_sub_f32_e32 v35, v36, v52
	v_pk_add_f32 v[24:25], v[24:25], v[52:53] neg_lo:[0,1] neg_hi:[0,1]
	v_sub_f32_e32 v35, v54, v35
	v_add_f32_e32 v24, v24, v35
	v_add_f32_e32 v24, v24, v25
	;; [unrolled: 1-line block ×3, first 2 shown]
	v_cndmask_b32_e64 v24, v24, v49, s[8:9]
	v_add_f32_e32 v7, v7, v24
	v_cvt_f16_f32_e32 v35, v7
	v_cvt_f32_f16_e32 v36, v35
.LBB360_274:
	s_or_b64 exec, exec, s[10:11]
	v_cvt_f32_f16_e32 v7, v26
	v_max_f32_e32 v24, v36, v36
	v_cmp_u_f16_e64 s[10:11], v35, v35
	v_cmp_u_f16_e64 s[8:9], v26, v26
	v_min_f32_e32 v25, v24, v7
	v_max_f32_e32 v24, v24, v7
	v_cndmask_b32_e64 v25, v25, v36, s[10:11]
	v_cndmask_b32_e64 v24, v24, v36, s[10:11]
	;; [unrolled: 1-line block ×4, first 2 shown]
	v_cmp_neq_f32_e64 s[10:11], v25, v24
	v_cmp_class_f32_e64 s[12:13], v25, s12
	s_or_b64 s[10:11], s[10:11], s[12:13]
	s_and_saveexec_b64 s[12:13], s[10:11]
	s_cbranch_execz .LBB360_276
; %bb.275:
	v_sub_f32_e32 v25, v25, v24
	s_mov_b32 s10, 0x3fb8aa3b
	v_mul_f32_e32 v35, 0x3fb8aa3b, v25
	v_fma_f32 v36, v25, s10, -v35
	v_rndne_f32_e32 v37, v35
	v_fmamk_f32 v36, v25, 0x32a5705f, v36
	v_sub_f32_e32 v35, v35, v37
	v_add_f32_e32 v35, v35, v36
	v_exp_f32_e32 v35, v35
	v_cvt_i32_f32_e32 v36, v37
	s_mov_b32 s10, 0xc2ce8ed0
	v_cmp_ngt_f32_e64 s[10:11], s10, v25
	s_mov_b32 s14, 0x7f800000
	v_ldexp_f32 v35, v35, v36
	v_cndmask_b32_e64 v35, 0, v35, s[10:11]
	s_mov_b32 s10, 0x42b17218
	v_mov_b32_e32 v36, 0x7f800000
	v_cmp_nlt_f32_e64 s[10:11], s10, v25
	s_nop 1
	v_cndmask_b32_e64 v35, v36, v35, s[10:11]
	v_add_f32_e32 v25, 1.0, v35
	v_add_f32_e32 v36, -1.0, v25
	v_sub_f32_e32 v37, v36, v25
	v_add_f32_e32 v37, 1.0, v37
	v_sub_f32_e32 v36, v35, v36
	v_add_f32_e32 v38, v36, v37
	v_frexp_mant_f32_e32 v39, v25
	s_mov_b32 s10, 0x3f2aaaab
	v_cvt_f64_f32_e32 v[36:37], v25
	v_frexp_exp_i32_f64_e32 v36, v[36:37]
	v_cmp_gt_f32_e64 s[10:11], s10, v39
	s_nop 1
	v_subbrev_co_u32_e64 v49, s[10:11], 0, v36, s[10:11]
	v_sub_u32_e32 v36, 0, v49
	v_ldexp_f32 v25, v25, v36
	v_ldexp_f32 v36, v38, v36
	v_add_f32_e32 v38, -1.0, v25
	v_add_f32_e32 v37, 1.0, v38
	v_sub_f32_e32 v37, v25, v37
	v_add_f32_e32 v39, v36, v37
	v_add_f32_e32 v37, 1.0, v25
	v_add_f32_e32 v50, -1.0, v37
	v_sub_f32_e32 v25, v25, v50
	v_add_f32_e32 v25, v36, v25
	v_add_f32_e32 v54, v37, v25
	v_rcp_f32_e32 v55, v54
	v_sub_f32_e32 v36, v37, v54
	v_add_f32_e32 v37, v38, v39
	v_add_f32_e32 v25, v25, v36
	v_mul_f32_e32 v65, v37, v55
	v_sub_f32_e32 v36, v38, v37
	v_mul_f32_e32 v38, v54, v65
	v_fma_f32 v50, v65, v54, -v38
	v_fmac_f32_e32 v50, v65, v25
	v_add_f32_e32 v64, v39, v36
	v_add_f32_e32 v36, v38, v50
	v_sub_f32_e32 v39, v37, v36
	v_pk_add_f32 v[52:53], v[36:37], v[38:39] neg_lo:[0,1] neg_hi:[0,1]
	v_mov_b32_e32 v51, v36
	v_pk_add_f32 v[36:37], v[52:53], v[50:51] neg_lo:[0,1] neg_hi:[0,1]
	s_mov_b32 s10, 0x3f317218
	v_add_f32_e32 v37, v64, v37
	v_add_f32_e32 v36, v36, v37
	;; [unrolled: 1-line block ×3, first 2 shown]
	v_mul_f32_e32 v64, v55, v37
	v_mul_f32_e32 v38, v54, v64
	v_fma_f32 v50, v64, v54, -v38
	v_fmac_f32_e32 v50, v64, v25
	v_sub_f32_e32 v25, v39, v37
	v_add_f32_e32 v25, v36, v25
	v_add_f32_e32 v36, v38, v50
	v_sub_f32_e32 v39, v37, v36
	v_pk_add_f32 v[52:53], v[36:37], v[38:39] neg_lo:[0,1] neg_hi:[0,1]
	v_mov_b32_e32 v51, v36
	v_pk_add_f32 v[36:37], v[52:53], v[50:51] neg_lo:[0,1] neg_hi:[0,1]
	v_cvt_f32_i32_e32 v38, v49
	v_add_f32_e32 v25, v25, v37
	v_add_f32_e32 v25, v36, v25
	;; [unrolled: 1-line block ×4, first 2 shown]
	v_sub_f32_e32 v37, v36, v65
	v_mul_f32_e32 v25, v55, v25
	v_sub_f32_e32 v37, v64, v37
	v_add_f32_e32 v25, v37, v25
	v_add_f32_e32 v39, v36, v25
	v_mul_f32_e32 v50, v39, v39
	v_mov_b32_e32 v37, 0x3ecc95a3
	v_fmac_f32_e32 v37, 0x3e9b6dac, v50
	v_sub_f32_e32 v36, v39, v36
	v_fmaak_f32 v37, v50, v37, 0x3f2aaada
	v_sub_f32_e32 v25, v25, v36
	v_ldexp_f32 v51, v39, 1
	v_mul_f32_e32 v39, v39, v50
	v_mov_b32_e32 v36, 0x3f317218
	v_pk_mul_f32 v[36:37], v[38:39], v[36:37]
	v_ldexp_f32 v25, v25, 1
	v_fma_f32 v39, v38, s10, -v36
	v_fmamk_f32 v50, v38, 0xb102e308, v39
	v_pk_add_f32 v[38:39], v[36:37], v[50:51]
	v_mov_b32_e32 v52, v36
	v_sub_f32_e32 v49, v39, v51
	v_sub_f32_e32 v49, v37, v49
	v_add_f32_e32 v53, v25, v49
	v_pk_add_f32 v[36:37], v[38:39], v[36:37] neg_lo:[0,1] neg_hi:[0,1]
	v_pk_add_f32 v[54:55], v[38:39], v[52:53]
	v_mov_b32_e32 v51, v38
	v_mov_b32_e32 v37, v55
	v_pk_add_f32 v[64:65], v[50:51], v[36:37] neg_lo:[0,1] neg_hi:[0,1]
	v_pk_add_f32 v[36:37], v[50:51], v[36:37]
	v_mov_b32_e32 v52, v53
	v_mov_b32_e32 v50, v37
	v_pk_add_f32 v[66:67], v[50:51], v[38:39] neg_lo:[0,1] neg_hi:[0,1]
	v_mov_b32_e32 v36, v55
	v_mov_b32_e32 v25, v66
	v_pk_add_f32 v[68:69], v[54:55], v[24:25] neg_lo:[0,1] neg_hi:[0,1]
	v_mov_b32_e32 v54, v39
	v_mov_b32_e32 v55, v66
	;; [unrolled: 1-line block ×3, first 2 shown]
	v_pk_add_f32 v[36:37], v[36:37], v[54:55] neg_lo:[0,1] neg_hi:[0,1]
	v_mov_b32_e32 v53, v38
	v_pk_add_f32 v[36:37], v[52:53], v[36:37] neg_lo:[0,1] neg_hi:[0,1]
	v_mov_b32_e32 v68, v64
	v_pk_add_f32 v[38:39], v[68:69], v[36:37]
	v_cmp_eq_f32_e64 s[10:11], s14, v35
	v_mov_b32_e32 v52, v39
	v_pk_add_f32 v[52:53], v[38:39], v[52:53]
	s_mov_b32 s14, 0x33800000
	v_pk_add_f32 v[50:51], v[50:51], v[52:53]
	v_mov_b32_e32 v37, v52
	v_mov_b32_e32 v39, v50
	v_pk_add_f32 v[54:55], v[38:39], v[64:65] neg_lo:[0,1] neg_hi:[0,1]
	v_cmp_lt_f32_e64 s[14:15], |v35|, s14
	v_sub_f32_e32 v25, v38, v54
	v_pk_add_f32 v[36:37], v[36:37], v[54:55] neg_lo:[0,1] neg_hi:[0,1]
	v_sub_f32_e32 v25, v64, v25
	v_add_f32_e32 v25, v36, v25
	v_add_f32_e32 v25, v25, v37
	;; [unrolled: 1-line block ×3, first 2 shown]
	s_or_b64 s[10:11], s[10:11], s[14:15]
	v_cndmask_b32_e64 v25, v25, v35, s[10:11]
	v_add_f32_e32 v24, v24, v25
	v_cvt_f16_f32_e32 v35, v24
	v_cvt_f32_f16_e32 v36, v35
.LBB360_276:
	s_or_b64 exec, exec, s[12:13]
	v_cvt_f32_f16_sdwa v24, v26 dst_sel:DWORD dst_unused:UNUSED_PAD src0_sel:WORD_1
	v_max_f32_e32 v25, v36, v36
	v_cmp_u_f16_e64 s[12:13], v35, v35
	v_cmp_u_f16_sdwa s[10:11], v26, v26 src0_sel:WORD_1 src1_sel:WORD_1
	v_min_f32_e32 v37, v25, v24
	v_max_f32_e32 v25, v25, v24
	v_cndmask_b32_e64 v37, v37, v36, s[12:13]
	v_cndmask_b32_e64 v25, v25, v36, s[12:13]
	;; [unrolled: 1-line block ×4, first 2 shown]
	s_movk_i32 s16, 0x1f8
	v_cmp_neq_f32_e64 s[12:13], v26, v25
	v_cmp_class_f32_e64 s[14:15], v26, s16
	s_or_b64 s[12:13], s[12:13], s[14:15]
	s_and_saveexec_b64 s[14:15], s[12:13]
	s_cbranch_execz .LBB360_278
; %bb.277:
	v_sub_f32_e32 v26, v26, v25
	s_mov_b32 s12, 0x3fb8aa3b
	v_mul_f32_e32 v35, 0x3fb8aa3b, v26
	v_fma_f32 v36, v26, s12, -v35
	v_rndne_f32_e32 v37, v35
	v_fmamk_f32 v36, v26, 0x32a5705f, v36
	v_sub_f32_e32 v35, v35, v37
	v_add_f32_e32 v35, v35, v36
	v_exp_f32_e32 v35, v35
	v_cvt_i32_f32_e32 v36, v37
	s_mov_b32 s12, 0xc2ce8ed0
	v_cmp_ngt_f32_e64 s[12:13], s12, v26
	s_mov_b32 s17, 0x7f800000
	v_ldexp_f32 v35, v35, v36
	v_cndmask_b32_e64 v35, 0, v35, s[12:13]
	s_mov_b32 s12, 0x42b17218
	v_mov_b32_e32 v36, 0x7f800000
	v_cmp_nlt_f32_e64 s[12:13], s12, v26
	s_nop 1
	v_cndmask_b32_e64 v49, v36, v35, s[12:13]
	v_add_f32_e32 v26, 1.0, v49
	v_add_f32_e32 v35, -1.0, v26
	v_sub_f32_e32 v36, v35, v26
	v_add_f32_e32 v36, 1.0, v36
	v_sub_f32_e32 v35, v49, v35
	v_add_f32_e32 v35, v35, v36
	v_frexp_mant_f32_e32 v38, v26
	s_mov_b32 s12, 0x3f2aaaab
	v_cvt_f64_f32_e32 v[36:37], v26
	v_frexp_exp_i32_f64_e32 v36, v[36:37]
	v_cmp_gt_f32_e64 s[12:13], s12, v38
	s_nop 1
	v_subbrev_co_u32_e64 v54, s[12:13], 0, v36, s[12:13]
	v_sub_u32_e32 v36, 0, v54
	v_ldexp_f32 v26, v26, v36
	v_ldexp_f32 v35, v35, v36
	v_add_f32_e32 v36, -1.0, v26
	v_add_f32_e32 v37, 1.0, v36
	v_sub_f32_e32 v37, v26, v37
	v_add_f32_e32 v38, v35, v37
	v_add_f32_e32 v37, 1.0, v26
	v_add_f32_e32 v39, -1.0, v37
	v_sub_f32_e32 v26, v26, v39
	v_add_f32_e32 v26, v35, v26
	v_add_f32_e32 v35, v37, v26
	v_rcp_f32_e32 v55, v35
	v_sub_f32_e32 v37, v37, v35
	v_add_f32_e32 v26, v26, v37
	v_add_f32_e32 v37, v36, v38
	v_sub_f32_e32 v36, v36, v37
	v_mul_f32_e32 v65, v37, v55
	v_add_f32_e32 v64, v38, v36
	v_mul_f32_e32 v38, v35, v65
	v_fma_f32 v50, v65, v35, -v38
	v_fmac_f32_e32 v50, v65, v26
	v_add_f32_e32 v36, v38, v50
	v_sub_f32_e32 v39, v37, v36
	v_pk_add_f32 v[52:53], v[36:37], v[38:39] neg_lo:[0,1] neg_hi:[0,1]
	v_mov_b32_e32 v51, v36
	v_pk_add_f32 v[36:37], v[52:53], v[50:51] neg_lo:[0,1] neg_hi:[0,1]
	s_mov_b32 s12, 0x3f317218
	v_add_f32_e32 v37, v64, v37
	v_add_f32_e32 v36, v36, v37
	;; [unrolled: 1-line block ×3, first 2 shown]
	v_mul_f32_e32 v64, v55, v37
	v_mul_f32_e32 v38, v35, v64
	v_fma_f32 v50, v64, v35, -v38
	v_fmac_f32_e32 v50, v64, v26
	v_sub_f32_e32 v26, v39, v37
	v_add_f32_e32 v26, v36, v26
	v_add_f32_e32 v36, v38, v50
	v_sub_f32_e32 v39, v37, v36
	v_pk_add_f32 v[52:53], v[36:37], v[38:39] neg_lo:[0,1] neg_hi:[0,1]
	v_mov_b32_e32 v51, v36
	v_pk_add_f32 v[36:37], v[52:53], v[50:51] neg_lo:[0,1] neg_hi:[0,1]
	v_add_f32_e32 v35, v65, v64
	v_add_f32_e32 v26, v26, v37
	;; [unrolled: 1-line block ×4, first 2 shown]
	v_sub_f32_e32 v36, v35, v65
	v_mul_f32_e32 v26, v55, v26
	v_sub_f32_e32 v36, v64, v36
	v_add_f32_e32 v26, v36, v26
	v_add_f32_e32 v36, v35, v26
	v_cvt_f32_i32_e32 v38, v54
	v_mul_f32_e32 v39, v36, v36
	v_mov_b32_e32 v37, 0x3ecc95a3
	v_fmac_f32_e32 v37, 0x3e9b6dac, v39
	v_fmaak_f32 v37, v39, v37, 0x3f2aaada
	v_sub_f32_e32 v35, v36, v35
	v_ldexp_f32 v51, v36, 1
	v_mul_f32_e32 v39, v36, v39
	v_mov_b32_e32 v36, 0x3f317218
	v_pk_mul_f32 v[36:37], v[38:39], v[36:37]
	v_sub_f32_e32 v26, v26, v35
	v_fma_f32 v35, v38, s12, -v36
	v_fmamk_f32 v50, v38, 0xb102e308, v35
	v_pk_add_f32 v[38:39], v[36:37], v[50:51]
	v_ldexp_f32 v26, v26, 1
	v_sub_f32_e32 v35, v39, v51
	v_sub_f32_e32 v35, v37, v35
	v_add_f32_e32 v53, v26, v35
	v_mov_b32_e32 v52, v36
	v_pk_add_f32 v[36:37], v[38:39], v[36:37] neg_lo:[0,1] neg_hi:[0,1]
	v_pk_add_f32 v[54:55], v[38:39], v[52:53]
	v_mov_b32_e32 v51, v38
	v_mov_b32_e32 v37, v55
	v_pk_add_f32 v[64:65], v[50:51], v[36:37] neg_lo:[0,1] neg_hi:[0,1]
	v_pk_add_f32 v[36:37], v[50:51], v[36:37]
	v_cmp_eq_f32_e64 s[12:13], s17, v49
	v_mov_b32_e32 v26, v37
	v_pk_add_f32 v[50:51], v[26:27], v[38:39] neg_lo:[0,1] neg_hi:[0,1]
	v_mov_b32_e32 v36, v55
	v_mov_b32_e32 v35, v50
	v_pk_add_f32 v[66:67], v[54:55], v[34:35] neg_lo:[0,1] neg_hi:[0,1]
	v_mov_b32_e32 v54, v39
	v_mov_b32_e32 v55, v50
	;; [unrolled: 1-line block ×3, first 2 shown]
	v_pk_add_f32 v[36:37], v[36:37], v[54:55] neg_lo:[0,1] neg_hi:[0,1]
	v_mov_b32_e32 v50, v53
	v_mov_b32_e32 v51, v38
	v_pk_add_f32 v[36:37], v[50:51], v[36:37] neg_lo:[0,1] neg_hi:[0,1]
	v_mov_b32_e32 v66, v64
	v_pk_add_f32 v[38:39], v[66:67], v[36:37]
	s_mov_b32 s17, 0x33800000
	v_mov_b32_e32 v50, v39
	v_pk_add_f32 v[50:51], v[38:39], v[50:51]
	v_cmp_lt_f32_e64 s[18:19], |v49|, s17
	v_pk_add_f32 v[52:53], v[26:27], v[50:51]
	v_mov_b32_e32 v37, v50
	v_mov_b32_e32 v39, v52
	v_pk_add_f32 v[54:55], v[38:39], v[64:65] neg_lo:[0,1] neg_hi:[0,1]
	s_or_b64 s[12:13], s[12:13], s[18:19]
	v_sub_f32_e32 v26, v38, v54
	v_pk_add_f32 v[36:37], v[36:37], v[54:55] neg_lo:[0,1] neg_hi:[0,1]
	v_sub_f32_e32 v26, v64, v26
	v_add_f32_e32 v26, v36, v26
	v_add_f32_e32 v26, v26, v37
	v_add_f32_e32 v26, v52, v26
	v_cndmask_b32_e64 v26, v26, v49, s[12:13]
	v_add_f32_e32 v25, v25, v26
	v_cvt_f16_f32_e32 v35, v25
	v_cvt_f32_f16_e32 v36, v35
.LBB360_278:
	s_or_b64 exec, exec, s[14:15]
	v_cvt_f32_f16_e32 v25, v27
	v_max_f32_e32 v26, v36, v36
	v_cmp_u_f16_e64 s[14:15], v35, v35
	v_cmp_u_f16_e64 s[12:13], v27, v27
	v_min_f32_e32 v37, v26, v25
	v_max_f32_e32 v26, v26, v25
	v_cndmask_b32_e64 v37, v37, v36, s[14:15]
	v_cndmask_b32_e64 v26, v26, v36, s[14:15]
	;; [unrolled: 1-line block ×4, first 2 shown]
	v_cmp_neq_f32_e64 s[14:15], v37, v26
	v_cmp_class_f32_e64 s[16:17], v37, s16
	s_or_b64 s[14:15], s[14:15], s[16:17]
	s_and_saveexec_b64 s[16:17], s[14:15]
	s_cbranch_execz .LBB360_280
; %bb.279:
	v_sub_f32_e32 v35, v37, v26
	s_mov_b32 s14, 0x3fb8aa3b
	v_mul_f32_e32 v36, 0x3fb8aa3b, v35
	v_fma_f32 v37, v35, s14, -v36
	v_rndne_f32_e32 v38, v36
	v_fmamk_f32 v37, v35, 0x32a5705f, v37
	v_sub_f32_e32 v36, v36, v38
	v_add_f32_e32 v36, v36, v37
	v_exp_f32_e32 v36, v36
	v_cvt_i32_f32_e32 v37, v38
	s_mov_b32 s14, 0xc2ce8ed0
	v_cmp_ngt_f32_e64 s[14:15], s14, v35
	s_mov_b32 s18, 0x7f800000
	v_ldexp_f32 v36, v36, v37
	v_cndmask_b32_e64 v36, 0, v36, s[14:15]
	s_mov_b32 s14, 0x42b17218
	v_mov_b32_e32 v37, 0x7f800000
	v_cmp_nlt_f32_e64 s[14:15], s14, v35
	s_nop 1
	v_cndmask_b32_e64 v49, v37, v36, s[14:15]
	v_add_f32_e32 v35, 1.0, v49
	v_add_f32_e32 v36, -1.0, v35
	v_sub_f32_e32 v37, v36, v35
	v_add_f32_e32 v37, 1.0, v37
	v_sub_f32_e32 v36, v49, v36
	v_add_f32_e32 v38, v36, v37
	v_frexp_mant_f32_e32 v39, v35
	s_mov_b32 s14, 0x3f2aaaab
	v_cvt_f64_f32_e32 v[36:37], v35
	v_frexp_exp_i32_f64_e32 v36, v[36:37]
	v_cmp_gt_f32_e64 s[14:15], s14, v39
	s_nop 1
	v_subbrev_co_u32_e64 v54, s[14:15], 0, v36, s[14:15]
	v_sub_u32_e32 v36, 0, v54
	v_ldexp_f32 v35, v35, v36
	v_ldexp_f32 v36, v38, v36
	v_add_f32_e32 v38, -1.0, v35
	v_add_f32_e32 v37, 1.0, v38
	v_sub_f32_e32 v37, v35, v37
	v_add_f32_e32 v39, v36, v37
	v_add_f32_e32 v37, 1.0, v35
	v_add_f32_e32 v50, -1.0, v37
	v_sub_f32_e32 v35, v35, v50
	v_add_f32_e32 v35, v36, v35
	v_add_f32_e32 v55, v37, v35
	v_rcp_f32_e32 v64, v55
	v_sub_f32_e32 v36, v37, v55
	v_add_f32_e32 v37, v38, v39
	v_add_f32_e32 v35, v35, v36
	v_mul_f32_e32 v66, v37, v64
	v_sub_f32_e32 v36, v38, v37
	v_mul_f32_e32 v38, v55, v66
	v_fma_f32 v50, v66, v55, -v38
	v_fmac_f32_e32 v50, v66, v35
	v_add_f32_e32 v65, v39, v36
	v_add_f32_e32 v36, v38, v50
	v_sub_f32_e32 v39, v37, v36
	v_pk_add_f32 v[52:53], v[36:37], v[38:39] neg_lo:[0,1] neg_hi:[0,1]
	v_mov_b32_e32 v51, v36
	v_pk_add_f32 v[36:37], v[52:53], v[50:51] neg_lo:[0,1] neg_hi:[0,1]
	s_mov_b32 s14, 0x3f317218
	v_add_f32_e32 v37, v65, v37
	v_add_f32_e32 v36, v36, v37
	;; [unrolled: 1-line block ×3, first 2 shown]
	v_mul_f32_e32 v65, v64, v37
	v_mul_f32_e32 v38, v55, v65
	v_fma_f32 v50, v65, v55, -v38
	v_fmac_f32_e32 v50, v65, v35
	v_sub_f32_e32 v35, v39, v37
	v_add_f32_e32 v35, v36, v35
	v_add_f32_e32 v36, v38, v50
	v_sub_f32_e32 v39, v37, v36
	v_pk_add_f32 v[52:53], v[36:37], v[38:39] neg_lo:[0,1] neg_hi:[0,1]
	v_mov_b32_e32 v51, v36
	v_pk_add_f32 v[36:37], v[52:53], v[50:51] neg_lo:[0,1] neg_hi:[0,1]
	v_cvt_f32_i32_e32 v38, v54
	v_add_f32_e32 v35, v35, v37
	v_add_f32_e32 v35, v36, v35
	;; [unrolled: 1-line block ×4, first 2 shown]
	v_sub_f32_e32 v37, v36, v66
	v_mul_f32_e32 v35, v64, v35
	v_sub_f32_e32 v37, v65, v37
	v_add_f32_e32 v35, v37, v35
	v_add_f32_e32 v39, v36, v35
	v_mul_f32_e32 v50, v39, v39
	v_mov_b32_e32 v37, 0x3ecc95a3
	v_fmac_f32_e32 v37, 0x3e9b6dac, v50
	v_sub_f32_e32 v36, v39, v36
	v_fmaak_f32 v37, v50, v37, 0x3f2aaada
	v_sub_f32_e32 v35, v35, v36
	v_ldexp_f32 v51, v39, 1
	v_mul_f32_e32 v39, v39, v50
	v_mov_b32_e32 v36, 0x3f317218
	v_pk_mul_f32 v[36:37], v[38:39], v[36:37]
	v_ldexp_f32 v35, v35, 1
	v_fma_f32 v39, v38, s14, -v36
	v_fmamk_f32 v50, v38, 0xb102e308, v39
	v_pk_add_f32 v[38:39], v[36:37], v[50:51]
	v_mov_b32_e32 v52, v36
	v_sub_f32_e32 v51, v39, v51
	v_sub_f32_e32 v51, v37, v51
	v_add_f32_e32 v53, v35, v51
	v_pk_add_f32 v[36:37], v[38:39], v[36:37] neg_lo:[0,1] neg_hi:[0,1]
	v_pk_add_f32 v[54:55], v[38:39], v[52:53]
	v_mov_b32_e32 v51, v38
	v_mov_b32_e32 v37, v55
	v_pk_add_f32 v[64:65], v[50:51], v[36:37] neg_lo:[0,1] neg_hi:[0,1]
	v_pk_add_f32 v[36:37], v[50:51], v[36:37]
	v_mov_b32_e32 v52, v53
	v_mov_b32_e32 v50, v37
	v_pk_add_f32 v[66:67], v[50:51], v[38:39] neg_lo:[0,1] neg_hi:[0,1]
	v_mov_b32_e32 v36, v55
	v_mov_b32_e32 v35, v66
	v_pk_add_f32 v[68:69], v[54:55], v[34:35] neg_lo:[0,1] neg_hi:[0,1]
	v_mov_b32_e32 v54, v39
	v_mov_b32_e32 v55, v66
	;; [unrolled: 1-line block ×3, first 2 shown]
	v_pk_add_f32 v[36:37], v[36:37], v[54:55] neg_lo:[0,1] neg_hi:[0,1]
	v_mov_b32_e32 v53, v38
	v_pk_add_f32 v[36:37], v[52:53], v[36:37] neg_lo:[0,1] neg_hi:[0,1]
	v_mov_b32_e32 v68, v64
	v_pk_add_f32 v[38:39], v[68:69], v[36:37]
	v_cmp_eq_f32_e64 s[14:15], s18, v49
	v_mov_b32_e32 v52, v39
	v_pk_add_f32 v[52:53], v[38:39], v[52:53]
	s_mov_b32 s18, 0x33800000
	v_pk_add_f32 v[50:51], v[50:51], v[52:53]
	v_mov_b32_e32 v37, v52
	v_mov_b32_e32 v39, v50
	v_pk_add_f32 v[54:55], v[38:39], v[64:65] neg_lo:[0,1] neg_hi:[0,1]
	v_cmp_lt_f32_e64 s[18:19], |v49|, s18
	v_sub_f32_e32 v35, v38, v54
	v_pk_add_f32 v[36:37], v[36:37], v[54:55] neg_lo:[0,1] neg_hi:[0,1]
	v_sub_f32_e32 v35, v64, v35
	v_add_f32_e32 v35, v36, v35
	v_add_f32_e32 v35, v35, v37
	;; [unrolled: 1-line block ×3, first 2 shown]
	s_or_b64 s[14:15], s[14:15], s[18:19]
	v_cndmask_b32_e64 v35, v35, v49, s[14:15]
	v_add_f32_e32 v26, v26, v35
	v_cvt_f16_f32_e32 v35, v26
	v_cvt_f32_f16_e32 v36, v35
.LBB360_280:
	s_or_b64 exec, exec, s[16:17]
	v_cvt_f32_f16_sdwa v26, v27 dst_sel:DWORD dst_unused:UNUSED_PAD src0_sel:WORD_1
	v_max_f32_e32 v38, v36, v36
	v_cmp_u_f16_e64 s[16:17], v35, v35
	v_cmp_u_f16_sdwa s[14:15], v27, v27 src0_sel:WORD_1 src1_sel:WORD_1
	v_min_f32_e32 v37, v38, v26
	v_max_f32_e32 v27, v38, v26
	v_cndmask_b32_e64 v37, v37, v36, s[16:17]
	v_cndmask_b32_e64 v27, v27, v36, s[16:17]
	;; [unrolled: 1-line block ×4, first 2 shown]
	s_movk_i32 s20, 0x1f8
	v_cmp_neq_f32_e64 s[16:17], v37, v27
	v_cmp_class_f32_e64 s[18:19], v37, s20
	s_or_b64 s[16:17], s[16:17], s[18:19]
	s_and_saveexec_b64 s[18:19], s[16:17]
	s_cbranch_execz .LBB360_282
; %bb.281:
	v_sub_f32_e32 v35, v37, v27
	s_mov_b32 s16, 0x3fb8aa3b
	v_mul_f32_e32 v36, 0x3fb8aa3b, v35
	v_fma_f32 v37, v35, s16, -v36
	v_rndne_f32_e32 v38, v36
	v_fmamk_f32 v37, v35, 0x32a5705f, v37
	v_sub_f32_e32 v36, v36, v38
	v_add_f32_e32 v36, v36, v37
	v_exp_f32_e32 v36, v36
	v_cvt_i32_f32_e32 v37, v38
	s_mov_b32 s16, 0xc2ce8ed0
	v_cmp_ngt_f32_e64 s[16:17], s16, v35
	s_mov_b32 s21, 0x7f800000
	v_ldexp_f32 v36, v36, v37
	v_cndmask_b32_e64 v36, 0, v36, s[16:17]
	s_mov_b32 s16, 0x42b17218
	v_mov_b32_e32 v37, 0x7f800000
	v_cmp_nlt_f32_e64 s[16:17], s16, v35
	s_nop 1
	v_cndmask_b32_e64 v49, v37, v36, s[16:17]
	v_add_f32_e32 v35, 1.0, v49
	v_add_f32_e32 v36, -1.0, v35
	v_sub_f32_e32 v37, v36, v35
	v_add_f32_e32 v37, 1.0, v37
	v_sub_f32_e32 v36, v49, v36
	v_add_f32_e32 v38, v36, v37
	v_frexp_mant_f32_e32 v39, v35
	s_mov_b32 s16, 0x3f2aaaab
	v_cvt_f64_f32_e32 v[36:37], v35
	v_frexp_exp_i32_f64_e32 v36, v[36:37]
	v_cmp_gt_f32_e64 s[16:17], s16, v39
	s_nop 1
	v_subbrev_co_u32_e64 v54, s[16:17], 0, v36, s[16:17]
	v_sub_u32_e32 v36, 0, v54
	v_ldexp_f32 v35, v35, v36
	v_ldexp_f32 v36, v38, v36
	v_add_f32_e32 v38, -1.0, v35
	v_add_f32_e32 v37, 1.0, v38
	v_sub_f32_e32 v37, v35, v37
	v_add_f32_e32 v39, v36, v37
	v_add_f32_e32 v37, 1.0, v35
	v_add_f32_e32 v50, -1.0, v37
	v_sub_f32_e32 v35, v35, v50
	v_add_f32_e32 v35, v36, v35
	v_add_f32_e32 v55, v37, v35
	v_rcp_f32_e32 v64, v55
	v_sub_f32_e32 v36, v37, v55
	v_add_f32_e32 v37, v38, v39
	v_add_f32_e32 v35, v35, v36
	v_mul_f32_e32 v66, v37, v64
	v_sub_f32_e32 v36, v38, v37
	v_mul_f32_e32 v38, v55, v66
	v_fma_f32 v50, v66, v55, -v38
	v_fmac_f32_e32 v50, v66, v35
	v_add_f32_e32 v65, v39, v36
	v_add_f32_e32 v36, v38, v50
	v_sub_f32_e32 v39, v37, v36
	v_pk_add_f32 v[52:53], v[36:37], v[38:39] neg_lo:[0,1] neg_hi:[0,1]
	v_mov_b32_e32 v51, v36
	v_pk_add_f32 v[36:37], v[52:53], v[50:51] neg_lo:[0,1] neg_hi:[0,1]
	s_mov_b32 s16, 0x3f317218
	v_add_f32_e32 v37, v65, v37
	v_add_f32_e32 v36, v36, v37
	v_add_f32_e32 v37, v39, v36
	v_mul_f32_e32 v65, v64, v37
	v_mul_f32_e32 v38, v55, v65
	v_fma_f32 v50, v65, v55, -v38
	v_fmac_f32_e32 v50, v65, v35
	v_sub_f32_e32 v35, v39, v37
	v_add_f32_e32 v35, v36, v35
	v_add_f32_e32 v36, v38, v50
	v_sub_f32_e32 v39, v37, v36
	v_pk_add_f32 v[52:53], v[36:37], v[38:39] neg_lo:[0,1] neg_hi:[0,1]
	v_mov_b32_e32 v51, v36
	v_pk_add_f32 v[36:37], v[52:53], v[50:51] neg_lo:[0,1] neg_hi:[0,1]
	v_cvt_f32_i32_e32 v38, v54
	v_add_f32_e32 v35, v35, v37
	v_add_f32_e32 v35, v36, v35
	v_add_f32_e32 v36, v66, v65
	v_add_f32_e32 v35, v39, v35
	v_sub_f32_e32 v37, v36, v66
	v_mul_f32_e32 v35, v64, v35
	v_sub_f32_e32 v37, v65, v37
	v_add_f32_e32 v35, v37, v35
	v_add_f32_e32 v39, v36, v35
	v_mul_f32_e32 v50, v39, v39
	v_mov_b32_e32 v37, 0x3ecc95a3
	v_fmac_f32_e32 v37, 0x3e9b6dac, v50
	v_sub_f32_e32 v36, v39, v36
	v_fmaak_f32 v37, v50, v37, 0x3f2aaada
	v_sub_f32_e32 v35, v35, v36
	v_ldexp_f32 v51, v39, 1
	v_mul_f32_e32 v39, v39, v50
	v_mov_b32_e32 v36, 0x3f317218
	v_pk_mul_f32 v[36:37], v[38:39], v[36:37]
	v_ldexp_f32 v35, v35, 1
	v_fma_f32 v39, v38, s16, -v36
	v_fmamk_f32 v50, v38, 0xb102e308, v39
	v_pk_add_f32 v[38:39], v[36:37], v[50:51]
	v_mov_b32_e32 v52, v36
	v_sub_f32_e32 v51, v39, v51
	v_sub_f32_e32 v51, v37, v51
	v_add_f32_e32 v53, v35, v51
	v_pk_add_f32 v[36:37], v[38:39], v[36:37] neg_lo:[0,1] neg_hi:[0,1]
	v_pk_add_f32 v[54:55], v[38:39], v[52:53]
	v_mov_b32_e32 v51, v38
	v_mov_b32_e32 v37, v55
	v_pk_add_f32 v[64:65], v[50:51], v[36:37] neg_lo:[0,1] neg_hi:[0,1]
	v_pk_add_f32 v[36:37], v[50:51], v[36:37]
	v_mov_b32_e32 v52, v53
	v_mov_b32_e32 v50, v37
	v_pk_add_f32 v[66:67], v[50:51], v[38:39] neg_lo:[0,1] neg_hi:[0,1]
	v_mov_b32_e32 v36, v55
	v_mov_b32_e32 v35, v66
	v_pk_add_f32 v[68:69], v[54:55], v[34:35] neg_lo:[0,1] neg_hi:[0,1]
	v_mov_b32_e32 v54, v39
	v_mov_b32_e32 v55, v66
	;; [unrolled: 1-line block ×3, first 2 shown]
	v_pk_add_f32 v[36:37], v[36:37], v[54:55] neg_lo:[0,1] neg_hi:[0,1]
	v_mov_b32_e32 v53, v38
	v_pk_add_f32 v[36:37], v[52:53], v[36:37] neg_lo:[0,1] neg_hi:[0,1]
	v_mov_b32_e32 v68, v64
	v_pk_add_f32 v[38:39], v[68:69], v[36:37]
	v_cmp_eq_f32_e64 s[16:17], s21, v49
	v_mov_b32_e32 v52, v39
	v_pk_add_f32 v[52:53], v[38:39], v[52:53]
	s_mov_b32 s21, 0x33800000
	v_pk_add_f32 v[50:51], v[50:51], v[52:53]
	v_mov_b32_e32 v37, v52
	v_mov_b32_e32 v39, v50
	v_pk_add_f32 v[54:55], v[38:39], v[64:65] neg_lo:[0,1] neg_hi:[0,1]
	v_cmp_lt_f32_e64 s[22:23], |v49|, s21
	v_sub_f32_e32 v35, v38, v54
	v_pk_add_f32 v[36:37], v[36:37], v[54:55] neg_lo:[0,1] neg_hi:[0,1]
	v_sub_f32_e32 v35, v64, v35
	v_add_f32_e32 v35, v36, v35
	v_add_f32_e32 v35, v35, v37
	;; [unrolled: 1-line block ×3, first 2 shown]
	s_or_b64 s[16:17], s[16:17], s[22:23]
	v_cndmask_b32_e64 v35, v35, v49, s[16:17]
	v_add_f32_e32 v27, v27, v35
	v_cvt_f16_f32_e32 v35, v27
	v_cvt_f32_f16_e32 v36, v35
.LBB360_282:
	s_or_b64 exec, exec, s[18:19]
	v_cvt_f32_f16_e32 v27, v20
	v_max_f32_e32 v37, v36, v36
	v_cmp_u_f16_e64 s[18:19], v35, v35
	v_cmp_u_f16_e64 s[16:17], v20, v20
	v_min_f32_e32 v38, v37, v27
	v_max_f32_e32 v37, v37, v27
	v_cndmask_b32_e64 v38, v38, v36, s[18:19]
	v_cndmask_b32_e64 v37, v37, v36, s[18:19]
	;; [unrolled: 1-line block ×4, first 2 shown]
	v_cmp_neq_f32_e64 s[18:19], v38, v37
	v_cmp_class_f32_e64 s[20:21], v38, s20
	s_or_b64 s[18:19], s[18:19], s[20:21]
	s_and_saveexec_b64 s[20:21], s[18:19]
	s_cbranch_execz .LBB360_284
; %bb.283:
	v_sub_f32_e32 v35, v38, v37
	s_mov_b32 s18, 0x3fb8aa3b
	v_mul_f32_e32 v36, 0x3fb8aa3b, v35
	v_fma_f32 v38, v35, s18, -v36
	v_rndne_f32_e32 v39, v36
	v_fmamk_f32 v38, v35, 0x32a5705f, v38
	v_sub_f32_e32 v36, v36, v39
	v_add_f32_e32 v36, v36, v38
	v_exp_f32_e32 v36, v36
	v_cvt_i32_f32_e32 v38, v39
	s_mov_b32 s18, 0xc2ce8ed0
	v_cmp_ngt_f32_e64 s[18:19], s18, v35
	s_mov_b32 s22, 0x7f800000
	v_ldexp_f32 v36, v36, v38
	v_cndmask_b32_e64 v36, 0, v36, s[18:19]
	s_mov_b32 s18, 0x42b17218
	v_mov_b32_e32 v38, 0x7f800000
	v_cmp_nlt_f32_e64 s[18:19], s18, v35
	s_nop 1
	v_cndmask_b32_e64 v49, v38, v36, s[18:19]
	v_add_f32_e32 v35, 1.0, v49
	v_add_f32_e32 v36, -1.0, v35
	v_sub_f32_e32 v38, v36, v35
	v_add_f32_e32 v38, 1.0, v38
	v_sub_f32_e32 v36, v49, v36
	v_add_f32_e32 v36, v36, v38
	v_frexp_mant_f32_e32 v50, v35
	s_mov_b32 s18, 0x3f2aaaab
	v_cvt_f64_f32_e32 v[38:39], v35
	v_frexp_exp_i32_f64_e32 v38, v[38:39]
	v_cmp_gt_f32_e64 s[18:19], s18, v50
	s_nop 1
	v_subbrev_co_u32_e64 v64, s[18:19], 0, v38, s[18:19]
	v_sub_u32_e32 v38, 0, v64
	v_ldexp_f32 v35, v35, v38
	v_ldexp_f32 v36, v36, v38
	v_add_f32_e32 v38, -1.0, v35
	v_add_f32_e32 v39, 1.0, v38
	v_sub_f32_e32 v39, v35, v39
	v_add_f32_e32 v50, v36, v39
	v_add_f32_e32 v39, 1.0, v35
	v_add_f32_e32 v51, -1.0, v39
	v_sub_f32_e32 v35, v35, v51
	v_add_f32_e32 v35, v36, v35
	v_add_f32_e32 v36, v39, v35
	v_rcp_f32_e32 v65, v36
	v_sub_f32_e32 v39, v39, v36
	v_add_f32_e32 v35, v35, v39
	v_add_f32_e32 v39, v38, v50
	v_sub_f32_e32 v38, v38, v39
	v_mul_f32_e32 v67, v39, v65
	v_add_f32_e32 v66, v50, v38
	v_mul_f32_e32 v50, v36, v67
	v_fma_f32 v52, v67, v36, -v50
	v_fmac_f32_e32 v52, v67, v35
	v_add_f32_e32 v38, v50, v52
	v_sub_f32_e32 v51, v39, v38
	v_pk_add_f32 v[54:55], v[38:39], v[50:51] neg_lo:[0,1] neg_hi:[0,1]
	v_mov_b32_e32 v53, v38
	v_pk_add_f32 v[38:39], v[54:55], v[52:53] neg_lo:[0,1] neg_hi:[0,1]
	s_mov_b32 s18, 0x3f317218
	v_add_f32_e32 v39, v66, v39
	v_add_f32_e32 v38, v38, v39
	;; [unrolled: 1-line block ×3, first 2 shown]
	v_mul_f32_e32 v66, v65, v39
	v_mul_f32_e32 v50, v36, v66
	v_fma_f32 v52, v66, v36, -v50
	v_fmac_f32_e32 v52, v66, v35
	v_sub_f32_e32 v35, v51, v39
	v_add_f32_e32 v35, v38, v35
	v_add_f32_e32 v38, v50, v52
	v_sub_f32_e32 v51, v39, v38
	v_pk_add_f32 v[54:55], v[38:39], v[50:51] neg_lo:[0,1] neg_hi:[0,1]
	v_mov_b32_e32 v53, v38
	v_pk_add_f32 v[38:39], v[54:55], v[52:53] neg_lo:[0,1] neg_hi:[0,1]
	v_add_f32_e32 v36, v67, v66
	v_add_f32_e32 v35, v35, v39
	;; [unrolled: 1-line block ×4, first 2 shown]
	v_sub_f32_e32 v38, v36, v67
	v_mul_f32_e32 v35, v65, v35
	v_sub_f32_e32 v38, v66, v38
	v_add_f32_e32 v35, v38, v35
	v_add_f32_e32 v38, v36, v35
	v_cvt_f32_i32_e32 v50, v64
	v_mul_f32_e32 v51, v38, v38
	v_mov_b32_e32 v39, 0x3ecc95a3
	v_fmac_f32_e32 v39, 0x3e9b6dac, v51
	v_fmaak_f32 v39, v51, v39, 0x3f2aaada
	v_sub_f32_e32 v36, v38, v36
	v_ldexp_f32 v53, v38, 1
	v_mul_f32_e32 v51, v38, v51
	v_mov_b32_e32 v38, 0x3f317218
	v_pk_mul_f32 v[38:39], v[50:51], v[38:39]
	v_sub_f32_e32 v35, v35, v36
	v_fma_f32 v36, v50, s18, -v38
	v_fmamk_f32 v52, v50, 0xb102e308, v36
	v_pk_add_f32 v[50:51], v[38:39], v[52:53]
	v_ldexp_f32 v35, v35, 1
	v_sub_f32_e32 v36, v51, v53
	v_sub_f32_e32 v36, v39, v36
	v_add_f32_e32 v55, v35, v36
	v_mov_b32_e32 v54, v38
	v_pk_add_f32 v[38:39], v[50:51], v[38:39] neg_lo:[0,1] neg_hi:[0,1]
	v_pk_add_f32 v[64:65], v[50:51], v[54:55]
	v_mov_b32_e32 v53, v50
	v_mov_b32_e32 v39, v65
	v_pk_add_f32 v[66:67], v[52:53], v[38:39] neg_lo:[0,1] neg_hi:[0,1]
	v_pk_add_f32 v[38:39], v[52:53], v[38:39]
	v_cmp_eq_f32_e64 s[18:19], s22, v49
	v_mov_b32_e32 v36, v39
	v_pk_add_f32 v[52:53], v[36:37], v[50:51] neg_lo:[0,1] neg_hi:[0,1]
	v_mov_b32_e32 v38, v65
	v_mov_b32_e32 v35, v52
	v_pk_add_f32 v[68:69], v[64:65], v[34:35] neg_lo:[0,1] neg_hi:[0,1]
	v_mov_b32_e32 v64, v51
	v_mov_b32_e32 v65, v52
	;; [unrolled: 1-line block ×3, first 2 shown]
	v_pk_add_f32 v[38:39], v[38:39], v[64:65] neg_lo:[0,1] neg_hi:[0,1]
	v_mov_b32_e32 v52, v55
	v_mov_b32_e32 v53, v50
	v_pk_add_f32 v[38:39], v[52:53], v[38:39] neg_lo:[0,1] neg_hi:[0,1]
	v_mov_b32_e32 v68, v66
	v_pk_add_f32 v[50:51], v[68:69], v[38:39]
	s_mov_b32 s22, 0x33800000
	v_mov_b32_e32 v52, v51
	v_pk_add_f32 v[52:53], v[50:51], v[52:53]
	v_cmp_lt_f32_e64 s[22:23], |v49|, s22
	v_pk_add_f32 v[54:55], v[36:37], v[52:53]
	v_mov_b32_e32 v39, v52
	v_mov_b32_e32 v51, v54
	v_pk_add_f32 v[64:65], v[50:51], v[66:67] neg_lo:[0,1] neg_hi:[0,1]
	s_or_b64 s[18:19], s[18:19], s[22:23]
	v_sub_f32_e32 v35, v50, v64
	v_pk_add_f32 v[38:39], v[38:39], v[64:65] neg_lo:[0,1] neg_hi:[0,1]
	v_sub_f32_e32 v35, v66, v35
	v_add_f32_e32 v35, v38, v35
	v_add_f32_e32 v35, v35, v39
	;; [unrolled: 1-line block ×3, first 2 shown]
	v_cndmask_b32_e64 v35, v35, v49, s[18:19]
	v_add_f32_e32 v35, v37, v35
	v_cvt_f16_f32_e32 v35, v35
	v_cvt_f32_f16_e32 v36, v35
.LBB360_284:
	s_or_b64 exec, exec, s[20:21]
	v_cvt_f32_f16_sdwa v39, v20 dst_sel:DWORD dst_unused:UNUSED_PAD src0_sel:WORD_1
	v_max_f32_e32 v38, v36, v36
	v_cmp_u_f16_e64 s[20:21], v35, v35
	v_cmp_u_f16_sdwa s[18:19], v20, v20 src0_sel:WORD_1 src1_sel:WORD_1
	v_min_f32_e32 v37, v38, v39
	v_max_f32_e32 v20, v38, v39
	v_cndmask_b32_e64 v37, v37, v36, s[20:21]
	v_cndmask_b32_e64 v20, v20, v36, s[20:21]
	;; [unrolled: 1-line block ×4, first 2 shown]
	s_movk_i32 s24, 0x1f8
	v_cmp_neq_f32_e64 s[20:21], v37, v20
	v_cmp_class_f32_e64 s[22:23], v37, s24
	s_or_b64 s[20:21], s[20:21], s[22:23]
	s_and_saveexec_b64 s[22:23], s[20:21]
	s_cbranch_execz .LBB360_286
; %bb.285:
	v_sub_f32_e32 v35, v37, v20
	s_mov_b32 s20, 0x3fb8aa3b
	v_mul_f32_e32 v36, 0x3fb8aa3b, v35
	v_fma_f32 v37, v35, s20, -v36
	v_rndne_f32_e32 v38, v36
	v_fmamk_f32 v37, v35, 0x32a5705f, v37
	v_sub_f32_e32 v36, v36, v38
	v_add_f32_e32 v36, v36, v37
	v_exp_f32_e32 v36, v36
	v_cvt_i32_f32_e32 v37, v38
	s_mov_b32 s20, 0xc2ce8ed0
	v_cmp_ngt_f32_e64 s[20:21], s20, v35
	s_mov_b32 s25, 0x7f800000
	v_ldexp_f32 v36, v36, v37
	v_cndmask_b32_e64 v36, 0, v36, s[20:21]
	s_mov_b32 s20, 0x42b17218
	v_mov_b32_e32 v37, 0x7f800000
	v_cmp_nlt_f32_e64 s[20:21], s20, v35
	s_nop 1
	v_cndmask_b32_e64 v49, v37, v36, s[20:21]
	v_add_f32_e32 v35, 1.0, v49
	v_add_f32_e32 v36, -1.0, v35
	v_sub_f32_e32 v37, v36, v35
	v_add_f32_e32 v37, 1.0, v37
	v_sub_f32_e32 v36, v49, v36
	v_add_f32_e32 v38, v36, v37
	v_frexp_mant_f32_e32 v50, v35
	s_mov_b32 s20, 0x3f2aaaab
	v_cvt_f64_f32_e32 v[36:37], v35
	v_frexp_exp_i32_f64_e32 v36, v[36:37]
	v_cmp_gt_f32_e64 s[20:21], s20, v50
	s_nop 1
	v_subbrev_co_u32_e64 v64, s[20:21], 0, v36, s[20:21]
	v_sub_u32_e32 v36, 0, v64
	v_ldexp_f32 v35, v35, v36
	v_ldexp_f32 v36, v38, v36
	v_add_f32_e32 v38, -1.0, v35
	v_add_f32_e32 v37, 1.0, v38
	v_sub_f32_e32 v37, v35, v37
	v_add_f32_e32 v50, v36, v37
	v_add_f32_e32 v37, 1.0, v35
	v_add_f32_e32 v51, -1.0, v37
	v_sub_f32_e32 v35, v35, v51
	v_add_f32_e32 v35, v36, v35
	v_add_f32_e32 v65, v37, v35
	v_rcp_f32_e32 v66, v65
	v_sub_f32_e32 v36, v37, v65
	v_add_f32_e32 v37, v38, v50
	v_add_f32_e32 v35, v35, v36
	v_sub_f32_e32 v36, v38, v37
	v_mul_f32_e32 v67, v37, v66
	v_add_f32_e32 v38, v50, v36
	v_mul_f32_e32 v50, v65, v67
	v_fma_f32 v52, v67, v65, -v50
	v_fmac_f32_e32 v52, v67, v35
	v_add_f32_e32 v36, v50, v52
	v_sub_f32_e32 v51, v37, v36
	v_pk_add_f32 v[54:55], v[36:37], v[50:51] neg_lo:[0,1] neg_hi:[0,1]
	v_mov_b32_e32 v53, v36
	v_pk_add_f32 v[36:37], v[54:55], v[52:53] neg_lo:[0,1] neg_hi:[0,1]
	s_mov_b32 s20, 0x3f317218
	v_add_f32_e32 v37, v38, v37
	v_add_f32_e32 v36, v36, v37
	;; [unrolled: 1-line block ×3, first 2 shown]
	v_mul_f32_e32 v38, v66, v37
	v_mul_f32_e32 v50, v65, v38
	v_fma_f32 v52, v38, v65, -v50
	v_fmac_f32_e32 v52, v38, v35
	v_sub_f32_e32 v35, v51, v37
	v_add_f32_e32 v35, v36, v35
	v_add_f32_e32 v36, v50, v52
	v_sub_f32_e32 v51, v37, v36
	v_pk_add_f32 v[54:55], v[36:37], v[50:51] neg_lo:[0,1] neg_hi:[0,1]
	v_mov_b32_e32 v53, v36
	v_pk_add_f32 v[36:37], v[54:55], v[52:53] neg_lo:[0,1] neg_hi:[0,1]
	v_cvt_f32_i32_e32 v50, v64
	v_add_f32_e32 v35, v35, v37
	v_add_f32_e32 v35, v36, v35
	;; [unrolled: 1-line block ×4, first 2 shown]
	v_sub_f32_e32 v37, v36, v67
	v_mul_f32_e32 v35, v66, v35
	v_sub_f32_e32 v37, v38, v37
	v_add_f32_e32 v35, v37, v35
	v_add_f32_e32 v38, v36, v35
	v_mul_f32_e32 v51, v38, v38
	v_mov_b32_e32 v37, 0x3ecc95a3
	v_fmac_f32_e32 v37, 0x3e9b6dac, v51
	v_sub_f32_e32 v36, v38, v36
	v_fmaak_f32 v37, v51, v37, 0x3f2aaada
	v_sub_f32_e32 v35, v35, v36
	v_mul_f32_e32 v51, v38, v51
	v_mov_b32_e32 v36, 0x3f317218
	v_pk_mul_f32 v[36:37], v[50:51], v[36:37]
	v_ldexp_f32 v53, v38, 1
	v_fma_f32 v38, v50, s20, -v36
	v_fmamk_f32 v52, v50, 0xb102e308, v38
	v_pk_add_f32 v[50:51], v[36:37], v[52:53]
	v_ldexp_f32 v35, v35, 1
	v_sub_f32_e32 v38, v51, v53
	v_sub_f32_e32 v38, v37, v38
	v_add_f32_e32 v55, v35, v38
	v_mov_b32_e32 v54, v36
	v_pk_add_f32 v[36:37], v[50:51], v[36:37] neg_lo:[0,1] neg_hi:[0,1]
	v_pk_add_f32 v[64:65], v[50:51], v[54:55]
	v_mov_b32_e32 v53, v50
	v_mov_b32_e32 v37, v65
	v_pk_add_f32 v[66:67], v[52:53], v[36:37] neg_lo:[0,1] neg_hi:[0,1]
	v_pk_add_f32 v[36:37], v[52:53], v[36:37]
	v_cmp_eq_f32_e64 s[20:21], s25, v49
	v_mov_b32_e32 v38, v37
	v_pk_add_f32 v[52:53], v[38:39], v[50:51] neg_lo:[0,1] neg_hi:[0,1]
	v_mov_b32_e32 v36, v65
	v_mov_b32_e32 v35, v52
	v_pk_add_f32 v[68:69], v[64:65], v[34:35] neg_lo:[0,1] neg_hi:[0,1]
	v_mov_b32_e32 v64, v51
	v_mov_b32_e32 v65, v52
	;; [unrolled: 1-line block ×3, first 2 shown]
	v_pk_add_f32 v[36:37], v[36:37], v[64:65] neg_lo:[0,1] neg_hi:[0,1]
	v_mov_b32_e32 v52, v55
	v_mov_b32_e32 v53, v50
	v_pk_add_f32 v[36:37], v[52:53], v[36:37] neg_lo:[0,1] neg_hi:[0,1]
	v_mov_b32_e32 v68, v66
	v_pk_add_f32 v[50:51], v[68:69], v[36:37]
	s_mov_b32 s25, 0x33800000
	v_mov_b32_e32 v52, v51
	v_pk_add_f32 v[52:53], v[50:51], v[52:53]
	v_cmp_lt_f32_e64 s[26:27], |v49|, s25
	v_pk_add_f32 v[54:55], v[38:39], v[52:53]
	v_mov_b32_e32 v37, v52
	v_mov_b32_e32 v51, v54
	v_pk_add_f32 v[64:65], v[50:51], v[66:67] neg_lo:[0,1] neg_hi:[0,1]
	s_or_b64 s[20:21], s[20:21], s[26:27]
	v_sub_f32_e32 v35, v50, v64
	v_pk_add_f32 v[36:37], v[36:37], v[64:65] neg_lo:[0,1] neg_hi:[0,1]
	v_sub_f32_e32 v35, v66, v35
	v_add_f32_e32 v35, v36, v35
	v_add_f32_e32 v35, v35, v37
	;; [unrolled: 1-line block ×3, first 2 shown]
	v_cndmask_b32_e64 v35, v35, v49, s[20:21]
	v_add_f32_e32 v20, v20, v35
	v_cvt_f16_f32_e32 v35, v20
	v_cvt_f32_f16_e32 v36, v35
.LBB360_286:
	s_or_b64 exec, exec, s[22:23]
	v_cvt_f32_f16_e32 v20, v21
	v_max_f32_e32 v37, v36, v36
	v_cmp_u_f16_e64 s[22:23], v35, v35
	v_cmp_u_f16_e64 s[20:21], v21, v21
	v_min_f32_e32 v38, v37, v20
	v_max_f32_e32 v37, v37, v20
	v_cndmask_b32_e64 v38, v38, v36, s[22:23]
	v_cndmask_b32_e64 v37, v37, v36, s[22:23]
	v_cndmask_b32_e64 v38, v38, v20, s[20:21]
	v_cndmask_b32_e64 v37, v37, v20, s[20:21]
	v_cmp_neq_f32_e64 s[22:23], v38, v37
	v_cmp_class_f32_e64 s[24:25], v38, s24
	s_or_b64 s[22:23], s[22:23], s[24:25]
	s_and_saveexec_b64 s[24:25], s[22:23]
	s_cbranch_execz .LBB360_288
; %bb.287:
	v_sub_f32_e32 v35, v38, v37
	s_mov_b32 s22, 0x3fb8aa3b
	v_mul_f32_e32 v36, 0x3fb8aa3b, v35
	v_fma_f32 v38, v35, s22, -v36
	v_rndne_f32_e32 v49, v36
	v_fmamk_f32 v38, v35, 0x32a5705f, v38
	v_sub_f32_e32 v36, v36, v49
	v_add_f32_e32 v36, v36, v38
	v_exp_f32_e32 v36, v36
	v_cvt_i32_f32_e32 v38, v49
	s_mov_b32 s22, 0xc2ce8ed0
	v_cmp_ngt_f32_e64 s[22:23], s22, v35
	s_mov_b32 s26, 0x7f800000
	v_ldexp_f32 v36, v36, v38
	v_cndmask_b32_e64 v36, 0, v36, s[22:23]
	s_mov_b32 s22, 0x42b17218
	v_mov_b32_e32 v38, 0x7f800000
	v_cmp_nlt_f32_e64 s[22:23], s22, v35
	s_nop 1
	v_cndmask_b32_e64 v49, v38, v36, s[22:23]
	v_add_f32_e32 v35, 1.0, v49
	v_add_f32_e32 v36, -1.0, v35
	v_sub_f32_e32 v38, v36, v35
	v_add_f32_e32 v38, 1.0, v38
	v_sub_f32_e32 v36, v49, v36
	v_add_f32_e32 v36, v36, v38
	v_frexp_mant_f32_e32 v38, v35
	s_mov_b32 s22, 0x3f2aaaab
	v_cvt_f64_f32_e32 v[50:51], v35
	v_frexp_exp_i32_f64_e32 v50, v[50:51]
	v_cmp_gt_f32_e64 s[22:23], s22, v38
	s_nop 1
	v_subbrev_co_u32_e64 v38, s[22:23], 0, v50, s[22:23]
	v_sub_u32_e32 v50, 0, v38
	v_ldexp_f32 v35, v35, v50
	v_ldexp_f32 v36, v36, v50
	v_add_f32_e32 v50, -1.0, v35
	v_add_f32_e32 v51, 1.0, v50
	v_sub_f32_e32 v51, v35, v51
	v_add_f32_e32 v52, v36, v51
	v_add_f32_e32 v51, 1.0, v35
	v_add_f32_e32 v53, -1.0, v51
	v_sub_f32_e32 v35, v35, v53
	v_add_f32_e32 v35, v36, v35
	v_add_f32_e32 v36, v51, v35
	v_rcp_f32_e32 v66, v36
	v_sub_f32_e32 v51, v51, v36
	v_add_f32_e32 v35, v35, v51
	v_add_f32_e32 v51, v50, v52
	v_sub_f32_e32 v50, v50, v51
	v_mul_f32_e32 v68, v51, v66
	v_add_f32_e32 v67, v52, v50
	v_mul_f32_e32 v52, v36, v68
	v_fma_f32 v54, v68, v36, -v52
	v_fmac_f32_e32 v54, v68, v35
	v_add_f32_e32 v50, v52, v54
	v_sub_f32_e32 v53, v51, v50
	v_pk_add_f32 v[64:65], v[50:51], v[52:53] neg_lo:[0,1] neg_hi:[0,1]
	v_mov_b32_e32 v55, v50
	v_pk_add_f32 v[50:51], v[64:65], v[54:55] neg_lo:[0,1] neg_hi:[0,1]
	s_mov_b32 s22, 0x3f317218
	v_add_f32_e32 v51, v67, v51
	v_add_f32_e32 v50, v50, v51
	;; [unrolled: 1-line block ×3, first 2 shown]
	v_mul_f32_e32 v67, v66, v51
	v_mul_f32_e32 v52, v36, v67
	v_fma_f32 v54, v67, v36, -v52
	v_fmac_f32_e32 v54, v67, v35
	v_sub_f32_e32 v35, v53, v51
	v_add_f32_e32 v35, v50, v35
	v_add_f32_e32 v50, v52, v54
	v_sub_f32_e32 v53, v51, v50
	v_pk_add_f32 v[64:65], v[50:51], v[52:53] neg_lo:[0,1] neg_hi:[0,1]
	v_mov_b32_e32 v55, v50
	v_pk_add_f32 v[50:51], v[64:65], v[54:55] neg_lo:[0,1] neg_hi:[0,1]
	v_add_f32_e32 v36, v68, v67
	v_add_f32_e32 v35, v35, v51
	;; [unrolled: 1-line block ×4, first 2 shown]
	v_sub_f32_e32 v50, v36, v68
	v_mul_f32_e32 v35, v66, v35
	v_sub_f32_e32 v50, v67, v50
	v_add_f32_e32 v35, v50, v35
	v_add_f32_e32 v50, v36, v35
	v_cvt_f32_i32_e32 v52, v38
	v_mul_f32_e32 v53, v50, v50
	v_mov_b32_e32 v51, 0x3ecc95a3
	v_fmac_f32_e32 v51, 0x3e9b6dac, v53
	v_fmaak_f32 v51, v53, v51, 0x3f2aaada
	v_sub_f32_e32 v36, v50, v36
	v_ldexp_f32 v55, v50, 1
	v_mul_f32_e32 v53, v50, v53
	v_mov_b32_e32 v50, 0x3f317218
	v_pk_mul_f32 v[50:51], v[52:53], v[50:51]
	v_sub_f32_e32 v35, v35, v36
	v_fma_f32 v36, v52, s22, -v50
	v_fmamk_f32 v54, v52, 0xb102e308, v36
	v_pk_add_f32 v[52:53], v[50:51], v[54:55]
	v_ldexp_f32 v35, v35, 1
	v_sub_f32_e32 v36, v53, v55
	v_sub_f32_e32 v36, v51, v36
	v_add_f32_e32 v65, v35, v36
	v_mov_b32_e32 v64, v50
	v_pk_add_f32 v[50:51], v[52:53], v[50:51] neg_lo:[0,1] neg_hi:[0,1]
	v_pk_add_f32 v[66:67], v[52:53], v[64:65]
	v_mov_b32_e32 v55, v52
	v_mov_b32_e32 v51, v67
	v_pk_add_f32 v[68:69], v[54:55], v[50:51] neg_lo:[0,1] neg_hi:[0,1]
	v_pk_add_f32 v[50:51], v[54:55], v[50:51]
	v_cmp_eq_f32_e64 s[22:23], s26, v49
	v_mov_b32_e32 v36, v51
	v_pk_add_f32 v[54:55], v[36:37], v[52:53] neg_lo:[0,1] neg_hi:[0,1]
	v_mov_b32_e32 v50, v67
	v_mov_b32_e32 v35, v54
	v_pk_add_f32 v[70:71], v[66:67], v[34:35] neg_lo:[0,1] neg_hi:[0,1]
	v_mov_b32_e32 v66, v53
	v_mov_b32_e32 v67, v54
	;; [unrolled: 1-line block ×3, first 2 shown]
	v_pk_add_f32 v[50:51], v[50:51], v[66:67] neg_lo:[0,1] neg_hi:[0,1]
	v_mov_b32_e32 v54, v65
	v_mov_b32_e32 v55, v52
	v_pk_add_f32 v[50:51], v[54:55], v[50:51] neg_lo:[0,1] neg_hi:[0,1]
	v_mov_b32_e32 v70, v68
	v_pk_add_f32 v[52:53], v[70:71], v[50:51]
	s_mov_b32 s26, 0x33800000
	v_mov_b32_e32 v38, v53
	v_pk_add_f32 v[54:55], v[52:53], v[38:39]
	v_cmp_lt_f32_e64 s[26:27], |v49|, s26
	v_pk_add_f32 v[64:65], v[36:37], v[54:55]
	v_mov_b32_e32 v51, v54
	v_mov_b32_e32 v53, v64
	v_pk_add_f32 v[66:67], v[52:53], v[68:69] neg_lo:[0,1] neg_hi:[0,1]
	s_or_b64 s[22:23], s[22:23], s[26:27]
	v_sub_f32_e32 v35, v52, v66
	v_pk_add_f32 v[50:51], v[50:51], v[66:67] neg_lo:[0,1] neg_hi:[0,1]
	v_sub_f32_e32 v35, v68, v35
	v_add_f32_e32 v35, v50, v35
	v_add_f32_e32 v35, v35, v51
	;; [unrolled: 1-line block ×3, first 2 shown]
	v_cndmask_b32_e64 v35, v35, v49, s[22:23]
	v_add_f32_e32 v35, v37, v35
	v_cvt_f16_f32_e32 v35, v35
	v_cvt_f32_f16_e32 v36, v35
.LBB360_288:
	s_or_b64 exec, exec, s[24:25]
	v_cvt_f32_f16_sdwa v49, v21 dst_sel:DWORD dst_unused:UNUSED_PAD src0_sel:WORD_1
	v_max_f32_e32 v38, v36, v36
	v_cmp_u_f16_e64 s[24:25], v35, v35
	v_cmp_u_f16_sdwa s[22:23], v21, v21 src0_sel:WORD_1 src1_sel:WORD_1
	v_min_f32_e32 v37, v38, v49
	v_max_f32_e32 v21, v38, v49
	v_cndmask_b32_e64 v37, v37, v36, s[24:25]
	v_cndmask_b32_e64 v21, v21, v36, s[24:25]
	;; [unrolled: 1-line block ×4, first 2 shown]
	s_movk_i32 s28, 0x1f8
	v_cmp_neq_f32_e64 s[24:25], v37, v21
	v_cmp_class_f32_e64 s[26:27], v37, s28
	s_or_b64 s[24:25], s[24:25], s[26:27]
	s_and_saveexec_b64 s[26:27], s[24:25]
	s_cbranch_execz .LBB360_290
; %bb.289:
	v_sub_f32_e32 v35, v37, v21
	s_mov_b32 s24, 0x3fb8aa3b
	v_mul_f32_e32 v36, 0x3fb8aa3b, v35
	v_fma_f32 v37, v35, s24, -v36
	v_rndne_f32_e32 v38, v36
	v_fmamk_f32 v37, v35, 0x32a5705f, v37
	v_sub_f32_e32 v36, v36, v38
	v_add_f32_e32 v36, v36, v37
	v_exp_f32_e32 v36, v36
	v_cvt_i32_f32_e32 v37, v38
	s_mov_b32 s24, 0xc2ce8ed0
	v_cmp_ngt_f32_e64 s[24:25], s24, v35
	s_mov_b32 s29, 0x7f800000
	v_ldexp_f32 v36, v36, v37
	v_cndmask_b32_e64 v36, 0, v36, s[24:25]
	s_mov_b32 s24, 0x42b17218
	v_mov_b32_e32 v37, 0x7f800000
	v_cmp_nlt_f32_e64 s[24:25], s24, v35
	s_nop 1
	v_cndmask_b32_e64 v70, v37, v36, s[24:25]
	v_add_f32_e32 v35, 1.0, v70
	v_add_f32_e32 v36, -1.0, v35
	v_sub_f32_e32 v37, v36, v35
	v_add_f32_e32 v37, 1.0, v37
	v_sub_f32_e32 v36, v70, v36
	v_add_f32_e32 v38, v36, v37
	v_frexp_mant_f32_e32 v50, v35
	s_mov_b32 s24, 0x3f2aaaab
	v_cvt_f64_f32_e32 v[36:37], v35
	v_frexp_exp_i32_f64_e32 v36, v[36:37]
	v_cmp_gt_f32_e64 s[24:25], s24, v50
	s_nop 1
	v_subbrev_co_u32_e64 v64, s[24:25], 0, v36, s[24:25]
	v_sub_u32_e32 v36, 0, v64
	v_ldexp_f32 v35, v35, v36
	v_ldexp_f32 v36, v38, v36
	v_add_f32_e32 v38, -1.0, v35
	v_add_f32_e32 v37, 1.0, v38
	v_sub_f32_e32 v37, v35, v37
	v_add_f32_e32 v50, v36, v37
	v_add_f32_e32 v37, 1.0, v35
	v_add_f32_e32 v51, -1.0, v37
	v_sub_f32_e32 v35, v35, v51
	v_add_f32_e32 v35, v36, v35
	v_add_f32_e32 v65, v37, v35
	v_rcp_f32_e32 v66, v65
	v_sub_f32_e32 v36, v37, v65
	v_add_f32_e32 v37, v38, v50
	v_add_f32_e32 v35, v35, v36
	v_sub_f32_e32 v36, v38, v37
	v_mul_f32_e32 v67, v37, v66
	v_add_f32_e32 v38, v50, v36
	v_mul_f32_e32 v50, v65, v67
	v_fma_f32 v52, v67, v65, -v50
	v_fmac_f32_e32 v52, v67, v35
	v_add_f32_e32 v36, v50, v52
	v_sub_f32_e32 v51, v37, v36
	v_pk_add_f32 v[54:55], v[36:37], v[50:51] neg_lo:[0,1] neg_hi:[0,1]
	v_mov_b32_e32 v53, v36
	v_pk_add_f32 v[36:37], v[54:55], v[52:53] neg_lo:[0,1] neg_hi:[0,1]
	s_mov_b32 s24, 0x3f317218
	v_add_f32_e32 v37, v38, v37
	v_add_f32_e32 v36, v36, v37
	;; [unrolled: 1-line block ×3, first 2 shown]
	v_mul_f32_e32 v38, v66, v37
	v_mul_f32_e32 v50, v65, v38
	v_fma_f32 v52, v38, v65, -v50
	v_fmac_f32_e32 v52, v38, v35
	v_sub_f32_e32 v35, v51, v37
	v_add_f32_e32 v35, v36, v35
	v_add_f32_e32 v36, v50, v52
	v_sub_f32_e32 v51, v37, v36
	v_pk_add_f32 v[54:55], v[36:37], v[50:51] neg_lo:[0,1] neg_hi:[0,1]
	v_mov_b32_e32 v53, v36
	v_pk_add_f32 v[36:37], v[54:55], v[52:53] neg_lo:[0,1] neg_hi:[0,1]
	v_cvt_f32_i32_e32 v50, v64
	v_add_f32_e32 v35, v35, v37
	v_add_f32_e32 v35, v36, v35
	;; [unrolled: 1-line block ×4, first 2 shown]
	v_sub_f32_e32 v37, v36, v67
	v_mul_f32_e32 v35, v66, v35
	v_sub_f32_e32 v37, v38, v37
	v_add_f32_e32 v35, v37, v35
	v_add_f32_e32 v38, v36, v35
	v_mul_f32_e32 v51, v38, v38
	v_mov_b32_e32 v37, 0x3ecc95a3
	v_fmac_f32_e32 v37, 0x3e9b6dac, v51
	v_sub_f32_e32 v36, v38, v36
	v_fmaak_f32 v37, v51, v37, 0x3f2aaada
	v_sub_f32_e32 v35, v35, v36
	v_mul_f32_e32 v51, v38, v51
	v_mov_b32_e32 v36, 0x3f317218
	v_pk_mul_f32 v[36:37], v[50:51], v[36:37]
	v_ldexp_f32 v53, v38, 1
	v_fma_f32 v38, v50, s24, -v36
	v_fmamk_f32 v52, v50, 0xb102e308, v38
	v_pk_add_f32 v[50:51], v[36:37], v[52:53]
	v_ldexp_f32 v35, v35, 1
	v_sub_f32_e32 v38, v51, v53
	v_sub_f32_e32 v38, v37, v38
	v_add_f32_e32 v55, v35, v38
	v_mov_b32_e32 v54, v36
	v_pk_add_f32 v[36:37], v[50:51], v[36:37] neg_lo:[0,1] neg_hi:[0,1]
	v_pk_add_f32 v[64:65], v[50:51], v[54:55]
	v_mov_b32_e32 v53, v50
	v_mov_b32_e32 v37, v65
	v_pk_add_f32 v[66:67], v[52:53], v[36:37] neg_lo:[0,1] neg_hi:[0,1]
	v_pk_add_f32 v[36:37], v[52:53], v[36:37]
	v_cmp_eq_f32_e64 s[24:25], s29, v70
	v_mov_b32_e32 v38, v37
	v_pk_add_f32 v[52:53], v[38:39], v[50:51] neg_lo:[0,1] neg_hi:[0,1]
	v_mov_b32_e32 v36, v65
	v_mov_b32_e32 v35, v52
	v_pk_add_f32 v[68:69], v[64:65], v[34:35] neg_lo:[0,1] neg_hi:[0,1]
	v_mov_b32_e32 v64, v51
	v_mov_b32_e32 v65, v52
	v_mov_b32_e32 v67, v37
	v_pk_add_f32 v[36:37], v[36:37], v[64:65] neg_lo:[0,1] neg_hi:[0,1]
	v_mov_b32_e32 v52, v55
	v_mov_b32_e32 v53, v50
	v_pk_add_f32 v[36:37], v[52:53], v[36:37] neg_lo:[0,1] neg_hi:[0,1]
	v_mov_b32_e32 v68, v66
	v_pk_add_f32 v[50:51], v[68:69], v[36:37]
	s_mov_b32 s29, 0x33800000
	v_mov_b32_e32 v52, v51
	v_pk_add_f32 v[52:53], v[50:51], v[52:53]
	v_cmp_lt_f32_e64 s[30:31], |v70|, s29
	v_pk_add_f32 v[54:55], v[38:39], v[52:53]
	v_mov_b32_e32 v37, v52
	v_mov_b32_e32 v51, v54
	v_pk_add_f32 v[64:65], v[50:51], v[66:67] neg_lo:[0,1] neg_hi:[0,1]
	s_or_b64 s[24:25], s[24:25], s[30:31]
	v_sub_f32_e32 v35, v50, v64
	v_pk_add_f32 v[36:37], v[36:37], v[64:65] neg_lo:[0,1] neg_hi:[0,1]
	v_sub_f32_e32 v35, v66, v35
	v_add_f32_e32 v35, v36, v35
	v_add_f32_e32 v35, v35, v37
	;; [unrolled: 1-line block ×3, first 2 shown]
	v_cndmask_b32_e64 v35, v35, v70, s[24:25]
	v_add_f32_e32 v21, v21, v35
	v_cvt_f16_f32_e32 v35, v21
	v_cvt_f32_f16_e32 v36, v35
.LBB360_290:
	s_or_b64 exec, exec, s[26:27]
	v_cvt_f32_f16_e32 v21, v22
	v_max_f32_e32 v37, v36, v36
	v_cmp_u_f16_e64 s[26:27], v35, v35
	v_cmp_u_f16_e64 s[24:25], v22, v22
	v_min_f32_e32 v38, v37, v21
	v_max_f32_e32 v37, v37, v21
	v_cndmask_b32_e64 v38, v38, v36, s[26:27]
	v_cndmask_b32_e64 v37, v37, v36, s[26:27]
	;; [unrolled: 1-line block ×4, first 2 shown]
	v_cmp_neq_f32_e64 s[26:27], v38, v37
	v_cmp_class_f32_e64 s[28:29], v38, s28
	s_or_b64 s[26:27], s[26:27], s[28:29]
	s_and_saveexec_b64 s[28:29], s[26:27]
	s_cbranch_execz .LBB360_292
; %bb.291:
	v_sub_f32_e32 v35, v38, v37
	s_mov_b32 s26, 0x3fb8aa3b
	v_mul_f32_e32 v36, 0x3fb8aa3b, v35
	v_fma_f32 v38, v35, s26, -v36
	v_rndne_f32_e32 v50, v36
	v_fmamk_f32 v38, v35, 0x32a5705f, v38
	v_sub_f32_e32 v36, v36, v50
	v_add_f32_e32 v36, v36, v38
	v_exp_f32_e32 v36, v36
	v_cvt_i32_f32_e32 v38, v50
	s_mov_b32 s26, 0xc2ce8ed0
	v_cmp_ngt_f32_e64 s[26:27], s26, v35
	s_mov_b32 s30, 0x7f800000
	v_ldexp_f32 v36, v36, v38
	v_cndmask_b32_e64 v36, 0, v36, s[26:27]
	s_mov_b32 s26, 0x42b17218
	v_mov_b32_e32 v38, 0x7f800000
	v_cmp_nlt_f32_e64 s[26:27], s26, v35
	s_nop 1
	v_cndmask_b32_e64 v80, v38, v36, s[26:27]
	v_add_f32_e32 v35, 1.0, v80
	v_add_f32_e32 v36, -1.0, v35
	v_sub_f32_e32 v38, v36, v35
	v_add_f32_e32 v38, 1.0, v38
	v_sub_f32_e32 v36, v80, v36
	v_add_f32_e32 v36, v36, v38
	v_frexp_mant_f32_e32 v38, v35
	s_mov_b32 s26, 0x3f2aaaab
	v_cvt_f64_f32_e32 v[50:51], v35
	v_frexp_exp_i32_f64_e32 v50, v[50:51]
	v_cmp_gt_f32_e64 s[26:27], s26, v38
	s_nop 1
	v_subbrev_co_u32_e64 v38, s[26:27], 0, v50, s[26:27]
	v_sub_u32_e32 v50, 0, v38
	v_ldexp_f32 v35, v35, v50
	v_ldexp_f32 v36, v36, v50
	v_add_f32_e32 v50, -1.0, v35
	v_add_f32_e32 v51, 1.0, v50
	v_sub_f32_e32 v51, v35, v51
	v_add_f32_e32 v52, v36, v51
	v_add_f32_e32 v51, 1.0, v35
	v_add_f32_e32 v53, -1.0, v51
	v_sub_f32_e32 v35, v35, v53
	v_add_f32_e32 v35, v36, v35
	v_add_f32_e32 v36, v51, v35
	v_rcp_f32_e32 v66, v36
	v_sub_f32_e32 v51, v51, v36
	v_add_f32_e32 v35, v35, v51
	v_add_f32_e32 v51, v50, v52
	v_sub_f32_e32 v50, v50, v51
	v_mul_f32_e32 v68, v51, v66
	v_add_f32_e32 v67, v52, v50
	v_mul_f32_e32 v52, v36, v68
	v_fma_f32 v54, v68, v36, -v52
	v_fmac_f32_e32 v54, v68, v35
	v_add_f32_e32 v50, v52, v54
	v_sub_f32_e32 v53, v51, v50
	v_pk_add_f32 v[64:65], v[50:51], v[52:53] neg_lo:[0,1] neg_hi:[0,1]
	v_mov_b32_e32 v55, v50
	v_pk_add_f32 v[50:51], v[64:65], v[54:55] neg_lo:[0,1] neg_hi:[0,1]
	s_mov_b32 s26, 0x3f317218
	v_add_f32_e32 v51, v67, v51
	v_add_f32_e32 v50, v50, v51
	;; [unrolled: 1-line block ×3, first 2 shown]
	v_mul_f32_e32 v67, v66, v51
	v_mul_f32_e32 v52, v36, v67
	v_fma_f32 v54, v67, v36, -v52
	v_fmac_f32_e32 v54, v67, v35
	v_sub_f32_e32 v35, v53, v51
	v_add_f32_e32 v35, v50, v35
	v_add_f32_e32 v50, v52, v54
	v_sub_f32_e32 v53, v51, v50
	v_pk_add_f32 v[64:65], v[50:51], v[52:53] neg_lo:[0,1] neg_hi:[0,1]
	v_mov_b32_e32 v55, v50
	v_pk_add_f32 v[50:51], v[64:65], v[54:55] neg_lo:[0,1] neg_hi:[0,1]
	v_add_f32_e32 v36, v68, v67
	v_add_f32_e32 v35, v35, v51
	v_add_f32_e32 v35, v50, v35
	v_add_f32_e32 v35, v53, v35
	v_sub_f32_e32 v50, v36, v68
	v_mul_f32_e32 v35, v66, v35
	v_sub_f32_e32 v50, v67, v50
	v_add_f32_e32 v35, v50, v35
	v_add_f32_e32 v50, v36, v35
	v_cvt_f32_i32_e32 v52, v38
	v_mul_f32_e32 v53, v50, v50
	v_mov_b32_e32 v51, 0x3ecc95a3
	v_fmac_f32_e32 v51, 0x3e9b6dac, v53
	v_fmaak_f32 v51, v53, v51, 0x3f2aaada
	v_sub_f32_e32 v36, v50, v36
	v_ldexp_f32 v55, v50, 1
	v_mul_f32_e32 v53, v50, v53
	v_mov_b32_e32 v50, 0x3f317218
	v_pk_mul_f32 v[50:51], v[52:53], v[50:51]
	v_sub_f32_e32 v35, v35, v36
	v_fma_f32 v36, v52, s26, -v50
	v_fmamk_f32 v54, v52, 0xb102e308, v36
	v_pk_add_f32 v[52:53], v[50:51], v[54:55]
	v_ldexp_f32 v35, v35, 1
	v_sub_f32_e32 v36, v53, v55
	v_sub_f32_e32 v36, v51, v36
	v_add_f32_e32 v65, v35, v36
	v_mov_b32_e32 v64, v50
	v_pk_add_f32 v[50:51], v[52:53], v[50:51] neg_lo:[0,1] neg_hi:[0,1]
	v_pk_add_f32 v[66:67], v[52:53], v[64:65]
	v_mov_b32_e32 v55, v52
	v_mov_b32_e32 v51, v67
	v_pk_add_f32 v[68:69], v[54:55], v[50:51] neg_lo:[0,1] neg_hi:[0,1]
	v_pk_add_f32 v[50:51], v[54:55], v[50:51]
	v_cmp_eq_f32_e64 s[26:27], s30, v80
	v_mov_b32_e32 v36, v51
	v_pk_add_f32 v[54:55], v[36:37], v[52:53] neg_lo:[0,1] neg_hi:[0,1]
	v_mov_b32_e32 v50, v67
	v_mov_b32_e32 v35, v54
	v_pk_add_f32 v[70:71], v[66:67], v[34:35] neg_lo:[0,1] neg_hi:[0,1]
	v_mov_b32_e32 v66, v53
	v_mov_b32_e32 v67, v54
	;; [unrolled: 1-line block ×3, first 2 shown]
	v_pk_add_f32 v[50:51], v[50:51], v[66:67] neg_lo:[0,1] neg_hi:[0,1]
	v_mov_b32_e32 v54, v65
	v_mov_b32_e32 v55, v52
	v_pk_add_f32 v[50:51], v[54:55], v[50:51] neg_lo:[0,1] neg_hi:[0,1]
	v_mov_b32_e32 v70, v68
	v_pk_add_f32 v[52:53], v[70:71], v[50:51]
	s_mov_b32 s30, 0x33800000
	v_mov_b32_e32 v38, v53
	v_pk_add_f32 v[54:55], v[52:53], v[38:39]
	v_cmp_lt_f32_e64 s[30:31], |v80|, s30
	v_pk_add_f32 v[64:65], v[36:37], v[54:55]
	v_mov_b32_e32 v51, v54
	v_mov_b32_e32 v53, v64
	v_pk_add_f32 v[66:67], v[52:53], v[68:69] neg_lo:[0,1] neg_hi:[0,1]
	s_or_b64 s[26:27], s[26:27], s[30:31]
	v_sub_f32_e32 v35, v52, v66
	v_pk_add_f32 v[50:51], v[50:51], v[66:67] neg_lo:[0,1] neg_hi:[0,1]
	v_sub_f32_e32 v35, v68, v35
	v_add_f32_e32 v35, v50, v35
	v_add_f32_e32 v35, v35, v51
	;; [unrolled: 1-line block ×3, first 2 shown]
	v_cndmask_b32_e64 v35, v35, v80, s[26:27]
	v_add_f32_e32 v35, v37, v35
	v_cvt_f16_f32_e32 v35, v35
	v_cvt_f32_f16_e32 v36, v35
.LBB360_292:
	s_or_b64 exec, exec, s[28:29]
	v_cvt_f32_f16_sdwa v50, v22 dst_sel:DWORD dst_unused:UNUSED_PAD src0_sel:WORD_1
	v_max_f32_e32 v38, v36, v36
	v_cmp_u_f16_e64 s[28:29], v35, v35
	v_cmp_u_f16_sdwa s[26:27], v22, v22 src0_sel:WORD_1 src1_sel:WORD_1
	v_min_f32_e32 v37, v38, v50
	v_max_f32_e32 v22, v38, v50
	v_cndmask_b32_e64 v37, v37, v36, s[28:29]
	v_cndmask_b32_e64 v22, v22, v36, s[28:29]
	;; [unrolled: 1-line block ×4, first 2 shown]
	s_movk_i32 s34, 0x1f8
	v_cmp_neq_f32_e64 s[28:29], v37, v22
	v_cmp_class_f32_e64 s[30:31], v37, s34
	s_or_b64 s[28:29], s[28:29], s[30:31]
	s_and_saveexec_b64 s[30:31], s[28:29]
	s_cbranch_execz .LBB360_294
; %bb.293:
	v_sub_f32_e32 v35, v37, v22
	s_mov_b32 s28, 0x3fb8aa3b
	v_mul_f32_e32 v36, 0x3fb8aa3b, v35
	v_fma_f32 v37, v35, s28, -v36
	v_rndne_f32_e32 v38, v36
	v_fmamk_f32 v37, v35, 0x32a5705f, v37
	v_sub_f32_e32 v36, v36, v38
	v_add_f32_e32 v36, v36, v37
	v_exp_f32_e32 v36, v36
	v_cvt_i32_f32_e32 v37, v38
	s_mov_b32 s28, 0xc2ce8ed0
	v_cmp_ngt_f32_e64 s[28:29], s28, v35
	s_mov_b32 s35, 0x7f800000
	v_ldexp_f32 v36, v36, v37
	v_cndmask_b32_e64 v36, 0, v36, s[28:29]
	s_mov_b32 s28, 0x42b17218
	v_mov_b32_e32 v37, 0x7f800000
	v_cmp_nlt_f32_e64 s[28:29], s28, v35
	s_nop 1
	v_cndmask_b32_e64 v51, v37, v36, s[28:29]
	v_add_f32_e32 v35, 1.0, v51
	v_add_f32_e32 v36, -1.0, v35
	v_sub_f32_e32 v37, v36, v35
	v_add_f32_e32 v37, 1.0, v37
	v_sub_f32_e32 v36, v51, v36
	v_add_f32_e32 v38, v36, v37
	v_frexp_mant_f32_e32 v52, v35
	s_mov_b32 s28, 0x3f2aaaab
	v_cvt_f64_f32_e32 v[36:37], v35
	v_frexp_exp_i32_f64_e32 v36, v[36:37]
	v_cmp_gt_f32_e64 s[28:29], s28, v52
	s_nop 1
	v_subbrev_co_u32_e64 v66, s[28:29], 0, v36, s[28:29]
	v_sub_u32_e32 v36, 0, v66
	v_ldexp_f32 v35, v35, v36
	v_ldexp_f32 v36, v38, v36
	v_add_f32_e32 v38, -1.0, v35
	v_add_f32_e32 v37, 1.0, v38
	v_sub_f32_e32 v37, v35, v37
	v_add_f32_e32 v52, v36, v37
	v_add_f32_e32 v37, 1.0, v35
	v_add_f32_e32 v53, -1.0, v37
	v_sub_f32_e32 v35, v35, v53
	v_add_f32_e32 v35, v36, v35
	v_add_f32_e32 v67, v37, v35
	v_rcp_f32_e32 v68, v67
	v_sub_f32_e32 v36, v37, v67
	v_add_f32_e32 v37, v38, v52
	v_add_f32_e32 v35, v35, v36
	v_sub_f32_e32 v36, v38, v37
	v_mul_f32_e32 v69, v37, v68
	v_add_f32_e32 v38, v52, v36
	v_mul_f32_e32 v52, v67, v69
	v_fma_f32 v54, v69, v67, -v52
	v_fmac_f32_e32 v54, v69, v35
	v_add_f32_e32 v36, v52, v54
	v_sub_f32_e32 v53, v37, v36
	v_pk_add_f32 v[64:65], v[36:37], v[52:53] neg_lo:[0,1] neg_hi:[0,1]
	v_mov_b32_e32 v55, v36
	v_pk_add_f32 v[36:37], v[64:65], v[54:55] neg_lo:[0,1] neg_hi:[0,1]
	s_mov_b32 s28, 0x3f317218
	v_add_f32_e32 v37, v38, v37
	v_add_f32_e32 v36, v36, v37
	;; [unrolled: 1-line block ×3, first 2 shown]
	v_mul_f32_e32 v38, v68, v37
	v_mul_f32_e32 v52, v67, v38
	v_fma_f32 v54, v38, v67, -v52
	v_fmac_f32_e32 v54, v38, v35
	v_sub_f32_e32 v35, v53, v37
	v_add_f32_e32 v35, v36, v35
	v_add_f32_e32 v36, v52, v54
	v_sub_f32_e32 v53, v37, v36
	v_pk_add_f32 v[64:65], v[36:37], v[52:53] neg_lo:[0,1] neg_hi:[0,1]
	v_mov_b32_e32 v55, v36
	v_pk_add_f32 v[36:37], v[64:65], v[54:55] neg_lo:[0,1] neg_hi:[0,1]
	v_cvt_f32_i32_e32 v52, v66
	v_add_f32_e32 v35, v35, v37
	v_add_f32_e32 v35, v36, v35
	;; [unrolled: 1-line block ×4, first 2 shown]
	v_sub_f32_e32 v37, v36, v69
	v_mul_f32_e32 v35, v68, v35
	v_sub_f32_e32 v37, v38, v37
	v_add_f32_e32 v35, v37, v35
	v_add_f32_e32 v38, v36, v35
	v_mul_f32_e32 v53, v38, v38
	v_mov_b32_e32 v37, 0x3ecc95a3
	v_fmac_f32_e32 v37, 0x3e9b6dac, v53
	v_sub_f32_e32 v36, v38, v36
	v_fmaak_f32 v37, v53, v37, 0x3f2aaada
	v_sub_f32_e32 v35, v35, v36
	v_mul_f32_e32 v53, v38, v53
	v_mov_b32_e32 v36, 0x3f317218
	v_pk_mul_f32 v[36:37], v[52:53], v[36:37]
	v_ldexp_f32 v55, v38, 1
	v_fma_f32 v38, v52, s28, -v36
	v_fmamk_f32 v54, v52, 0xb102e308, v38
	v_pk_add_f32 v[52:53], v[36:37], v[54:55]
	v_ldexp_f32 v35, v35, 1
	v_sub_f32_e32 v38, v53, v55
	v_sub_f32_e32 v38, v37, v38
	v_add_f32_e32 v65, v35, v38
	v_mov_b32_e32 v64, v36
	v_pk_add_f32 v[36:37], v[52:53], v[36:37] neg_lo:[0,1] neg_hi:[0,1]
	v_pk_add_f32 v[66:67], v[52:53], v[64:65]
	v_mov_b32_e32 v55, v52
	v_mov_b32_e32 v37, v67
	v_pk_add_f32 v[68:69], v[54:55], v[36:37] neg_lo:[0,1] neg_hi:[0,1]
	v_pk_add_f32 v[36:37], v[54:55], v[36:37]
	v_cmp_eq_f32_e64 s[28:29], s35, v51
	v_mov_b32_e32 v38, v37
	v_pk_add_f32 v[54:55], v[38:39], v[52:53] neg_lo:[0,1] neg_hi:[0,1]
	v_mov_b32_e32 v36, v67
	v_mov_b32_e32 v35, v54
	v_pk_add_f32 v[70:71], v[66:67], v[34:35] neg_lo:[0,1] neg_hi:[0,1]
	v_mov_b32_e32 v66, v53
	v_mov_b32_e32 v67, v54
	v_mov_b32_e32 v69, v37
	v_pk_add_f32 v[36:37], v[36:37], v[66:67] neg_lo:[0,1] neg_hi:[0,1]
	v_mov_b32_e32 v54, v65
	v_mov_b32_e32 v55, v52
	v_pk_add_f32 v[36:37], v[54:55], v[36:37] neg_lo:[0,1] neg_hi:[0,1]
	v_mov_b32_e32 v70, v68
	v_pk_add_f32 v[52:53], v[70:71], v[36:37]
	s_mov_b32 s35, 0x33800000
	v_mov_b32_e32 v54, v53
	v_pk_add_f32 v[54:55], v[52:53], v[54:55]
	v_cmp_lt_f32_e64 s[36:37], |v51|, s35
	v_pk_add_f32 v[64:65], v[38:39], v[54:55]
	v_mov_b32_e32 v37, v54
	v_mov_b32_e32 v53, v64
	v_pk_add_f32 v[66:67], v[52:53], v[68:69] neg_lo:[0,1] neg_hi:[0,1]
	s_or_b64 s[28:29], s[28:29], s[36:37]
	v_sub_f32_e32 v35, v52, v66
	v_pk_add_f32 v[36:37], v[36:37], v[66:67] neg_lo:[0,1] neg_hi:[0,1]
	v_sub_f32_e32 v35, v68, v35
	v_add_f32_e32 v35, v36, v35
	v_add_f32_e32 v35, v35, v37
	v_add_f32_e32 v35, v64, v35
	v_cndmask_b32_e64 v35, v35, v51, s[28:29]
	v_add_f32_e32 v22, v22, v35
	v_cvt_f16_f32_e32 v35, v22
	v_cvt_f32_f16_e32 v36, v35
.LBB360_294:
	s_or_b64 exec, exec, s[30:31]
	v_cvt_f32_f16_e32 v22, v23
	v_max_f32_e32 v37, v36, v36
	v_cmp_u_f16_e64 s[30:31], v35, v35
	v_cmp_u_f16_e64 s[28:29], v23, v23
	v_min_f32_e32 v38, v37, v22
	v_max_f32_e32 v37, v37, v22
	v_cndmask_b32_e64 v38, v38, v36, s[30:31]
	v_cndmask_b32_e64 v37, v37, v36, s[30:31]
	;; [unrolled: 1-line block ×4, first 2 shown]
	v_cmp_neq_f32_e64 s[30:31], v38, v37
	v_cmp_class_f32_e64 s[34:35], v38, s34
	s_or_b64 s[30:31], s[30:31], s[34:35]
	s_and_saveexec_b64 s[34:35], s[30:31]
	s_cbranch_execz .LBB360_296
; %bb.295:
	v_sub_f32_e32 v35, v38, v37
	s_mov_b32 s30, 0x3fb8aa3b
	v_mul_f32_e32 v36, 0x3fb8aa3b, v35
	v_fma_f32 v38, v35, s30, -v36
	v_rndne_f32_e32 v51, v36
	v_fmamk_f32 v38, v35, 0x32a5705f, v38
	v_sub_f32_e32 v36, v36, v51
	v_add_f32_e32 v36, v36, v38
	v_exp_f32_e32 v36, v36
	v_cvt_i32_f32_e32 v38, v51
	s_mov_b32 s30, 0xc2ce8ed0
	v_cmp_ngt_f32_e64 s[30:31], s30, v35
	s_mov_b32 s36, 0x7f800000
	v_ldexp_f32 v36, v36, v38
	v_cndmask_b32_e64 v36, 0, v36, s[30:31]
	s_mov_b32 s30, 0x42b17218
	v_mov_b32_e32 v38, 0x7f800000
	v_cmp_nlt_f32_e64 s[30:31], s30, v35
	s_nop 1
	v_cndmask_b32_e64 v51, v38, v36, s[30:31]
	v_add_f32_e32 v35, 1.0, v51
	v_add_f32_e32 v36, -1.0, v35
	v_sub_f32_e32 v38, v36, v35
	v_add_f32_e32 v38, 1.0, v38
	v_sub_f32_e32 v36, v51, v36
	v_add_f32_e32 v36, v36, v38
	v_frexp_mant_f32_e32 v38, v35
	s_mov_b32 s30, 0x3f2aaaab
	v_cvt_f64_f32_e32 v[52:53], v35
	v_frexp_exp_i32_f64_e32 v52, v[52:53]
	v_cmp_gt_f32_e64 s[30:31], s30, v38
	s_nop 1
	v_subbrev_co_u32_e64 v38, s[30:31], 0, v52, s[30:31]
	v_sub_u32_e32 v52, 0, v38
	v_ldexp_f32 v35, v35, v52
	v_ldexp_f32 v36, v36, v52
	v_add_f32_e32 v52, -1.0, v35
	v_add_f32_e32 v53, 1.0, v52
	v_sub_f32_e32 v53, v35, v53
	v_add_f32_e32 v54, v36, v53
	v_add_f32_e32 v53, 1.0, v35
	v_add_f32_e32 v55, -1.0, v53
	v_sub_f32_e32 v35, v35, v55
	v_add_f32_e32 v35, v36, v35
	v_add_f32_e32 v36, v53, v35
	v_rcp_f32_e32 v68, v36
	v_sub_f32_e32 v53, v53, v36
	v_add_f32_e32 v35, v35, v53
	v_add_f32_e32 v53, v52, v54
	v_sub_f32_e32 v52, v52, v53
	v_mul_f32_e32 v70, v53, v68
	v_add_f32_e32 v69, v54, v52
	v_mul_f32_e32 v54, v36, v70
	v_fma_f32 v64, v70, v36, -v54
	v_fmac_f32_e32 v64, v70, v35
	v_add_f32_e32 v52, v54, v64
	v_sub_f32_e32 v55, v53, v52
	v_pk_add_f32 v[66:67], v[52:53], v[54:55] neg_lo:[0,1] neg_hi:[0,1]
	v_mov_b32_e32 v65, v52
	v_pk_add_f32 v[52:53], v[66:67], v[64:65] neg_lo:[0,1] neg_hi:[0,1]
	s_mov_b32 s30, 0x3f317218
	v_add_f32_e32 v53, v69, v53
	v_add_f32_e32 v52, v52, v53
	v_add_f32_e32 v53, v55, v52
	v_mul_f32_e32 v69, v68, v53
	v_mul_f32_e32 v54, v36, v69
	v_fma_f32 v64, v69, v36, -v54
	v_fmac_f32_e32 v64, v69, v35
	v_sub_f32_e32 v35, v55, v53
	v_add_f32_e32 v35, v52, v35
	v_add_f32_e32 v52, v54, v64
	v_sub_f32_e32 v55, v53, v52
	v_pk_add_f32 v[66:67], v[52:53], v[54:55] neg_lo:[0,1] neg_hi:[0,1]
	v_mov_b32_e32 v65, v52
	v_pk_add_f32 v[52:53], v[66:67], v[64:65] neg_lo:[0,1] neg_hi:[0,1]
	v_add_f32_e32 v36, v70, v69
	v_add_f32_e32 v35, v35, v53
	;; [unrolled: 1-line block ×4, first 2 shown]
	v_sub_f32_e32 v52, v36, v70
	v_mul_f32_e32 v35, v68, v35
	v_sub_f32_e32 v52, v69, v52
	v_add_f32_e32 v35, v52, v35
	v_add_f32_e32 v52, v36, v35
	v_cvt_f32_i32_e32 v54, v38
	v_mul_f32_e32 v55, v52, v52
	v_mov_b32_e32 v53, 0x3ecc95a3
	v_fmac_f32_e32 v53, 0x3e9b6dac, v55
	v_fmaak_f32 v53, v55, v53, 0x3f2aaada
	v_sub_f32_e32 v36, v52, v36
	v_ldexp_f32 v65, v52, 1
	v_mul_f32_e32 v55, v52, v55
	v_mov_b32_e32 v52, 0x3f317218
	v_pk_mul_f32 v[52:53], v[54:55], v[52:53]
	v_sub_f32_e32 v35, v35, v36
	v_fma_f32 v36, v54, s30, -v52
	v_fmamk_f32 v64, v54, 0xb102e308, v36
	v_pk_add_f32 v[54:55], v[52:53], v[64:65]
	v_ldexp_f32 v35, v35, 1
	v_sub_f32_e32 v36, v55, v65
	v_sub_f32_e32 v36, v53, v36
	v_add_f32_e32 v67, v35, v36
	v_mov_b32_e32 v66, v52
	v_pk_add_f32 v[52:53], v[54:55], v[52:53] neg_lo:[0,1] neg_hi:[0,1]
	v_pk_add_f32 v[68:69], v[54:55], v[66:67]
	v_mov_b32_e32 v65, v54
	v_mov_b32_e32 v53, v69
	v_pk_add_f32 v[70:71], v[64:65], v[52:53] neg_lo:[0,1] neg_hi:[0,1]
	v_pk_add_f32 v[52:53], v[64:65], v[52:53]
	v_cmp_eq_f32_e64 s[30:31], s36, v51
	v_mov_b32_e32 v36, v53
	v_pk_add_f32 v[64:65], v[36:37], v[54:55] neg_lo:[0,1] neg_hi:[0,1]
	v_mov_b32_e32 v52, v69
	v_mov_b32_e32 v35, v64
	v_pk_add_f32 v[80:81], v[68:69], v[34:35] neg_lo:[0,1] neg_hi:[0,1]
	v_mov_b32_e32 v68, v55
	v_mov_b32_e32 v69, v64
	;; [unrolled: 1-line block ×3, first 2 shown]
	v_pk_add_f32 v[52:53], v[52:53], v[68:69] neg_lo:[0,1] neg_hi:[0,1]
	v_mov_b32_e32 v64, v67
	v_mov_b32_e32 v65, v54
	v_pk_add_f32 v[52:53], v[64:65], v[52:53] neg_lo:[0,1] neg_hi:[0,1]
	v_mov_b32_e32 v80, v70
	v_pk_add_f32 v[54:55], v[80:81], v[52:53]
	s_mov_b32 s36, 0x33800000
	v_mov_b32_e32 v38, v55
	v_pk_add_f32 v[64:65], v[54:55], v[38:39]
	v_cmp_lt_f32_e64 s[36:37], |v51|, s36
	v_pk_add_f32 v[66:67], v[36:37], v[64:65]
	v_mov_b32_e32 v53, v64
	v_mov_b32_e32 v55, v66
	v_pk_add_f32 v[68:69], v[54:55], v[70:71] neg_lo:[0,1] neg_hi:[0,1]
	s_or_b64 s[30:31], s[30:31], s[36:37]
	v_sub_f32_e32 v35, v54, v68
	v_pk_add_f32 v[52:53], v[52:53], v[68:69] neg_lo:[0,1] neg_hi:[0,1]
	v_sub_f32_e32 v35, v70, v35
	v_add_f32_e32 v35, v52, v35
	v_add_f32_e32 v35, v35, v53
	;; [unrolled: 1-line block ×3, first 2 shown]
	v_cndmask_b32_e64 v35, v35, v51, s[30:31]
	v_add_f32_e32 v35, v37, v35
	v_cvt_f16_f32_e32 v35, v35
	v_cvt_f32_f16_e32 v36, v35
.LBB360_296:
	s_or_b64 exec, exec, s[34:35]
	v_cvt_f32_f16_sdwa v51, v23 dst_sel:DWORD dst_unused:UNUSED_PAD src0_sel:WORD_1
	v_max_f32_e32 v38, v36, v36
	v_cmp_u_f16_e64 s[34:35], v35, v35
	v_cmp_u_f16_sdwa s[30:31], v23, v23 src0_sel:WORD_1 src1_sel:WORD_1
	v_min_f32_e32 v37, v38, v51
	v_max_f32_e32 v23, v38, v51
	v_cndmask_b32_e64 v37, v37, v36, s[34:35]
	v_cndmask_b32_e64 v23, v23, v36, s[34:35]
	;; [unrolled: 1-line block ×4, first 2 shown]
	s_movk_i32 s38, 0x1f8
	v_cmp_neq_f32_e64 s[34:35], v37, v23
	v_cmp_class_f32_e64 s[36:37], v37, s38
	s_or_b64 s[34:35], s[34:35], s[36:37]
	s_and_saveexec_b64 s[36:37], s[34:35]
	s_cbranch_execz .LBB360_298
; %bb.297:
	v_sub_f32_e32 v35, v37, v23
	s_mov_b32 s34, 0x3fb8aa3b
	v_mul_f32_e32 v36, 0x3fb8aa3b, v35
	v_fma_f32 v37, v35, s34, -v36
	v_rndne_f32_e32 v38, v36
	v_fmamk_f32 v37, v35, 0x32a5705f, v37
	v_sub_f32_e32 v36, v36, v38
	v_add_f32_e32 v36, v36, v37
	v_exp_f32_e32 v36, v36
	v_cvt_i32_f32_e32 v37, v38
	s_mov_b32 s34, 0xc2ce8ed0
	v_cmp_ngt_f32_e64 s[34:35], s34, v35
	s_mov_b32 s39, 0x7f800000
	v_ldexp_f32 v36, v36, v37
	v_cndmask_b32_e64 v36, 0, v36, s[34:35]
	s_mov_b32 s34, 0x42b17218
	v_mov_b32_e32 v37, 0x7f800000
	v_cmp_nlt_f32_e64 s[34:35], s34, v35
	s_nop 1
	v_cndmask_b32_e64 v80, v37, v36, s[34:35]
	v_add_f32_e32 v35, 1.0, v80
	v_add_f32_e32 v36, -1.0, v35
	v_sub_f32_e32 v37, v36, v35
	v_add_f32_e32 v37, 1.0, v37
	v_sub_f32_e32 v36, v80, v36
	v_add_f32_e32 v38, v36, v37
	v_frexp_mant_f32_e32 v52, v35
	s_mov_b32 s34, 0x3f2aaaab
	v_cvt_f64_f32_e32 v[36:37], v35
	v_frexp_exp_i32_f64_e32 v36, v[36:37]
	v_cmp_gt_f32_e64 s[34:35], s34, v52
	s_nop 1
	v_subbrev_co_u32_e64 v66, s[34:35], 0, v36, s[34:35]
	v_sub_u32_e32 v36, 0, v66
	v_ldexp_f32 v35, v35, v36
	v_ldexp_f32 v36, v38, v36
	v_add_f32_e32 v38, -1.0, v35
	v_add_f32_e32 v37, 1.0, v38
	v_sub_f32_e32 v37, v35, v37
	v_add_f32_e32 v52, v36, v37
	v_add_f32_e32 v37, 1.0, v35
	v_add_f32_e32 v53, -1.0, v37
	v_sub_f32_e32 v35, v35, v53
	v_add_f32_e32 v35, v36, v35
	v_add_f32_e32 v67, v37, v35
	v_rcp_f32_e32 v68, v67
	v_sub_f32_e32 v36, v37, v67
	v_add_f32_e32 v37, v38, v52
	v_add_f32_e32 v35, v35, v36
	v_sub_f32_e32 v36, v38, v37
	v_mul_f32_e32 v69, v37, v68
	v_add_f32_e32 v38, v52, v36
	v_mul_f32_e32 v52, v67, v69
	v_fma_f32 v54, v69, v67, -v52
	v_fmac_f32_e32 v54, v69, v35
	v_add_f32_e32 v36, v52, v54
	v_sub_f32_e32 v53, v37, v36
	v_pk_add_f32 v[64:65], v[36:37], v[52:53] neg_lo:[0,1] neg_hi:[0,1]
	v_mov_b32_e32 v55, v36
	v_pk_add_f32 v[36:37], v[64:65], v[54:55] neg_lo:[0,1] neg_hi:[0,1]
	s_mov_b32 s34, 0x3f317218
	v_add_f32_e32 v37, v38, v37
	v_add_f32_e32 v36, v36, v37
	;; [unrolled: 1-line block ×3, first 2 shown]
	v_mul_f32_e32 v38, v68, v37
	v_mul_f32_e32 v52, v67, v38
	v_fma_f32 v54, v38, v67, -v52
	v_fmac_f32_e32 v54, v38, v35
	v_sub_f32_e32 v35, v53, v37
	v_add_f32_e32 v35, v36, v35
	v_add_f32_e32 v36, v52, v54
	v_sub_f32_e32 v53, v37, v36
	v_pk_add_f32 v[64:65], v[36:37], v[52:53] neg_lo:[0,1] neg_hi:[0,1]
	v_mov_b32_e32 v55, v36
	v_pk_add_f32 v[36:37], v[64:65], v[54:55] neg_lo:[0,1] neg_hi:[0,1]
	v_cvt_f32_i32_e32 v52, v66
	v_add_f32_e32 v35, v35, v37
	v_add_f32_e32 v35, v36, v35
	;; [unrolled: 1-line block ×4, first 2 shown]
	v_sub_f32_e32 v37, v36, v69
	v_mul_f32_e32 v35, v68, v35
	v_sub_f32_e32 v37, v38, v37
	v_add_f32_e32 v35, v37, v35
	v_add_f32_e32 v38, v36, v35
	v_mul_f32_e32 v53, v38, v38
	v_mov_b32_e32 v37, 0x3ecc95a3
	v_fmac_f32_e32 v37, 0x3e9b6dac, v53
	v_sub_f32_e32 v36, v38, v36
	v_fmaak_f32 v37, v53, v37, 0x3f2aaada
	v_sub_f32_e32 v35, v35, v36
	v_mul_f32_e32 v53, v38, v53
	v_mov_b32_e32 v36, 0x3f317218
	v_pk_mul_f32 v[36:37], v[52:53], v[36:37]
	v_ldexp_f32 v55, v38, 1
	v_fma_f32 v38, v52, s34, -v36
	v_fmamk_f32 v54, v52, 0xb102e308, v38
	v_pk_add_f32 v[52:53], v[36:37], v[54:55]
	v_ldexp_f32 v35, v35, 1
	v_sub_f32_e32 v38, v53, v55
	v_sub_f32_e32 v38, v37, v38
	v_add_f32_e32 v65, v35, v38
	v_mov_b32_e32 v64, v36
	v_pk_add_f32 v[36:37], v[52:53], v[36:37] neg_lo:[0,1] neg_hi:[0,1]
	v_pk_add_f32 v[66:67], v[52:53], v[64:65]
	v_mov_b32_e32 v55, v52
	v_mov_b32_e32 v37, v67
	v_pk_add_f32 v[68:69], v[54:55], v[36:37] neg_lo:[0,1] neg_hi:[0,1]
	v_pk_add_f32 v[36:37], v[54:55], v[36:37]
	v_cmp_eq_f32_e64 s[34:35], s39, v80
	v_mov_b32_e32 v38, v37
	v_pk_add_f32 v[54:55], v[38:39], v[52:53] neg_lo:[0,1] neg_hi:[0,1]
	v_mov_b32_e32 v36, v67
	v_mov_b32_e32 v35, v54
	v_pk_add_f32 v[70:71], v[66:67], v[34:35] neg_lo:[0,1] neg_hi:[0,1]
	v_mov_b32_e32 v66, v53
	v_mov_b32_e32 v67, v54
	;; [unrolled: 1-line block ×3, first 2 shown]
	v_pk_add_f32 v[36:37], v[36:37], v[66:67] neg_lo:[0,1] neg_hi:[0,1]
	v_mov_b32_e32 v54, v65
	v_mov_b32_e32 v55, v52
	v_pk_add_f32 v[36:37], v[54:55], v[36:37] neg_lo:[0,1] neg_hi:[0,1]
	v_mov_b32_e32 v70, v68
	v_pk_add_f32 v[52:53], v[70:71], v[36:37]
	s_mov_b32 s39, 0x33800000
	v_mov_b32_e32 v54, v53
	v_pk_add_f32 v[54:55], v[52:53], v[54:55]
	v_cmp_lt_f32_e64 s[40:41], |v80|, s39
	v_pk_add_f32 v[64:65], v[38:39], v[54:55]
	v_mov_b32_e32 v37, v54
	v_mov_b32_e32 v53, v64
	v_pk_add_f32 v[66:67], v[52:53], v[68:69] neg_lo:[0,1] neg_hi:[0,1]
	s_or_b64 s[34:35], s[34:35], s[40:41]
	v_sub_f32_e32 v35, v52, v66
	v_pk_add_f32 v[36:37], v[36:37], v[66:67] neg_lo:[0,1] neg_hi:[0,1]
	v_sub_f32_e32 v35, v68, v35
	v_add_f32_e32 v35, v36, v35
	v_add_f32_e32 v35, v35, v37
	;; [unrolled: 1-line block ×3, first 2 shown]
	v_cndmask_b32_e64 v35, v35, v80, s[34:35]
	v_add_f32_e32 v23, v23, v35
	v_cvt_f16_f32_e32 v35, v23
	v_cvt_f32_f16_e32 v36, v35
.LBB360_298:
	s_or_b64 exec, exec, s[36:37]
	v_cvt_f32_f16_e32 v23, v16
	v_max_f32_e32 v37, v36, v36
	v_cmp_u_f16_e64 s[36:37], v35, v35
	v_cmp_u_f16_e64 s[34:35], v16, v16
	v_min_f32_e32 v38, v37, v23
	v_max_f32_e32 v37, v37, v23
	v_cndmask_b32_e64 v38, v38, v36, s[36:37]
	v_cndmask_b32_e64 v37, v37, v36, s[36:37]
	;; [unrolled: 1-line block ×4, first 2 shown]
	v_cmp_neq_f32_e64 s[36:37], v38, v37
	v_cmp_class_f32_e64 s[38:39], v38, s38
	s_or_b64 s[36:37], s[36:37], s[38:39]
	s_and_saveexec_b64 s[38:39], s[36:37]
	s_cbranch_execz .LBB360_300
; %bb.299:
	v_sub_f32_e32 v35, v38, v37
	s_mov_b32 s36, 0x3fb8aa3b
	v_mul_f32_e32 v36, 0x3fb8aa3b, v35
	v_fma_f32 v38, v35, s36, -v36
	v_rndne_f32_e32 v52, v36
	v_fmamk_f32 v38, v35, 0x32a5705f, v38
	v_sub_f32_e32 v36, v36, v52
	v_add_f32_e32 v36, v36, v38
	v_exp_f32_e32 v36, v36
	v_cvt_i32_f32_e32 v38, v52
	s_mov_b32 s36, 0xc2ce8ed0
	v_cmp_ngt_f32_e64 s[36:37], s36, v35
	s_mov_b32 s40, 0x7f800000
	v_ldexp_f32 v36, v36, v38
	v_cndmask_b32_e64 v36, 0, v36, s[36:37]
	s_mov_b32 s36, 0x42b17218
	v_mov_b32_e32 v38, 0x7f800000
	v_cmp_nlt_f32_e64 s[36:37], s36, v35
	s_nop 1
	v_cndmask_b32_e64 v82, v38, v36, s[36:37]
	v_add_f32_e32 v35, 1.0, v82
	v_add_f32_e32 v36, -1.0, v35
	v_sub_f32_e32 v38, v36, v35
	v_add_f32_e32 v38, 1.0, v38
	v_sub_f32_e32 v36, v82, v36
	v_add_f32_e32 v36, v36, v38
	v_frexp_mant_f32_e32 v38, v35
	s_mov_b32 s36, 0x3f2aaaab
	v_cvt_f64_f32_e32 v[52:53], v35
	v_frexp_exp_i32_f64_e32 v52, v[52:53]
	v_cmp_gt_f32_e64 s[36:37], s36, v38
	s_nop 1
	v_subbrev_co_u32_e64 v38, s[36:37], 0, v52, s[36:37]
	v_sub_u32_e32 v52, 0, v38
	v_ldexp_f32 v35, v35, v52
	v_ldexp_f32 v36, v36, v52
	v_add_f32_e32 v52, -1.0, v35
	v_add_f32_e32 v53, 1.0, v52
	v_sub_f32_e32 v53, v35, v53
	v_add_f32_e32 v54, v36, v53
	v_add_f32_e32 v53, 1.0, v35
	v_add_f32_e32 v55, -1.0, v53
	v_sub_f32_e32 v35, v35, v55
	v_add_f32_e32 v35, v36, v35
	v_add_f32_e32 v36, v53, v35
	v_rcp_f32_e32 v68, v36
	v_sub_f32_e32 v53, v53, v36
	v_add_f32_e32 v35, v35, v53
	v_add_f32_e32 v53, v52, v54
	v_sub_f32_e32 v52, v52, v53
	v_mul_f32_e32 v70, v53, v68
	v_add_f32_e32 v69, v54, v52
	v_mul_f32_e32 v54, v36, v70
	v_fma_f32 v64, v70, v36, -v54
	v_fmac_f32_e32 v64, v70, v35
	v_add_f32_e32 v52, v54, v64
	v_sub_f32_e32 v55, v53, v52
	v_pk_add_f32 v[66:67], v[52:53], v[54:55] neg_lo:[0,1] neg_hi:[0,1]
	v_mov_b32_e32 v65, v52
	v_pk_add_f32 v[52:53], v[66:67], v[64:65] neg_lo:[0,1] neg_hi:[0,1]
	s_mov_b32 s36, 0x3f317218
	v_add_f32_e32 v53, v69, v53
	v_add_f32_e32 v52, v52, v53
	;; [unrolled: 1-line block ×3, first 2 shown]
	v_mul_f32_e32 v69, v68, v53
	v_mul_f32_e32 v54, v36, v69
	v_fma_f32 v64, v69, v36, -v54
	v_fmac_f32_e32 v64, v69, v35
	v_sub_f32_e32 v35, v55, v53
	v_add_f32_e32 v35, v52, v35
	v_add_f32_e32 v52, v54, v64
	v_sub_f32_e32 v55, v53, v52
	v_pk_add_f32 v[66:67], v[52:53], v[54:55] neg_lo:[0,1] neg_hi:[0,1]
	v_mov_b32_e32 v65, v52
	v_pk_add_f32 v[52:53], v[66:67], v[64:65] neg_lo:[0,1] neg_hi:[0,1]
	v_add_f32_e32 v36, v70, v69
	v_add_f32_e32 v35, v35, v53
	;; [unrolled: 1-line block ×4, first 2 shown]
	v_sub_f32_e32 v52, v36, v70
	v_mul_f32_e32 v35, v68, v35
	v_sub_f32_e32 v52, v69, v52
	v_add_f32_e32 v35, v52, v35
	v_add_f32_e32 v52, v36, v35
	v_cvt_f32_i32_e32 v54, v38
	v_mul_f32_e32 v55, v52, v52
	v_mov_b32_e32 v53, 0x3ecc95a3
	v_fmac_f32_e32 v53, 0x3e9b6dac, v55
	v_fmaak_f32 v53, v55, v53, 0x3f2aaada
	v_sub_f32_e32 v36, v52, v36
	v_ldexp_f32 v65, v52, 1
	v_mul_f32_e32 v55, v52, v55
	v_mov_b32_e32 v52, 0x3f317218
	v_pk_mul_f32 v[52:53], v[54:55], v[52:53]
	v_sub_f32_e32 v35, v35, v36
	v_fma_f32 v36, v54, s36, -v52
	v_fmamk_f32 v64, v54, 0xb102e308, v36
	v_pk_add_f32 v[54:55], v[52:53], v[64:65]
	v_ldexp_f32 v35, v35, 1
	v_sub_f32_e32 v36, v55, v65
	v_sub_f32_e32 v36, v53, v36
	v_add_f32_e32 v67, v35, v36
	v_mov_b32_e32 v66, v52
	v_pk_add_f32 v[52:53], v[54:55], v[52:53] neg_lo:[0,1] neg_hi:[0,1]
	v_pk_add_f32 v[68:69], v[54:55], v[66:67]
	v_mov_b32_e32 v65, v54
	v_mov_b32_e32 v53, v69
	v_pk_add_f32 v[70:71], v[64:65], v[52:53] neg_lo:[0,1] neg_hi:[0,1]
	v_pk_add_f32 v[52:53], v[64:65], v[52:53]
	v_cmp_eq_f32_e64 s[36:37], s40, v82
	v_mov_b32_e32 v36, v53
	v_pk_add_f32 v[64:65], v[36:37], v[54:55] neg_lo:[0,1] neg_hi:[0,1]
	v_mov_b32_e32 v52, v69
	v_mov_b32_e32 v35, v64
	v_pk_add_f32 v[80:81], v[68:69], v[34:35] neg_lo:[0,1] neg_hi:[0,1]
	v_mov_b32_e32 v68, v55
	v_mov_b32_e32 v69, v64
	;; [unrolled: 1-line block ×3, first 2 shown]
	v_pk_add_f32 v[52:53], v[52:53], v[68:69] neg_lo:[0,1] neg_hi:[0,1]
	v_mov_b32_e32 v64, v67
	v_mov_b32_e32 v65, v54
	v_pk_add_f32 v[52:53], v[64:65], v[52:53] neg_lo:[0,1] neg_hi:[0,1]
	v_mov_b32_e32 v80, v70
	v_pk_add_f32 v[54:55], v[80:81], v[52:53]
	s_mov_b32 s40, 0x33800000
	v_mov_b32_e32 v38, v55
	v_pk_add_f32 v[64:65], v[54:55], v[38:39]
	v_cmp_lt_f32_e64 s[40:41], |v82|, s40
	v_pk_add_f32 v[66:67], v[36:37], v[64:65]
	v_mov_b32_e32 v53, v64
	v_mov_b32_e32 v55, v66
	v_pk_add_f32 v[68:69], v[54:55], v[70:71] neg_lo:[0,1] neg_hi:[0,1]
	s_or_b64 s[36:37], s[36:37], s[40:41]
	v_sub_f32_e32 v35, v54, v68
	v_pk_add_f32 v[52:53], v[52:53], v[68:69] neg_lo:[0,1] neg_hi:[0,1]
	v_sub_f32_e32 v35, v70, v35
	v_add_f32_e32 v35, v52, v35
	v_add_f32_e32 v35, v35, v53
	;; [unrolled: 1-line block ×3, first 2 shown]
	v_cndmask_b32_e64 v35, v35, v82, s[36:37]
	v_add_f32_e32 v35, v37, v35
	v_cvt_f16_f32_e32 v35, v35
	v_cvt_f32_f16_e32 v36, v35
.LBB360_300:
	s_or_b64 exec, exec, s[38:39]
	v_cvt_f32_f16_sdwa v52, v16 dst_sel:DWORD dst_unused:UNUSED_PAD src0_sel:WORD_1
	v_max_f32_e32 v38, v36, v36
	v_cmp_u_f16_e64 s[38:39], v35, v35
	v_cmp_u_f16_sdwa s[36:37], v16, v16 src0_sel:WORD_1 src1_sel:WORD_1
	v_min_f32_e32 v37, v38, v52
	v_max_f32_e32 v16, v38, v52
	v_cndmask_b32_e64 v37, v37, v36, s[38:39]
	v_cndmask_b32_e64 v16, v16, v36, s[38:39]
	;; [unrolled: 1-line block ×4, first 2 shown]
	s_movk_i32 s42, 0x1f8
	v_cmp_neq_f32_e64 s[38:39], v37, v16
	v_cmp_class_f32_e64 s[40:41], v37, s42
	s_or_b64 s[38:39], s[38:39], s[40:41]
	s_and_saveexec_b64 s[40:41], s[38:39]
	s_cbranch_execz .LBB360_302
; %bb.301:
	v_sub_f32_e32 v35, v37, v16
	s_mov_b32 s38, 0x3fb8aa3b
	v_mul_f32_e32 v36, 0x3fb8aa3b, v35
	v_fma_f32 v37, v35, s38, -v36
	v_rndne_f32_e32 v38, v36
	v_fmamk_f32 v37, v35, 0x32a5705f, v37
	v_sub_f32_e32 v36, v36, v38
	v_add_f32_e32 v36, v36, v37
	v_exp_f32_e32 v36, v36
	v_cvt_i32_f32_e32 v37, v38
	s_mov_b32 s38, 0xc2ce8ed0
	v_cmp_ngt_f32_e64 s[38:39], s38, v35
	s_mov_b32 s43, 0x7f800000
	v_ldexp_f32 v36, v36, v37
	v_cndmask_b32_e64 v36, 0, v36, s[38:39]
	s_mov_b32 s38, 0x42b17218
	v_mov_b32_e32 v37, 0x7f800000
	v_cmp_nlt_f32_e64 s[38:39], s38, v35
	s_nop 1
	v_cndmask_b32_e64 v53, v37, v36, s[38:39]
	v_add_f32_e32 v35, 1.0, v53
	v_add_f32_e32 v36, -1.0, v35
	v_sub_f32_e32 v37, v36, v35
	v_add_f32_e32 v37, 1.0, v37
	v_sub_f32_e32 v36, v53, v36
	v_add_f32_e32 v38, v36, v37
	v_frexp_mant_f32_e32 v54, v35
	s_mov_b32 s38, 0x3f2aaaab
	v_cvt_f64_f32_e32 v[36:37], v35
	v_frexp_exp_i32_f64_e32 v36, v[36:37]
	v_cmp_gt_f32_e64 s[38:39], s38, v54
	s_nop 1
	v_subbrev_co_u32_e64 v68, s[38:39], 0, v36, s[38:39]
	v_sub_u32_e32 v36, 0, v68
	v_ldexp_f32 v35, v35, v36
	v_ldexp_f32 v36, v38, v36
	v_add_f32_e32 v38, -1.0, v35
	v_add_f32_e32 v37, 1.0, v38
	v_sub_f32_e32 v37, v35, v37
	v_add_f32_e32 v54, v36, v37
	v_add_f32_e32 v37, 1.0, v35
	v_add_f32_e32 v55, -1.0, v37
	v_sub_f32_e32 v35, v35, v55
	v_add_f32_e32 v35, v36, v35
	v_add_f32_e32 v69, v37, v35
	v_rcp_f32_e32 v70, v69
	v_sub_f32_e32 v36, v37, v69
	v_add_f32_e32 v37, v38, v54
	v_add_f32_e32 v35, v35, v36
	v_sub_f32_e32 v36, v38, v37
	v_mul_f32_e32 v71, v37, v70
	v_add_f32_e32 v38, v54, v36
	v_mul_f32_e32 v54, v69, v71
	v_fma_f32 v64, v71, v69, -v54
	v_fmac_f32_e32 v64, v71, v35
	v_add_f32_e32 v36, v54, v64
	v_sub_f32_e32 v55, v37, v36
	v_pk_add_f32 v[66:67], v[36:37], v[54:55] neg_lo:[0,1] neg_hi:[0,1]
	v_mov_b32_e32 v65, v36
	v_pk_add_f32 v[36:37], v[66:67], v[64:65] neg_lo:[0,1] neg_hi:[0,1]
	s_mov_b32 s38, 0x3f317218
	v_add_f32_e32 v37, v38, v37
	v_add_f32_e32 v36, v36, v37
	;; [unrolled: 1-line block ×3, first 2 shown]
	v_mul_f32_e32 v38, v70, v37
	v_mul_f32_e32 v54, v69, v38
	v_fma_f32 v64, v38, v69, -v54
	v_fmac_f32_e32 v64, v38, v35
	v_sub_f32_e32 v35, v55, v37
	v_add_f32_e32 v35, v36, v35
	v_add_f32_e32 v36, v54, v64
	v_sub_f32_e32 v55, v37, v36
	v_pk_add_f32 v[66:67], v[36:37], v[54:55] neg_lo:[0,1] neg_hi:[0,1]
	v_mov_b32_e32 v65, v36
	v_pk_add_f32 v[36:37], v[66:67], v[64:65] neg_lo:[0,1] neg_hi:[0,1]
	v_cvt_f32_i32_e32 v54, v68
	v_add_f32_e32 v35, v35, v37
	v_add_f32_e32 v35, v36, v35
	;; [unrolled: 1-line block ×4, first 2 shown]
	v_sub_f32_e32 v37, v36, v71
	v_mul_f32_e32 v35, v70, v35
	v_sub_f32_e32 v37, v38, v37
	v_add_f32_e32 v35, v37, v35
	v_add_f32_e32 v38, v36, v35
	v_mul_f32_e32 v55, v38, v38
	v_mov_b32_e32 v37, 0x3ecc95a3
	v_fmac_f32_e32 v37, 0x3e9b6dac, v55
	v_sub_f32_e32 v36, v38, v36
	v_fmaak_f32 v37, v55, v37, 0x3f2aaada
	v_sub_f32_e32 v35, v35, v36
	v_mul_f32_e32 v55, v38, v55
	v_mov_b32_e32 v36, 0x3f317218
	v_pk_mul_f32 v[36:37], v[54:55], v[36:37]
	v_ldexp_f32 v65, v38, 1
	v_fma_f32 v38, v54, s38, -v36
	v_fmamk_f32 v64, v54, 0xb102e308, v38
	v_pk_add_f32 v[54:55], v[36:37], v[64:65]
	v_ldexp_f32 v35, v35, 1
	v_sub_f32_e32 v38, v55, v65
	v_sub_f32_e32 v38, v37, v38
	v_add_f32_e32 v67, v35, v38
	v_mov_b32_e32 v66, v36
	v_pk_add_f32 v[36:37], v[54:55], v[36:37] neg_lo:[0,1] neg_hi:[0,1]
	v_pk_add_f32 v[68:69], v[54:55], v[66:67]
	v_mov_b32_e32 v65, v54
	v_mov_b32_e32 v37, v69
	v_pk_add_f32 v[70:71], v[64:65], v[36:37] neg_lo:[0,1] neg_hi:[0,1]
	v_pk_add_f32 v[36:37], v[64:65], v[36:37]
	v_cmp_eq_f32_e64 s[38:39], s43, v53
	v_mov_b32_e32 v38, v37
	v_pk_add_f32 v[64:65], v[38:39], v[54:55] neg_lo:[0,1] neg_hi:[0,1]
	v_mov_b32_e32 v36, v69
	v_mov_b32_e32 v35, v64
	v_pk_add_f32 v[80:81], v[68:69], v[34:35] neg_lo:[0,1] neg_hi:[0,1]
	v_mov_b32_e32 v68, v55
	v_mov_b32_e32 v69, v64
	;; [unrolled: 1-line block ×3, first 2 shown]
	v_pk_add_f32 v[36:37], v[36:37], v[68:69] neg_lo:[0,1] neg_hi:[0,1]
	v_mov_b32_e32 v64, v67
	v_mov_b32_e32 v65, v54
	v_pk_add_f32 v[36:37], v[64:65], v[36:37] neg_lo:[0,1] neg_hi:[0,1]
	v_mov_b32_e32 v80, v70
	v_pk_add_f32 v[54:55], v[80:81], v[36:37]
	s_mov_b32 s43, 0x33800000
	v_mov_b32_e32 v64, v55
	v_pk_add_f32 v[64:65], v[54:55], v[64:65]
	v_cmp_lt_f32_e64 s[44:45], |v53|, s43
	v_pk_add_f32 v[66:67], v[38:39], v[64:65]
	v_mov_b32_e32 v37, v64
	v_mov_b32_e32 v55, v66
	v_pk_add_f32 v[68:69], v[54:55], v[70:71] neg_lo:[0,1] neg_hi:[0,1]
	s_or_b64 s[38:39], s[38:39], s[44:45]
	v_sub_f32_e32 v35, v54, v68
	v_pk_add_f32 v[36:37], v[36:37], v[68:69] neg_lo:[0,1] neg_hi:[0,1]
	v_sub_f32_e32 v35, v70, v35
	v_add_f32_e32 v35, v36, v35
	v_add_f32_e32 v35, v35, v37
	;; [unrolled: 1-line block ×3, first 2 shown]
	v_cndmask_b32_e64 v35, v35, v53, s[38:39]
	v_add_f32_e32 v16, v16, v35
	v_cvt_f16_f32_e32 v35, v16
	v_cvt_f32_f16_e32 v36, v35
.LBB360_302:
	s_or_b64 exec, exec, s[40:41]
	v_cvt_f32_f16_e32 v16, v17
	v_max_f32_e32 v37, v36, v36
	v_cmp_u_f16_e64 s[40:41], v35, v35
	v_cmp_u_f16_e64 s[38:39], v17, v17
	v_min_f32_e32 v38, v37, v16
	v_max_f32_e32 v37, v37, v16
	v_cndmask_b32_e64 v38, v38, v36, s[40:41]
	v_cndmask_b32_e64 v37, v37, v36, s[40:41]
	;; [unrolled: 1-line block ×4, first 2 shown]
	v_cmp_neq_f32_e64 s[40:41], v38, v37
	v_cmp_class_f32_e64 s[42:43], v38, s42
	s_or_b64 s[40:41], s[40:41], s[42:43]
	s_and_saveexec_b64 s[42:43], s[40:41]
	s_cbranch_execz .LBB360_304
; %bb.303:
	v_sub_f32_e32 v35, v38, v37
	s_mov_b32 s40, 0x3fb8aa3b
	v_mul_f32_e32 v36, 0x3fb8aa3b, v35
	v_fma_f32 v38, v35, s40, -v36
	v_rndne_f32_e32 v53, v36
	v_fmamk_f32 v38, v35, 0x32a5705f, v38
	v_sub_f32_e32 v36, v36, v53
	v_add_f32_e32 v36, v36, v38
	v_exp_f32_e32 v36, v36
	v_cvt_i32_f32_e32 v38, v53
	s_mov_b32 s40, 0xc2ce8ed0
	v_cmp_ngt_f32_e64 s[40:41], s40, v35
	s_mov_b32 s44, 0x7f800000
	v_ldexp_f32 v36, v36, v38
	v_cndmask_b32_e64 v36, 0, v36, s[40:41]
	s_mov_b32 s40, 0x42b17218
	v_mov_b32_e32 v38, 0x7f800000
	v_cmp_nlt_f32_e64 s[40:41], s40, v35
	s_nop 1
	v_cndmask_b32_e64 v53, v38, v36, s[40:41]
	v_add_f32_e32 v35, 1.0, v53
	v_add_f32_e32 v36, -1.0, v35
	v_sub_f32_e32 v38, v36, v35
	v_add_f32_e32 v38, 1.0, v38
	v_sub_f32_e32 v36, v53, v36
	v_add_f32_e32 v36, v36, v38
	v_frexp_mant_f32_e32 v38, v35
	s_mov_b32 s40, 0x3f2aaaab
	v_cvt_f64_f32_e32 v[54:55], v35
	v_frexp_exp_i32_f64_e32 v54, v[54:55]
	v_cmp_gt_f32_e64 s[40:41], s40, v38
	s_nop 1
	v_subbrev_co_u32_e64 v38, s[40:41], 0, v54, s[40:41]
	v_sub_u32_e32 v54, 0, v38
	v_ldexp_f32 v35, v35, v54
	v_ldexp_f32 v36, v36, v54
	v_add_f32_e32 v54, -1.0, v35
	v_add_f32_e32 v55, 1.0, v54
	v_sub_f32_e32 v55, v35, v55
	v_add_f32_e32 v64, v36, v55
	v_add_f32_e32 v55, 1.0, v35
	v_add_f32_e32 v65, -1.0, v55
	v_sub_f32_e32 v35, v35, v65
	v_add_f32_e32 v35, v36, v35
	v_add_f32_e32 v36, v55, v35
	v_rcp_f32_e32 v70, v36
	v_sub_f32_e32 v55, v55, v36
	v_add_f32_e32 v35, v35, v55
	v_add_f32_e32 v55, v54, v64
	v_sub_f32_e32 v54, v54, v55
	v_mul_f32_e32 v80, v55, v70
	v_add_f32_e32 v71, v64, v54
	v_mul_f32_e32 v64, v36, v80
	v_fma_f32 v66, v80, v36, -v64
	v_fmac_f32_e32 v66, v80, v35
	v_add_f32_e32 v54, v64, v66
	v_sub_f32_e32 v65, v55, v54
	v_pk_add_f32 v[68:69], v[54:55], v[64:65] neg_lo:[0,1] neg_hi:[0,1]
	v_mov_b32_e32 v67, v54
	v_pk_add_f32 v[54:55], v[68:69], v[66:67] neg_lo:[0,1] neg_hi:[0,1]
	s_mov_b32 s40, 0x3f317218
	v_add_f32_e32 v55, v71, v55
	v_add_f32_e32 v54, v54, v55
	;; [unrolled: 1-line block ×3, first 2 shown]
	v_mul_f32_e32 v71, v70, v55
	v_mul_f32_e32 v64, v36, v71
	v_fma_f32 v66, v71, v36, -v64
	v_fmac_f32_e32 v66, v71, v35
	v_sub_f32_e32 v35, v65, v55
	v_add_f32_e32 v35, v54, v35
	v_add_f32_e32 v54, v64, v66
	v_sub_f32_e32 v65, v55, v54
	v_pk_add_f32 v[68:69], v[54:55], v[64:65] neg_lo:[0,1] neg_hi:[0,1]
	v_mov_b32_e32 v67, v54
	v_pk_add_f32 v[54:55], v[68:69], v[66:67] neg_lo:[0,1] neg_hi:[0,1]
	v_add_f32_e32 v36, v80, v71
	v_add_f32_e32 v35, v35, v55
	;; [unrolled: 1-line block ×4, first 2 shown]
	v_sub_f32_e32 v54, v36, v80
	v_mul_f32_e32 v35, v70, v35
	v_sub_f32_e32 v54, v71, v54
	v_add_f32_e32 v35, v54, v35
	v_add_f32_e32 v54, v36, v35
	v_cvt_f32_i32_e32 v64, v38
	v_mul_f32_e32 v65, v54, v54
	v_mov_b32_e32 v55, 0x3ecc95a3
	v_fmac_f32_e32 v55, 0x3e9b6dac, v65
	v_fmaak_f32 v55, v65, v55, 0x3f2aaada
	v_sub_f32_e32 v36, v54, v36
	v_ldexp_f32 v67, v54, 1
	v_mul_f32_e32 v65, v54, v65
	v_mov_b32_e32 v54, 0x3f317218
	v_pk_mul_f32 v[54:55], v[64:65], v[54:55]
	v_sub_f32_e32 v35, v35, v36
	v_fma_f32 v36, v64, s40, -v54
	v_fmamk_f32 v66, v64, 0xb102e308, v36
	v_pk_add_f32 v[64:65], v[54:55], v[66:67]
	v_ldexp_f32 v35, v35, 1
	v_sub_f32_e32 v36, v65, v67
	v_sub_f32_e32 v36, v55, v36
	v_add_f32_e32 v69, v35, v36
	v_mov_b32_e32 v68, v54
	v_pk_add_f32 v[54:55], v[64:65], v[54:55] neg_lo:[0,1] neg_hi:[0,1]
	v_pk_add_f32 v[70:71], v[64:65], v[68:69]
	v_mov_b32_e32 v67, v64
	v_mov_b32_e32 v55, v71
	v_pk_add_f32 v[80:81], v[66:67], v[54:55] neg_lo:[0,1] neg_hi:[0,1]
	v_pk_add_f32 v[54:55], v[66:67], v[54:55]
	v_cmp_eq_f32_e64 s[40:41], s44, v53
	v_mov_b32_e32 v36, v55
	v_pk_add_f32 v[66:67], v[36:37], v[64:65] neg_lo:[0,1] neg_hi:[0,1]
	v_mov_b32_e32 v54, v71
	v_mov_b32_e32 v35, v66
	v_pk_add_f32 v[82:83], v[70:71], v[34:35] neg_lo:[0,1] neg_hi:[0,1]
	v_mov_b32_e32 v70, v65
	v_mov_b32_e32 v71, v66
	;; [unrolled: 1-line block ×3, first 2 shown]
	v_pk_add_f32 v[54:55], v[54:55], v[70:71] neg_lo:[0,1] neg_hi:[0,1]
	v_mov_b32_e32 v66, v69
	v_mov_b32_e32 v67, v64
	v_pk_add_f32 v[54:55], v[66:67], v[54:55] neg_lo:[0,1] neg_hi:[0,1]
	v_mov_b32_e32 v82, v80
	v_pk_add_f32 v[64:65], v[82:83], v[54:55]
	s_mov_b32 s44, 0x33800000
	v_mov_b32_e32 v38, v65
	v_pk_add_f32 v[66:67], v[64:65], v[38:39]
	v_cmp_lt_f32_e64 s[44:45], |v53|, s44
	v_pk_add_f32 v[68:69], v[36:37], v[66:67]
	v_mov_b32_e32 v55, v66
	v_mov_b32_e32 v65, v68
	v_pk_add_f32 v[70:71], v[64:65], v[80:81] neg_lo:[0,1] neg_hi:[0,1]
	s_or_b64 s[40:41], s[40:41], s[44:45]
	v_sub_f32_e32 v35, v64, v70
	v_pk_add_f32 v[54:55], v[54:55], v[70:71] neg_lo:[0,1] neg_hi:[0,1]
	v_sub_f32_e32 v35, v80, v35
	v_add_f32_e32 v35, v54, v35
	v_add_f32_e32 v35, v35, v55
	;; [unrolled: 1-line block ×3, first 2 shown]
	v_cndmask_b32_e64 v35, v35, v53, s[40:41]
	v_add_f32_e32 v35, v37, v35
	v_cvt_f16_f32_e32 v35, v35
	v_cvt_f32_f16_e32 v36, v35
.LBB360_304:
	s_or_b64 exec, exec, s[42:43]
	v_cvt_f32_f16_sdwa v53, v17 dst_sel:DWORD dst_unused:UNUSED_PAD src0_sel:WORD_1
	v_max_f32_e32 v38, v36, v36
	v_cmp_u_f16_e64 s[42:43], v35, v35
	v_cmp_u_f16_sdwa s[40:41], v17, v17 src0_sel:WORD_1 src1_sel:WORD_1
	v_min_f32_e32 v37, v38, v53
	v_max_f32_e32 v17, v38, v53
	v_cndmask_b32_e64 v37, v37, v36, s[42:43]
	v_cndmask_b32_e64 v17, v17, v36, s[42:43]
	;; [unrolled: 1-line block ×4, first 2 shown]
	s_movk_i32 s46, 0x1f8
	v_cmp_neq_f32_e64 s[42:43], v37, v17
	v_cmp_class_f32_e64 s[44:45], v37, s46
	s_or_b64 s[42:43], s[42:43], s[44:45]
	s_and_saveexec_b64 s[44:45], s[42:43]
	s_cbranch_execz .LBB360_306
; %bb.305:
	v_sub_f32_e32 v35, v37, v17
	s_mov_b32 s42, 0x3fb8aa3b
	v_mul_f32_e32 v36, 0x3fb8aa3b, v35
	v_fma_f32 v37, v35, s42, -v36
	v_rndne_f32_e32 v38, v36
	v_fmamk_f32 v37, v35, 0x32a5705f, v37
	v_sub_f32_e32 v36, v36, v38
	v_add_f32_e32 v36, v36, v37
	v_exp_f32_e32 v36, v36
	v_cvt_i32_f32_e32 v37, v38
	s_mov_b32 s42, 0xc2ce8ed0
	v_cmp_ngt_f32_e64 s[42:43], s42, v35
	s_mov_b32 s47, 0x7f800000
	v_ldexp_f32 v36, v36, v37
	v_cndmask_b32_e64 v36, 0, v36, s[42:43]
	s_mov_b32 s42, 0x42b17218
	v_mov_b32_e32 v37, 0x7f800000
	v_cmp_nlt_f32_e64 s[42:43], s42, v35
	s_nop 1
	v_cndmask_b32_e64 v82, v37, v36, s[42:43]
	v_add_f32_e32 v35, 1.0, v82
	v_add_f32_e32 v36, -1.0, v35
	v_sub_f32_e32 v37, v36, v35
	v_add_f32_e32 v37, 1.0, v37
	v_sub_f32_e32 v36, v82, v36
	v_add_f32_e32 v38, v36, v37
	v_frexp_mant_f32_e32 v54, v35
	s_mov_b32 s42, 0x3f2aaaab
	v_cvt_f64_f32_e32 v[36:37], v35
	v_frexp_exp_i32_f64_e32 v36, v[36:37]
	v_cmp_gt_f32_e64 s[42:43], s42, v54
	s_nop 1
	v_subbrev_co_u32_e64 v68, s[42:43], 0, v36, s[42:43]
	v_sub_u32_e32 v36, 0, v68
	v_ldexp_f32 v35, v35, v36
	v_ldexp_f32 v36, v38, v36
	v_add_f32_e32 v38, -1.0, v35
	v_add_f32_e32 v37, 1.0, v38
	v_sub_f32_e32 v37, v35, v37
	v_add_f32_e32 v54, v36, v37
	v_add_f32_e32 v37, 1.0, v35
	v_add_f32_e32 v55, -1.0, v37
	v_sub_f32_e32 v35, v35, v55
	v_add_f32_e32 v35, v36, v35
	v_add_f32_e32 v69, v37, v35
	v_rcp_f32_e32 v70, v69
	v_sub_f32_e32 v36, v37, v69
	v_add_f32_e32 v37, v38, v54
	v_add_f32_e32 v35, v35, v36
	v_sub_f32_e32 v36, v38, v37
	v_mul_f32_e32 v71, v37, v70
	v_add_f32_e32 v38, v54, v36
	v_mul_f32_e32 v54, v69, v71
	v_fma_f32 v64, v71, v69, -v54
	v_fmac_f32_e32 v64, v71, v35
	v_add_f32_e32 v36, v54, v64
	v_sub_f32_e32 v55, v37, v36
	v_pk_add_f32 v[66:67], v[36:37], v[54:55] neg_lo:[0,1] neg_hi:[0,1]
	v_mov_b32_e32 v65, v36
	v_pk_add_f32 v[36:37], v[66:67], v[64:65] neg_lo:[0,1] neg_hi:[0,1]
	s_mov_b32 s42, 0x3f317218
	v_add_f32_e32 v37, v38, v37
	v_add_f32_e32 v36, v36, v37
	;; [unrolled: 1-line block ×3, first 2 shown]
	v_mul_f32_e32 v38, v70, v37
	v_mul_f32_e32 v54, v69, v38
	v_fma_f32 v64, v38, v69, -v54
	v_fmac_f32_e32 v64, v38, v35
	v_sub_f32_e32 v35, v55, v37
	v_add_f32_e32 v35, v36, v35
	v_add_f32_e32 v36, v54, v64
	v_sub_f32_e32 v55, v37, v36
	v_pk_add_f32 v[66:67], v[36:37], v[54:55] neg_lo:[0,1] neg_hi:[0,1]
	v_mov_b32_e32 v65, v36
	v_pk_add_f32 v[36:37], v[66:67], v[64:65] neg_lo:[0,1] neg_hi:[0,1]
	v_cvt_f32_i32_e32 v54, v68
	v_add_f32_e32 v35, v35, v37
	v_add_f32_e32 v35, v36, v35
	;; [unrolled: 1-line block ×4, first 2 shown]
	v_sub_f32_e32 v37, v36, v71
	v_mul_f32_e32 v35, v70, v35
	v_sub_f32_e32 v37, v38, v37
	v_add_f32_e32 v35, v37, v35
	v_add_f32_e32 v38, v36, v35
	v_mul_f32_e32 v55, v38, v38
	v_mov_b32_e32 v37, 0x3ecc95a3
	v_fmac_f32_e32 v37, 0x3e9b6dac, v55
	v_sub_f32_e32 v36, v38, v36
	v_fmaak_f32 v37, v55, v37, 0x3f2aaada
	v_sub_f32_e32 v35, v35, v36
	v_mul_f32_e32 v55, v38, v55
	v_mov_b32_e32 v36, 0x3f317218
	v_pk_mul_f32 v[36:37], v[54:55], v[36:37]
	v_ldexp_f32 v65, v38, 1
	v_fma_f32 v38, v54, s42, -v36
	v_fmamk_f32 v64, v54, 0xb102e308, v38
	v_pk_add_f32 v[54:55], v[36:37], v[64:65]
	v_ldexp_f32 v35, v35, 1
	v_sub_f32_e32 v38, v55, v65
	v_sub_f32_e32 v38, v37, v38
	v_add_f32_e32 v67, v35, v38
	v_mov_b32_e32 v66, v36
	v_pk_add_f32 v[36:37], v[54:55], v[36:37] neg_lo:[0,1] neg_hi:[0,1]
	v_pk_add_f32 v[68:69], v[54:55], v[66:67]
	v_mov_b32_e32 v65, v54
	v_mov_b32_e32 v37, v69
	v_pk_add_f32 v[70:71], v[64:65], v[36:37] neg_lo:[0,1] neg_hi:[0,1]
	v_pk_add_f32 v[36:37], v[64:65], v[36:37]
	v_cmp_eq_f32_e64 s[42:43], s47, v82
	v_mov_b32_e32 v38, v37
	v_pk_add_f32 v[64:65], v[38:39], v[54:55] neg_lo:[0,1] neg_hi:[0,1]
	v_mov_b32_e32 v36, v69
	v_mov_b32_e32 v35, v64
	v_pk_add_f32 v[80:81], v[68:69], v[34:35] neg_lo:[0,1] neg_hi:[0,1]
	v_mov_b32_e32 v68, v55
	v_mov_b32_e32 v69, v64
	;; [unrolled: 1-line block ×3, first 2 shown]
	v_pk_add_f32 v[36:37], v[36:37], v[68:69] neg_lo:[0,1] neg_hi:[0,1]
	v_mov_b32_e32 v64, v67
	v_mov_b32_e32 v65, v54
	v_pk_add_f32 v[36:37], v[64:65], v[36:37] neg_lo:[0,1] neg_hi:[0,1]
	v_mov_b32_e32 v80, v70
	v_pk_add_f32 v[54:55], v[80:81], v[36:37]
	s_mov_b32 s47, 0x33800000
	v_mov_b32_e32 v64, v55
	v_pk_add_f32 v[64:65], v[54:55], v[64:65]
	v_cmp_lt_f32_e64 s[48:49], |v82|, s47
	v_pk_add_f32 v[66:67], v[38:39], v[64:65]
	v_mov_b32_e32 v37, v64
	v_mov_b32_e32 v55, v66
	v_pk_add_f32 v[68:69], v[54:55], v[70:71] neg_lo:[0,1] neg_hi:[0,1]
	s_or_b64 s[42:43], s[42:43], s[48:49]
	v_sub_f32_e32 v35, v54, v68
	v_pk_add_f32 v[36:37], v[36:37], v[68:69] neg_lo:[0,1] neg_hi:[0,1]
	v_sub_f32_e32 v35, v70, v35
	v_add_f32_e32 v35, v36, v35
	v_add_f32_e32 v35, v35, v37
	;; [unrolled: 1-line block ×3, first 2 shown]
	v_cndmask_b32_e64 v35, v35, v82, s[42:43]
	v_add_f32_e32 v17, v17, v35
	v_cvt_f16_f32_e32 v35, v17
	v_cvt_f32_f16_e32 v36, v35
.LBB360_306:
	s_or_b64 exec, exec, s[44:45]
	v_cvt_f32_f16_e32 v17, v18
	v_max_f32_e32 v37, v36, v36
	v_cmp_u_f16_e64 s[44:45], v35, v35
	v_cmp_u_f16_e64 s[42:43], v18, v18
	v_min_f32_e32 v38, v37, v17
	v_max_f32_e32 v37, v37, v17
	v_cndmask_b32_e64 v38, v38, v36, s[44:45]
	v_cndmask_b32_e64 v37, v37, v36, s[44:45]
	;; [unrolled: 1-line block ×4, first 2 shown]
	v_cmp_neq_f32_e64 s[44:45], v38, v37
	v_cmp_class_f32_e64 s[46:47], v38, s46
	s_or_b64 s[44:45], s[44:45], s[46:47]
	s_and_saveexec_b64 s[46:47], s[44:45]
	s_cbranch_execz .LBB360_308
; %bb.307:
	v_sub_f32_e32 v35, v38, v37
	s_mov_b32 s44, 0x3fb8aa3b
	v_mul_f32_e32 v36, 0x3fb8aa3b, v35
	v_fma_f32 v38, v35, s44, -v36
	v_rndne_f32_e32 v54, v36
	v_fmamk_f32 v38, v35, 0x32a5705f, v38
	v_sub_f32_e32 v36, v36, v54
	v_add_f32_e32 v36, v36, v38
	v_exp_f32_e32 v36, v36
	v_cvt_i32_f32_e32 v38, v54
	s_mov_b32 s44, 0xc2ce8ed0
	v_cmp_ngt_f32_e64 s[44:45], s44, v35
	s_mov_b32 s48, 0x7f800000
	v_ldexp_f32 v36, v36, v38
	v_cndmask_b32_e64 v36, 0, v36, s[44:45]
	s_mov_b32 s44, 0x42b17218
	v_mov_b32_e32 v38, 0x7f800000
	v_cmp_nlt_f32_e64 s[44:45], s44, v35
	s_nop 1
	v_cndmask_b32_e64 v84, v38, v36, s[44:45]
	v_add_f32_e32 v35, 1.0, v84
	v_add_f32_e32 v36, -1.0, v35
	v_sub_f32_e32 v38, v36, v35
	v_add_f32_e32 v38, 1.0, v38
	v_sub_f32_e32 v36, v84, v36
	v_add_f32_e32 v36, v36, v38
	v_frexp_mant_f32_e32 v38, v35
	s_mov_b32 s44, 0x3f2aaaab
	v_cvt_f64_f32_e32 v[54:55], v35
	v_frexp_exp_i32_f64_e32 v54, v[54:55]
	v_cmp_gt_f32_e64 s[44:45], s44, v38
	s_nop 1
	v_subbrev_co_u32_e64 v38, s[44:45], 0, v54, s[44:45]
	v_sub_u32_e32 v54, 0, v38
	v_ldexp_f32 v35, v35, v54
	v_ldexp_f32 v36, v36, v54
	v_add_f32_e32 v54, -1.0, v35
	v_add_f32_e32 v55, 1.0, v54
	v_sub_f32_e32 v55, v35, v55
	v_add_f32_e32 v64, v36, v55
	v_add_f32_e32 v55, 1.0, v35
	v_add_f32_e32 v65, -1.0, v55
	v_sub_f32_e32 v35, v35, v65
	v_add_f32_e32 v35, v36, v35
	v_add_f32_e32 v36, v55, v35
	v_rcp_f32_e32 v70, v36
	v_sub_f32_e32 v55, v55, v36
	v_add_f32_e32 v35, v35, v55
	v_add_f32_e32 v55, v54, v64
	v_sub_f32_e32 v54, v54, v55
	v_mul_f32_e32 v80, v55, v70
	v_add_f32_e32 v71, v64, v54
	v_mul_f32_e32 v64, v36, v80
	v_fma_f32 v66, v80, v36, -v64
	v_fmac_f32_e32 v66, v80, v35
	v_add_f32_e32 v54, v64, v66
	v_sub_f32_e32 v65, v55, v54
	v_pk_add_f32 v[68:69], v[54:55], v[64:65] neg_lo:[0,1] neg_hi:[0,1]
	v_mov_b32_e32 v67, v54
	v_pk_add_f32 v[54:55], v[68:69], v[66:67] neg_lo:[0,1] neg_hi:[0,1]
	s_mov_b32 s44, 0x3f317218
	v_add_f32_e32 v55, v71, v55
	v_add_f32_e32 v54, v54, v55
	;; [unrolled: 1-line block ×3, first 2 shown]
	v_mul_f32_e32 v71, v70, v55
	v_mul_f32_e32 v64, v36, v71
	v_fma_f32 v66, v71, v36, -v64
	v_fmac_f32_e32 v66, v71, v35
	v_sub_f32_e32 v35, v65, v55
	v_add_f32_e32 v35, v54, v35
	v_add_f32_e32 v54, v64, v66
	v_sub_f32_e32 v65, v55, v54
	v_pk_add_f32 v[68:69], v[54:55], v[64:65] neg_lo:[0,1] neg_hi:[0,1]
	v_mov_b32_e32 v67, v54
	v_pk_add_f32 v[54:55], v[68:69], v[66:67] neg_lo:[0,1] neg_hi:[0,1]
	v_add_f32_e32 v36, v80, v71
	v_add_f32_e32 v35, v35, v55
	;; [unrolled: 1-line block ×4, first 2 shown]
	v_sub_f32_e32 v54, v36, v80
	v_mul_f32_e32 v35, v70, v35
	v_sub_f32_e32 v54, v71, v54
	v_add_f32_e32 v35, v54, v35
	v_add_f32_e32 v54, v36, v35
	v_cvt_f32_i32_e32 v64, v38
	v_mul_f32_e32 v65, v54, v54
	v_mov_b32_e32 v55, 0x3ecc95a3
	v_fmac_f32_e32 v55, 0x3e9b6dac, v65
	v_fmaak_f32 v55, v65, v55, 0x3f2aaada
	v_sub_f32_e32 v36, v54, v36
	v_ldexp_f32 v67, v54, 1
	v_mul_f32_e32 v65, v54, v65
	v_mov_b32_e32 v54, 0x3f317218
	v_pk_mul_f32 v[54:55], v[64:65], v[54:55]
	v_sub_f32_e32 v35, v35, v36
	v_fma_f32 v36, v64, s44, -v54
	v_fmamk_f32 v66, v64, 0xb102e308, v36
	v_pk_add_f32 v[64:65], v[54:55], v[66:67]
	v_ldexp_f32 v35, v35, 1
	v_sub_f32_e32 v36, v65, v67
	v_sub_f32_e32 v36, v55, v36
	v_add_f32_e32 v69, v35, v36
	v_mov_b32_e32 v68, v54
	v_pk_add_f32 v[54:55], v[64:65], v[54:55] neg_lo:[0,1] neg_hi:[0,1]
	v_pk_add_f32 v[70:71], v[64:65], v[68:69]
	v_mov_b32_e32 v67, v64
	v_mov_b32_e32 v55, v71
	v_pk_add_f32 v[80:81], v[66:67], v[54:55] neg_lo:[0,1] neg_hi:[0,1]
	v_pk_add_f32 v[54:55], v[66:67], v[54:55]
	v_cmp_eq_f32_e64 s[44:45], s48, v84
	v_mov_b32_e32 v36, v55
	v_pk_add_f32 v[66:67], v[36:37], v[64:65] neg_lo:[0,1] neg_hi:[0,1]
	v_mov_b32_e32 v54, v71
	v_mov_b32_e32 v35, v66
	v_pk_add_f32 v[82:83], v[70:71], v[34:35] neg_lo:[0,1] neg_hi:[0,1]
	v_mov_b32_e32 v70, v65
	v_mov_b32_e32 v71, v66
	;; [unrolled: 1-line block ×3, first 2 shown]
	v_pk_add_f32 v[54:55], v[54:55], v[70:71] neg_lo:[0,1] neg_hi:[0,1]
	v_mov_b32_e32 v66, v69
	v_mov_b32_e32 v67, v64
	v_pk_add_f32 v[54:55], v[66:67], v[54:55] neg_lo:[0,1] neg_hi:[0,1]
	v_mov_b32_e32 v82, v80
	v_pk_add_f32 v[64:65], v[82:83], v[54:55]
	s_mov_b32 s48, 0x33800000
	v_mov_b32_e32 v38, v65
	v_pk_add_f32 v[66:67], v[64:65], v[38:39]
	v_cmp_lt_f32_e64 s[48:49], |v84|, s48
	v_pk_add_f32 v[68:69], v[36:37], v[66:67]
	v_mov_b32_e32 v55, v66
	v_mov_b32_e32 v65, v68
	v_pk_add_f32 v[70:71], v[64:65], v[80:81] neg_lo:[0,1] neg_hi:[0,1]
	s_or_b64 s[44:45], s[44:45], s[48:49]
	v_sub_f32_e32 v35, v64, v70
	v_pk_add_f32 v[54:55], v[54:55], v[70:71] neg_lo:[0,1] neg_hi:[0,1]
	v_sub_f32_e32 v35, v80, v35
	v_add_f32_e32 v35, v54, v35
	v_add_f32_e32 v35, v35, v55
	;; [unrolled: 1-line block ×3, first 2 shown]
	v_cndmask_b32_e64 v35, v35, v84, s[44:45]
	v_add_f32_e32 v35, v37, v35
	v_cvt_f16_f32_e32 v35, v35
	v_cvt_f32_f16_e32 v36, v35
.LBB360_308:
	s_or_b64 exec, exec, s[46:47]
	v_cvt_f32_f16_sdwa v54, v18 dst_sel:DWORD dst_unused:UNUSED_PAD src0_sel:WORD_1
	v_max_f32_e32 v38, v36, v36
	v_cmp_u_f16_e64 s[46:47], v35, v35
	v_cmp_u_f16_sdwa s[44:45], v18, v18 src0_sel:WORD_1 src1_sel:WORD_1
	v_min_f32_e32 v37, v38, v54
	v_max_f32_e32 v18, v38, v54
	v_cndmask_b32_e64 v37, v37, v36, s[46:47]
	v_cndmask_b32_e64 v18, v18, v36, s[46:47]
	;; [unrolled: 1-line block ×4, first 2 shown]
	s_movk_i32 s52, 0x1f8
	v_cmp_neq_f32_e64 s[46:47], v37, v18
	v_cmp_class_f32_e64 s[48:49], v37, s52
	s_or_b64 s[46:47], s[46:47], s[48:49]
	s_and_saveexec_b64 s[48:49], s[46:47]
	s_cbranch_execz .LBB360_310
; %bb.309:
	v_sub_f32_e32 v35, v37, v18
	s_mov_b32 s46, 0x3fb8aa3b
	v_mul_f32_e32 v36, 0x3fb8aa3b, v35
	v_fma_f32 v37, v35, s46, -v36
	v_rndne_f32_e32 v38, v36
	v_fmamk_f32 v37, v35, 0x32a5705f, v37
	v_sub_f32_e32 v36, v36, v38
	v_add_f32_e32 v36, v36, v37
	v_exp_f32_e32 v36, v36
	v_cvt_i32_f32_e32 v37, v38
	s_mov_b32 s46, 0xc2ce8ed0
	v_cmp_ngt_f32_e64 s[46:47], s46, v35
	s_mov_b32 s53, 0x7f800000
	v_ldexp_f32 v36, v36, v37
	v_cndmask_b32_e64 v36, 0, v36, s[46:47]
	s_mov_b32 s46, 0x42b17218
	v_mov_b32_e32 v37, 0x7f800000
	v_cmp_nlt_f32_e64 s[46:47], s46, v35
	s_nop 1
	v_cndmask_b32_e64 v55, v37, v36, s[46:47]
	v_add_f32_e32 v35, 1.0, v55
	v_add_f32_e32 v36, -1.0, v35
	v_sub_f32_e32 v37, v36, v35
	v_add_f32_e32 v37, 1.0, v37
	v_sub_f32_e32 v36, v55, v36
	v_add_f32_e32 v38, v36, v37
	v_frexp_mant_f32_e32 v64, v35
	s_mov_b32 s46, 0x3f2aaaab
	v_cvt_f64_f32_e32 v[36:37], v35
	v_frexp_exp_i32_f64_e32 v36, v[36:37]
	v_cmp_gt_f32_e64 s[46:47], s46, v64
	s_nop 1
	v_subbrev_co_u32_e64 v70, s[46:47], 0, v36, s[46:47]
	v_sub_u32_e32 v36, 0, v70
	v_ldexp_f32 v35, v35, v36
	v_ldexp_f32 v36, v38, v36
	v_add_f32_e32 v38, -1.0, v35
	v_add_f32_e32 v37, 1.0, v38
	v_sub_f32_e32 v37, v35, v37
	v_add_f32_e32 v64, v36, v37
	v_add_f32_e32 v37, 1.0, v35
	v_add_f32_e32 v65, -1.0, v37
	v_sub_f32_e32 v35, v35, v65
	v_add_f32_e32 v35, v36, v35
	v_add_f32_e32 v71, v37, v35
	v_rcp_f32_e32 v80, v71
	v_sub_f32_e32 v36, v37, v71
	v_add_f32_e32 v37, v38, v64
	v_add_f32_e32 v35, v35, v36
	v_sub_f32_e32 v36, v38, v37
	v_mul_f32_e32 v81, v37, v80
	v_add_f32_e32 v38, v64, v36
	v_mul_f32_e32 v64, v71, v81
	v_fma_f32 v66, v81, v71, -v64
	v_fmac_f32_e32 v66, v81, v35
	v_add_f32_e32 v36, v64, v66
	v_sub_f32_e32 v65, v37, v36
	v_pk_add_f32 v[68:69], v[36:37], v[64:65] neg_lo:[0,1] neg_hi:[0,1]
	v_mov_b32_e32 v67, v36
	v_pk_add_f32 v[36:37], v[68:69], v[66:67] neg_lo:[0,1] neg_hi:[0,1]
	s_mov_b32 s46, 0x3f317218
	v_add_f32_e32 v37, v38, v37
	v_add_f32_e32 v36, v36, v37
	;; [unrolled: 1-line block ×3, first 2 shown]
	v_mul_f32_e32 v38, v80, v37
	v_mul_f32_e32 v64, v71, v38
	v_fma_f32 v66, v38, v71, -v64
	v_fmac_f32_e32 v66, v38, v35
	v_sub_f32_e32 v35, v65, v37
	v_add_f32_e32 v35, v36, v35
	v_add_f32_e32 v36, v64, v66
	v_sub_f32_e32 v65, v37, v36
	v_pk_add_f32 v[68:69], v[36:37], v[64:65] neg_lo:[0,1] neg_hi:[0,1]
	v_mov_b32_e32 v67, v36
	v_pk_add_f32 v[36:37], v[68:69], v[66:67] neg_lo:[0,1] neg_hi:[0,1]
	v_cvt_f32_i32_e32 v64, v70
	v_add_f32_e32 v35, v35, v37
	v_add_f32_e32 v35, v36, v35
	;; [unrolled: 1-line block ×4, first 2 shown]
	v_sub_f32_e32 v37, v36, v81
	v_mul_f32_e32 v35, v80, v35
	v_sub_f32_e32 v37, v38, v37
	v_add_f32_e32 v35, v37, v35
	v_add_f32_e32 v38, v36, v35
	v_mul_f32_e32 v65, v38, v38
	v_mov_b32_e32 v37, 0x3ecc95a3
	v_fmac_f32_e32 v37, 0x3e9b6dac, v65
	v_sub_f32_e32 v36, v38, v36
	v_fmaak_f32 v37, v65, v37, 0x3f2aaada
	v_sub_f32_e32 v35, v35, v36
	v_mul_f32_e32 v65, v38, v65
	v_mov_b32_e32 v36, 0x3f317218
	v_pk_mul_f32 v[36:37], v[64:65], v[36:37]
	v_ldexp_f32 v67, v38, 1
	v_fma_f32 v38, v64, s46, -v36
	v_fmamk_f32 v66, v64, 0xb102e308, v38
	v_pk_add_f32 v[64:65], v[36:37], v[66:67]
	v_ldexp_f32 v35, v35, 1
	v_sub_f32_e32 v38, v65, v67
	v_sub_f32_e32 v38, v37, v38
	v_add_f32_e32 v69, v35, v38
	v_mov_b32_e32 v68, v36
	v_pk_add_f32 v[36:37], v[64:65], v[36:37] neg_lo:[0,1] neg_hi:[0,1]
	v_pk_add_f32 v[70:71], v[64:65], v[68:69]
	v_mov_b32_e32 v67, v64
	v_mov_b32_e32 v37, v71
	v_pk_add_f32 v[80:81], v[66:67], v[36:37] neg_lo:[0,1] neg_hi:[0,1]
	v_pk_add_f32 v[36:37], v[66:67], v[36:37]
	v_cmp_eq_f32_e64 s[46:47], s53, v55
	v_mov_b32_e32 v38, v37
	v_pk_add_f32 v[66:67], v[38:39], v[64:65] neg_lo:[0,1] neg_hi:[0,1]
	v_mov_b32_e32 v36, v71
	v_mov_b32_e32 v35, v66
	v_pk_add_f32 v[82:83], v[70:71], v[34:35] neg_lo:[0,1] neg_hi:[0,1]
	v_mov_b32_e32 v70, v65
	v_mov_b32_e32 v71, v66
	;; [unrolled: 1-line block ×3, first 2 shown]
	v_pk_add_f32 v[36:37], v[36:37], v[70:71] neg_lo:[0,1] neg_hi:[0,1]
	v_mov_b32_e32 v66, v69
	v_mov_b32_e32 v67, v64
	v_pk_add_f32 v[36:37], v[66:67], v[36:37] neg_lo:[0,1] neg_hi:[0,1]
	v_mov_b32_e32 v82, v80
	v_pk_add_f32 v[64:65], v[82:83], v[36:37]
	s_mov_b32 s53, 0x33800000
	v_mov_b32_e32 v66, v65
	v_pk_add_f32 v[66:67], v[64:65], v[66:67]
	v_cmp_lt_f32_e64 s[54:55], |v55|, s53
	v_pk_add_f32 v[68:69], v[38:39], v[66:67]
	v_mov_b32_e32 v37, v66
	v_mov_b32_e32 v65, v68
	v_pk_add_f32 v[70:71], v[64:65], v[80:81] neg_lo:[0,1] neg_hi:[0,1]
	s_or_b64 s[46:47], s[46:47], s[54:55]
	v_sub_f32_e32 v35, v64, v70
	v_pk_add_f32 v[36:37], v[36:37], v[70:71] neg_lo:[0,1] neg_hi:[0,1]
	v_sub_f32_e32 v35, v80, v35
	v_add_f32_e32 v35, v36, v35
	v_add_f32_e32 v35, v35, v37
	v_add_f32_e32 v35, v68, v35
	v_cndmask_b32_e64 v35, v35, v55, s[46:47]
	v_add_f32_e32 v18, v18, v35
	v_cvt_f16_f32_e32 v35, v18
	v_cvt_f32_f16_e32 v36, v35
.LBB360_310:
	s_or_b64 exec, exec, s[48:49]
	v_cvt_f32_f16_e32 v18, v19
	v_max_f32_e32 v37, v36, v36
	v_cmp_u_f16_e64 s[48:49], v35, v35
	v_cmp_u_f16_e64 s[46:47], v19, v19
	v_min_f32_e32 v38, v37, v18
	v_max_f32_e32 v37, v37, v18
	v_cndmask_b32_e64 v38, v38, v36, s[48:49]
	v_cndmask_b32_e64 v37, v37, v36, s[48:49]
	;; [unrolled: 1-line block ×4, first 2 shown]
	v_cmp_neq_f32_e64 s[48:49], v38, v37
	v_cmp_class_f32_e64 s[52:53], v38, s52
	s_or_b64 s[48:49], s[48:49], s[52:53]
	s_and_saveexec_b64 s[52:53], s[48:49]
	s_cbranch_execz .LBB360_312
; %bb.311:
	v_sub_f32_e32 v35, v38, v37
	s_mov_b32 s48, 0x3fb8aa3b
	v_mul_f32_e32 v36, 0x3fb8aa3b, v35
	v_fma_f32 v38, v35, s48, -v36
	v_rndne_f32_e32 v55, v36
	v_fmamk_f32 v38, v35, 0x32a5705f, v38
	v_sub_f32_e32 v36, v36, v55
	v_add_f32_e32 v36, v36, v38
	v_exp_f32_e32 v36, v36
	v_cvt_i32_f32_e32 v38, v55
	s_mov_b32 s48, 0xc2ce8ed0
	v_cmp_ngt_f32_e64 s[48:49], s48, v35
	s_mov_b32 s54, 0x7f800000
	v_ldexp_f32 v36, v36, v38
	v_cndmask_b32_e64 v36, 0, v36, s[48:49]
	s_mov_b32 s48, 0x42b17218
	v_mov_b32_e32 v38, 0x7f800000
	v_cmp_nlt_f32_e64 s[48:49], s48, v35
	s_nop 1
	v_cndmask_b32_e64 v55, v38, v36, s[48:49]
	v_add_f32_e32 v35, 1.0, v55
	v_add_f32_e32 v36, -1.0, v35
	v_sub_f32_e32 v38, v36, v35
	v_add_f32_e32 v38, 1.0, v38
	v_sub_f32_e32 v36, v55, v36
	v_add_f32_e32 v36, v36, v38
	v_frexp_mant_f32_e32 v38, v35
	s_mov_b32 s48, 0x3f2aaaab
	v_cvt_f64_f32_e32 v[64:65], v35
	v_frexp_exp_i32_f64_e32 v64, v[64:65]
	v_cmp_gt_f32_e64 s[48:49], s48, v38
	s_nop 1
	v_subbrev_co_u32_e64 v38, s[48:49], 0, v64, s[48:49]
	v_sub_u32_e32 v64, 0, v38
	v_ldexp_f32 v35, v35, v64
	v_ldexp_f32 v36, v36, v64
	v_add_f32_e32 v64, -1.0, v35
	v_add_f32_e32 v65, 1.0, v64
	v_sub_f32_e32 v65, v35, v65
	v_add_f32_e32 v66, v36, v65
	v_add_f32_e32 v65, 1.0, v35
	v_add_f32_e32 v67, -1.0, v65
	v_sub_f32_e32 v35, v35, v67
	v_add_f32_e32 v35, v36, v35
	v_add_f32_e32 v36, v65, v35
	v_rcp_f32_e32 v80, v36
	v_sub_f32_e32 v65, v65, v36
	v_add_f32_e32 v35, v35, v65
	v_add_f32_e32 v65, v64, v66
	v_sub_f32_e32 v64, v64, v65
	v_mul_f32_e32 v82, v65, v80
	v_add_f32_e32 v81, v66, v64
	v_mul_f32_e32 v66, v36, v82
	v_fma_f32 v68, v82, v36, -v66
	v_fmac_f32_e32 v68, v82, v35
	v_add_f32_e32 v64, v66, v68
	v_sub_f32_e32 v67, v65, v64
	v_pk_add_f32 v[70:71], v[64:65], v[66:67] neg_lo:[0,1] neg_hi:[0,1]
	v_mov_b32_e32 v69, v64
	v_pk_add_f32 v[64:65], v[70:71], v[68:69] neg_lo:[0,1] neg_hi:[0,1]
	s_mov_b32 s48, 0x3f317218
	v_add_f32_e32 v65, v81, v65
	v_add_f32_e32 v64, v64, v65
	;; [unrolled: 1-line block ×3, first 2 shown]
	v_mul_f32_e32 v81, v80, v65
	v_mul_f32_e32 v66, v36, v81
	v_fma_f32 v68, v81, v36, -v66
	v_fmac_f32_e32 v68, v81, v35
	v_sub_f32_e32 v35, v67, v65
	v_add_f32_e32 v35, v64, v35
	v_add_f32_e32 v64, v66, v68
	v_sub_f32_e32 v67, v65, v64
	v_pk_add_f32 v[70:71], v[64:65], v[66:67] neg_lo:[0,1] neg_hi:[0,1]
	v_mov_b32_e32 v69, v64
	v_pk_add_f32 v[64:65], v[70:71], v[68:69] neg_lo:[0,1] neg_hi:[0,1]
	v_add_f32_e32 v36, v82, v81
	v_add_f32_e32 v35, v35, v65
	;; [unrolled: 1-line block ×4, first 2 shown]
	v_sub_f32_e32 v64, v36, v82
	v_mul_f32_e32 v35, v80, v35
	v_sub_f32_e32 v64, v81, v64
	v_add_f32_e32 v35, v64, v35
	v_add_f32_e32 v64, v36, v35
	v_cvt_f32_i32_e32 v66, v38
	v_mul_f32_e32 v67, v64, v64
	v_mov_b32_e32 v65, 0x3ecc95a3
	v_fmac_f32_e32 v65, 0x3e9b6dac, v67
	v_fmaak_f32 v65, v67, v65, 0x3f2aaada
	v_sub_f32_e32 v36, v64, v36
	v_ldexp_f32 v69, v64, 1
	v_mul_f32_e32 v67, v64, v67
	v_mov_b32_e32 v64, 0x3f317218
	v_pk_mul_f32 v[64:65], v[66:67], v[64:65]
	v_sub_f32_e32 v35, v35, v36
	v_fma_f32 v36, v66, s48, -v64
	v_fmamk_f32 v68, v66, 0xb102e308, v36
	v_pk_add_f32 v[66:67], v[64:65], v[68:69]
	v_ldexp_f32 v35, v35, 1
	v_sub_f32_e32 v36, v67, v69
	v_sub_f32_e32 v36, v65, v36
	v_add_f32_e32 v71, v35, v36
	v_mov_b32_e32 v70, v64
	v_pk_add_f32 v[64:65], v[66:67], v[64:65] neg_lo:[0,1] neg_hi:[0,1]
	v_pk_add_f32 v[80:81], v[66:67], v[70:71]
	v_mov_b32_e32 v69, v66
	v_mov_b32_e32 v65, v81
	v_pk_add_f32 v[82:83], v[68:69], v[64:65] neg_lo:[0,1] neg_hi:[0,1]
	v_pk_add_f32 v[64:65], v[68:69], v[64:65]
	v_cmp_eq_f32_e64 s[48:49], s54, v55
	v_mov_b32_e32 v36, v65
	v_pk_add_f32 v[68:69], v[36:37], v[66:67] neg_lo:[0,1] neg_hi:[0,1]
	v_mov_b32_e32 v64, v81
	v_mov_b32_e32 v35, v68
	v_pk_add_f32 v[84:85], v[80:81], v[34:35] neg_lo:[0,1] neg_hi:[0,1]
	v_mov_b32_e32 v80, v67
	v_mov_b32_e32 v81, v68
	;; [unrolled: 1-line block ×3, first 2 shown]
	v_pk_add_f32 v[64:65], v[64:65], v[80:81] neg_lo:[0,1] neg_hi:[0,1]
	v_mov_b32_e32 v68, v71
	v_mov_b32_e32 v69, v66
	v_pk_add_f32 v[64:65], v[68:69], v[64:65] neg_lo:[0,1] neg_hi:[0,1]
	v_mov_b32_e32 v84, v82
	v_pk_add_f32 v[66:67], v[84:85], v[64:65]
	s_mov_b32 s54, 0x33800000
	v_mov_b32_e32 v38, v67
	v_pk_add_f32 v[68:69], v[66:67], v[38:39]
	v_cmp_lt_f32_e64 s[54:55], |v55|, s54
	v_pk_add_f32 v[70:71], v[36:37], v[68:69]
	v_mov_b32_e32 v65, v68
	v_mov_b32_e32 v67, v70
	v_pk_add_f32 v[80:81], v[66:67], v[82:83] neg_lo:[0,1] neg_hi:[0,1]
	s_or_b64 s[48:49], s[48:49], s[54:55]
	v_sub_f32_e32 v35, v66, v80
	v_pk_add_f32 v[64:65], v[64:65], v[80:81] neg_lo:[0,1] neg_hi:[0,1]
	v_sub_f32_e32 v35, v82, v35
	v_add_f32_e32 v35, v64, v35
	v_add_f32_e32 v35, v35, v65
	;; [unrolled: 1-line block ×3, first 2 shown]
	v_cndmask_b32_e64 v35, v35, v55, s[48:49]
	v_add_f32_e32 v35, v37, v35
	v_cvt_f16_f32_e32 v35, v35
	v_cvt_f32_f16_e32 v36, v35
.LBB360_312:
	s_or_b64 exec, exec, s[52:53]
	v_cvt_f32_f16_sdwa v55, v19 dst_sel:DWORD dst_unused:UNUSED_PAD src0_sel:WORD_1
	v_max_f32_e32 v38, v36, v36
	v_cmp_u_f16_e64 s[52:53], v35, v35
	v_cmp_u_f16_sdwa s[48:49], v19, v19 src0_sel:WORD_1 src1_sel:WORD_1
	v_min_f32_e32 v37, v38, v55
	v_max_f32_e32 v19, v38, v55
	v_cndmask_b32_e64 v37, v37, v36, s[52:53]
	v_cndmask_b32_e64 v19, v19, v36, s[52:53]
	v_cndmask_b32_e64 v37, v37, v55, s[48:49]
	v_cndmask_b32_e64 v19, v19, v55, s[48:49]
	s_movk_i32 s54, 0x1f8
	v_cmp_neq_f32_e64 s[52:53], v37, v19
	v_cmp_class_f32_e64 s[54:55], v37, s54
	s_or_b64 s[52:53], s[52:53], s[54:55]
	s_and_saveexec_b64 s[54:55], s[52:53]
	s_cbranch_execz .LBB360_314
; %bb.313:
	v_sub_f32_e32 v35, v37, v19
	s_mov_b32 s52, 0x3fb8aa3b
	v_mul_f32_e32 v36, 0x3fb8aa3b, v35
	v_fma_f32 v37, v35, s52, -v36
	v_rndne_f32_e32 v38, v36
	v_fmamk_f32 v37, v35, 0x32a5705f, v37
	v_sub_f32_e32 v36, v36, v38
	v_add_f32_e32 v36, v36, v37
	v_exp_f32_e32 v36, v36
	v_cvt_i32_f32_e32 v37, v38
	s_mov_b32 s52, 0xc2ce8ed0
	v_cmp_ngt_f32_e64 s[52:53], s52, v35
	s_mov_b32 s56, 0x7f800000
	v_ldexp_f32 v36, v36, v37
	v_cndmask_b32_e64 v36, 0, v36, s[52:53]
	s_mov_b32 s52, 0x42b17218
	v_mov_b32_e32 v37, 0x7f800000
	v_cmp_nlt_f32_e64 s[52:53], s52, v35
	s_nop 1
	v_cndmask_b32_e64 v84, v37, v36, s[52:53]
	v_add_f32_e32 v35, 1.0, v84
	v_add_f32_e32 v36, -1.0, v35
	v_sub_f32_e32 v37, v36, v35
	v_add_f32_e32 v37, 1.0, v37
	v_sub_f32_e32 v36, v84, v36
	v_add_f32_e32 v38, v36, v37
	v_frexp_mant_f32_e32 v64, v35
	s_mov_b32 s52, 0x3f2aaaab
	v_cvt_f64_f32_e32 v[36:37], v35
	v_frexp_exp_i32_f64_e32 v36, v[36:37]
	v_cmp_gt_f32_e64 s[52:53], s52, v64
	s_nop 1
	v_subbrev_co_u32_e64 v70, s[52:53], 0, v36, s[52:53]
	v_sub_u32_e32 v36, 0, v70
	v_ldexp_f32 v35, v35, v36
	v_ldexp_f32 v36, v38, v36
	v_add_f32_e32 v38, -1.0, v35
	v_add_f32_e32 v37, 1.0, v38
	v_sub_f32_e32 v37, v35, v37
	v_add_f32_e32 v64, v36, v37
	v_add_f32_e32 v37, 1.0, v35
	v_add_f32_e32 v65, -1.0, v37
	v_sub_f32_e32 v35, v35, v65
	v_add_f32_e32 v35, v36, v35
	v_add_f32_e32 v71, v37, v35
	v_rcp_f32_e32 v80, v71
	v_sub_f32_e32 v36, v37, v71
	v_add_f32_e32 v37, v38, v64
	v_add_f32_e32 v35, v35, v36
	v_sub_f32_e32 v36, v38, v37
	v_mul_f32_e32 v81, v37, v80
	v_add_f32_e32 v38, v64, v36
	v_mul_f32_e32 v64, v71, v81
	v_fma_f32 v66, v81, v71, -v64
	v_fmac_f32_e32 v66, v81, v35
	v_add_f32_e32 v36, v64, v66
	v_sub_f32_e32 v65, v37, v36
	v_pk_add_f32 v[68:69], v[36:37], v[64:65] neg_lo:[0,1] neg_hi:[0,1]
	v_mov_b32_e32 v67, v36
	v_pk_add_f32 v[36:37], v[68:69], v[66:67] neg_lo:[0,1] neg_hi:[0,1]
	s_mov_b32 s52, 0x3f317218
	v_add_f32_e32 v37, v38, v37
	v_add_f32_e32 v36, v36, v37
	;; [unrolled: 1-line block ×3, first 2 shown]
	v_mul_f32_e32 v38, v80, v37
	v_mul_f32_e32 v64, v71, v38
	v_fma_f32 v66, v38, v71, -v64
	v_fmac_f32_e32 v66, v38, v35
	v_sub_f32_e32 v35, v65, v37
	v_add_f32_e32 v35, v36, v35
	v_add_f32_e32 v36, v64, v66
	v_sub_f32_e32 v65, v37, v36
	v_pk_add_f32 v[68:69], v[36:37], v[64:65] neg_lo:[0,1] neg_hi:[0,1]
	v_mov_b32_e32 v67, v36
	v_pk_add_f32 v[36:37], v[68:69], v[66:67] neg_lo:[0,1] neg_hi:[0,1]
	v_cvt_f32_i32_e32 v64, v70
	v_add_f32_e32 v35, v35, v37
	v_add_f32_e32 v35, v36, v35
	v_add_f32_e32 v36, v81, v38
	v_add_f32_e32 v35, v65, v35
	v_sub_f32_e32 v37, v36, v81
	v_mul_f32_e32 v35, v80, v35
	v_sub_f32_e32 v37, v38, v37
	v_add_f32_e32 v35, v37, v35
	v_add_f32_e32 v38, v36, v35
	v_mul_f32_e32 v65, v38, v38
	v_mov_b32_e32 v37, 0x3ecc95a3
	v_fmac_f32_e32 v37, 0x3e9b6dac, v65
	v_sub_f32_e32 v36, v38, v36
	v_fmaak_f32 v37, v65, v37, 0x3f2aaada
	v_sub_f32_e32 v35, v35, v36
	v_mul_f32_e32 v65, v38, v65
	v_mov_b32_e32 v36, 0x3f317218
	v_pk_mul_f32 v[36:37], v[64:65], v[36:37]
	v_ldexp_f32 v67, v38, 1
	v_fma_f32 v38, v64, s52, -v36
	v_fmamk_f32 v66, v64, 0xb102e308, v38
	v_pk_add_f32 v[64:65], v[36:37], v[66:67]
	v_ldexp_f32 v35, v35, 1
	v_sub_f32_e32 v38, v65, v67
	v_sub_f32_e32 v38, v37, v38
	v_add_f32_e32 v69, v35, v38
	v_mov_b32_e32 v68, v36
	v_pk_add_f32 v[36:37], v[64:65], v[36:37] neg_lo:[0,1] neg_hi:[0,1]
	v_pk_add_f32 v[70:71], v[64:65], v[68:69]
	v_mov_b32_e32 v67, v64
	v_mov_b32_e32 v37, v71
	v_pk_add_f32 v[80:81], v[66:67], v[36:37] neg_lo:[0,1] neg_hi:[0,1]
	v_pk_add_f32 v[36:37], v[66:67], v[36:37]
	v_cmp_eq_f32_e64 s[52:53], s56, v84
	v_mov_b32_e32 v38, v37
	v_pk_add_f32 v[66:67], v[38:39], v[64:65] neg_lo:[0,1] neg_hi:[0,1]
	v_mov_b32_e32 v36, v71
	v_mov_b32_e32 v35, v66
	v_pk_add_f32 v[82:83], v[70:71], v[34:35] neg_lo:[0,1] neg_hi:[0,1]
	v_mov_b32_e32 v70, v65
	v_mov_b32_e32 v71, v66
	;; [unrolled: 1-line block ×3, first 2 shown]
	v_pk_add_f32 v[36:37], v[36:37], v[70:71] neg_lo:[0,1] neg_hi:[0,1]
	v_mov_b32_e32 v66, v69
	v_mov_b32_e32 v67, v64
	v_pk_add_f32 v[36:37], v[66:67], v[36:37] neg_lo:[0,1] neg_hi:[0,1]
	v_mov_b32_e32 v82, v80
	v_pk_add_f32 v[64:65], v[82:83], v[36:37]
	s_mov_b32 s56, 0x33800000
	v_mov_b32_e32 v66, v65
	v_pk_add_f32 v[66:67], v[64:65], v[66:67]
	v_cmp_lt_f32_e64 s[56:57], |v84|, s56
	v_pk_add_f32 v[68:69], v[38:39], v[66:67]
	v_mov_b32_e32 v37, v66
	v_mov_b32_e32 v65, v68
	v_pk_add_f32 v[70:71], v[64:65], v[80:81] neg_lo:[0,1] neg_hi:[0,1]
	s_or_b64 s[52:53], s[52:53], s[56:57]
	v_sub_f32_e32 v35, v64, v70
	v_pk_add_f32 v[36:37], v[36:37], v[70:71] neg_lo:[0,1] neg_hi:[0,1]
	v_sub_f32_e32 v35, v80, v35
	v_add_f32_e32 v35, v36, v35
	v_add_f32_e32 v35, v35, v37
	;; [unrolled: 1-line block ×3, first 2 shown]
	v_cndmask_b32_e64 v35, v35, v84, s[52:53]
	v_add_f32_e32 v19, v19, v35
	v_cvt_f16_f32_e32 v35, v19
.LBB360_314:
	s_or_b64 exec, exec, s[54:55]
	v_mbcnt_lo_u32_b32 v19, -1, 0
	v_mbcnt_hi_u32_b32 v19, -1, v19
	v_and_b32_e32 v36, 15, v19
	v_and_b32_e32 v37, 0xffff, v35
	v_cmp_ne_u32_e64 s[52:53], 0, v36
	s_nop 0
	v_mov_b32_dpp v38, v37 row_shr:1 row_mask:0xf bank_mask:0xf
	s_and_saveexec_b64 s[56:57], s[52:53]
	s_cbranch_execz .LBB360_318
; %bb.315:
	v_cvt_f32_f16_e32 v64, v38
	v_cvt_f32_f16_e32 v65, v35
	v_cmp_u_f16_e64 s[52:53], v38, v38
	v_cmp_u_f16_e64 s[54:55], v35, v35
	v_min_f32_e32 v37, v64, v65
	v_max_f32_e32 v35, v64, v65
	v_cndmask_b32_e64 v37, v37, v64, s[52:53]
	v_cndmask_b32_e64 v35, v35, v64, s[52:53]
	;; [unrolled: 1-line block ×4, first 2 shown]
	s_movk_i32 s54, 0x1f8
	v_cmp_neq_f32_e64 s[52:53], v37, v35
	v_cmp_class_f32_e64 s[54:55], v37, s54
	s_or_b64 s[52:53], s[52:53], s[54:55]
	s_and_saveexec_b64 s[54:55], s[52:53]
	s_cbranch_execz .LBB360_317
; %bb.316:
	v_sub_f32_e32 v37, v37, v35
	s_mov_b32 s52, 0x3fb8aa3b
	v_mul_f32_e32 v38, 0x3fb8aa3b, v37
	v_fma_f32 v64, v37, s52, -v38
	v_rndne_f32_e32 v65, v38
	v_fmamk_f32 v64, v37, 0x32a5705f, v64
	v_sub_f32_e32 v38, v38, v65
	v_add_f32_e32 v38, v38, v64
	v_exp_f32_e32 v38, v38
	v_cvt_i32_f32_e32 v64, v65
	s_mov_b32 s52, 0xc2ce8ed0
	v_cmp_ngt_f32_e64 s[52:53], s52, v37
	s_mov_b32 s60, 0x7f800000
	v_ldexp_f32 v38, v38, v64
	v_cndmask_b32_e64 v38, 0, v38, s[52:53]
	s_mov_b32 s52, 0x42b17218
	v_mov_b32_e32 v64, 0x7f800000
	v_cmp_nlt_f32_e64 s[52:53], s52, v37
	s_nop 1
	v_cndmask_b32_e64 v86, v64, v38, s[52:53]
	v_add_f32_e32 v37, 1.0, v86
	v_add_f32_e32 v38, -1.0, v37
	v_sub_f32_e32 v64, v38, v37
	v_add_f32_e32 v64, 1.0, v64
	v_sub_f32_e32 v38, v86, v38
	v_add_f32_e32 v38, v38, v64
	v_frexp_mant_f32_e32 v66, v37
	s_mov_b32 s52, 0x3f2aaaab
	v_cvt_f64_f32_e32 v[64:65], v37
	v_frexp_exp_i32_f64_e32 v64, v[64:65]
	v_cmp_gt_f32_e64 s[52:53], s52, v66
	s_nop 1
	v_subbrev_co_u32_e64 v80, s[52:53], 0, v64, s[52:53]
	v_sub_u32_e32 v64, 0, v80
	v_ldexp_f32 v37, v37, v64
	v_ldexp_f32 v38, v38, v64
	v_add_f32_e32 v64, -1.0, v37
	v_add_f32_e32 v65, 1.0, v64
	v_sub_f32_e32 v65, v37, v65
	v_add_f32_e32 v66, v38, v65
	v_add_f32_e32 v65, 1.0, v37
	v_add_f32_e32 v67, -1.0, v65
	v_sub_f32_e32 v37, v37, v67
	v_add_f32_e32 v37, v38, v37
	v_add_f32_e32 v38, v65, v37
	v_rcp_f32_e32 v81, v38
	v_sub_f32_e32 v65, v65, v38
	v_add_f32_e32 v37, v37, v65
	v_add_f32_e32 v65, v64, v66
	v_sub_f32_e32 v64, v64, v65
	v_mul_f32_e32 v83, v65, v81
	v_add_f32_e32 v82, v66, v64
	v_mul_f32_e32 v66, v38, v83
	v_fma_f32 v68, v83, v38, -v66
	v_fmac_f32_e32 v68, v83, v37
	v_add_f32_e32 v64, v66, v68
	v_sub_f32_e32 v67, v65, v64
	v_pk_add_f32 v[70:71], v[64:65], v[66:67] neg_lo:[0,1] neg_hi:[0,1]
	v_mov_b32_e32 v69, v64
	v_pk_add_f32 v[64:65], v[70:71], v[68:69] neg_lo:[0,1] neg_hi:[0,1]
	s_mov_b32 s52, 0x3f317218
	v_add_f32_e32 v65, v82, v65
	v_add_f32_e32 v64, v64, v65
	;; [unrolled: 1-line block ×3, first 2 shown]
	v_mul_f32_e32 v82, v81, v65
	v_mul_f32_e32 v66, v38, v82
	v_fma_f32 v68, v82, v38, -v66
	v_fmac_f32_e32 v68, v82, v37
	v_sub_f32_e32 v37, v67, v65
	v_add_f32_e32 v37, v64, v37
	v_add_f32_e32 v64, v66, v68
	v_sub_f32_e32 v67, v65, v64
	v_pk_add_f32 v[70:71], v[64:65], v[66:67] neg_lo:[0,1] neg_hi:[0,1]
	v_mov_b32_e32 v69, v64
	v_pk_add_f32 v[64:65], v[70:71], v[68:69] neg_lo:[0,1] neg_hi:[0,1]
	v_add_f32_e32 v38, v83, v82
	v_add_f32_e32 v37, v37, v65
	;; [unrolled: 1-line block ×4, first 2 shown]
	v_sub_f32_e32 v64, v38, v83
	v_mul_f32_e32 v37, v81, v37
	v_sub_f32_e32 v64, v82, v64
	v_add_f32_e32 v37, v64, v37
	v_add_f32_e32 v64, v38, v37
	v_cvt_f32_i32_e32 v66, v80
	v_mul_f32_e32 v67, v64, v64
	v_mov_b32_e32 v65, 0x3ecc95a3
	v_fmac_f32_e32 v65, 0x3e9b6dac, v67
	v_fmaak_f32 v65, v67, v65, 0x3f2aaada
	v_sub_f32_e32 v38, v64, v38
	v_ldexp_f32 v69, v64, 1
	v_mul_f32_e32 v67, v64, v67
	v_mov_b32_e32 v64, 0x3f317218
	v_pk_mul_f32 v[64:65], v[66:67], v[64:65]
	v_sub_f32_e32 v37, v37, v38
	v_fma_f32 v38, v66, s52, -v64
	v_fmamk_f32 v68, v66, 0xb102e308, v38
	v_pk_add_f32 v[66:67], v[64:65], v[68:69]
	v_ldexp_f32 v37, v37, 1
	v_sub_f32_e32 v38, v67, v69
	v_sub_f32_e32 v38, v65, v38
	v_add_f32_e32 v71, v37, v38
	v_mov_b32_e32 v70, v64
	v_pk_add_f32 v[64:65], v[66:67], v[64:65] neg_lo:[0,1] neg_hi:[0,1]
	v_pk_add_f32 v[80:81], v[66:67], v[70:71]
	v_mov_b32_e32 v69, v66
	v_mov_b32_e32 v65, v81
	v_pk_add_f32 v[82:83], v[68:69], v[64:65] neg_lo:[0,1] neg_hi:[0,1]
	v_pk_add_f32 v[64:65], v[68:69], v[64:65]
	v_cmp_eq_f32_e64 s[52:53], s60, v86
	v_mov_b32_e32 v38, v65
	v_pk_add_f32 v[68:69], v[38:39], v[66:67] neg_lo:[0,1] neg_hi:[0,1]
	v_mov_b32_e32 v64, v81
	v_mov_b32_e32 v37, v68
	v_pk_add_f32 v[84:85], v[80:81], v[36:37] neg_lo:[0,1] neg_hi:[0,1]
	v_mov_b32_e32 v80, v67
	v_mov_b32_e32 v81, v68
	;; [unrolled: 1-line block ×3, first 2 shown]
	v_pk_add_f32 v[64:65], v[64:65], v[80:81] neg_lo:[0,1] neg_hi:[0,1]
	v_mov_b32_e32 v68, v71
	v_mov_b32_e32 v69, v66
	v_pk_add_f32 v[64:65], v[68:69], v[64:65] neg_lo:[0,1] neg_hi:[0,1]
	v_mov_b32_e32 v84, v82
	v_pk_add_f32 v[66:67], v[84:85], v[64:65]
	s_mov_b32 s60, 0x33800000
	v_mov_b32_e32 v68, v67
	v_pk_add_f32 v[68:69], v[66:67], v[68:69]
	v_cmp_lt_f32_e64 s[60:61], |v86|, s60
	v_pk_add_f32 v[70:71], v[38:39], v[68:69]
	v_mov_b32_e32 v65, v68
	v_mov_b32_e32 v67, v70
	v_pk_add_f32 v[80:81], v[66:67], v[82:83] neg_lo:[0,1] neg_hi:[0,1]
	s_or_b64 s[52:53], s[52:53], s[60:61]
	v_sub_f32_e32 v37, v66, v80
	v_pk_add_f32 v[64:65], v[64:65], v[80:81] neg_lo:[0,1] neg_hi:[0,1]
	v_sub_f32_e32 v37, v82, v37
	v_add_f32_e32 v37, v64, v37
	v_add_f32_e32 v37, v37, v65
	;; [unrolled: 1-line block ×3, first 2 shown]
	v_cndmask_b32_e64 v37, v37, v86, s[52:53]
	v_add_f32_e32 v35, v35, v37
	v_cvt_f16_f32_e32 v38, v35
.LBB360_317:
	s_or_b64 exec, exec, s[54:55]
	v_and_b32_e32 v37, 0xffff, v38
	v_mov_b32_e32 v35, v38
.LBB360_318:
	s_or_b64 exec, exec, s[56:57]
	v_mov_b32_dpp v38, v37 row_shr:2 row_mask:0xf bank_mask:0xf
	v_cmp_lt_u32_e64 s[52:53], 1, v36
	s_and_saveexec_b64 s[56:57], s[52:53]
	s_cbranch_execz .LBB360_322
; %bb.319:
	v_cvt_f32_f16_e32 v64, v38
	v_cvt_f32_f16_e32 v65, v35
	v_cmp_u_f16_e64 s[52:53], v38, v38
	v_cmp_u_f16_e64 s[54:55], v35, v35
	v_min_f32_e32 v37, v64, v65
	v_max_f32_e32 v35, v64, v65
	v_cndmask_b32_e64 v37, v37, v64, s[52:53]
	v_cndmask_b32_e64 v35, v35, v64, s[52:53]
	;; [unrolled: 1-line block ×4, first 2 shown]
	s_movk_i32 s54, 0x1f8
	v_cmp_neq_f32_e64 s[52:53], v37, v35
	v_cmp_class_f32_e64 s[54:55], v37, s54
	s_or_b64 s[52:53], s[52:53], s[54:55]
	s_and_saveexec_b64 s[54:55], s[52:53]
	s_cbranch_execz .LBB360_321
; %bb.320:
	v_sub_f32_e32 v37, v37, v35
	s_mov_b32 s52, 0x3fb8aa3b
	v_mul_f32_e32 v38, 0x3fb8aa3b, v37
	v_fma_f32 v64, v37, s52, -v38
	v_rndne_f32_e32 v65, v38
	v_fmamk_f32 v64, v37, 0x32a5705f, v64
	v_sub_f32_e32 v38, v38, v65
	v_add_f32_e32 v38, v38, v64
	v_exp_f32_e32 v38, v38
	v_cvt_i32_f32_e32 v64, v65
	s_mov_b32 s52, 0xc2ce8ed0
	v_cmp_ngt_f32_e64 s[52:53], s52, v37
	s_mov_b32 s60, 0x7f800000
	v_ldexp_f32 v38, v38, v64
	v_cndmask_b32_e64 v38, 0, v38, s[52:53]
	s_mov_b32 s52, 0x42b17218
	v_mov_b32_e32 v64, 0x7f800000
	v_cmp_nlt_f32_e64 s[52:53], s52, v37
	s_nop 1
	v_cndmask_b32_e64 v86, v64, v38, s[52:53]
	v_add_f32_e32 v37, 1.0, v86
	v_add_f32_e32 v38, -1.0, v37
	v_sub_f32_e32 v64, v38, v37
	v_add_f32_e32 v64, 1.0, v64
	v_sub_f32_e32 v38, v86, v38
	v_add_f32_e32 v38, v38, v64
	v_frexp_mant_f32_e32 v66, v37
	s_mov_b32 s52, 0x3f2aaaab
	v_cvt_f64_f32_e32 v[64:65], v37
	v_frexp_exp_i32_f64_e32 v64, v[64:65]
	v_cmp_gt_f32_e64 s[52:53], s52, v66
	s_nop 1
	v_subbrev_co_u32_e64 v80, s[52:53], 0, v64, s[52:53]
	v_sub_u32_e32 v64, 0, v80
	v_ldexp_f32 v37, v37, v64
	v_ldexp_f32 v38, v38, v64
	v_add_f32_e32 v64, -1.0, v37
	v_add_f32_e32 v65, 1.0, v64
	v_sub_f32_e32 v65, v37, v65
	v_add_f32_e32 v66, v38, v65
	v_add_f32_e32 v65, 1.0, v37
	v_add_f32_e32 v67, -1.0, v65
	v_sub_f32_e32 v37, v37, v67
	v_add_f32_e32 v37, v38, v37
	v_add_f32_e32 v38, v65, v37
	v_rcp_f32_e32 v81, v38
	v_sub_f32_e32 v65, v65, v38
	v_add_f32_e32 v37, v37, v65
	v_add_f32_e32 v65, v64, v66
	v_sub_f32_e32 v64, v64, v65
	v_mul_f32_e32 v83, v65, v81
	v_add_f32_e32 v82, v66, v64
	v_mul_f32_e32 v66, v38, v83
	v_fma_f32 v68, v83, v38, -v66
	v_fmac_f32_e32 v68, v83, v37
	v_add_f32_e32 v64, v66, v68
	v_sub_f32_e32 v67, v65, v64
	v_pk_add_f32 v[70:71], v[64:65], v[66:67] neg_lo:[0,1] neg_hi:[0,1]
	v_mov_b32_e32 v69, v64
	v_pk_add_f32 v[64:65], v[70:71], v[68:69] neg_lo:[0,1] neg_hi:[0,1]
	s_mov_b32 s52, 0x3f317218
	v_add_f32_e32 v65, v82, v65
	v_add_f32_e32 v64, v64, v65
	;; [unrolled: 1-line block ×3, first 2 shown]
	v_mul_f32_e32 v82, v81, v65
	v_mul_f32_e32 v66, v38, v82
	v_fma_f32 v68, v82, v38, -v66
	v_fmac_f32_e32 v68, v82, v37
	v_sub_f32_e32 v37, v67, v65
	v_add_f32_e32 v37, v64, v37
	v_add_f32_e32 v64, v66, v68
	v_sub_f32_e32 v67, v65, v64
	v_pk_add_f32 v[70:71], v[64:65], v[66:67] neg_lo:[0,1] neg_hi:[0,1]
	v_mov_b32_e32 v69, v64
	v_pk_add_f32 v[64:65], v[70:71], v[68:69] neg_lo:[0,1] neg_hi:[0,1]
	v_add_f32_e32 v38, v83, v82
	v_add_f32_e32 v37, v37, v65
	;; [unrolled: 1-line block ×4, first 2 shown]
	v_sub_f32_e32 v64, v38, v83
	v_mul_f32_e32 v37, v81, v37
	v_sub_f32_e32 v64, v82, v64
	v_add_f32_e32 v37, v64, v37
	v_add_f32_e32 v64, v38, v37
	v_cvt_f32_i32_e32 v66, v80
	v_mul_f32_e32 v67, v64, v64
	v_mov_b32_e32 v65, 0x3ecc95a3
	v_fmac_f32_e32 v65, 0x3e9b6dac, v67
	v_fmaak_f32 v65, v67, v65, 0x3f2aaada
	v_sub_f32_e32 v38, v64, v38
	v_ldexp_f32 v69, v64, 1
	v_mul_f32_e32 v67, v64, v67
	v_mov_b32_e32 v64, 0x3f317218
	v_pk_mul_f32 v[64:65], v[66:67], v[64:65]
	v_sub_f32_e32 v37, v37, v38
	v_fma_f32 v38, v66, s52, -v64
	v_fmamk_f32 v68, v66, 0xb102e308, v38
	v_pk_add_f32 v[66:67], v[64:65], v[68:69]
	v_ldexp_f32 v37, v37, 1
	v_sub_f32_e32 v38, v67, v69
	v_sub_f32_e32 v38, v65, v38
	v_add_f32_e32 v71, v37, v38
	v_mov_b32_e32 v70, v64
	v_pk_add_f32 v[64:65], v[66:67], v[64:65] neg_lo:[0,1] neg_hi:[0,1]
	v_pk_add_f32 v[80:81], v[66:67], v[70:71]
	v_mov_b32_e32 v69, v66
	v_mov_b32_e32 v65, v81
	v_pk_add_f32 v[82:83], v[68:69], v[64:65] neg_lo:[0,1] neg_hi:[0,1]
	v_pk_add_f32 v[64:65], v[68:69], v[64:65]
	v_cmp_eq_f32_e64 s[52:53], s60, v86
	v_mov_b32_e32 v38, v65
	v_pk_add_f32 v[68:69], v[38:39], v[66:67] neg_lo:[0,1] neg_hi:[0,1]
	v_mov_b32_e32 v64, v81
	v_mov_b32_e32 v37, v68
	v_pk_add_f32 v[84:85], v[80:81], v[36:37] neg_lo:[0,1] neg_hi:[0,1]
	v_mov_b32_e32 v80, v67
	v_mov_b32_e32 v81, v68
	;; [unrolled: 1-line block ×3, first 2 shown]
	v_pk_add_f32 v[64:65], v[64:65], v[80:81] neg_lo:[0,1] neg_hi:[0,1]
	v_mov_b32_e32 v68, v71
	v_mov_b32_e32 v69, v66
	v_pk_add_f32 v[64:65], v[68:69], v[64:65] neg_lo:[0,1] neg_hi:[0,1]
	v_mov_b32_e32 v84, v82
	v_pk_add_f32 v[66:67], v[84:85], v[64:65]
	s_mov_b32 s60, 0x33800000
	v_mov_b32_e32 v68, v67
	v_pk_add_f32 v[68:69], v[66:67], v[68:69]
	v_cmp_lt_f32_e64 s[60:61], |v86|, s60
	v_pk_add_f32 v[70:71], v[38:39], v[68:69]
	v_mov_b32_e32 v65, v68
	v_mov_b32_e32 v67, v70
	v_pk_add_f32 v[80:81], v[66:67], v[82:83] neg_lo:[0,1] neg_hi:[0,1]
	s_or_b64 s[52:53], s[52:53], s[60:61]
	v_sub_f32_e32 v37, v66, v80
	v_pk_add_f32 v[64:65], v[64:65], v[80:81] neg_lo:[0,1] neg_hi:[0,1]
	v_sub_f32_e32 v37, v82, v37
	v_add_f32_e32 v37, v64, v37
	v_add_f32_e32 v37, v37, v65
	;; [unrolled: 1-line block ×3, first 2 shown]
	v_cndmask_b32_e64 v37, v37, v86, s[52:53]
	v_add_f32_e32 v35, v35, v37
	v_cvt_f16_f32_e32 v38, v35
.LBB360_321:
	s_or_b64 exec, exec, s[54:55]
	v_and_b32_e32 v37, 0xffff, v38
	v_mov_b32_e32 v35, v38
.LBB360_322:
	s_or_b64 exec, exec, s[56:57]
	v_mov_b32_dpp v38, v37 row_shr:4 row_mask:0xf bank_mask:0xf
	v_cmp_lt_u32_e64 s[52:53], 3, v36
	s_and_saveexec_b64 s[56:57], s[52:53]
	s_cbranch_execz .LBB360_326
; %bb.323:
	v_cvt_f32_f16_e32 v64, v38
	v_cvt_f32_f16_e32 v65, v35
	v_cmp_u_f16_e64 s[52:53], v38, v38
	v_cmp_u_f16_e64 s[54:55], v35, v35
	v_min_f32_e32 v37, v64, v65
	v_max_f32_e32 v35, v64, v65
	v_cndmask_b32_e64 v37, v37, v64, s[52:53]
	v_cndmask_b32_e64 v35, v35, v64, s[52:53]
	;; [unrolled: 1-line block ×4, first 2 shown]
	s_movk_i32 s54, 0x1f8
	v_cmp_neq_f32_e64 s[52:53], v37, v35
	v_cmp_class_f32_e64 s[54:55], v37, s54
	s_or_b64 s[52:53], s[52:53], s[54:55]
	s_and_saveexec_b64 s[54:55], s[52:53]
	s_cbranch_execz .LBB360_325
; %bb.324:
	v_sub_f32_e32 v37, v37, v35
	s_mov_b32 s52, 0x3fb8aa3b
	v_mul_f32_e32 v38, 0x3fb8aa3b, v37
	v_fma_f32 v64, v37, s52, -v38
	v_rndne_f32_e32 v65, v38
	v_fmamk_f32 v64, v37, 0x32a5705f, v64
	v_sub_f32_e32 v38, v38, v65
	v_add_f32_e32 v38, v38, v64
	v_exp_f32_e32 v38, v38
	v_cvt_i32_f32_e32 v64, v65
	s_mov_b32 s52, 0xc2ce8ed0
	v_cmp_ngt_f32_e64 s[52:53], s52, v37
	s_mov_b32 s60, 0x7f800000
	v_ldexp_f32 v38, v38, v64
	v_cndmask_b32_e64 v38, 0, v38, s[52:53]
	s_mov_b32 s52, 0x42b17218
	v_mov_b32_e32 v64, 0x7f800000
	v_cmp_nlt_f32_e64 s[52:53], s52, v37
	s_nop 1
	v_cndmask_b32_e64 v86, v64, v38, s[52:53]
	v_add_f32_e32 v37, 1.0, v86
	v_add_f32_e32 v38, -1.0, v37
	v_sub_f32_e32 v64, v38, v37
	v_add_f32_e32 v64, 1.0, v64
	v_sub_f32_e32 v38, v86, v38
	v_add_f32_e32 v38, v38, v64
	v_frexp_mant_f32_e32 v66, v37
	s_mov_b32 s52, 0x3f2aaaab
	v_cvt_f64_f32_e32 v[64:65], v37
	v_frexp_exp_i32_f64_e32 v64, v[64:65]
	v_cmp_gt_f32_e64 s[52:53], s52, v66
	s_nop 1
	v_subbrev_co_u32_e64 v80, s[52:53], 0, v64, s[52:53]
	v_sub_u32_e32 v64, 0, v80
	v_ldexp_f32 v37, v37, v64
	v_ldexp_f32 v38, v38, v64
	v_add_f32_e32 v64, -1.0, v37
	v_add_f32_e32 v65, 1.0, v64
	v_sub_f32_e32 v65, v37, v65
	v_add_f32_e32 v66, v38, v65
	v_add_f32_e32 v65, 1.0, v37
	v_add_f32_e32 v67, -1.0, v65
	v_sub_f32_e32 v37, v37, v67
	v_add_f32_e32 v37, v38, v37
	v_add_f32_e32 v38, v65, v37
	v_rcp_f32_e32 v81, v38
	v_sub_f32_e32 v65, v65, v38
	v_add_f32_e32 v37, v37, v65
	v_add_f32_e32 v65, v64, v66
	v_sub_f32_e32 v64, v64, v65
	v_mul_f32_e32 v83, v65, v81
	v_add_f32_e32 v82, v66, v64
	v_mul_f32_e32 v66, v38, v83
	v_fma_f32 v68, v83, v38, -v66
	v_fmac_f32_e32 v68, v83, v37
	v_add_f32_e32 v64, v66, v68
	v_sub_f32_e32 v67, v65, v64
	v_pk_add_f32 v[70:71], v[64:65], v[66:67] neg_lo:[0,1] neg_hi:[0,1]
	v_mov_b32_e32 v69, v64
	v_pk_add_f32 v[64:65], v[70:71], v[68:69] neg_lo:[0,1] neg_hi:[0,1]
	s_mov_b32 s52, 0x3f317218
	v_add_f32_e32 v65, v82, v65
	v_add_f32_e32 v64, v64, v65
	;; [unrolled: 1-line block ×3, first 2 shown]
	v_mul_f32_e32 v82, v81, v65
	v_mul_f32_e32 v66, v38, v82
	v_fma_f32 v68, v82, v38, -v66
	v_fmac_f32_e32 v68, v82, v37
	v_sub_f32_e32 v37, v67, v65
	v_add_f32_e32 v37, v64, v37
	v_add_f32_e32 v64, v66, v68
	v_sub_f32_e32 v67, v65, v64
	v_pk_add_f32 v[70:71], v[64:65], v[66:67] neg_lo:[0,1] neg_hi:[0,1]
	v_mov_b32_e32 v69, v64
	v_pk_add_f32 v[64:65], v[70:71], v[68:69] neg_lo:[0,1] neg_hi:[0,1]
	v_add_f32_e32 v38, v83, v82
	v_add_f32_e32 v37, v37, v65
	;; [unrolled: 1-line block ×4, first 2 shown]
	v_sub_f32_e32 v64, v38, v83
	v_mul_f32_e32 v37, v81, v37
	v_sub_f32_e32 v64, v82, v64
	v_add_f32_e32 v37, v64, v37
	v_add_f32_e32 v64, v38, v37
	v_cvt_f32_i32_e32 v66, v80
	v_mul_f32_e32 v67, v64, v64
	v_mov_b32_e32 v65, 0x3ecc95a3
	v_fmac_f32_e32 v65, 0x3e9b6dac, v67
	v_fmaak_f32 v65, v67, v65, 0x3f2aaada
	v_sub_f32_e32 v38, v64, v38
	v_ldexp_f32 v69, v64, 1
	v_mul_f32_e32 v67, v64, v67
	v_mov_b32_e32 v64, 0x3f317218
	v_pk_mul_f32 v[64:65], v[66:67], v[64:65]
	v_sub_f32_e32 v37, v37, v38
	v_fma_f32 v38, v66, s52, -v64
	v_fmamk_f32 v68, v66, 0xb102e308, v38
	v_pk_add_f32 v[66:67], v[64:65], v[68:69]
	v_ldexp_f32 v37, v37, 1
	v_sub_f32_e32 v38, v67, v69
	v_sub_f32_e32 v38, v65, v38
	v_add_f32_e32 v71, v37, v38
	v_mov_b32_e32 v70, v64
	v_pk_add_f32 v[64:65], v[66:67], v[64:65] neg_lo:[0,1] neg_hi:[0,1]
	v_pk_add_f32 v[80:81], v[66:67], v[70:71]
	v_mov_b32_e32 v69, v66
	v_mov_b32_e32 v65, v81
	v_pk_add_f32 v[82:83], v[68:69], v[64:65] neg_lo:[0,1] neg_hi:[0,1]
	v_pk_add_f32 v[64:65], v[68:69], v[64:65]
	v_cmp_eq_f32_e64 s[52:53], s60, v86
	v_mov_b32_e32 v38, v65
	v_pk_add_f32 v[68:69], v[38:39], v[66:67] neg_lo:[0,1] neg_hi:[0,1]
	v_mov_b32_e32 v64, v81
	v_mov_b32_e32 v37, v68
	v_pk_add_f32 v[84:85], v[80:81], v[36:37] neg_lo:[0,1] neg_hi:[0,1]
	v_mov_b32_e32 v80, v67
	v_mov_b32_e32 v81, v68
	;; [unrolled: 1-line block ×3, first 2 shown]
	v_pk_add_f32 v[64:65], v[64:65], v[80:81] neg_lo:[0,1] neg_hi:[0,1]
	v_mov_b32_e32 v68, v71
	v_mov_b32_e32 v69, v66
	v_pk_add_f32 v[64:65], v[68:69], v[64:65] neg_lo:[0,1] neg_hi:[0,1]
	v_mov_b32_e32 v84, v82
	v_pk_add_f32 v[66:67], v[84:85], v[64:65]
	s_mov_b32 s60, 0x33800000
	v_mov_b32_e32 v68, v67
	v_pk_add_f32 v[68:69], v[66:67], v[68:69]
	v_cmp_lt_f32_e64 s[60:61], |v86|, s60
	v_pk_add_f32 v[70:71], v[38:39], v[68:69]
	v_mov_b32_e32 v65, v68
	v_mov_b32_e32 v67, v70
	v_pk_add_f32 v[80:81], v[66:67], v[82:83] neg_lo:[0,1] neg_hi:[0,1]
	s_or_b64 s[52:53], s[52:53], s[60:61]
	v_sub_f32_e32 v37, v66, v80
	v_pk_add_f32 v[64:65], v[64:65], v[80:81] neg_lo:[0,1] neg_hi:[0,1]
	v_sub_f32_e32 v37, v82, v37
	v_add_f32_e32 v37, v64, v37
	v_add_f32_e32 v37, v37, v65
	;; [unrolled: 1-line block ×3, first 2 shown]
	v_cndmask_b32_e64 v37, v37, v86, s[52:53]
	v_add_f32_e32 v35, v35, v37
	v_cvt_f16_f32_e32 v38, v35
.LBB360_325:
	s_or_b64 exec, exec, s[54:55]
	v_and_b32_e32 v37, 0xffff, v38
	v_mov_b32_e32 v35, v38
.LBB360_326:
	s_or_b64 exec, exec, s[56:57]
	v_mov_b32_dpp v38, v37 row_shr:8 row_mask:0xf bank_mask:0xf
	v_cmp_lt_u32_e64 s[52:53], 7, v36
	s_and_saveexec_b64 s[56:57], s[52:53]
	s_cbranch_execz .LBB360_330
; %bb.327:
	v_cvt_f32_f16_e32 v37, v38
	v_cvt_f32_f16_e32 v64, v35
	v_cmp_u_f16_e64 s[52:53], v38, v38
	v_cmp_u_f16_e64 s[54:55], v35, v35
	v_min_f32_e32 v36, v37, v64
	v_max_f32_e32 v35, v37, v64
	v_cndmask_b32_e64 v36, v36, v37, s[52:53]
	v_cndmask_b32_e64 v35, v35, v37, s[52:53]
	;; [unrolled: 1-line block ×4, first 2 shown]
	s_movk_i32 s54, 0x1f8
	v_cmp_neq_f32_e64 s[52:53], v36, v35
	v_cmp_class_f32_e64 s[54:55], v36, s54
	s_or_b64 s[52:53], s[52:53], s[54:55]
	s_and_saveexec_b64 s[54:55], s[52:53]
	s_cbranch_execz .LBB360_329
; %bb.328:
	v_sub_f32_e32 v36, v36, v35
	s_mov_b32 s52, 0x3fb8aa3b
	v_mul_f32_e32 v37, 0x3fb8aa3b, v36
	v_fma_f32 v38, v36, s52, -v37
	v_rndne_f32_e32 v64, v37
	v_fmamk_f32 v38, v36, 0x32a5705f, v38
	v_sub_f32_e32 v37, v37, v64
	v_add_f32_e32 v37, v37, v38
	v_exp_f32_e32 v37, v37
	v_cvt_i32_f32_e32 v38, v64
	s_mov_b32 s52, 0xc2ce8ed0
	v_cmp_ngt_f32_e64 s[52:53], s52, v36
	s_mov_b32 s60, 0x7f800000
	v_ldexp_f32 v37, v37, v38
	v_cndmask_b32_e64 v37, 0, v37, s[52:53]
	s_mov_b32 s52, 0x42b17218
	v_mov_b32_e32 v38, 0x7f800000
	v_cmp_nlt_f32_e64 s[52:53], s52, v36
	s_nop 1
	v_cndmask_b32_e64 v84, v38, v37, s[52:53]
	v_add_f32_e32 v38, 1.0, v84
	v_add_f32_e32 v36, -1.0, v38
	v_sub_f32_e32 v37, v36, v38
	v_add_f32_e32 v37, 1.0, v37
	v_sub_f32_e32 v36, v84, v36
	v_add_f32_e32 v64, v36, v37
	v_frexp_mant_f32_e32 v65, v38
	s_mov_b32 s52, 0x3f2aaaab
	v_cvt_f64_f32_e32 v[36:37], v38
	v_frexp_exp_i32_f64_e32 v36, v[36:37]
	v_cmp_gt_f32_e64 s[52:53], s52, v65
	s_nop 1
	v_subbrev_co_u32_e64 v70, s[52:53], 0, v36, s[52:53]
	v_sub_u32_e32 v36, 0, v70
	v_ldexp_f32 v37, v38, v36
	v_add_f32_e32 v38, -1.0, v37
	v_add_f32_e32 v65, 1.0, v37
	v_ldexp_f32 v36, v64, v36
	v_add_f32_e32 v64, 1.0, v38
	v_add_f32_e32 v66, -1.0, v65
	v_sub_f32_e32 v64, v37, v64
	v_sub_f32_e32 v37, v37, v66
	v_add_f32_e32 v64, v36, v64
	v_add_f32_e32 v36, v36, v37
	;; [unrolled: 1-line block ×3, first 2 shown]
	v_rcp_f32_e32 v81, v71
	v_sub_f32_e32 v37, v65, v71
	v_add_f32_e32 v80, v36, v37
	v_add_f32_e32 v37, v38, v64
	v_sub_f32_e32 v36, v38, v37
	v_mul_f32_e32 v82, v37, v81
	v_add_f32_e32 v38, v64, v36
	v_mul_f32_e32 v64, v71, v82
	v_fma_f32 v66, v82, v71, -v64
	v_fmac_f32_e32 v66, v82, v80
	v_add_f32_e32 v36, v64, v66
	v_sub_f32_e32 v65, v37, v36
	v_pk_add_f32 v[68:69], v[36:37], v[64:65] neg_lo:[0,1] neg_hi:[0,1]
	v_mov_b32_e32 v67, v36
	v_pk_add_f32 v[36:37], v[68:69], v[66:67] neg_lo:[0,1] neg_hi:[0,1]
	s_mov_b32 s52, 0x3f317218
	v_add_f32_e32 v37, v38, v37
	v_add_f32_e32 v36, v36, v37
	;; [unrolled: 1-line block ×3, first 2 shown]
	v_mul_f32_e32 v38, v81, v37
	v_mul_f32_e32 v64, v71, v38
	v_fma_f32 v66, v38, v71, -v64
	v_fmac_f32_e32 v66, v38, v80
	v_sub_f32_e32 v65, v65, v37
	v_add_f32_e32 v71, v36, v65
	v_add_f32_e32 v36, v64, v66
	v_sub_f32_e32 v65, v37, v36
	v_pk_add_f32 v[68:69], v[36:37], v[64:65] neg_lo:[0,1] neg_hi:[0,1]
	v_mov_b32_e32 v67, v36
	v_pk_add_f32 v[36:37], v[68:69], v[66:67] neg_lo:[0,1] neg_hi:[0,1]
	v_cvt_f32_i32_e32 v64, v70
	v_add_f32_e32 v37, v71, v37
	v_add_f32_e32 v36, v36, v37
	;; [unrolled: 1-line block ×4, first 2 shown]
	v_sub_f32_e32 v37, v65, v82
	v_mul_f32_e32 v36, v81, v36
	v_sub_f32_e32 v37, v38, v37
	v_add_f32_e32 v36, v37, v36
	v_add_f32_e32 v38, v65, v36
	v_mul_f32_e32 v66, v38, v38
	v_mov_b32_e32 v37, 0x3ecc95a3
	v_sub_f32_e32 v65, v38, v65
	v_fmac_f32_e32 v37, 0x3e9b6dac, v66
	v_sub_f32_e32 v36, v36, v65
	v_fmaak_f32 v37, v66, v37, 0x3f2aaada
	v_ldexp_f32 v68, v36, 1
	v_mul_f32_e32 v65, v38, v66
	v_mov_b32_e32 v36, 0x3f317218
	v_pk_mul_f32 v[36:37], v[64:65], v[36:37]
	v_ldexp_f32 v67, v38, 1
	v_fma_f32 v38, v64, s52, -v36
	v_fmamk_f32 v66, v64, 0xb102e308, v38
	v_pk_add_f32 v[64:65], v[36:37], v[66:67]
	v_cmp_eq_f32_e64 s[52:53], s60, v84
	v_sub_f32_e32 v38, v65, v67
	v_sub_f32_e32 v38, v37, v38
	v_add_f32_e32 v69, v68, v38
	v_mov_b32_e32 v68, v36
	v_pk_add_f32 v[36:37], v[64:65], v[36:37] neg_lo:[0,1] neg_hi:[0,1]
	v_pk_add_f32 v[70:71], v[64:65], v[68:69]
	v_mov_b32_e32 v67, v64
	v_mov_b32_e32 v37, v71
	v_pk_add_f32 v[80:81], v[66:67], v[36:37] neg_lo:[0,1] neg_hi:[0,1]
	v_pk_add_f32 v[36:37], v[66:67], v[36:37]
	s_mov_b32 s60, 0x33800000
	v_mov_b32_e32 v38, v37
	v_pk_add_f32 v[66:67], v[38:39], v[64:65] neg_lo:[0,1] neg_hi:[0,1]
	v_mov_b32_e32 v36, v71
	v_mov_b32_e32 v67, v66
	v_pk_add_f32 v[82:83], v[70:71], v[66:67] neg_lo:[0,1] neg_hi:[0,1]
	v_mov_b32_e32 v70, v65
	v_mov_b32_e32 v71, v66
	;; [unrolled: 1-line block ×3, first 2 shown]
	v_pk_add_f32 v[36:37], v[36:37], v[70:71] neg_lo:[0,1] neg_hi:[0,1]
	v_mov_b32_e32 v66, v69
	v_mov_b32_e32 v67, v64
	v_pk_add_f32 v[36:37], v[66:67], v[36:37] neg_lo:[0,1] neg_hi:[0,1]
	v_mov_b32_e32 v82, v80
	v_pk_add_f32 v[64:65], v[82:83], v[36:37]
	v_cmp_lt_f32_e64 s[60:61], |v84|, s60
	v_mov_b32_e32 v66, v65
	v_pk_add_f32 v[66:67], v[64:65], v[66:67]
	s_or_b64 s[52:53], s[52:53], s[60:61]
	v_pk_add_f32 v[68:69], v[38:39], v[66:67]
	v_mov_b32_e32 v37, v66
	v_mov_b32_e32 v65, v68
	v_pk_add_f32 v[70:71], v[64:65], v[80:81] neg_lo:[0,1] neg_hi:[0,1]
	s_nop 0
	v_sub_f32_e32 v38, v64, v70
	v_pk_add_f32 v[36:37], v[36:37], v[70:71] neg_lo:[0,1] neg_hi:[0,1]
	v_sub_f32_e32 v38, v80, v38
	v_add_f32_e32 v36, v36, v38
	v_add_f32_e32 v36, v36, v37
	;; [unrolled: 1-line block ×3, first 2 shown]
	v_cndmask_b32_e64 v36, v36, v84, s[52:53]
	v_add_f32_e32 v35, v35, v36
	v_cvt_f16_f32_e32 v38, v35
.LBB360_329:
	s_or_b64 exec, exec, s[54:55]
	v_and_b32_e32 v37, 0xffff, v38
	v_mov_b32_e32 v35, v38
.LBB360_330:
	s_or_b64 exec, exec, s[56:57]
	v_and_b32_e32 v38, 16, v19
	v_mov_b32_dpp v36, v37 row_bcast:15 row_mask:0xf bank_mask:0xf
	v_cmp_ne_u32_e64 s[52:53], 0, v38
	s_and_saveexec_b64 s[56:57], s[52:53]
	s_cbranch_execz .LBB360_334
; %bb.331:
	v_cvt_f32_f16_e32 v38, v36
	v_cvt_f32_f16_e32 v64, v35
	v_cmp_u_f16_e64 s[52:53], v36, v36
	v_cmp_u_f16_e64 s[54:55], v35, v35
	v_min_f32_e32 v37, v38, v64
	v_max_f32_e32 v35, v38, v64
	v_cndmask_b32_e64 v37, v37, v38, s[52:53]
	v_cndmask_b32_e64 v35, v35, v38, s[52:53]
	;; [unrolled: 1-line block ×4, first 2 shown]
	s_movk_i32 s54, 0x1f8
	v_cmp_neq_f32_e64 s[52:53], v37, v35
	v_cmp_class_f32_e64 s[54:55], v37, s54
	s_or_b64 s[52:53], s[52:53], s[54:55]
	s_and_saveexec_b64 s[54:55], s[52:53]
	s_cbranch_execz .LBB360_333
; %bb.332:
	v_sub_f32_e32 v36, v37, v35
	s_mov_b32 s52, 0x3fb8aa3b
	v_mul_f32_e32 v37, 0x3fb8aa3b, v36
	v_fma_f32 v38, v36, s52, -v37
	v_rndne_f32_e32 v64, v37
	v_fmamk_f32 v38, v36, 0x32a5705f, v38
	v_sub_f32_e32 v37, v37, v64
	v_add_f32_e32 v37, v37, v38
	v_exp_f32_e32 v37, v37
	v_cvt_i32_f32_e32 v38, v64
	s_mov_b32 s52, 0xc2ce8ed0
	v_cmp_ngt_f32_e64 s[52:53], s52, v36
	s_mov_b32 s60, 0x7f800000
	v_ldexp_f32 v37, v37, v38
	v_cndmask_b32_e64 v37, 0, v37, s[52:53]
	s_mov_b32 s52, 0x42b17218
	v_mov_b32_e32 v38, 0x7f800000
	v_cmp_nlt_f32_e64 s[52:53], s52, v36
	s_nop 1
	v_cndmask_b32_e64 v84, v38, v37, s[52:53]
	v_add_f32_e32 v38, 1.0, v84
	v_add_f32_e32 v36, -1.0, v38
	v_sub_f32_e32 v37, v36, v38
	v_add_f32_e32 v37, 1.0, v37
	v_sub_f32_e32 v36, v84, v36
	v_add_f32_e32 v64, v36, v37
	v_frexp_mant_f32_e32 v65, v38
	s_mov_b32 s52, 0x3f2aaaab
	v_cvt_f64_f32_e32 v[36:37], v38
	v_frexp_exp_i32_f64_e32 v36, v[36:37]
	v_cmp_gt_f32_e64 s[52:53], s52, v65
	s_nop 1
	v_subbrev_co_u32_e64 v70, s[52:53], 0, v36, s[52:53]
	v_sub_u32_e32 v36, 0, v70
	v_ldexp_f32 v37, v38, v36
	v_add_f32_e32 v38, -1.0, v37
	v_add_f32_e32 v65, 1.0, v37
	v_ldexp_f32 v36, v64, v36
	v_add_f32_e32 v64, 1.0, v38
	v_add_f32_e32 v66, -1.0, v65
	v_sub_f32_e32 v64, v37, v64
	v_sub_f32_e32 v37, v37, v66
	v_add_f32_e32 v64, v36, v64
	v_add_f32_e32 v36, v36, v37
	;; [unrolled: 1-line block ×3, first 2 shown]
	v_rcp_f32_e32 v81, v71
	v_sub_f32_e32 v37, v65, v71
	v_add_f32_e32 v80, v36, v37
	v_add_f32_e32 v37, v38, v64
	v_sub_f32_e32 v36, v38, v37
	v_mul_f32_e32 v82, v37, v81
	v_add_f32_e32 v38, v64, v36
	v_mul_f32_e32 v64, v71, v82
	v_fma_f32 v66, v82, v71, -v64
	v_fmac_f32_e32 v66, v82, v80
	v_add_f32_e32 v36, v64, v66
	v_sub_f32_e32 v65, v37, v36
	v_pk_add_f32 v[68:69], v[36:37], v[64:65] neg_lo:[0,1] neg_hi:[0,1]
	v_mov_b32_e32 v67, v36
	v_pk_add_f32 v[36:37], v[68:69], v[66:67] neg_lo:[0,1] neg_hi:[0,1]
	s_mov_b32 s52, 0x3f317218
	v_add_f32_e32 v37, v38, v37
	v_add_f32_e32 v36, v36, v37
	;; [unrolled: 1-line block ×3, first 2 shown]
	v_mul_f32_e32 v38, v81, v37
	v_mul_f32_e32 v64, v71, v38
	v_fma_f32 v66, v38, v71, -v64
	v_fmac_f32_e32 v66, v38, v80
	v_sub_f32_e32 v65, v65, v37
	v_add_f32_e32 v71, v36, v65
	v_add_f32_e32 v36, v64, v66
	v_sub_f32_e32 v65, v37, v36
	v_pk_add_f32 v[68:69], v[36:37], v[64:65] neg_lo:[0,1] neg_hi:[0,1]
	v_mov_b32_e32 v67, v36
	v_pk_add_f32 v[36:37], v[68:69], v[66:67] neg_lo:[0,1] neg_hi:[0,1]
	v_cvt_f32_i32_e32 v64, v70
	v_add_f32_e32 v37, v71, v37
	v_add_f32_e32 v36, v36, v37
	;; [unrolled: 1-line block ×4, first 2 shown]
	v_sub_f32_e32 v37, v65, v82
	v_mul_f32_e32 v36, v81, v36
	v_sub_f32_e32 v37, v38, v37
	v_add_f32_e32 v36, v37, v36
	v_add_f32_e32 v38, v65, v36
	v_mul_f32_e32 v66, v38, v38
	v_mov_b32_e32 v37, 0x3ecc95a3
	v_sub_f32_e32 v65, v38, v65
	v_fmac_f32_e32 v37, 0x3e9b6dac, v66
	v_sub_f32_e32 v36, v36, v65
	v_fmaak_f32 v37, v66, v37, 0x3f2aaada
	v_ldexp_f32 v68, v36, 1
	v_mul_f32_e32 v65, v38, v66
	v_mov_b32_e32 v36, 0x3f317218
	v_pk_mul_f32 v[36:37], v[64:65], v[36:37]
	v_ldexp_f32 v67, v38, 1
	v_fma_f32 v38, v64, s52, -v36
	v_fmamk_f32 v66, v64, 0xb102e308, v38
	v_pk_add_f32 v[64:65], v[36:37], v[66:67]
	v_cmp_eq_f32_e64 s[52:53], s60, v84
	v_sub_f32_e32 v38, v65, v67
	v_sub_f32_e32 v38, v37, v38
	v_add_f32_e32 v69, v68, v38
	v_mov_b32_e32 v68, v36
	v_pk_add_f32 v[36:37], v[64:65], v[36:37] neg_lo:[0,1] neg_hi:[0,1]
	v_pk_add_f32 v[70:71], v[64:65], v[68:69]
	v_mov_b32_e32 v67, v64
	v_mov_b32_e32 v37, v71
	v_pk_add_f32 v[80:81], v[66:67], v[36:37] neg_lo:[0,1] neg_hi:[0,1]
	v_pk_add_f32 v[36:37], v[66:67], v[36:37]
	s_mov_b32 s60, 0x33800000
	v_mov_b32_e32 v38, v37
	v_pk_add_f32 v[66:67], v[38:39], v[64:65] neg_lo:[0,1] neg_hi:[0,1]
	v_mov_b32_e32 v36, v71
	v_mov_b32_e32 v67, v66
	v_pk_add_f32 v[82:83], v[70:71], v[66:67] neg_lo:[0,1] neg_hi:[0,1]
	v_mov_b32_e32 v70, v65
	v_mov_b32_e32 v71, v66
	;; [unrolled: 1-line block ×3, first 2 shown]
	v_pk_add_f32 v[36:37], v[36:37], v[70:71] neg_lo:[0,1] neg_hi:[0,1]
	v_mov_b32_e32 v66, v69
	v_mov_b32_e32 v67, v64
	v_pk_add_f32 v[36:37], v[66:67], v[36:37] neg_lo:[0,1] neg_hi:[0,1]
	v_mov_b32_e32 v82, v80
	v_pk_add_f32 v[64:65], v[82:83], v[36:37]
	v_cmp_lt_f32_e64 s[60:61], |v84|, s60
	v_mov_b32_e32 v66, v65
	v_pk_add_f32 v[66:67], v[64:65], v[66:67]
	s_or_b64 s[52:53], s[52:53], s[60:61]
	v_pk_add_f32 v[68:69], v[38:39], v[66:67]
	v_mov_b32_e32 v37, v66
	v_mov_b32_e32 v65, v68
	v_pk_add_f32 v[70:71], v[64:65], v[80:81] neg_lo:[0,1] neg_hi:[0,1]
	s_nop 0
	v_sub_f32_e32 v38, v64, v70
	v_pk_add_f32 v[36:37], v[36:37], v[70:71] neg_lo:[0,1] neg_hi:[0,1]
	v_sub_f32_e32 v38, v80, v38
	v_add_f32_e32 v36, v36, v38
	v_add_f32_e32 v36, v36, v37
	;; [unrolled: 1-line block ×3, first 2 shown]
	v_cndmask_b32_e64 v36, v36, v84, s[52:53]
	v_add_f32_e32 v35, v35, v36
	v_cvt_f16_f32_e32 v36, v35
.LBB360_333:
	s_or_b64 exec, exec, s[54:55]
	v_and_b32_e32 v37, 0xffff, v36
	v_mov_b32_e32 v35, v36
.LBB360_334:
	s_or_b64 exec, exec, s[56:57]
	v_mov_b32_dpp v36, v37 row_bcast:31 row_mask:0xf bank_mask:0xf
	v_cmp_lt_u32_e64 s[52:53], 31, v19
	s_and_saveexec_b64 s[56:57], s[52:53]
	s_cbranch_execz .LBB360_338
; %bb.335:
	v_cvt_f32_f16_e32 v38, v36
	v_cvt_f32_f16_e32 v64, v35
	v_cmp_u_f16_e64 s[52:53], v36, v36
	v_cmp_u_f16_e64 s[54:55], v35, v35
	v_min_f32_e32 v37, v38, v64
	v_max_f32_e32 v35, v38, v64
	v_cndmask_b32_e64 v37, v37, v38, s[52:53]
	v_cndmask_b32_e64 v35, v35, v38, s[52:53]
	;; [unrolled: 1-line block ×4, first 2 shown]
	s_movk_i32 s54, 0x1f8
	v_cmp_neq_f32_e64 s[52:53], v37, v35
	v_cmp_class_f32_e64 s[54:55], v37, s54
	s_or_b64 s[52:53], s[52:53], s[54:55]
	s_and_saveexec_b64 s[54:55], s[52:53]
	s_cbranch_execz .LBB360_337
; %bb.336:
	v_sub_f32_e32 v36, v37, v35
	s_mov_b32 s52, 0x3fb8aa3b
	v_mul_f32_e32 v37, 0x3fb8aa3b, v36
	v_fma_f32 v38, v36, s52, -v37
	v_rndne_f32_e32 v64, v37
	v_fmamk_f32 v38, v36, 0x32a5705f, v38
	v_sub_f32_e32 v37, v37, v64
	v_add_f32_e32 v37, v37, v38
	v_exp_f32_e32 v37, v37
	v_cvt_i32_f32_e32 v38, v64
	s_mov_b32 s52, 0xc2ce8ed0
	v_cmp_ngt_f32_e64 s[52:53], s52, v36
	s_mov_b32 s60, 0x7f800000
	v_ldexp_f32 v37, v37, v38
	v_cndmask_b32_e64 v37, 0, v37, s[52:53]
	s_mov_b32 s52, 0x42b17218
	v_mov_b32_e32 v38, 0x7f800000
	v_cmp_nlt_f32_e64 s[52:53], s52, v36
	s_nop 1
	v_cndmask_b32_e64 v84, v38, v37, s[52:53]
	v_add_f32_e32 v38, 1.0, v84
	v_add_f32_e32 v36, -1.0, v38
	v_sub_f32_e32 v37, v36, v38
	v_add_f32_e32 v37, 1.0, v37
	v_sub_f32_e32 v36, v84, v36
	v_add_f32_e32 v64, v36, v37
	v_frexp_mant_f32_e32 v65, v38
	s_mov_b32 s52, 0x3f2aaaab
	v_cvt_f64_f32_e32 v[36:37], v38
	v_frexp_exp_i32_f64_e32 v36, v[36:37]
	v_cmp_gt_f32_e64 s[52:53], s52, v65
	s_nop 1
	v_subbrev_co_u32_e64 v70, s[52:53], 0, v36, s[52:53]
	v_sub_u32_e32 v36, 0, v70
	v_ldexp_f32 v37, v38, v36
	v_add_f32_e32 v38, -1.0, v37
	v_add_f32_e32 v65, 1.0, v37
	v_ldexp_f32 v36, v64, v36
	v_add_f32_e32 v64, 1.0, v38
	v_add_f32_e32 v66, -1.0, v65
	v_sub_f32_e32 v64, v37, v64
	v_sub_f32_e32 v37, v37, v66
	v_add_f32_e32 v64, v36, v64
	v_add_f32_e32 v36, v36, v37
	;; [unrolled: 1-line block ×3, first 2 shown]
	v_rcp_f32_e32 v81, v71
	v_sub_f32_e32 v37, v65, v71
	v_add_f32_e32 v80, v36, v37
	v_add_f32_e32 v37, v38, v64
	v_sub_f32_e32 v36, v38, v37
	v_mul_f32_e32 v82, v37, v81
	v_add_f32_e32 v38, v64, v36
	v_mul_f32_e32 v64, v71, v82
	v_fma_f32 v66, v82, v71, -v64
	v_fmac_f32_e32 v66, v82, v80
	v_add_f32_e32 v36, v64, v66
	v_sub_f32_e32 v65, v37, v36
	v_pk_add_f32 v[68:69], v[36:37], v[64:65] neg_lo:[0,1] neg_hi:[0,1]
	v_mov_b32_e32 v67, v36
	v_pk_add_f32 v[36:37], v[68:69], v[66:67] neg_lo:[0,1] neg_hi:[0,1]
	s_mov_b32 s52, 0x3f317218
	v_add_f32_e32 v37, v38, v37
	v_add_f32_e32 v36, v36, v37
	;; [unrolled: 1-line block ×3, first 2 shown]
	v_mul_f32_e32 v38, v81, v37
	v_mul_f32_e32 v64, v71, v38
	v_fma_f32 v66, v38, v71, -v64
	v_fmac_f32_e32 v66, v38, v80
	v_sub_f32_e32 v65, v65, v37
	v_add_f32_e32 v71, v36, v65
	v_add_f32_e32 v36, v64, v66
	v_sub_f32_e32 v65, v37, v36
	v_pk_add_f32 v[68:69], v[36:37], v[64:65] neg_lo:[0,1] neg_hi:[0,1]
	v_mov_b32_e32 v67, v36
	v_pk_add_f32 v[36:37], v[68:69], v[66:67] neg_lo:[0,1] neg_hi:[0,1]
	v_cvt_f32_i32_e32 v64, v70
	v_add_f32_e32 v37, v71, v37
	v_add_f32_e32 v36, v36, v37
	;; [unrolled: 1-line block ×4, first 2 shown]
	v_sub_f32_e32 v37, v65, v82
	v_mul_f32_e32 v36, v81, v36
	v_sub_f32_e32 v37, v38, v37
	v_add_f32_e32 v36, v37, v36
	v_add_f32_e32 v38, v65, v36
	v_mul_f32_e32 v66, v38, v38
	v_mov_b32_e32 v37, 0x3ecc95a3
	v_sub_f32_e32 v65, v38, v65
	v_fmac_f32_e32 v37, 0x3e9b6dac, v66
	v_sub_f32_e32 v36, v36, v65
	v_fmaak_f32 v37, v66, v37, 0x3f2aaada
	v_ldexp_f32 v68, v36, 1
	v_mul_f32_e32 v65, v38, v66
	v_mov_b32_e32 v36, 0x3f317218
	v_pk_mul_f32 v[36:37], v[64:65], v[36:37]
	v_ldexp_f32 v67, v38, 1
	v_fma_f32 v38, v64, s52, -v36
	v_fmamk_f32 v66, v64, 0xb102e308, v38
	v_pk_add_f32 v[64:65], v[36:37], v[66:67]
	v_cmp_eq_f32_e64 s[52:53], s60, v84
	v_sub_f32_e32 v38, v65, v67
	v_sub_f32_e32 v38, v37, v38
	v_add_f32_e32 v69, v68, v38
	v_mov_b32_e32 v68, v36
	v_pk_add_f32 v[36:37], v[64:65], v[36:37] neg_lo:[0,1] neg_hi:[0,1]
	v_pk_add_f32 v[70:71], v[64:65], v[68:69]
	v_mov_b32_e32 v67, v64
	v_mov_b32_e32 v37, v71
	v_pk_add_f32 v[80:81], v[66:67], v[36:37] neg_lo:[0,1] neg_hi:[0,1]
	v_pk_add_f32 v[36:37], v[66:67], v[36:37]
	s_mov_b32 s60, 0x33800000
	v_mov_b32_e32 v38, v37
	v_pk_add_f32 v[66:67], v[38:39], v[64:65] neg_lo:[0,1] neg_hi:[0,1]
	v_mov_b32_e32 v36, v71
	v_mov_b32_e32 v67, v66
	v_pk_add_f32 v[82:83], v[70:71], v[66:67] neg_lo:[0,1] neg_hi:[0,1]
	v_mov_b32_e32 v70, v65
	v_mov_b32_e32 v71, v66
	;; [unrolled: 1-line block ×3, first 2 shown]
	v_pk_add_f32 v[36:37], v[36:37], v[70:71] neg_lo:[0,1] neg_hi:[0,1]
	v_mov_b32_e32 v66, v69
	v_mov_b32_e32 v67, v64
	v_pk_add_f32 v[36:37], v[66:67], v[36:37] neg_lo:[0,1] neg_hi:[0,1]
	v_mov_b32_e32 v82, v80
	v_pk_add_f32 v[64:65], v[82:83], v[36:37]
	v_cmp_lt_f32_e64 s[60:61], |v84|, s60
	v_mov_b32_e32 v66, v65
	v_pk_add_f32 v[66:67], v[64:65], v[66:67]
	s_or_b64 s[52:53], s[52:53], s[60:61]
	v_pk_add_f32 v[68:69], v[38:39], v[66:67]
	v_mov_b32_e32 v37, v66
	v_mov_b32_e32 v65, v68
	v_pk_add_f32 v[70:71], v[64:65], v[80:81] neg_lo:[0,1] neg_hi:[0,1]
	s_nop 0
	v_sub_f32_e32 v38, v64, v70
	v_pk_add_f32 v[36:37], v[36:37], v[70:71] neg_lo:[0,1] neg_hi:[0,1]
	v_sub_f32_e32 v38, v80, v38
	v_add_f32_e32 v36, v36, v38
	v_add_f32_e32 v36, v36, v37
	;; [unrolled: 1-line block ×3, first 2 shown]
	v_cndmask_b32_e64 v36, v36, v84, s[52:53]
	v_add_f32_e32 v35, v35, v36
	v_cvt_f16_f32_e32 v36, v35
.LBB360_337:
	s_or_b64 exec, exec, s[54:55]
	v_mov_b32_e32 v35, v36
.LBB360_338:
	s_or_b64 exec, exec, s[56:57]
	v_and_b32_e32 v37, 0x3c0, v0
	v_min_u32_e32 v37, 0xc0, v37
	v_or_b32_e32 v37, 63, v37
	v_lshrrev_b32_e32 v36, 6, v0
	v_cmp_eq_u32_e64 s[52:53], v37, v0
	s_and_saveexec_b64 s[54:55], s[52:53]
	s_cbranch_execz .LBB360_340
; %bb.339:
	v_lshlrev_b32_e32 v37, 1, v36
	ds_write_b16 v37, v35
.LBB360_340:
	s_or_b64 exec, exec, s[54:55]
	v_cmp_gt_u32_e64 s[52:53], 4, v0
	s_waitcnt lgkmcnt(0)
	s_barrier
	s_and_saveexec_b64 s[56:57], s[52:53]
	s_cbranch_execz .LBB360_350
; %bb.341:
	ds_read_u16 v38, v10
	v_and_b32_e32 v37, 3, v19
	v_cmp_ne_u32_e64 s[52:53], 0, v37
	s_waitcnt lgkmcnt(0)
	v_and_b32_e32 v65, 0xffff, v38
	s_nop 1
	v_mov_b32_dpp v64, v65 row_shr:1 row_mask:0xf bank_mask:0xf
	s_and_saveexec_b64 s[60:61], s[52:53]
	s_cbranch_execz .LBB360_345
; %bb.342:
	v_cvt_f32_f16_e32 v66, v64
	v_cvt_f32_f16_e32 v67, v38
	v_cmp_u_f16_e64 s[52:53], v64, v64
	v_cmp_u_f16_e64 s[54:55], v38, v38
	v_min_f32_e32 v65, v66, v67
	v_max_f32_e32 v38, v66, v67
	v_cndmask_b32_e64 v65, v65, v66, s[52:53]
	v_cndmask_b32_e64 v38, v38, v66, s[52:53]
	;; [unrolled: 1-line block ×4, first 2 shown]
	s_movk_i32 s54, 0x1f8
	v_cmp_neq_f32_e64 s[52:53], v65, v38
	v_cmp_class_f32_e64 s[54:55], v65, s54
	s_or_b64 s[52:53], s[52:53], s[54:55]
	s_and_saveexec_b64 s[54:55], s[52:53]
	s_cbranch_execz .LBB360_344
; %bb.343:
	v_sub_f32_e32 v64, v65, v38
	s_mov_b32 s52, 0x3fb8aa3b
	v_mul_f32_e32 v65, 0x3fb8aa3b, v64
	v_fma_f32 v66, v64, s52, -v65
	v_rndne_f32_e32 v67, v65
	v_fmamk_f32 v66, v64, 0x32a5705f, v66
	v_sub_f32_e32 v65, v65, v67
	v_add_f32_e32 v65, v65, v66
	v_exp_f32_e32 v65, v65
	v_cvt_i32_f32_e32 v66, v67
	s_mov_b32 s52, 0xc2ce8ed0
	v_cmp_ngt_f32_e64 s[52:53], s52, v64
	s_mov_b32 s62, 0x7f800000
	v_ldexp_f32 v65, v65, v66
	v_cndmask_b32_e64 v65, 0, v65, s[52:53]
	s_mov_b32 s52, 0x42b17218
	v_mov_b32_e32 v66, 0x7f800000
	v_cmp_nlt_f32_e64 s[52:53], s52, v64
	s_nop 1
	v_cndmask_b32_e64 v96, v66, v65, s[52:53]
	v_add_f32_e32 v66, 1.0, v96
	v_add_f32_e32 v64, -1.0, v66
	v_sub_f32_e32 v65, v64, v66
	v_add_f32_e32 v65, 1.0, v65
	v_sub_f32_e32 v64, v96, v64
	v_add_f32_e32 v67, v64, v65
	v_frexp_mant_f32_e32 v68, v66
	s_mov_b32 s52, 0x3f2aaaab
	v_cvt_f64_f32_e32 v[64:65], v66
	v_frexp_exp_i32_f64_e32 v64, v[64:65]
	v_cmp_gt_f32_e64 s[52:53], s52, v68
	s_nop 1
	v_subbrev_co_u32_e64 v80, s[52:53], 0, v64, s[52:53]
	v_sub_u32_e32 v64, 0, v80
	v_ldexp_f32 v65, v66, v64
	v_add_f32_e32 v66, -1.0, v65
	v_add_f32_e32 v68, 1.0, v65
	v_ldexp_f32 v64, v67, v64
	v_add_f32_e32 v67, 1.0, v66
	v_add_f32_e32 v69, -1.0, v68
	v_sub_f32_e32 v67, v65, v67
	v_sub_f32_e32 v65, v65, v69
	v_add_f32_e32 v67, v64, v67
	v_add_f32_e32 v64, v64, v65
	;; [unrolled: 1-line block ×3, first 2 shown]
	v_rcp_f32_e32 v83, v81
	v_sub_f32_e32 v65, v68, v81
	v_add_f32_e32 v82, v64, v65
	v_add_f32_e32 v65, v66, v67
	v_mul_f32_e32 v85, v65, v83
	v_sub_f32_e32 v64, v66, v65
	v_mul_f32_e32 v66, v81, v85
	v_fma_f32 v68, v85, v81, -v66
	v_fmac_f32_e32 v68, v85, v82
	v_add_f32_e32 v84, v67, v64
	v_add_f32_e32 v64, v66, v68
	v_sub_f32_e32 v67, v65, v64
	v_pk_add_f32 v[70:71], v[64:65], v[66:67] neg_lo:[0,1] neg_hi:[0,1]
	v_mov_b32_e32 v69, v64
	v_pk_add_f32 v[64:65], v[70:71], v[68:69] neg_lo:[0,1] neg_hi:[0,1]
	s_mov_b32 s52, 0x3f317218
	v_add_f32_e32 v65, v84, v65
	v_add_f32_e32 v64, v64, v65
	;; [unrolled: 1-line block ×3, first 2 shown]
	v_mul_f32_e32 v84, v83, v65
	v_mul_f32_e32 v66, v81, v84
	v_fma_f32 v68, v84, v81, -v66
	v_fmac_f32_e32 v68, v84, v82
	v_sub_f32_e32 v67, v67, v65
	v_add_f32_e32 v81, v64, v67
	v_add_f32_e32 v64, v66, v68
	v_sub_f32_e32 v67, v65, v64
	v_pk_add_f32 v[70:71], v[64:65], v[66:67] neg_lo:[0,1] neg_hi:[0,1]
	v_mov_b32_e32 v69, v64
	v_pk_add_f32 v[64:65], v[70:71], v[68:69] neg_lo:[0,1] neg_hi:[0,1]
	v_cvt_f32_i32_e32 v66, v80
	v_add_f32_e32 v65, v81, v65
	v_add_f32_e32 v64, v64, v65
	;; [unrolled: 1-line block ×4, first 2 shown]
	v_sub_f32_e32 v65, v67, v85
	v_mul_f32_e32 v64, v83, v64
	v_sub_f32_e32 v65, v84, v65
	v_add_f32_e32 v64, v65, v64
	v_add_f32_e32 v68, v67, v64
	v_mul_f32_e32 v70, v68, v68
	v_mov_b32_e32 v65, 0x3ecc95a3
	v_sub_f32_e32 v67, v68, v67
	v_fmac_f32_e32 v65, 0x3e9b6dac, v70
	v_sub_f32_e32 v64, v64, v67
	v_fmaak_f32 v65, v70, v65, 0x3f2aaada
	v_ldexp_f32 v71, v64, 1
	v_mul_f32_e32 v67, v68, v70
	v_mov_b32_e32 v64, 0x3f317218
	v_pk_mul_f32 v[64:65], v[66:67], v[64:65]
	v_ldexp_f32 v69, v68, 1
	v_fma_f32 v67, v66, s52, -v64
	v_fmamk_f32 v68, v66, 0xb102e308, v67
	v_pk_add_f32 v[66:67], v[64:65], v[68:69]
	v_mov_b32_e32 v70, v64
	v_sub_f32_e32 v69, v67, v69
	v_sub_f32_e32 v69, v65, v69
	v_add_f32_e32 v71, v71, v69
	v_pk_add_f32 v[64:65], v[66:67], v[64:65] neg_lo:[0,1] neg_hi:[0,1]
	v_pk_add_f32 v[80:81], v[66:67], v[70:71]
	v_mov_b32_e32 v69, v66
	v_mov_b32_e32 v65, v81
	v_pk_add_f32 v[82:83], v[68:69], v[64:65] neg_lo:[0,1] neg_hi:[0,1]
	v_pk_add_f32 v[64:65], v[68:69], v[64:65]
	v_mov_b32_e32 v70, v71
	v_mov_b32_e32 v68, v65
	v_pk_add_f32 v[84:85], v[68:69], v[66:67] neg_lo:[0,1] neg_hi:[0,1]
	v_mov_b32_e32 v64, v81
	v_mov_b32_e32 v69, v84
	v_pk_add_f32 v[86:87], v[80:81], v[68:69] neg_lo:[0,1] neg_hi:[0,1]
	v_mov_b32_e32 v80, v67
	v_mov_b32_e32 v81, v84
	;; [unrolled: 1-line block ×3, first 2 shown]
	v_pk_add_f32 v[64:65], v[64:65], v[80:81] neg_lo:[0,1] neg_hi:[0,1]
	v_mov_b32_e32 v71, v66
	v_pk_add_f32 v[64:65], v[70:71], v[64:65] neg_lo:[0,1] neg_hi:[0,1]
	v_mov_b32_e32 v86, v82
	v_pk_add_f32 v[66:67], v[86:87], v[64:65]
	v_cmp_eq_f32_e64 s[52:53], s62, v96
	v_mov_b32_e32 v70, v67
	v_pk_add_f32 v[70:71], v[66:67], v[70:71]
	s_mov_b32 s62, 0x33800000
	v_pk_add_f32 v[68:69], v[68:69], v[70:71]
	v_mov_b32_e32 v65, v70
	v_mov_b32_e32 v67, v68
	v_pk_add_f32 v[80:81], v[66:67], v[82:83] neg_lo:[0,1] neg_hi:[0,1]
	v_cmp_lt_f32_e64 s[62:63], |v96|, s62
	v_sub_f32_e32 v66, v66, v80
	v_pk_add_f32 v[64:65], v[64:65], v[80:81] neg_lo:[0,1] neg_hi:[0,1]
	v_sub_f32_e32 v66, v82, v66
	v_add_f32_e32 v64, v64, v66
	v_add_f32_e32 v64, v64, v65
	v_add_f32_e32 v64, v68, v64
	s_or_b64 s[52:53], s[52:53], s[62:63]
	v_cndmask_b32_e64 v64, v64, v96, s[52:53]
	v_add_f32_e32 v38, v38, v64
	v_cvt_f16_f32_e32 v64, v38
.LBB360_344:
	s_or_b64 exec, exec, s[54:55]
	v_and_b32_e32 v65, 0xffff, v64
	v_mov_b32_e32 v38, v64
.LBB360_345:
	s_or_b64 exec, exec, s[60:61]
	v_mov_b32_dpp v64, v65 row_shr:2 row_mask:0xf bank_mask:0xf
	v_cmp_lt_u32_e64 s[52:53], 1, v37
	s_and_saveexec_b64 s[60:61], s[52:53]
	s_cbranch_execz .LBB360_349
; %bb.346:
	v_cvt_f32_f16_e32 v37, v64
	v_cvt_f32_f16_e32 v65, v38
	v_cmp_u_f16_e64 s[52:53], v64, v64
	v_cmp_u_f16_e64 s[54:55], v38, v38
	v_min_f32_e32 v66, v37, v65
	v_cndmask_b32_e64 v66, v66, v37, s[52:53]
	v_cndmask_b32_e64 v38, v66, v65, s[54:55]
	v_max_f32_e32 v66, v37, v65
	v_cndmask_b32_e64 v37, v66, v37, s[52:53]
	v_cndmask_b32_e64 v37, v37, v65, s[54:55]
	s_movk_i32 s54, 0x1f8
	v_cmp_neq_f32_e64 s[52:53], v38, v37
	v_cmp_class_f32_e64 s[54:55], v38, s54
	s_or_b64 s[52:53], s[52:53], s[54:55]
	s_and_saveexec_b64 s[54:55], s[52:53]
	s_cbranch_execz .LBB360_348
; %bb.347:
	v_sub_f32_e32 v38, v38, v37
	s_mov_b32 s52, 0x3fb8aa3b
	v_mul_f32_e32 v64, 0x3fb8aa3b, v38
	v_fma_f32 v65, v38, s52, -v64
	v_rndne_f32_e32 v66, v64
	v_fmamk_f32 v65, v38, 0x32a5705f, v65
	v_sub_f32_e32 v64, v64, v66
	v_add_f32_e32 v64, v64, v65
	v_exp_f32_e32 v64, v64
	v_cvt_i32_f32_e32 v65, v66
	s_mov_b32 s52, 0xc2ce8ed0
	v_cmp_ngt_f32_e64 s[52:53], s52, v38
	s_mov_b32 s62, 0x7f800000
	v_ldexp_f32 v64, v64, v65
	v_cndmask_b32_e64 v64, 0, v64, s[52:53]
	s_mov_b32 s52, 0x42b17218
	v_mov_b32_e32 v65, 0x7f800000
	v_cmp_nlt_f32_e64 s[52:53], s52, v38
	s_nop 1
	v_cndmask_b32_e64 v86, v65, v64, s[52:53]
	v_add_f32_e32 v38, 1.0, v86
	v_add_f32_e32 v64, -1.0, v38
	v_sub_f32_e32 v65, v64, v38
	v_add_f32_e32 v65, 1.0, v65
	v_sub_f32_e32 v64, v86, v64
	v_add_f32_e32 v66, v64, v65
	v_frexp_mant_f32_e32 v67, v38
	s_mov_b32 s52, 0x3f2aaaab
	v_cvt_f64_f32_e32 v[64:65], v38
	v_frexp_exp_i32_f64_e32 v64, v[64:65]
	v_cmp_gt_f32_e64 s[52:53], s52, v67
	s_nop 1
	v_subbrev_co_u32_e64 v80, s[52:53], 0, v64, s[52:53]
	v_sub_u32_e32 v64, 0, v80
	v_ldexp_f32 v38, v38, v64
	v_ldexp_f32 v64, v66, v64
	v_add_f32_e32 v66, -1.0, v38
	v_add_f32_e32 v65, 1.0, v66
	v_sub_f32_e32 v65, v38, v65
	v_add_f32_e32 v67, v64, v65
	v_add_f32_e32 v65, 1.0, v38
	v_add_f32_e32 v68, -1.0, v65
	v_sub_f32_e32 v38, v38, v68
	v_add_f32_e32 v38, v64, v38
	v_add_f32_e32 v81, v65, v38
	v_rcp_f32_e32 v82, v81
	v_sub_f32_e32 v64, v65, v81
	v_add_f32_e32 v65, v66, v67
	v_add_f32_e32 v38, v38, v64
	v_mul_f32_e32 v84, v65, v82
	v_sub_f32_e32 v64, v66, v65
	v_mul_f32_e32 v66, v81, v84
	v_fma_f32 v68, v84, v81, -v66
	v_fmac_f32_e32 v68, v84, v38
	v_add_f32_e32 v83, v67, v64
	v_add_f32_e32 v64, v66, v68
	v_sub_f32_e32 v67, v65, v64
	v_pk_add_f32 v[70:71], v[64:65], v[66:67] neg_lo:[0,1] neg_hi:[0,1]
	v_mov_b32_e32 v69, v64
	v_pk_add_f32 v[64:65], v[70:71], v[68:69] neg_lo:[0,1] neg_hi:[0,1]
	s_mov_b32 s52, 0x3f317218
	v_add_f32_e32 v65, v83, v65
	v_add_f32_e32 v64, v64, v65
	;; [unrolled: 1-line block ×3, first 2 shown]
	v_mul_f32_e32 v83, v82, v65
	v_mul_f32_e32 v66, v81, v83
	v_fma_f32 v68, v83, v81, -v66
	v_fmac_f32_e32 v68, v83, v38
	v_sub_f32_e32 v38, v67, v65
	v_add_f32_e32 v38, v64, v38
	v_add_f32_e32 v64, v66, v68
	v_sub_f32_e32 v67, v65, v64
	v_pk_add_f32 v[70:71], v[64:65], v[66:67] neg_lo:[0,1] neg_hi:[0,1]
	v_mov_b32_e32 v69, v64
	v_pk_add_f32 v[64:65], v[70:71], v[68:69] neg_lo:[0,1] neg_hi:[0,1]
	v_cvt_f32_i32_e32 v66, v80
	v_add_f32_e32 v38, v38, v65
	v_add_f32_e32 v38, v64, v38
	;; [unrolled: 1-line block ×4, first 2 shown]
	v_sub_f32_e32 v65, v64, v84
	v_mul_f32_e32 v38, v82, v38
	v_sub_f32_e32 v65, v83, v65
	v_add_f32_e32 v38, v65, v38
	v_add_f32_e32 v67, v64, v38
	v_mul_f32_e32 v68, v67, v67
	v_mov_b32_e32 v65, 0x3ecc95a3
	v_fmac_f32_e32 v65, 0x3e9b6dac, v68
	v_sub_f32_e32 v64, v67, v64
	v_fmaak_f32 v65, v68, v65, 0x3f2aaada
	v_sub_f32_e32 v38, v38, v64
	v_ldexp_f32 v69, v67, 1
	v_mul_f32_e32 v67, v67, v68
	v_mov_b32_e32 v64, 0x3f317218
	v_pk_mul_f32 v[64:65], v[66:67], v[64:65]
	v_ldexp_f32 v38, v38, 1
	v_fma_f32 v67, v66, s52, -v64
	v_fmamk_f32 v68, v66, 0xb102e308, v67
	v_pk_add_f32 v[66:67], v[64:65], v[68:69]
	v_mov_b32_e32 v70, v64
	v_sub_f32_e32 v69, v67, v69
	v_sub_f32_e32 v69, v65, v69
	v_add_f32_e32 v71, v38, v69
	v_pk_add_f32 v[64:65], v[66:67], v[64:65] neg_lo:[0,1] neg_hi:[0,1]
	v_pk_add_f32 v[80:81], v[66:67], v[70:71]
	v_mov_b32_e32 v69, v66
	v_mov_b32_e32 v65, v81
	v_pk_add_f32 v[82:83], v[68:69], v[64:65] neg_lo:[0,1] neg_hi:[0,1]
	v_pk_add_f32 v[64:65], v[68:69], v[64:65]
	v_cmp_eq_f32_e64 s[52:53], s62, v86
	v_mov_b32_e32 v38, v65
	v_pk_add_f32 v[68:69], v[38:39], v[66:67] neg_lo:[0,1] neg_hi:[0,1]
	v_mov_b32_e32 v64, v81
	v_mov_b32_e32 v69, v68
	v_pk_add_f32 v[84:85], v[80:81], v[68:69] neg_lo:[0,1] neg_hi:[0,1]
	v_mov_b32_e32 v80, v67
	v_mov_b32_e32 v81, v68
	;; [unrolled: 1-line block ×3, first 2 shown]
	v_pk_add_f32 v[64:65], v[64:65], v[80:81] neg_lo:[0,1] neg_hi:[0,1]
	v_mov_b32_e32 v68, v71
	v_mov_b32_e32 v69, v66
	v_pk_add_f32 v[64:65], v[68:69], v[64:65] neg_lo:[0,1] neg_hi:[0,1]
	v_mov_b32_e32 v84, v82
	v_pk_add_f32 v[66:67], v[84:85], v[64:65]
	s_mov_b32 s62, 0x33800000
	v_mov_b32_e32 v68, v67
	v_pk_add_f32 v[68:69], v[66:67], v[68:69]
	v_cmp_lt_f32_e64 s[62:63], |v86|, s62
	v_pk_add_f32 v[70:71], v[38:39], v[68:69]
	v_mov_b32_e32 v65, v68
	v_mov_b32_e32 v67, v70
	v_pk_add_f32 v[80:81], v[66:67], v[82:83] neg_lo:[0,1] neg_hi:[0,1]
	s_or_b64 s[52:53], s[52:53], s[62:63]
	v_sub_f32_e32 v38, v66, v80
	v_pk_add_f32 v[64:65], v[64:65], v[80:81] neg_lo:[0,1] neg_hi:[0,1]
	v_sub_f32_e32 v38, v82, v38
	v_add_f32_e32 v38, v64, v38
	v_add_f32_e32 v38, v38, v65
	;; [unrolled: 1-line block ×3, first 2 shown]
	v_cndmask_b32_e64 v38, v38, v86, s[52:53]
	v_add_f32_e32 v37, v37, v38
	v_cvt_f16_f32_e32 v64, v37
.LBB360_348:
	s_or_b64 exec, exec, s[54:55]
	v_mov_b32_e32 v38, v64
.LBB360_349:
	s_or_b64 exec, exec, s[60:61]
	ds_write_b16 v10, v38
.LBB360_350:
	s_or_b64 exec, exec, s[56:57]
	v_cmp_lt_u32_e64 s[52:53], 63, v0
	s_waitcnt lgkmcnt(0)
	s_barrier
	s_waitcnt lgkmcnt(0)
                                        ; implicit-def: $vgpr37
	s_and_saveexec_b64 s[54:55], s[52:53]
	s_cbranch_execz .LBB360_354
; %bb.351:
	v_lshl_add_u32 v36, v36, 1, -2
	ds_read_u16 v37, v36
	v_cvt_f32_f16_e32 v36, v35
	s_movk_i32 s56, 0x1f8
	s_waitcnt lgkmcnt(0)
	v_cvt_f32_f16_e32 v38, v37
	v_cmp_u_f16_e64 s[52:53], v37, v37
	v_min_f32_e32 v64, v38, v36
	v_max_f32_e32 v65, v38, v36
	v_cndmask_b32_e64 v64, v64, v38, s[52:53]
	v_cndmask_b32_e64 v65, v65, v38, s[52:53]
	v_cmp_u_f16_e64 s[52:53], v35, v35
	v_mov_b32_e32 v35, v37
	s_nop 0
	v_cndmask_b32_e64 v38, v64, v36, s[52:53]
	v_cndmask_b32_e64 v36, v65, v36, s[52:53]
	v_cmp_neq_f32_e64 s[52:53], v38, v36
	v_cmp_class_f32_e64 s[56:57], v38, s56
	s_or_b64 s[52:53], s[52:53], s[56:57]
	s_and_saveexec_b64 s[56:57], s[52:53]
	s_cbranch_execz .LBB360_353
; %bb.352:
	v_sub_f32_e32 v35, v38, v36
	s_mov_b32 s52, 0x3fb8aa3b
	v_mul_f32_e32 v38, 0x3fb8aa3b, v35
	v_fma_f32 v64, v35, s52, -v38
	v_rndne_f32_e32 v65, v38
	v_fmamk_f32 v64, v35, 0x32a5705f, v64
	v_sub_f32_e32 v38, v38, v65
	v_add_f32_e32 v38, v38, v64
	v_exp_f32_e32 v38, v38
	v_cvt_i32_f32_e32 v64, v65
	s_mov_b32 s52, 0xc2ce8ed0
	v_cmp_ngt_f32_e64 s[52:53], s52, v35
	s_mov_b32 s60, 0x7f800000
	v_ldexp_f32 v38, v38, v64
	v_cndmask_b32_e64 v38, 0, v38, s[52:53]
	s_mov_b32 s52, 0x42b17218
	v_mov_b32_e32 v64, 0x7f800000
	v_cmp_nlt_f32_e64 s[52:53], s52, v35
	s_nop 1
	v_cndmask_b32_e64 v86, v64, v38, s[52:53]
	v_add_f32_e32 v35, 1.0, v86
	v_add_f32_e32 v38, -1.0, v35
	v_sub_f32_e32 v64, v38, v35
	v_add_f32_e32 v64, 1.0, v64
	v_sub_f32_e32 v38, v86, v38
	v_add_f32_e32 v38, v38, v64
	v_frexp_mant_f32_e32 v66, v35
	s_mov_b32 s52, 0x3f2aaaab
	v_cvt_f64_f32_e32 v[64:65], v35
	v_frexp_exp_i32_f64_e32 v64, v[64:65]
	v_cmp_gt_f32_e64 s[52:53], s52, v66
	s_nop 1
	v_subbrev_co_u32_e64 v80, s[52:53], 0, v64, s[52:53]
	v_sub_u32_e32 v64, 0, v80
	v_ldexp_f32 v35, v35, v64
	v_ldexp_f32 v38, v38, v64
	v_add_f32_e32 v64, -1.0, v35
	v_add_f32_e32 v65, 1.0, v64
	v_sub_f32_e32 v65, v35, v65
	v_add_f32_e32 v66, v38, v65
	v_add_f32_e32 v65, 1.0, v35
	v_add_f32_e32 v67, -1.0, v65
	v_sub_f32_e32 v35, v35, v67
	v_add_f32_e32 v35, v38, v35
	v_add_f32_e32 v38, v65, v35
	v_rcp_f32_e32 v81, v38
	v_sub_f32_e32 v65, v65, v38
	v_add_f32_e32 v35, v35, v65
	v_add_f32_e32 v65, v64, v66
	v_sub_f32_e32 v64, v64, v65
	v_mul_f32_e32 v83, v65, v81
	v_add_f32_e32 v82, v66, v64
	v_mul_f32_e32 v66, v38, v83
	v_fma_f32 v68, v83, v38, -v66
	v_fmac_f32_e32 v68, v83, v35
	v_add_f32_e32 v64, v66, v68
	v_sub_f32_e32 v67, v65, v64
	v_pk_add_f32 v[70:71], v[64:65], v[66:67] neg_lo:[0,1] neg_hi:[0,1]
	v_mov_b32_e32 v69, v64
	v_pk_add_f32 v[64:65], v[70:71], v[68:69] neg_lo:[0,1] neg_hi:[0,1]
	s_mov_b32 s52, 0x3f317218
	v_add_f32_e32 v65, v82, v65
	v_add_f32_e32 v64, v64, v65
	v_add_f32_e32 v65, v67, v64
	v_mul_f32_e32 v82, v81, v65
	v_mul_f32_e32 v66, v38, v82
	v_fma_f32 v68, v82, v38, -v66
	v_fmac_f32_e32 v68, v82, v35
	v_sub_f32_e32 v35, v67, v65
	v_add_f32_e32 v35, v64, v35
	v_add_f32_e32 v64, v66, v68
	v_sub_f32_e32 v67, v65, v64
	v_pk_add_f32 v[70:71], v[64:65], v[66:67] neg_lo:[0,1] neg_hi:[0,1]
	v_mov_b32_e32 v69, v64
	v_pk_add_f32 v[64:65], v[70:71], v[68:69] neg_lo:[0,1] neg_hi:[0,1]
	v_add_f32_e32 v38, v83, v82
	v_add_f32_e32 v35, v35, v65
	;; [unrolled: 1-line block ×4, first 2 shown]
	v_sub_f32_e32 v64, v38, v83
	v_mul_f32_e32 v35, v81, v35
	v_sub_f32_e32 v64, v82, v64
	v_add_f32_e32 v35, v64, v35
	v_add_f32_e32 v64, v38, v35
	v_cvt_f32_i32_e32 v66, v80
	v_mul_f32_e32 v67, v64, v64
	v_mov_b32_e32 v65, 0x3ecc95a3
	v_fmac_f32_e32 v65, 0x3e9b6dac, v67
	v_fmaak_f32 v65, v67, v65, 0x3f2aaada
	v_sub_f32_e32 v38, v64, v38
	v_ldexp_f32 v69, v64, 1
	v_mul_f32_e32 v67, v64, v67
	v_mov_b32_e32 v64, 0x3f317218
	v_pk_mul_f32 v[64:65], v[66:67], v[64:65]
	v_sub_f32_e32 v35, v35, v38
	v_fma_f32 v38, v66, s52, -v64
	v_fmamk_f32 v68, v66, 0xb102e308, v38
	v_pk_add_f32 v[66:67], v[64:65], v[68:69]
	v_ldexp_f32 v35, v35, 1
	v_sub_f32_e32 v38, v67, v69
	v_sub_f32_e32 v38, v65, v38
	v_add_f32_e32 v71, v35, v38
	v_mov_b32_e32 v70, v64
	v_pk_add_f32 v[64:65], v[66:67], v[64:65] neg_lo:[0,1] neg_hi:[0,1]
	v_pk_add_f32 v[80:81], v[66:67], v[70:71]
	v_mov_b32_e32 v69, v66
	v_mov_b32_e32 v65, v81
	v_pk_add_f32 v[82:83], v[68:69], v[64:65] neg_lo:[0,1] neg_hi:[0,1]
	v_pk_add_f32 v[64:65], v[68:69], v[64:65]
	v_cmp_eq_f32_e64 s[52:53], s60, v86
	v_mov_b32_e32 v38, v65
	v_pk_add_f32 v[68:69], v[38:39], v[66:67] neg_lo:[0,1] neg_hi:[0,1]
	v_mov_b32_e32 v64, v81
	v_mov_b32_e32 v35, v68
	v_pk_add_f32 v[84:85], v[80:81], v[34:35] neg_lo:[0,1] neg_hi:[0,1]
	v_mov_b32_e32 v80, v67
	v_mov_b32_e32 v81, v68
	;; [unrolled: 1-line block ×3, first 2 shown]
	v_pk_add_f32 v[64:65], v[64:65], v[80:81] neg_lo:[0,1] neg_hi:[0,1]
	v_mov_b32_e32 v68, v71
	v_mov_b32_e32 v69, v66
	v_pk_add_f32 v[64:65], v[68:69], v[64:65] neg_lo:[0,1] neg_hi:[0,1]
	v_mov_b32_e32 v84, v82
	v_pk_add_f32 v[66:67], v[84:85], v[64:65]
	s_mov_b32 s60, 0x33800000
	v_mov_b32_e32 v68, v67
	v_pk_add_f32 v[68:69], v[66:67], v[68:69]
	v_cmp_lt_f32_e64 s[60:61], |v86|, s60
	v_pk_add_f32 v[70:71], v[38:39], v[68:69]
	v_mov_b32_e32 v65, v68
	v_mov_b32_e32 v67, v70
	v_pk_add_f32 v[80:81], v[66:67], v[82:83] neg_lo:[0,1] neg_hi:[0,1]
	s_or_b64 s[52:53], s[52:53], s[60:61]
	v_sub_f32_e32 v35, v66, v80
	v_pk_add_f32 v[64:65], v[64:65], v[80:81] neg_lo:[0,1] neg_hi:[0,1]
	v_sub_f32_e32 v35, v82, v35
	v_add_f32_e32 v35, v64, v35
	v_add_f32_e32 v35, v35, v65
	;; [unrolled: 1-line block ×3, first 2 shown]
	v_cndmask_b32_e64 v35, v35, v86, s[52:53]
	v_add_f32_e32 v35, v36, v35
	v_cvt_f16_f32_e32 v35, v35
.LBB360_353:
	s_or_b64 exec, exec, s[56:57]
.LBB360_354:
	s_or_b64 exec, exec, s[54:55]
	v_add_u32_e32 v36, -1, v19
	v_and_b32_e32 v38, 64, v19
	v_cmp_lt_i32_e64 s[52:53], v36, v38
	v_and_b32_e32 v35, 0xffff, v35
	v_mov_b32_e32 v70, v32
	v_cndmask_b32_e64 v36, v36, v19, s[52:53]
	v_lshlrev_b32_e32 v36, 2, v36
	ds_bpermute_b32 v35, v36, v35
	s_and_saveexec_b64 s[52:53], s[2:3]
	s_cbranch_execz .LBB360_358
; %bb.355:
	v_cmp_eq_u32_e64 s[2:3], 0, v19
	v_max_f32_e32 v34, v2, v2
	s_waitcnt lgkmcnt(0)
	v_cndmask_b32_e64 v32, v35, v37, s[2:3]
	v_cvt_f32_f16_e32 v19, v32
	v_cmp_u_f16_e64 s[2:3], v32, v32
	v_min_f32_e32 v33, v19, v34
	v_max_f32_e32 v34, v19, v34
	v_cndmask_b32_e64 v33, v33, v19, s[2:3]
	v_cndmask_b32_e64 v34, v34, v19, s[2:3]
	;; [unrolled: 1-line block ×4, first 2 shown]
	s_movk_i32 s50, 0x1f8
	v_cmp_neq_f32_e64 s[2:3], v33, v2
	v_cmp_class_f32_e64 s[50:51], v33, s50
	s_or_b64 s[2:3], s[2:3], s[50:51]
	s_and_saveexec_b64 s[50:51], s[2:3]
	s_cbranch_execz .LBB360_357
; %bb.356:
	v_sub_f32_e32 v19, v33, v2
	s_mov_b32 s2, 0x3fb8aa3b
	v_mul_f32_e32 v32, 0x3fb8aa3b, v19
	v_fma_f32 v33, v19, s2, -v32
	v_rndne_f32_e32 v34, v32
	v_fmamk_f32 v33, v19, 0x32a5705f, v33
	v_sub_f32_e32 v32, v32, v34
	v_add_f32_e32 v32, v32, v33
	v_exp_f32_e32 v32, v32
	v_cvt_i32_f32_e32 v33, v34
	s_mov_b32 s2, 0xc2ce8ed0
	v_cmp_ngt_f32_e64 s[2:3], s2, v19
	s_mov_b32 s54, 0x7f800000
	v_ldexp_f32 v32, v32, v33
	v_cndmask_b32_e64 v32, 0, v32, s[2:3]
	s_mov_b32 s2, 0x42b17218
	v_mov_b32_e32 v33, 0x7f800000
	v_cmp_nlt_f32_e64 s[2:3], s2, v19
	s_nop 1
	v_cndmask_b32_e64 v82, v33, v32, s[2:3]
	v_add_f32_e32 v19, 1.0, v82
	v_add_f32_e32 v32, -1.0, v19
	v_sub_f32_e32 v33, v32, v19
	v_add_f32_e32 v33, 1.0, v33
	v_sub_f32_e32 v32, v82, v32
	v_add_f32_e32 v34, v32, v33
	v_frexp_mant_f32_e32 v35, v19
	s_mov_b32 s2, 0x3f2aaaab
	v_cvt_f64_f32_e32 v[32:33], v19
	v_frexp_exp_i32_f64_e32 v32, v[32:33]
	v_cmp_gt_f32_e64 s[2:3], s2, v35
	s_nop 1
	v_subbrev_co_u32_e64 v38, s[2:3], 0, v32, s[2:3]
	v_sub_u32_e32 v32, 0, v38
	v_ldexp_f32 v19, v19, v32
	v_ldexp_f32 v32, v34, v32
	v_add_f32_e32 v34, -1.0, v19
	v_add_f32_e32 v33, 1.0, v34
	v_sub_f32_e32 v33, v19, v33
	v_add_f32_e32 v35, v32, v33
	v_add_f32_e32 v33, 1.0, v19
	v_add_f32_e32 v36, -1.0, v33
	v_sub_f32_e32 v19, v19, v36
	v_add_f32_e32 v19, v32, v19
	v_add_f32_e32 v66, v33, v19
	v_rcp_f32_e32 v67, v66
	v_sub_f32_e32 v32, v33, v66
	v_add_f32_e32 v33, v34, v35
	v_add_f32_e32 v19, v19, v32
	v_mul_f32_e32 v69, v33, v67
	v_sub_f32_e32 v32, v34, v33
	v_mul_f32_e32 v34, v66, v69
	v_fma_f32 v36, v69, v66, -v34
	v_fmac_f32_e32 v36, v69, v19
	v_add_f32_e32 v68, v35, v32
	v_add_f32_e32 v32, v34, v36
	v_sub_f32_e32 v35, v33, v32
	v_pk_add_f32 v[64:65], v[32:33], v[34:35] neg_lo:[0,1] neg_hi:[0,1]
	v_mov_b32_e32 v37, v32
	v_pk_add_f32 v[32:33], v[64:65], v[36:37] neg_lo:[0,1] neg_hi:[0,1]
	s_mov_b32 s2, 0x3f317218
	v_add_f32_e32 v33, v68, v33
	v_add_f32_e32 v32, v32, v33
	;; [unrolled: 1-line block ×3, first 2 shown]
	v_mul_f32_e32 v68, v67, v33
	v_mul_f32_e32 v34, v66, v68
	v_fma_f32 v36, v68, v66, -v34
	v_fmac_f32_e32 v36, v68, v19
	v_sub_f32_e32 v19, v35, v33
	v_add_f32_e32 v19, v32, v19
	v_add_f32_e32 v32, v34, v36
	v_sub_f32_e32 v35, v33, v32
	v_pk_add_f32 v[64:65], v[32:33], v[34:35] neg_lo:[0,1] neg_hi:[0,1]
	v_mov_b32_e32 v37, v32
	v_pk_add_f32 v[32:33], v[64:65], v[36:37] neg_lo:[0,1] neg_hi:[0,1]
	v_cvt_f32_i32_e32 v34, v38
	v_add_f32_e32 v19, v19, v33
	v_add_f32_e32 v19, v32, v19
	;; [unrolled: 1-line block ×4, first 2 shown]
	v_sub_f32_e32 v33, v32, v69
	v_mul_f32_e32 v19, v67, v19
	v_sub_f32_e32 v33, v68, v33
	v_add_f32_e32 v19, v33, v19
	v_add_f32_e32 v35, v32, v19
	v_mul_f32_e32 v36, v35, v35
	v_mov_b32_e32 v33, 0x3ecc95a3
	v_fmac_f32_e32 v33, 0x3e9b6dac, v36
	v_sub_f32_e32 v32, v35, v32
	v_fmaak_f32 v33, v36, v33, 0x3f2aaada
	v_sub_f32_e32 v19, v19, v32
	v_ldexp_f32 v37, v35, 1
	v_mul_f32_e32 v35, v35, v36
	v_mov_b32_e32 v32, 0x3f317218
	v_pk_mul_f32 v[32:33], v[34:35], v[32:33]
	v_ldexp_f32 v19, v19, 1
	v_fma_f32 v35, v34, s2, -v32
	v_fmamk_f32 v36, v34, 0xb102e308, v35
	v_pk_add_f32 v[34:35], v[32:33], v[36:37]
	v_mov_b32_e32 v64, v32
	v_sub_f32_e32 v37, v35, v37
	v_sub_f32_e32 v37, v33, v37
	v_add_f32_e32 v65, v19, v37
	v_pk_add_f32 v[32:33], v[34:35], v[32:33] neg_lo:[0,1] neg_hi:[0,1]
	v_pk_add_f32 v[66:67], v[34:35], v[64:65]
	v_mov_b32_e32 v37, v34
	v_mov_b32_e32 v33, v67
	v_pk_add_f32 v[68:69], v[36:37], v[32:33] neg_lo:[0,1] neg_hi:[0,1]
	v_pk_add_f32 v[32:33], v[36:37], v[32:33]
	v_mov_b32_e32 v64, v65
	v_mov_b32_e32 v36, v33
	v_pk_add_f32 v[70:71], v[36:37], v[34:35] neg_lo:[0,1] neg_hi:[0,1]
	v_mov_b32_e32 v32, v67
	v_mov_b32_e32 v19, v70
	v_pk_add_f32 v[80:81], v[66:67], v[18:19] neg_lo:[0,1] neg_hi:[0,1]
	v_mov_b32_e32 v66, v35
	v_mov_b32_e32 v67, v70
	v_mov_b32_e32 v69, v33
	v_pk_add_f32 v[32:33], v[32:33], v[66:67] neg_lo:[0,1] neg_hi:[0,1]
	v_mov_b32_e32 v65, v34
	v_pk_add_f32 v[32:33], v[64:65], v[32:33] neg_lo:[0,1] neg_hi:[0,1]
	v_mov_b32_e32 v80, v68
	v_pk_add_f32 v[34:35], v[80:81], v[32:33]
	v_cmp_eq_f32_e64 s[2:3], s54, v82
	v_mov_b32_e32 v38, v35
	v_pk_add_f32 v[64:65], v[34:35], v[38:39]
	s_mov_b32 s54, 0x33800000
	v_pk_add_f32 v[36:37], v[36:37], v[64:65]
	v_mov_b32_e32 v33, v64
	v_mov_b32_e32 v35, v36
	v_pk_add_f32 v[66:67], v[34:35], v[68:69] neg_lo:[0,1] neg_hi:[0,1]
	v_cmp_lt_f32_e64 s[54:55], |v82|, s54
	v_sub_f32_e32 v19, v34, v66
	v_pk_add_f32 v[32:33], v[32:33], v[66:67] neg_lo:[0,1] neg_hi:[0,1]
	v_sub_f32_e32 v19, v68, v19
	v_add_f32_e32 v19, v32, v19
	v_add_f32_e32 v19, v19, v33
	;; [unrolled: 1-line block ×3, first 2 shown]
	s_or_b64 s[2:3], s[2:3], s[54:55]
	v_cndmask_b32_e64 v19, v19, v82, s[2:3]
	v_add_f32_e32 v2, v2, v19
	v_cvt_f16_f32_e32 v32, v2
	v_cvt_f32_f16_e32 v19, v32
.LBB360_357:
	s_or_b64 exec, exec, s[50:51]
	v_max_f32_e32 v2, v11, v11
	v_max_f32_e32 v34, v19, v19
	v_min_f32_e32 v33, v34, v2
	v_max_f32_e32 v34, v34, v2
	v_mov_b32_e32 v70, v32
	v_mov_b32_e32 v2, v19
	;;#ASMSTART
	;;#ASMEND
.LBB360_358:
	s_or_b64 exec, exec, s[52:53]
	v_cmp_u_f16_e64 s[2:3], v70, v70
	s_movk_i32 s50, 0x1f8
	s_nop 0
	v_cndmask_b32_e64 v19, v33, v2, s[2:3]
	v_cndmask_b32_e64 v33, v34, v2, s[2:3]
	v_cndmask_b32_e32 v19, v19, v11, vcc
	v_cndmask_b32_e32 v11, v33, v11, vcc
	v_cmp_neq_f32_e32 vcc, v19, v11
	v_cmp_class_f32_e64 s[2:3], v19, s50
	s_or_b64 vcc, vcc, s[2:3]
	v_mov_b32_e32 v33, v32
	s_and_saveexec_b64 s[2:3], vcc
	s_cbranch_execz .LBB360_360
; %bb.359:
	v_sub_f32_e32 v2, v19, v11
	s_mov_b32 s51, 0x3fb8aa3b
	v_mul_f32_e32 v19, 0x3fb8aa3b, v2
	v_fma_f32 v33, v2, s51, -v19
	v_rndne_f32_e32 v34, v19
	v_fmamk_f32 v33, v2, 0x32a5705f, v33
	v_sub_f32_e32 v19, v19, v34
	v_add_f32_e32 v19, v19, v33
	v_exp_f32_e32 v19, v19
	v_cvt_i32_f32_e32 v33, v34
	s_mov_b32 s51, 0xc2ce8ed0
	v_cmp_ngt_f32_e32 vcc, s51, v2
	s_mov_b32 s51, 0x42b17218
	v_ldexp_f32 v19, v19, v33
	v_cndmask_b32_e32 v19, 0, v19, vcc
	v_mov_b32_e32 v33, 0x7f800000
	v_cmp_nlt_f32_e32 vcc, s51, v2
	s_mov_b32 s51, 0x3f2aaaab
	s_mov_b32 s52, 0x7f800000
	v_cndmask_b32_e32 v33, v33, v19, vcc
	v_add_f32_e32 v2, 1.0, v33
	v_add_f32_e32 v19, -1.0, v2
	v_sub_f32_e32 v34, v19, v2
	v_add_f32_e32 v34, 1.0, v34
	v_sub_f32_e32 v19, v33, v19
	v_add_f32_e32 v19, v19, v34
	v_frexp_mant_f32_e32 v36, v2
	s_waitcnt lgkmcnt(0)
	v_cvt_f64_f32_e32 v[34:35], v2
	v_frexp_exp_i32_f64_e32 v34, v[34:35]
	v_cmp_gt_f32_e32 vcc, s51, v36
	s_mov_b32 s51, 0x3f317218
	s_nop 0
	v_subbrev_co_u32_e32 v38, vcc, 0, v34, vcc
	v_sub_u32_e32 v34, 0, v38
	v_ldexp_f32 v2, v2, v34
	v_ldexp_f32 v19, v19, v34
	v_add_f32_e32 v34, -1.0, v2
	v_add_f32_e32 v35, 1.0, v34
	v_sub_f32_e32 v35, v2, v35
	v_add_f32_e32 v36, v19, v35
	v_add_f32_e32 v35, 1.0, v2
	v_add_f32_e32 v37, -1.0, v35
	v_sub_f32_e32 v2, v2, v37
	v_add_f32_e32 v2, v19, v2
	v_add_f32_e32 v19, v35, v2
	v_rcp_f32_e32 v68, v19
	v_sub_f32_e32 v35, v35, v19
	v_add_f32_e32 v2, v2, v35
	v_add_f32_e32 v35, v34, v36
	v_sub_f32_e32 v34, v34, v35
	v_mul_f32_e32 v70, v35, v68
	v_add_f32_e32 v69, v36, v34
	v_mul_f32_e32 v36, v19, v70
	v_fma_f32 v64, v70, v19, -v36
	v_fmac_f32_e32 v64, v70, v2
	v_add_f32_e32 v34, v36, v64
	v_sub_f32_e32 v37, v35, v34
	v_pk_add_f32 v[66:67], v[34:35], v[36:37] neg_lo:[0,1] neg_hi:[0,1]
	v_mov_b32_e32 v65, v34
	v_pk_add_f32 v[34:35], v[66:67], v[64:65] neg_lo:[0,1] neg_hi:[0,1]
	v_cmp_eq_f32_e32 vcc, s52, v33
	v_add_f32_e32 v35, v69, v35
	v_add_f32_e32 v34, v34, v35
	;; [unrolled: 1-line block ×3, first 2 shown]
	v_mul_f32_e32 v69, v68, v35
	v_mul_f32_e32 v36, v19, v69
	v_fma_f32 v64, v69, v19, -v36
	v_fmac_f32_e32 v64, v69, v2
	v_sub_f32_e32 v2, v37, v35
	v_add_f32_e32 v2, v34, v2
	v_add_f32_e32 v34, v36, v64
	v_sub_f32_e32 v37, v35, v34
	v_pk_add_f32 v[66:67], v[34:35], v[36:37] neg_lo:[0,1] neg_hi:[0,1]
	v_mov_b32_e32 v65, v34
	v_pk_add_f32 v[34:35], v[66:67], v[64:65] neg_lo:[0,1] neg_hi:[0,1]
	v_add_f32_e32 v19, v70, v69
	v_add_f32_e32 v2, v2, v35
	;; [unrolled: 1-line block ×4, first 2 shown]
	v_sub_f32_e32 v34, v19, v70
	v_mul_f32_e32 v2, v68, v2
	v_sub_f32_e32 v34, v69, v34
	v_add_f32_e32 v2, v34, v2
	v_add_f32_e32 v34, v19, v2
	v_cvt_f32_i32_e32 v36, v38
	v_mul_f32_e32 v37, v34, v34
	v_mov_b32_e32 v35, 0x3ecc95a3
	v_fmac_f32_e32 v35, 0x3e9b6dac, v37
	v_fmaak_f32 v35, v37, v35, 0x3f2aaada
	v_sub_f32_e32 v19, v34, v19
	v_ldexp_f32 v65, v34, 1
	v_mul_f32_e32 v37, v34, v37
	v_mov_b32_e32 v34, 0x3f317218
	v_pk_mul_f32 v[34:35], v[36:37], v[34:35]
	v_sub_f32_e32 v2, v2, v19
	v_fma_f32 v19, v36, s51, -v34
	v_fmamk_f32 v64, v36, 0xb102e308, v19
	v_pk_add_f32 v[36:37], v[34:35], v[64:65]
	v_ldexp_f32 v2, v2, 1
	v_sub_f32_e32 v19, v37, v65
	v_sub_f32_e32 v19, v35, v19
	v_add_f32_e32 v67, v2, v19
	v_mov_b32_e32 v66, v34
	v_pk_add_f32 v[34:35], v[36:37], v[34:35] neg_lo:[0,1] neg_hi:[0,1]
	v_pk_add_f32 v[68:69], v[36:37], v[66:67]
	v_mov_b32_e32 v65, v36
	v_mov_b32_e32 v35, v69
	v_pk_add_f32 v[70:71], v[64:65], v[34:35] neg_lo:[0,1] neg_hi:[0,1]
	v_pk_add_f32 v[34:35], v[64:65], v[34:35]
	s_mov_b32 s51, 0x33800000
	v_mov_b32_e32 v2, v35
	v_pk_add_f32 v[64:65], v[2:3], v[36:37] neg_lo:[0,1] neg_hi:[0,1]
	v_mov_b32_e32 v34, v69
	v_mov_b32_e32 v19, v64
	v_pk_add_f32 v[80:81], v[68:69], v[18:19] neg_lo:[0,1] neg_hi:[0,1]
	v_mov_b32_e32 v68, v37
	v_mov_b32_e32 v69, v64
	;; [unrolled: 1-line block ×3, first 2 shown]
	v_pk_add_f32 v[34:35], v[34:35], v[68:69] neg_lo:[0,1] neg_hi:[0,1]
	v_mov_b32_e32 v64, v67
	v_mov_b32_e32 v65, v36
	v_pk_add_f32 v[34:35], v[64:65], v[34:35] neg_lo:[0,1] neg_hi:[0,1]
	v_mov_b32_e32 v80, v70
	v_pk_add_f32 v[36:37], v[80:81], v[34:35]
	v_cmp_lt_f32_e64 s[52:53], |v33|, s51
	v_mov_b32_e32 v38, v37
	v_pk_add_f32 v[64:65], v[36:37], v[38:39]
	s_or_b64 vcc, vcc, s[52:53]
	v_pk_add_f32 v[66:67], v[2:3], v[64:65]
	v_mov_b32_e32 v35, v64
	v_mov_b32_e32 v37, v66
	v_pk_add_f32 v[68:69], v[36:37], v[70:71] neg_lo:[0,1] neg_hi:[0,1]
	s_nop 0
	v_sub_f32_e32 v2, v36, v68
	v_pk_add_f32 v[34:35], v[34:35], v[68:69] neg_lo:[0,1] neg_hi:[0,1]
	v_sub_f32_e32 v2, v70, v2
	v_add_f32_e32 v2, v34, v2
	v_add_f32_e32 v2, v2, v35
	;; [unrolled: 1-line block ×3, first 2 shown]
	v_cndmask_b32_e32 v2, v2, v33, vcc
	v_add_f32_e32 v2, v11, v2
	v_cvt_f16_f32_e32 v70, v2
	v_cvt_f32_f16_e32 v2, v70
	v_mov_b32_e32 v33, v70
.LBB360_360:
	s_or_b64 exec, exec, s[2:3]
	v_max_f32_e32 v19, v3, v3
	v_max_f32_e32 v34, v2, v2
	v_min_f32_e32 v11, v34, v19
	v_cmp_u_f16_e32 vcc, v70, v70
	v_max_f32_e32 v19, v34, v19
	v_mov_b32_e32 v34, v33
	v_cndmask_b32_e32 v11, v11, v2, vcc
	v_cndmask_b32_e32 v19, v19, v2, vcc
	v_cndmask_b32_e64 v11, v11, v3, s[4:5]
	v_cndmask_b32_e64 v3, v19, v3, s[4:5]
	v_cmp_neq_f32_e32 vcc, v11, v3
	v_cmp_class_f32_e64 s[2:3], v11, s50
	s_or_b64 s[4:5], vcc, s[2:3]
	s_and_saveexec_b64 s[2:3], s[4:5]
	s_cbranch_execz .LBB360_362
; %bb.361:
	v_sub_f32_e32 v2, v11, v3
	s_mov_b32 s4, 0x3fb8aa3b
	v_mul_f32_e32 v11, 0x3fb8aa3b, v2
	v_fma_f32 v19, v2, s4, -v11
	v_rndne_f32_e32 v34, v11
	v_fmamk_f32 v19, v2, 0x32a5705f, v19
	v_sub_f32_e32 v11, v11, v34
	v_add_f32_e32 v11, v11, v19
	v_exp_f32_e32 v11, v11
	v_cvt_i32_f32_e32 v19, v34
	s_mov_b32 s4, 0xc2ce8ed0
	v_cmp_ngt_f32_e32 vcc, s4, v2
	s_mov_b32 s4, 0x42b17218
	v_ldexp_f32 v11, v11, v19
	v_cndmask_b32_e32 v11, 0, v11, vcc
	v_mov_b32_e32 v19, 0x7f800000
	v_cmp_nlt_f32_e32 vcc, s4, v2
	s_mov_b32 s4, 0x3f2aaaab
	s_mov_b32 s5, 0x7f800000
	v_cndmask_b32_e32 v19, v19, v11, vcc
	v_add_f32_e32 v2, 1.0, v19
	v_add_f32_e32 v11, -1.0, v2
	v_sub_f32_e32 v34, v11, v2
	v_add_f32_e32 v34, 1.0, v34
	v_sub_f32_e32 v11, v19, v11
	v_add_f32_e32 v11, v11, v34
	v_frexp_mant_f32_e32 v36, v2
	s_waitcnt lgkmcnt(0)
	v_cvt_f64_f32_e32 v[34:35], v2
	v_frexp_exp_i32_f64_e32 v34, v[34:35]
	v_cmp_gt_f32_e32 vcc, s4, v36
	s_mov_b32 s4, 0x3f317218
	s_nop 0
	v_subbrev_co_u32_e32 v38, vcc, 0, v34, vcc
	v_sub_u32_e32 v34, 0, v38
	v_ldexp_f32 v2, v2, v34
	v_ldexp_f32 v11, v11, v34
	v_add_f32_e32 v34, -1.0, v2
	v_add_f32_e32 v35, 1.0, v34
	v_sub_f32_e32 v35, v2, v35
	v_add_f32_e32 v36, v11, v35
	v_add_f32_e32 v35, 1.0, v2
	v_add_f32_e32 v37, -1.0, v35
	v_sub_f32_e32 v2, v2, v37
	v_add_f32_e32 v2, v11, v2
	v_add_f32_e32 v11, v35, v2
	v_rcp_f32_e32 v68, v11
	v_sub_f32_e32 v35, v35, v11
	v_add_f32_e32 v2, v2, v35
	v_add_f32_e32 v35, v34, v36
	v_sub_f32_e32 v34, v34, v35
	v_mul_f32_e32 v70, v35, v68
	v_add_f32_e32 v69, v36, v34
	v_mul_f32_e32 v36, v11, v70
	v_fma_f32 v64, v70, v11, -v36
	v_fmac_f32_e32 v64, v70, v2
	v_add_f32_e32 v34, v36, v64
	v_sub_f32_e32 v37, v35, v34
	v_pk_add_f32 v[66:67], v[34:35], v[36:37] neg_lo:[0,1] neg_hi:[0,1]
	v_mov_b32_e32 v65, v34
	v_pk_add_f32 v[34:35], v[66:67], v[64:65] neg_lo:[0,1] neg_hi:[0,1]
	v_cmp_eq_f32_e32 vcc, s5, v19
	v_add_f32_e32 v35, v69, v35
	v_add_f32_e32 v34, v34, v35
	;; [unrolled: 1-line block ×3, first 2 shown]
	v_mul_f32_e32 v69, v68, v35
	v_mul_f32_e32 v36, v11, v69
	v_fma_f32 v64, v69, v11, -v36
	v_fmac_f32_e32 v64, v69, v2
	v_sub_f32_e32 v2, v37, v35
	v_add_f32_e32 v2, v34, v2
	v_add_f32_e32 v34, v36, v64
	v_sub_f32_e32 v37, v35, v34
	v_pk_add_f32 v[66:67], v[34:35], v[36:37] neg_lo:[0,1] neg_hi:[0,1]
	v_mov_b32_e32 v65, v34
	v_pk_add_f32 v[34:35], v[66:67], v[64:65] neg_lo:[0,1] neg_hi:[0,1]
	v_add_f32_e32 v11, v70, v69
	v_add_f32_e32 v2, v2, v35
	;; [unrolled: 1-line block ×4, first 2 shown]
	v_sub_f32_e32 v34, v11, v70
	v_mul_f32_e32 v2, v68, v2
	v_sub_f32_e32 v34, v69, v34
	v_add_f32_e32 v2, v34, v2
	v_add_f32_e32 v34, v11, v2
	v_cvt_f32_i32_e32 v36, v38
	v_mul_f32_e32 v37, v34, v34
	v_mov_b32_e32 v35, 0x3ecc95a3
	v_fmac_f32_e32 v35, 0x3e9b6dac, v37
	v_fmaak_f32 v35, v37, v35, 0x3f2aaada
	v_sub_f32_e32 v11, v34, v11
	v_ldexp_f32 v65, v34, 1
	v_mul_f32_e32 v37, v34, v37
	v_mov_b32_e32 v34, 0x3f317218
	v_pk_mul_f32 v[34:35], v[36:37], v[34:35]
	v_sub_f32_e32 v2, v2, v11
	v_fma_f32 v11, v36, s4, -v34
	v_fmamk_f32 v64, v36, 0xb102e308, v11
	v_pk_add_f32 v[36:37], v[34:35], v[64:65]
	v_ldexp_f32 v2, v2, 1
	v_sub_f32_e32 v11, v37, v65
	v_sub_f32_e32 v11, v35, v11
	v_add_f32_e32 v67, v2, v11
	v_mov_b32_e32 v66, v34
	v_pk_add_f32 v[34:35], v[36:37], v[34:35] neg_lo:[0,1] neg_hi:[0,1]
	v_pk_add_f32 v[68:69], v[36:37], v[66:67]
	v_mov_b32_e32 v65, v36
	v_mov_b32_e32 v35, v69
	v_pk_add_f32 v[70:71], v[64:65], v[34:35] neg_lo:[0,1] neg_hi:[0,1]
	v_pk_add_f32 v[34:35], v[64:65], v[34:35]
	s_mov_b32 s4, 0x33800000
	v_mov_b32_e32 v2, v35
	v_pk_add_f32 v[64:65], v[2:3], v[36:37] neg_lo:[0,1] neg_hi:[0,1]
	v_mov_b32_e32 v34, v69
	v_mov_b32_e32 v11, v64
	v_pk_add_f32 v[80:81], v[68:69], v[10:11] neg_lo:[0,1] neg_hi:[0,1]
	v_mov_b32_e32 v68, v37
	v_mov_b32_e32 v69, v64
	;; [unrolled: 1-line block ×3, first 2 shown]
	v_pk_add_f32 v[34:35], v[34:35], v[68:69] neg_lo:[0,1] neg_hi:[0,1]
	v_mov_b32_e32 v64, v67
	v_mov_b32_e32 v65, v36
	v_pk_add_f32 v[34:35], v[64:65], v[34:35] neg_lo:[0,1] neg_hi:[0,1]
	v_mov_b32_e32 v80, v70
	v_pk_add_f32 v[36:37], v[80:81], v[34:35]
	v_cmp_lt_f32_e64 s[4:5], |v19|, s4
	v_mov_b32_e32 v38, v37
	v_pk_add_f32 v[64:65], v[36:37], v[38:39]
	s_or_b64 vcc, vcc, s[4:5]
	v_pk_add_f32 v[66:67], v[2:3], v[64:65]
	v_mov_b32_e32 v35, v64
	v_mov_b32_e32 v37, v66
	v_pk_add_f32 v[68:69], v[36:37], v[70:71] neg_lo:[0,1] neg_hi:[0,1]
	s_nop 0
	v_sub_f32_e32 v2, v36, v68
	v_pk_add_f32 v[34:35], v[34:35], v[68:69] neg_lo:[0,1] neg_hi:[0,1]
	v_sub_f32_e32 v2, v70, v2
	v_add_f32_e32 v2, v34, v2
	v_add_f32_e32 v2, v2, v35
	;; [unrolled: 1-line block ×3, first 2 shown]
	v_cndmask_b32_e32 v2, v2, v19, vcc
	v_add_f32_e32 v2, v3, v2
	v_cvt_f16_f32_e32 v70, v2
	v_cvt_f32_f16_e32 v2, v70
	v_mov_b32_e32 v34, v70
.LBB360_362:
	s_or_b64 exec, exec, s[2:3]
	v_max_f32_e32 v3, v6, v6
	v_max_f32_e32 v19, v2, v2
	v_min_f32_e32 v11, v19, v3
	v_cmp_u_f16_e32 vcc, v70, v70
	v_max_f32_e32 v3, v19, v3
	s_movk_i32 s4, 0x1f8
	v_cndmask_b32_e32 v11, v11, v2, vcc
	v_cndmask_b32_e32 v3, v3, v2, vcc
	v_cndmask_b32_e64 v11, v11, v6, s[6:7]
	v_cndmask_b32_e64 v3, v3, v6, s[6:7]
	v_cmp_neq_f32_e32 vcc, v11, v3
	v_cmp_class_f32_e64 s[2:3], v11, s4
	s_or_b64 s[6:7], vcc, s[2:3]
	s_waitcnt lgkmcnt(0)
	v_mov_b32_e32 v35, v34
	s_and_saveexec_b64 s[2:3], s[6:7]
	s_cbranch_execz .LBB360_364
; %bb.363:
	v_sub_f32_e32 v2, v11, v3
	s_mov_b32 s5, 0x3fb8aa3b
	v_mul_f32_e32 v6, 0x3fb8aa3b, v2
	v_fma_f32 v11, v2, s5, -v6
	v_rndne_f32_e32 v19, v6
	v_fmamk_f32 v11, v2, 0x32a5705f, v11
	v_sub_f32_e32 v6, v6, v19
	v_add_f32_e32 v6, v6, v11
	v_exp_f32_e32 v6, v6
	v_cvt_i32_f32_e32 v11, v19
	s_mov_b32 s5, 0xc2ce8ed0
	v_cmp_ngt_f32_e32 vcc, s5, v2
	s_mov_b32 s5, 0x42b17218
	v_ldexp_f32 v6, v6, v11
	v_cndmask_b32_e32 v6, 0, v6, vcc
	v_mov_b32_e32 v11, 0x7f800000
	v_cmp_nlt_f32_e32 vcc, s5, v2
	s_mov_b32 s5, 0x3f2aaaab
	s_mov_b32 s6, 0x7f800000
	v_cndmask_b32_e32 v19, v11, v6, vcc
	v_add_f32_e32 v2, 1.0, v19
	v_add_f32_e32 v6, -1.0, v2
	v_sub_f32_e32 v11, v6, v2
	v_add_f32_e32 v11, 1.0, v11
	v_sub_f32_e32 v6, v19, v6
	v_add_f32_e32 v6, v6, v11
	v_frexp_mant_f32_e32 v11, v2
	v_cvt_f64_f32_e32 v[36:37], v2
	v_frexp_exp_i32_f64_e32 v35, v[36:37]
	v_cmp_gt_f32_e32 vcc, s5, v11
	s_mov_b32 s5, 0x3f317218
	s_nop 0
	v_subbrev_co_u32_e32 v11, vcc, 0, v35, vcc
	v_sub_u32_e32 v35, 0, v11
	v_ldexp_f32 v2, v2, v35
	v_ldexp_f32 v6, v6, v35
	v_add_f32_e32 v35, -1.0, v2
	v_add_f32_e32 v37, 1.0, v2
	v_add_f32_e32 v36, 1.0, v35
	v_add_f32_e32 v38, -1.0, v37
	v_sub_f32_e32 v36, v2, v36
	v_sub_f32_e32 v2, v2, v38
	v_add_f32_e32 v2, v6, v2
	v_add_f32_e32 v36, v6, v36
	;; [unrolled: 1-line block ×3, first 2 shown]
	v_rcp_f32_e32 v38, v6
	v_sub_f32_e32 v37, v37, v6
	v_add_f32_e32 v2, v2, v37
	v_add_f32_e32 v37, v35, v36
	v_mul_f32_e32 v70, v37, v38
	v_mul_f32_e32 v64, v6, v70
	v_fma_f32 v66, v70, v6, -v64
	v_sub_f32_e32 v35, v35, v37
	v_fmac_f32_e32 v66, v70, v2
	v_add_f32_e32 v35, v36, v35
	v_add_f32_e32 v36, v64, v66
	v_sub_f32_e32 v65, v37, v36
	v_pk_add_f32 v[68:69], v[36:37], v[64:65] neg_lo:[0,1] neg_hi:[0,1]
	v_mov_b32_e32 v67, v36
	v_pk_add_f32 v[36:37], v[68:69], v[66:67] neg_lo:[0,1] neg_hi:[0,1]
	v_cmp_eq_f32_e32 vcc, s6, v19
	v_add_f32_e32 v35, v35, v37
	v_add_f32_e32 v35, v36, v35
	;; [unrolled: 1-line block ×3, first 2 shown]
	v_mul_f32_e32 v71, v38, v37
	v_mul_f32_e32 v64, v6, v71
	v_fma_f32 v66, v71, v6, -v64
	v_fmac_f32_e32 v66, v71, v2
	v_add_f32_e32 v36, v64, v66
	v_sub_f32_e32 v2, v65, v37
	v_sub_f32_e32 v65, v37, v36
	v_pk_add_f32 v[68:69], v[36:37], v[64:65] neg_lo:[0,1] neg_hi:[0,1]
	v_mov_b32_e32 v67, v36
	v_add_f32_e32 v2, v35, v2
	v_pk_add_f32 v[36:37], v[68:69], v[66:67] neg_lo:[0,1] neg_hi:[0,1]
	v_add_f32_e32 v6, v70, v71
	v_add_f32_e32 v2, v2, v37
	;; [unrolled: 1-line block ×4, first 2 shown]
	v_sub_f32_e32 v35, v6, v70
	v_mul_f32_e32 v2, v38, v2
	v_sub_f32_e32 v35, v71, v35
	v_add_f32_e32 v2, v35, v2
	v_add_f32_e32 v35, v6, v2
	v_cvt_f32_i32_e32 v64, v11
	v_mul_f32_e32 v36, v35, v35
	v_mov_b32_e32 v37, 0x3ecc95a3
	v_fmac_f32_e32 v37, 0x3e9b6dac, v36
	v_fmaak_f32 v37, v36, v37, 0x3f2aaada
	v_mul_f32_e32 v65, v35, v36
	v_mov_b32_e32 v36, 0x3f317218
	v_sub_f32_e32 v6, v35, v6
	v_pk_mul_f32 v[36:37], v[64:65], v[36:37]
	v_sub_f32_e32 v2, v2, v6
	v_fma_f32 v6, v64, s5, -v36
	v_ldexp_f32 v67, v35, 1
	v_fmamk_f32 v66, v64, 0xb102e308, v6
	v_pk_add_f32 v[64:65], v[36:37], v[66:67]
	v_ldexp_f32 v2, v2, 1
	v_sub_f32_e32 v6, v65, v67
	v_sub_f32_e32 v6, v37, v6
	v_add_f32_e32 v69, v2, v6
	v_mov_b32_e32 v68, v36
	v_pk_add_f32 v[36:37], v[64:65], v[36:37] neg_lo:[0,1] neg_hi:[0,1]
	v_pk_add_f32 v[70:71], v[64:65], v[68:69]
	v_mov_b32_e32 v67, v64
	v_mov_b32_e32 v37, v71
	v_pk_add_f32 v[80:81], v[66:67], v[36:37] neg_lo:[0,1] neg_hi:[0,1]
	v_pk_add_f32 v[36:37], v[66:67], v[36:37]
	s_mov_b32 s5, 0x33800000
	v_mov_b32_e32 v2, v37
	v_pk_add_f32 v[66:67], v[2:3], v[64:65] neg_lo:[0,1] neg_hi:[0,1]
	v_mov_b32_e32 v36, v71
	v_mov_b32_e32 v11, v66
	v_pk_add_f32 v[82:83], v[70:71], v[10:11] neg_lo:[0,1] neg_hi:[0,1]
	v_mov_b32_e32 v70, v65
	v_mov_b32_e32 v71, v66
	;; [unrolled: 1-line block ×3, first 2 shown]
	v_pk_add_f32 v[36:37], v[36:37], v[70:71] neg_lo:[0,1] neg_hi:[0,1]
	v_mov_b32_e32 v66, v69
	v_mov_b32_e32 v67, v64
	v_pk_add_f32 v[36:37], v[66:67], v[36:37] neg_lo:[0,1] neg_hi:[0,1]
	v_mov_b32_e32 v82, v80
	v_pk_add_f32 v[64:65], v[82:83], v[36:37]
	v_cmp_lt_f32_e64 s[6:7], |v19|, s5
	v_mov_b32_e32 v6, v65
	v_pk_add_f32 v[66:67], v[64:65], v[6:7]
	s_or_b64 vcc, vcc, s[6:7]
	v_pk_add_f32 v[68:69], v[2:3], v[66:67]
	v_mov_b32_e32 v37, v66
	v_mov_b32_e32 v65, v68
	v_pk_add_f32 v[70:71], v[64:65], v[80:81] neg_lo:[0,1] neg_hi:[0,1]
	s_nop 0
	v_sub_f32_e32 v2, v64, v70
	v_pk_add_f32 v[36:37], v[36:37], v[70:71] neg_lo:[0,1] neg_hi:[0,1]
	v_sub_f32_e32 v2, v80, v2
	v_add_f32_e32 v2, v36, v2
	v_add_f32_e32 v2, v2, v37
	;; [unrolled: 1-line block ×3, first 2 shown]
	v_cndmask_b32_e32 v2, v2, v19, vcc
	v_add_f32_e32 v2, v3, v2
	v_cvt_f16_f32_e32 v70, v2
	v_cvt_f32_f16_e32 v2, v70
	v_mov_b32_e32 v35, v70
.LBB360_364:
	s_or_b64 exec, exec, s[2:3]
	v_max_f32_e32 v3, v7, v7
	v_max_f32_e32 v11, v2, v2
	v_min_f32_e32 v6, v11, v3
	v_cmp_u_f16_e32 vcc, v70, v70
	v_max_f32_e32 v3, v11, v3
	v_mov_b32_e32 v36, v35
	v_cndmask_b32_e32 v6, v6, v2, vcc
	v_cndmask_b32_e32 v3, v3, v2, vcc
	v_cndmask_b32_e64 v6, v6, v7, s[8:9]
	v_cndmask_b32_e64 v3, v3, v7, s[8:9]
	v_cmp_neq_f32_e32 vcc, v6, v3
	v_cmp_class_f32_e64 s[2:3], v6, s4
	s_or_b64 s[4:5], vcc, s[2:3]
	s_and_saveexec_b64 s[2:3], s[4:5]
	s_cbranch_execz .LBB360_366
; %bb.365:
	v_sub_f32_e32 v2, v6, v3
	s_mov_b32 s4, 0x3fb8aa3b
	v_mul_f32_e32 v6, 0x3fb8aa3b, v2
	v_fma_f32 v7, v2, s4, -v6
	v_rndne_f32_e32 v11, v6
	v_fmamk_f32 v7, v2, 0x32a5705f, v7
	v_sub_f32_e32 v6, v6, v11
	v_add_f32_e32 v6, v6, v7
	v_exp_f32_e32 v6, v6
	v_cvt_i32_f32_e32 v7, v11
	s_mov_b32 s4, 0xc2ce8ed0
	v_cmp_ngt_f32_e32 vcc, s4, v2
	s_mov_b32 s4, 0x42b17218
	v_ldexp_f32 v6, v6, v7
	v_cndmask_b32_e32 v6, 0, v6, vcc
	v_mov_b32_e32 v7, 0x7f800000
	v_cmp_nlt_f32_e32 vcc, s4, v2
	s_mov_b32 s4, 0x3f2aaaab
	s_mov_b32 s5, 0x7f800000
	v_cndmask_b32_e32 v19, v7, v6, vcc
	v_add_f32_e32 v2, 1.0, v19
	v_add_f32_e32 v6, -1.0, v2
	v_sub_f32_e32 v7, v6, v2
	v_add_f32_e32 v7, 1.0, v7
	v_sub_f32_e32 v6, v19, v6
	v_add_f32_e32 v11, v6, v7
	v_frexp_mant_f32_e32 v36, v2
	v_cvt_f64_f32_e32 v[6:7], v2
	v_frexp_exp_i32_f64_e32 v6, v[6:7]
	v_cmp_gt_f32_e32 vcc, s4, v36
	s_mov_b32 s4, 0x3f317218
	s_nop 0
	v_subbrev_co_u32_e32 v38, vcc, 0, v6, vcc
	v_sub_u32_e32 v6, 0, v38
	v_ldexp_f32 v2, v2, v6
	v_ldexp_f32 v6, v11, v6
	v_add_f32_e32 v11, -1.0, v2
	v_add_f32_e32 v7, 1.0, v11
	v_sub_f32_e32 v7, v2, v7
	v_add_f32_e32 v36, v6, v7
	v_add_f32_e32 v7, 1.0, v2
	v_add_f32_e32 v37, -1.0, v7
	v_sub_f32_e32 v2, v2, v37
	v_add_f32_e32 v2, v6, v2
	v_add_f32_e32 v68, v7, v2
	v_rcp_f32_e32 v69, v68
	v_sub_f32_e32 v6, v7, v68
	v_add_f32_e32 v7, v11, v36
	v_add_f32_e32 v2, v2, v6
	v_sub_f32_e32 v6, v11, v7
	v_mul_f32_e32 v70, v7, v69
	v_add_f32_e32 v11, v36, v6
	v_mul_f32_e32 v36, v68, v70
	v_fma_f32 v64, v70, v68, -v36
	v_fmac_f32_e32 v64, v70, v2
	v_add_f32_e32 v6, v36, v64
	v_sub_f32_e32 v37, v7, v6
	v_pk_add_f32 v[66:67], v[6:7], v[36:37] neg_lo:[0,1] neg_hi:[0,1]
	v_mov_b32_e32 v65, v6
	v_pk_add_f32 v[6:7], v[66:67], v[64:65] neg_lo:[0,1] neg_hi:[0,1]
	v_cmp_eq_f32_e32 vcc, s5, v19
	v_add_f32_e32 v7, v11, v7
	v_add_f32_e32 v6, v6, v7
	;; [unrolled: 1-line block ×3, first 2 shown]
	v_mul_f32_e32 v11, v69, v7
	v_mul_f32_e32 v36, v68, v11
	v_fma_f32 v64, v11, v68, -v36
	v_fmac_f32_e32 v64, v11, v2
	v_sub_f32_e32 v2, v37, v7
	v_add_f32_e32 v2, v6, v2
	v_add_f32_e32 v6, v36, v64
	v_sub_f32_e32 v37, v7, v6
	v_pk_add_f32 v[66:67], v[6:7], v[36:37] neg_lo:[0,1] neg_hi:[0,1]
	v_mov_b32_e32 v65, v6
	v_pk_add_f32 v[6:7], v[66:67], v[64:65] neg_lo:[0,1] neg_hi:[0,1]
	v_cvt_f32_i32_e32 v36, v38
	v_add_f32_e32 v2, v2, v7
	v_add_f32_e32 v2, v6, v2
	;; [unrolled: 1-line block ×4, first 2 shown]
	v_sub_f32_e32 v7, v6, v70
	v_mul_f32_e32 v2, v69, v2
	v_sub_f32_e32 v7, v11, v7
	v_add_f32_e32 v2, v7, v2
	v_add_f32_e32 v11, v6, v2
	v_mul_f32_e32 v37, v11, v11
	v_mov_b32_e32 v7, 0x3ecc95a3
	v_fmac_f32_e32 v7, 0x3e9b6dac, v37
	v_sub_f32_e32 v6, v11, v6
	v_fmaak_f32 v7, v37, v7, 0x3f2aaada
	v_sub_f32_e32 v2, v2, v6
	v_mul_f32_e32 v37, v11, v37
	v_mov_b32_e32 v6, 0x3f317218
	v_pk_mul_f32 v[6:7], v[36:37], v[6:7]
	v_ldexp_f32 v65, v11, 1
	v_fma_f32 v11, v36, s4, -v6
	v_fmamk_f32 v64, v36, 0xb102e308, v11
	v_pk_add_f32 v[36:37], v[6:7], v[64:65]
	v_ldexp_f32 v2, v2, 1
	v_sub_f32_e32 v11, v37, v65
	v_sub_f32_e32 v11, v7, v11
	v_add_f32_e32 v67, v2, v11
	v_mov_b32_e32 v66, v6
	v_pk_add_f32 v[6:7], v[36:37], v[6:7] neg_lo:[0,1] neg_hi:[0,1]
	v_pk_add_f32 v[68:69], v[36:37], v[66:67]
	v_mov_b32_e32 v65, v36
	v_mov_b32_e32 v7, v69
	v_pk_add_f32 v[70:71], v[64:65], v[6:7] neg_lo:[0,1] neg_hi:[0,1]
	v_pk_add_f32 v[6:7], v[64:65], v[6:7]
	s_mov_b32 s4, 0x33800000
	v_mov_b32_e32 v2, v7
	v_pk_add_f32 v[64:65], v[2:3], v[36:37] neg_lo:[0,1] neg_hi:[0,1]
	v_mov_b32_e32 v6, v69
	v_mov_b32_e32 v11, v64
	v_pk_add_f32 v[80:81], v[68:69], v[10:11] neg_lo:[0,1] neg_hi:[0,1]
	v_mov_b32_e32 v68, v37
	v_mov_b32_e32 v69, v64
	;; [unrolled: 1-line block ×3, first 2 shown]
	v_pk_add_f32 v[6:7], v[6:7], v[68:69] neg_lo:[0,1] neg_hi:[0,1]
	v_mov_b32_e32 v64, v67
	v_mov_b32_e32 v65, v36
	v_pk_add_f32 v[6:7], v[64:65], v[6:7] neg_lo:[0,1] neg_hi:[0,1]
	v_mov_b32_e32 v80, v70
	v_pk_add_f32 v[36:37], v[80:81], v[6:7]
	v_cmp_lt_f32_e64 s[4:5], |v19|, s4
	v_mov_b32_e32 v38, v37
	v_pk_add_f32 v[64:65], v[36:37], v[38:39]
	s_or_b64 vcc, vcc, s[4:5]
	v_pk_add_f32 v[66:67], v[2:3], v[64:65]
	v_mov_b32_e32 v7, v64
	v_mov_b32_e32 v37, v66
	v_pk_add_f32 v[68:69], v[36:37], v[70:71] neg_lo:[0,1] neg_hi:[0,1]
	s_nop 0
	v_sub_f32_e32 v2, v36, v68
	v_pk_add_f32 v[6:7], v[6:7], v[68:69] neg_lo:[0,1] neg_hi:[0,1]
	v_sub_f32_e32 v2, v70, v2
	v_add_f32_e32 v2, v6, v2
	v_add_f32_e32 v2, v2, v7
	;; [unrolled: 1-line block ×3, first 2 shown]
	v_cndmask_b32_e32 v2, v2, v19, vcc
	v_add_f32_e32 v2, v3, v2
	v_cvt_f16_f32_e32 v70, v2
	v_cvt_f32_f16_e32 v2, v70
	v_mov_b32_e32 v36, v70
.LBB360_366:
	s_or_b64 exec, exec, s[2:3]
	v_max_f32_e32 v3, v24, v24
	v_max_f32_e32 v7, v2, v2
	v_min_f32_e32 v6, v7, v3
	v_cmp_u_f16_e32 vcc, v70, v70
	v_max_f32_e32 v3, v7, v3
	s_movk_i32 s4, 0x1f8
	v_cndmask_b32_e32 v6, v6, v2, vcc
	v_cndmask_b32_e32 v3, v3, v2, vcc
	v_cndmask_b32_e64 v6, v6, v24, s[10:11]
	v_cndmask_b32_e64 v3, v3, v24, s[10:11]
	v_cmp_neq_f32_e32 vcc, v6, v3
	v_cmp_class_f32_e64 s[2:3], v6, s4
	s_or_b64 s[6:7], vcc, s[2:3]
	v_mov_b32_e32 v37, v36
	s_and_saveexec_b64 s[2:3], s[6:7]
	s_cbranch_execz .LBB360_368
; %bb.367:
	v_sub_f32_e32 v2, v6, v3
	s_mov_b32 s5, 0x3fb8aa3b
	v_mul_f32_e32 v6, 0x3fb8aa3b, v2
	v_fma_f32 v7, v2, s5, -v6
	v_rndne_f32_e32 v11, v6
	v_fmamk_f32 v7, v2, 0x32a5705f, v7
	v_sub_f32_e32 v6, v6, v11
	v_add_f32_e32 v6, v6, v7
	v_exp_f32_e32 v6, v6
	v_cvt_i32_f32_e32 v7, v11
	s_mov_b32 s5, 0xc2ce8ed0
	v_cmp_ngt_f32_e32 vcc, s5, v2
	s_mov_b32 s5, 0x42b17218
	v_ldexp_f32 v6, v6, v7
	v_cndmask_b32_e32 v6, 0, v6, vcc
	v_mov_b32_e32 v7, 0x7f800000
	v_cmp_nlt_f32_e32 vcc, s5, v2
	s_mov_b32 s5, 0x3f2aaaab
	s_mov_b32 s6, 0x7f800000
	v_cndmask_b32_e32 v19, v7, v6, vcc
	v_add_f32_e32 v2, 1.0, v19
	v_add_f32_e32 v6, -1.0, v2
	v_sub_f32_e32 v7, v6, v2
	v_add_f32_e32 v7, 1.0, v7
	v_sub_f32_e32 v6, v19, v6
	v_add_f32_e32 v11, v6, v7
	v_frexp_mant_f32_e32 v24, v2
	v_cvt_f64_f32_e32 v[6:7], v2
	v_frexp_exp_i32_f64_e32 v6, v[6:7]
	v_cmp_gt_f32_e32 vcc, s5, v24
	s_mov_b32 s5, 0x3f317218
	s_nop 0
	v_subbrev_co_u32_e32 v24, vcc, 0, v6, vcc
	v_sub_u32_e32 v6, 0, v24
	v_ldexp_f32 v2, v2, v6
	v_ldexp_f32 v6, v11, v6
	v_add_f32_e32 v11, -1.0, v2
	v_add_f32_e32 v7, 1.0, v11
	v_sub_f32_e32 v7, v2, v7
	v_add_f32_e32 v37, v6, v7
	v_add_f32_e32 v7, 1.0, v2
	v_add_f32_e32 v38, -1.0, v7
	v_sub_f32_e32 v2, v2, v38
	v_add_f32_e32 v2, v6, v2
	v_add_f32_e32 v38, v7, v2
	v_rcp_f32_e32 v70, v38
	v_sub_f32_e32 v6, v7, v38
	v_add_f32_e32 v7, v11, v37
	v_add_f32_e32 v2, v2, v6
	v_sub_f32_e32 v6, v11, v7
	v_add_f32_e32 v11, v37, v6
	v_mul_f32_e32 v37, v7, v70
	v_mul_f32_e32 v64, v38, v37
	v_fma_f32 v66, v37, v38, -v64
	v_fmac_f32_e32 v66, v37, v2
	v_add_f32_e32 v6, v64, v66
	v_sub_f32_e32 v65, v7, v6
	v_pk_add_f32 v[68:69], v[6:7], v[64:65] neg_lo:[0,1] neg_hi:[0,1]
	v_mov_b32_e32 v67, v6
	v_pk_add_f32 v[6:7], v[68:69], v[66:67] neg_lo:[0,1] neg_hi:[0,1]
	v_cmp_eq_f32_e32 vcc, s6, v19
	v_add_f32_e32 v7, v11, v7
	v_add_f32_e32 v6, v6, v7
	;; [unrolled: 1-line block ×3, first 2 shown]
	v_mul_f32_e32 v11, v70, v7
	v_mul_f32_e32 v64, v38, v11
	v_fma_f32 v66, v11, v38, -v64
	v_fmac_f32_e32 v66, v11, v2
	v_sub_f32_e32 v2, v65, v7
	v_add_f32_e32 v2, v6, v2
	v_add_f32_e32 v6, v64, v66
	v_sub_f32_e32 v65, v7, v6
	v_pk_add_f32 v[68:69], v[6:7], v[64:65] neg_lo:[0,1] neg_hi:[0,1]
	v_mov_b32_e32 v67, v6
	v_pk_add_f32 v[6:7], v[68:69], v[66:67] neg_lo:[0,1] neg_hi:[0,1]
	v_cvt_f32_i32_e32 v64, v24
	v_add_f32_e32 v2, v2, v7
	v_add_f32_e32 v2, v6, v2
	;; [unrolled: 1-line block ×4, first 2 shown]
	v_sub_f32_e32 v7, v6, v37
	v_mul_f32_e32 v2, v70, v2
	v_sub_f32_e32 v7, v11, v7
	v_add_f32_e32 v2, v7, v2
	v_add_f32_e32 v11, v6, v2
	v_mul_f32_e32 v37, v11, v11
	v_mov_b32_e32 v7, 0x3ecc95a3
	v_fmac_f32_e32 v7, 0x3e9b6dac, v37
	v_sub_f32_e32 v6, v11, v6
	v_fmaak_f32 v7, v37, v7, 0x3f2aaada
	v_sub_f32_e32 v2, v2, v6
	v_mul_f32_e32 v65, v11, v37
	v_mov_b32_e32 v6, 0x3f317218
	v_pk_mul_f32 v[6:7], v[64:65], v[6:7]
	v_ldexp_f32 v67, v11, 1
	v_fma_f32 v11, v64, s5, -v6
	v_fmamk_f32 v66, v64, 0xb102e308, v11
	v_pk_add_f32 v[64:65], v[6:7], v[66:67]
	v_ldexp_f32 v2, v2, 1
	v_sub_f32_e32 v11, v65, v67
	v_sub_f32_e32 v11, v7, v11
	v_add_f32_e32 v69, v2, v11
	v_mov_b32_e32 v68, v6
	v_pk_add_f32 v[6:7], v[64:65], v[6:7] neg_lo:[0,1] neg_hi:[0,1]
	v_pk_add_f32 v[70:71], v[64:65], v[68:69]
	v_mov_b32_e32 v67, v64
	v_mov_b32_e32 v7, v71
	v_pk_add_f32 v[80:81], v[66:67], v[6:7] neg_lo:[0,1] neg_hi:[0,1]
	v_pk_add_f32 v[6:7], v[66:67], v[6:7]
	s_mov_b32 s5, 0x33800000
	v_mov_b32_e32 v2, v7
	v_pk_add_f32 v[66:67], v[2:3], v[64:65] neg_lo:[0,1] neg_hi:[0,1]
	v_mov_b32_e32 v6, v71
	v_mov_b32_e32 v11, v66
	v_pk_add_f32 v[82:83], v[70:71], v[10:11] neg_lo:[0,1] neg_hi:[0,1]
	v_mov_b32_e32 v70, v65
	v_mov_b32_e32 v71, v66
	;; [unrolled: 1-line block ×3, first 2 shown]
	v_pk_add_f32 v[6:7], v[6:7], v[70:71] neg_lo:[0,1] neg_hi:[0,1]
	v_mov_b32_e32 v66, v69
	v_mov_b32_e32 v67, v64
	v_pk_add_f32 v[6:7], v[66:67], v[6:7] neg_lo:[0,1] neg_hi:[0,1]
	v_mov_b32_e32 v82, v80
	v_pk_add_f32 v[64:65], v[82:83], v[6:7]
	v_cmp_lt_f32_e64 s[6:7], |v19|, s5
	v_mov_b32_e32 v24, v65
	v_pk_add_f32 v[66:67], v[64:65], v[24:25]
	s_or_b64 vcc, vcc, s[6:7]
	v_pk_add_f32 v[68:69], v[2:3], v[66:67]
	v_mov_b32_e32 v7, v66
	v_mov_b32_e32 v65, v68
	v_pk_add_f32 v[70:71], v[64:65], v[80:81] neg_lo:[0,1] neg_hi:[0,1]
	s_nop 0
	v_sub_f32_e32 v2, v64, v70
	v_pk_add_f32 v[6:7], v[6:7], v[70:71] neg_lo:[0,1] neg_hi:[0,1]
	v_sub_f32_e32 v2, v80, v2
	v_add_f32_e32 v2, v6, v2
	v_add_f32_e32 v2, v2, v7
	;; [unrolled: 1-line block ×3, first 2 shown]
	v_cndmask_b32_e32 v2, v2, v19, vcc
	v_add_f32_e32 v2, v3, v2
	v_cvt_f16_f32_e32 v70, v2
	v_cvt_f32_f16_e32 v2, v70
	v_mov_b32_e32 v37, v70
.LBB360_368:
	s_or_b64 exec, exec, s[2:3]
	v_max_f32_e32 v3, v25, v25
	v_max_f32_e32 v7, v2, v2
	v_min_f32_e32 v6, v7, v3
	v_cmp_u_f16_e32 vcc, v70, v70
	v_max_f32_e32 v3, v7, v3
	v_mov_b32_e32 v38, v37
	v_cndmask_b32_e32 v6, v6, v2, vcc
	v_cndmask_b32_e32 v3, v3, v2, vcc
	v_cndmask_b32_e64 v6, v6, v25, s[12:13]
	v_cndmask_b32_e64 v3, v3, v25, s[12:13]
	v_cmp_neq_f32_e32 vcc, v6, v3
	v_cmp_class_f32_e64 s[2:3], v6, s4
	s_or_b64 s[4:5], vcc, s[2:3]
	s_and_saveexec_b64 s[2:3], s[4:5]
	s_cbranch_execz .LBB360_370
; %bb.369:
	v_sub_f32_e32 v2, v6, v3
	s_mov_b32 s4, 0x3fb8aa3b
	v_mul_f32_e32 v6, 0x3fb8aa3b, v2
	v_fma_f32 v7, v2, s4, -v6
	v_rndne_f32_e32 v11, v6
	v_fmamk_f32 v7, v2, 0x32a5705f, v7
	v_sub_f32_e32 v6, v6, v11
	v_add_f32_e32 v6, v6, v7
	v_exp_f32_e32 v6, v6
	v_cvt_i32_f32_e32 v7, v11
	s_mov_b32 s4, 0xc2ce8ed0
	v_cmp_ngt_f32_e32 vcc, s4, v2
	s_mov_b32 s4, 0x42b17218
	v_ldexp_f32 v6, v6, v7
	v_cndmask_b32_e32 v6, 0, v6, vcc
	v_mov_b32_e32 v7, 0x7f800000
	v_cmp_nlt_f32_e32 vcc, s4, v2
	s_mov_b32 s4, 0x3f2aaaab
	s_mov_b32 s5, 0x7f800000
	v_cndmask_b32_e32 v19, v7, v6, vcc
	v_add_f32_e32 v2, 1.0, v19
	v_add_f32_e32 v6, -1.0, v2
	v_sub_f32_e32 v7, v6, v2
	v_add_f32_e32 v7, 1.0, v7
	v_sub_f32_e32 v6, v19, v6
	v_add_f32_e32 v11, v6, v7
	v_frexp_mant_f32_e32 v24, v2
	v_cvt_f64_f32_e32 v[6:7], v2
	v_frexp_exp_i32_f64_e32 v6, v[6:7]
	v_cmp_gt_f32_e32 vcc, s4, v24
	s_mov_b32 s4, 0x3f317218
	s_nop 0
	v_subbrev_co_u32_e32 v38, vcc, 0, v6, vcc
	v_sub_u32_e32 v6, 0, v38
	v_ldexp_f32 v2, v2, v6
	v_ldexp_f32 v6, v11, v6
	v_add_f32_e32 v11, -1.0, v2
	v_add_f32_e32 v7, 1.0, v11
	v_sub_f32_e32 v7, v2, v7
	v_add_f32_e32 v24, v6, v7
	v_add_f32_e32 v7, 1.0, v2
	v_add_f32_e32 v25, -1.0, v7
	v_sub_f32_e32 v2, v2, v25
	v_add_f32_e32 v2, v6, v2
	v_add_f32_e32 v68, v7, v2
	v_rcp_f32_e32 v69, v68
	v_sub_f32_e32 v6, v7, v68
	v_add_f32_e32 v7, v11, v24
	v_add_f32_e32 v2, v2, v6
	v_sub_f32_e32 v6, v11, v7
	v_mul_f32_e32 v70, v7, v69
	v_add_f32_e32 v11, v24, v6
	v_mul_f32_e32 v24, v68, v70
	v_fma_f32 v64, v70, v68, -v24
	v_fmac_f32_e32 v64, v70, v2
	v_add_f32_e32 v6, v24, v64
	v_sub_f32_e32 v25, v7, v6
	v_pk_add_f32 v[66:67], v[6:7], v[24:25] neg_lo:[0,1] neg_hi:[0,1]
	v_mov_b32_e32 v65, v6
	v_pk_add_f32 v[6:7], v[66:67], v[64:65] neg_lo:[0,1] neg_hi:[0,1]
	v_cmp_eq_f32_e32 vcc, s5, v19
	v_add_f32_e32 v7, v11, v7
	v_add_f32_e32 v6, v6, v7
	;; [unrolled: 1-line block ×3, first 2 shown]
	v_mul_f32_e32 v11, v69, v7
	v_mul_f32_e32 v24, v68, v11
	v_fma_f32 v64, v11, v68, -v24
	v_fmac_f32_e32 v64, v11, v2
	v_sub_f32_e32 v2, v25, v7
	v_add_f32_e32 v2, v6, v2
	v_add_f32_e32 v6, v24, v64
	v_sub_f32_e32 v25, v7, v6
	v_pk_add_f32 v[66:67], v[6:7], v[24:25] neg_lo:[0,1] neg_hi:[0,1]
	v_mov_b32_e32 v65, v6
	v_pk_add_f32 v[6:7], v[66:67], v[64:65] neg_lo:[0,1] neg_hi:[0,1]
	v_cvt_f32_i32_e32 v24, v38
	v_add_f32_e32 v2, v2, v7
	v_add_f32_e32 v2, v6, v2
	;; [unrolled: 1-line block ×4, first 2 shown]
	v_sub_f32_e32 v7, v6, v70
	v_mul_f32_e32 v2, v69, v2
	v_sub_f32_e32 v7, v11, v7
	v_add_f32_e32 v2, v7, v2
	v_add_f32_e32 v11, v6, v2
	v_mul_f32_e32 v25, v11, v11
	v_mov_b32_e32 v7, 0x3ecc95a3
	v_fmac_f32_e32 v7, 0x3e9b6dac, v25
	v_sub_f32_e32 v6, v11, v6
	v_fmaak_f32 v7, v25, v7, 0x3f2aaada
	v_sub_f32_e32 v2, v2, v6
	v_mul_f32_e32 v25, v11, v25
	v_mov_b32_e32 v6, 0x3f317218
	v_pk_mul_f32 v[6:7], v[24:25], v[6:7]
	v_ldexp_f32 v65, v11, 1
	v_fma_f32 v11, v24, s4, -v6
	v_fmamk_f32 v64, v24, 0xb102e308, v11
	v_pk_add_f32 v[24:25], v[6:7], v[64:65]
	v_ldexp_f32 v2, v2, 1
	v_sub_f32_e32 v11, v25, v65
	v_sub_f32_e32 v11, v7, v11
	v_add_f32_e32 v67, v2, v11
	v_mov_b32_e32 v66, v6
	v_pk_add_f32 v[6:7], v[24:25], v[6:7] neg_lo:[0,1] neg_hi:[0,1]
	v_pk_add_f32 v[68:69], v[24:25], v[66:67]
	v_mov_b32_e32 v65, v24
	v_mov_b32_e32 v7, v69
	v_pk_add_f32 v[70:71], v[64:65], v[6:7] neg_lo:[0,1] neg_hi:[0,1]
	v_pk_add_f32 v[6:7], v[64:65], v[6:7]
	s_mov_b32 s4, 0x33800000
	v_mov_b32_e32 v2, v7
	v_pk_add_f32 v[64:65], v[2:3], v[24:25] neg_lo:[0,1] neg_hi:[0,1]
	v_mov_b32_e32 v6, v69
	v_mov_b32_e32 v11, v64
	v_pk_add_f32 v[80:81], v[68:69], v[10:11] neg_lo:[0,1] neg_hi:[0,1]
	v_mov_b32_e32 v68, v25
	v_mov_b32_e32 v69, v64
	;; [unrolled: 1-line block ×3, first 2 shown]
	v_pk_add_f32 v[6:7], v[6:7], v[68:69] neg_lo:[0,1] neg_hi:[0,1]
	v_mov_b32_e32 v64, v67
	v_mov_b32_e32 v65, v24
	v_pk_add_f32 v[6:7], v[64:65], v[6:7] neg_lo:[0,1] neg_hi:[0,1]
	v_mov_b32_e32 v80, v70
	v_pk_add_f32 v[24:25], v[80:81], v[6:7]
	v_cmp_lt_f32_e64 s[4:5], |v19|, s4
	v_mov_b32_e32 v38, v25
	v_pk_add_f32 v[64:65], v[24:25], v[38:39]
	s_or_b64 vcc, vcc, s[4:5]
	v_pk_add_f32 v[66:67], v[2:3], v[64:65]
	v_mov_b32_e32 v7, v64
	v_mov_b32_e32 v25, v66
	v_pk_add_f32 v[68:69], v[24:25], v[70:71] neg_lo:[0,1] neg_hi:[0,1]
	s_nop 0
	v_sub_f32_e32 v2, v24, v68
	v_pk_add_f32 v[6:7], v[6:7], v[68:69] neg_lo:[0,1] neg_hi:[0,1]
	v_sub_f32_e32 v2, v70, v2
	v_add_f32_e32 v2, v6, v2
	v_add_f32_e32 v2, v2, v7
	;; [unrolled: 1-line block ×3, first 2 shown]
	v_cndmask_b32_e32 v2, v2, v19, vcc
	v_add_f32_e32 v2, v3, v2
	v_cvt_f16_f32_e32 v70, v2
	v_cvt_f32_f16_e32 v2, v70
	v_mov_b32_e32 v38, v70
.LBB360_370:
	s_or_b64 exec, exec, s[2:3]
	v_max_f32_e32 v3, v26, v26
	v_max_f32_e32 v7, v2, v2
	v_min_f32_e32 v6, v7, v3
	v_cmp_u_f16_e32 vcc, v70, v70
	v_max_f32_e32 v3, v7, v3
	s_movk_i32 s4, 0x1f8
	v_cndmask_b32_e32 v6, v6, v2, vcc
	v_cndmask_b32_e32 v3, v3, v2, vcc
	v_cndmask_b32_e64 v6, v6, v26, s[14:15]
	v_cndmask_b32_e64 v3, v3, v26, s[14:15]
	v_cmp_neq_f32_e32 vcc, v6, v3
	v_cmp_class_f32_e64 s[2:3], v6, s4
	s_or_b64 s[6:7], vcc, s[2:3]
	v_mov_b32_e32 v87, v38
	s_and_saveexec_b64 s[2:3], s[6:7]
	s_cbranch_execz .LBB360_372
; %bb.371:
	v_sub_f32_e32 v2, v6, v3
	s_mov_b32 s5, 0x3fb8aa3b
	v_mul_f32_e32 v6, 0x3fb8aa3b, v2
	v_fma_f32 v7, v2, s5, -v6
	v_rndne_f32_e32 v11, v6
	v_fmamk_f32 v7, v2, 0x32a5705f, v7
	v_sub_f32_e32 v6, v6, v11
	v_add_f32_e32 v6, v6, v7
	v_exp_f32_e32 v6, v6
	v_cvt_i32_f32_e32 v7, v11
	s_mov_b32 s5, 0xc2ce8ed0
	v_cmp_ngt_f32_e32 vcc, s5, v2
	s_mov_b32 s5, 0x42b17218
	v_ldexp_f32 v6, v6, v7
	v_cndmask_b32_e32 v6, 0, v6, vcc
	v_mov_b32_e32 v7, 0x7f800000
	v_cmp_nlt_f32_e32 vcc, s5, v2
	s_mov_b32 s5, 0x3f2aaaab
	s_mov_b32 s6, 0x7f800000
	v_cndmask_b32_e32 v19, v7, v6, vcc
	v_add_f32_e32 v2, 1.0, v19
	v_add_f32_e32 v6, -1.0, v2
	v_sub_f32_e32 v7, v6, v2
	v_add_f32_e32 v7, 1.0, v7
	v_sub_f32_e32 v6, v19, v6
	v_add_f32_e32 v11, v6, v7
	v_frexp_mant_f32_e32 v24, v2
	v_cvt_f64_f32_e32 v[6:7], v2
	v_frexp_exp_i32_f64_e32 v6, v[6:7]
	v_cmp_gt_f32_e32 vcc, s5, v24
	s_mov_b32 s5, 0x3f317218
	s_nop 0
	v_subbrev_co_u32_e32 v26, vcc, 0, v6, vcc
	v_sub_u32_e32 v6, 0, v26
	v_ldexp_f32 v2, v2, v6
	v_ldexp_f32 v6, v11, v6
	v_add_f32_e32 v11, -1.0, v2
	v_add_f32_e32 v7, 1.0, v11
	v_sub_f32_e32 v7, v2, v7
	v_add_f32_e32 v24, v6, v7
	v_add_f32_e32 v7, 1.0, v2
	v_add_f32_e32 v25, -1.0, v7
	v_sub_f32_e32 v2, v2, v25
	v_add_f32_e32 v2, v6, v2
	v_add_f32_e32 v68, v7, v2
	v_rcp_f32_e32 v69, v68
	v_sub_f32_e32 v6, v7, v68
	v_add_f32_e32 v7, v11, v24
	v_add_f32_e32 v2, v2, v6
	v_sub_f32_e32 v6, v11, v7
	v_mul_f32_e32 v70, v7, v69
	v_add_f32_e32 v11, v24, v6
	v_mul_f32_e32 v24, v68, v70
	v_fma_f32 v64, v70, v68, -v24
	v_fmac_f32_e32 v64, v70, v2
	v_add_f32_e32 v6, v24, v64
	v_sub_f32_e32 v25, v7, v6
	v_pk_add_f32 v[66:67], v[6:7], v[24:25] neg_lo:[0,1] neg_hi:[0,1]
	v_mov_b32_e32 v65, v6
	v_pk_add_f32 v[6:7], v[66:67], v[64:65] neg_lo:[0,1] neg_hi:[0,1]
	v_cmp_eq_f32_e32 vcc, s6, v19
	v_add_f32_e32 v7, v11, v7
	v_add_f32_e32 v6, v6, v7
	;; [unrolled: 1-line block ×3, first 2 shown]
	v_mul_f32_e32 v11, v69, v7
	v_mul_f32_e32 v24, v68, v11
	v_fma_f32 v64, v11, v68, -v24
	v_fmac_f32_e32 v64, v11, v2
	v_sub_f32_e32 v2, v25, v7
	v_add_f32_e32 v2, v6, v2
	v_add_f32_e32 v6, v24, v64
	v_sub_f32_e32 v25, v7, v6
	v_pk_add_f32 v[66:67], v[6:7], v[24:25] neg_lo:[0,1] neg_hi:[0,1]
	v_mov_b32_e32 v65, v6
	v_pk_add_f32 v[6:7], v[66:67], v[64:65] neg_lo:[0,1] neg_hi:[0,1]
	v_cvt_f32_i32_e32 v24, v26
	v_add_f32_e32 v2, v2, v7
	v_add_f32_e32 v2, v6, v2
	;; [unrolled: 1-line block ×4, first 2 shown]
	v_sub_f32_e32 v7, v6, v70
	v_mul_f32_e32 v2, v69, v2
	v_sub_f32_e32 v7, v11, v7
	v_add_f32_e32 v2, v7, v2
	v_add_f32_e32 v11, v6, v2
	v_mul_f32_e32 v25, v11, v11
	v_mov_b32_e32 v7, 0x3ecc95a3
	v_fmac_f32_e32 v7, 0x3e9b6dac, v25
	v_sub_f32_e32 v6, v11, v6
	v_fmaak_f32 v7, v25, v7, 0x3f2aaada
	v_sub_f32_e32 v2, v2, v6
	v_mul_f32_e32 v25, v11, v25
	v_mov_b32_e32 v6, 0x3f317218
	v_pk_mul_f32 v[6:7], v[24:25], v[6:7]
	v_ldexp_f32 v65, v11, 1
	v_fma_f32 v11, v24, s5, -v6
	v_fmamk_f32 v64, v24, 0xb102e308, v11
	v_pk_add_f32 v[24:25], v[6:7], v[64:65]
	v_ldexp_f32 v2, v2, 1
	v_sub_f32_e32 v11, v25, v65
	v_sub_f32_e32 v11, v7, v11
	v_add_f32_e32 v67, v2, v11
	v_mov_b32_e32 v66, v6
	v_pk_add_f32 v[6:7], v[24:25], v[6:7] neg_lo:[0,1] neg_hi:[0,1]
	v_pk_add_f32 v[68:69], v[24:25], v[66:67]
	v_mov_b32_e32 v65, v24
	v_mov_b32_e32 v7, v69
	v_pk_add_f32 v[70:71], v[64:65], v[6:7] neg_lo:[0,1] neg_hi:[0,1]
	v_pk_add_f32 v[6:7], v[64:65], v[6:7]
	s_mov_b32 s5, 0x33800000
	v_mov_b32_e32 v2, v7
	v_pk_add_f32 v[64:65], v[2:3], v[24:25] neg_lo:[0,1] neg_hi:[0,1]
	v_mov_b32_e32 v6, v69
	v_mov_b32_e32 v11, v64
	v_pk_add_f32 v[80:81], v[68:69], v[10:11] neg_lo:[0,1] neg_hi:[0,1]
	v_mov_b32_e32 v68, v25
	v_mov_b32_e32 v69, v64
	;; [unrolled: 1-line block ×3, first 2 shown]
	v_pk_add_f32 v[6:7], v[6:7], v[68:69] neg_lo:[0,1] neg_hi:[0,1]
	v_mov_b32_e32 v64, v67
	v_mov_b32_e32 v65, v24
	v_pk_add_f32 v[6:7], v[64:65], v[6:7] neg_lo:[0,1] neg_hi:[0,1]
	v_mov_b32_e32 v80, v70
	v_pk_add_f32 v[24:25], v[80:81], v[6:7]
	v_cmp_lt_f32_e64 s[6:7], |v19|, s5
	v_mov_b32_e32 v26, v25
	v_pk_add_f32 v[64:65], v[24:25], v[26:27]
	s_or_b64 vcc, vcc, s[6:7]
	v_pk_add_f32 v[66:67], v[2:3], v[64:65]
	v_mov_b32_e32 v7, v64
	v_mov_b32_e32 v25, v66
	v_pk_add_f32 v[68:69], v[24:25], v[70:71] neg_lo:[0,1] neg_hi:[0,1]
	s_nop 0
	v_sub_f32_e32 v2, v24, v68
	v_pk_add_f32 v[6:7], v[6:7], v[68:69] neg_lo:[0,1] neg_hi:[0,1]
	v_sub_f32_e32 v2, v70, v2
	v_add_f32_e32 v2, v6, v2
	v_add_f32_e32 v2, v2, v7
	;; [unrolled: 1-line block ×3, first 2 shown]
	v_cndmask_b32_e32 v2, v2, v19, vcc
	v_add_f32_e32 v2, v3, v2
	v_cvt_f16_f32_e32 v70, v2
	v_cvt_f32_f16_e32 v2, v70
	v_mov_b32_e32 v87, v70
.LBB360_372:
	s_or_b64 exec, exec, s[2:3]
	v_max_f32_e32 v3, v27, v27
	v_max_f32_e32 v7, v2, v2
	v_min_f32_e32 v6, v7, v3
	v_cmp_u_f16_e32 vcc, v70, v70
	v_max_f32_e32 v3, v7, v3
	v_mov_b32_e32 v96, v87
	v_cndmask_b32_e32 v6, v6, v2, vcc
	v_cndmask_b32_e32 v3, v3, v2, vcc
	v_cndmask_b32_e64 v6, v6, v27, s[16:17]
	v_cndmask_b32_e64 v3, v3, v27, s[16:17]
	v_cmp_neq_f32_e32 vcc, v6, v3
	v_cmp_class_f32_e64 s[2:3], v6, s4
	s_or_b64 s[4:5], vcc, s[2:3]
	s_and_saveexec_b64 s[2:3], s[4:5]
	s_cbranch_execz .LBB360_374
; %bb.373:
	v_sub_f32_e32 v2, v6, v3
	s_mov_b32 s4, 0x3fb8aa3b
	v_mul_f32_e32 v6, 0x3fb8aa3b, v2
	v_fma_f32 v7, v2, s4, -v6
	v_rndne_f32_e32 v11, v6
	v_fmamk_f32 v7, v2, 0x32a5705f, v7
	v_sub_f32_e32 v6, v6, v11
	v_add_f32_e32 v6, v6, v7
	v_exp_f32_e32 v6, v6
	v_cvt_i32_f32_e32 v7, v11
	s_mov_b32 s4, 0xc2ce8ed0
	v_cmp_ngt_f32_e32 vcc, s4, v2
	s_mov_b32 s4, 0x42b17218
	v_ldexp_f32 v6, v6, v7
	v_cndmask_b32_e32 v6, 0, v6, vcc
	v_mov_b32_e32 v7, 0x7f800000
	v_cmp_nlt_f32_e32 vcc, s4, v2
	s_mov_b32 s4, 0x3f2aaaab
	s_mov_b32 s5, 0x7f800000
	v_cndmask_b32_e32 v19, v7, v6, vcc
	v_add_f32_e32 v2, 1.0, v19
	v_add_f32_e32 v6, -1.0, v2
	v_sub_f32_e32 v7, v6, v2
	v_add_f32_e32 v7, 1.0, v7
	v_sub_f32_e32 v6, v19, v6
	v_add_f32_e32 v11, v6, v7
	v_frexp_mant_f32_e32 v24, v2
	v_cvt_f64_f32_e32 v[6:7], v2
	v_frexp_exp_i32_f64_e32 v6, v[6:7]
	v_cmp_gt_f32_e32 vcc, s4, v24
	s_mov_b32 s4, 0x3f317218
	s_nop 0
	v_subbrev_co_u32_e32 v66, vcc, 0, v6, vcc
	v_sub_u32_e32 v6, 0, v66
	v_ldexp_f32 v2, v2, v6
	v_ldexp_f32 v6, v11, v6
	v_add_f32_e32 v11, -1.0, v2
	v_add_f32_e32 v7, 1.0, v11
	v_sub_f32_e32 v7, v2, v7
	v_add_f32_e32 v24, v6, v7
	v_add_f32_e32 v7, 1.0, v2
	v_add_f32_e32 v25, -1.0, v7
	v_sub_f32_e32 v2, v2, v25
	v_add_f32_e32 v2, v6, v2
	v_add_f32_e32 v67, v7, v2
	v_rcp_f32_e32 v68, v67
	v_sub_f32_e32 v6, v7, v67
	v_add_f32_e32 v7, v11, v24
	v_add_f32_e32 v2, v2, v6
	v_sub_f32_e32 v6, v11, v7
	v_mul_f32_e32 v69, v7, v68
	v_add_f32_e32 v11, v24, v6
	v_mul_f32_e32 v24, v67, v69
	v_fma_f32 v26, v69, v67, -v24
	v_fmac_f32_e32 v26, v69, v2
	v_add_f32_e32 v6, v24, v26
	v_sub_f32_e32 v25, v7, v6
	v_pk_add_f32 v[64:65], v[6:7], v[24:25] neg_lo:[0,1] neg_hi:[0,1]
	v_mov_b32_e32 v27, v6
	v_pk_add_f32 v[6:7], v[64:65], v[26:27] neg_lo:[0,1] neg_hi:[0,1]
	v_cmp_eq_f32_e32 vcc, s5, v19
	v_add_f32_e32 v7, v11, v7
	v_add_f32_e32 v6, v6, v7
	v_add_f32_e32 v7, v25, v6
	v_mul_f32_e32 v11, v68, v7
	v_mul_f32_e32 v24, v67, v11
	v_fma_f32 v26, v11, v67, -v24
	v_fmac_f32_e32 v26, v11, v2
	v_sub_f32_e32 v2, v25, v7
	v_add_f32_e32 v2, v6, v2
	v_add_f32_e32 v6, v24, v26
	v_sub_f32_e32 v25, v7, v6
	v_pk_add_f32 v[64:65], v[6:7], v[24:25] neg_lo:[0,1] neg_hi:[0,1]
	v_mov_b32_e32 v27, v6
	v_pk_add_f32 v[6:7], v[64:65], v[26:27] neg_lo:[0,1] neg_hi:[0,1]
	v_cvt_f32_i32_e32 v24, v66
	v_add_f32_e32 v2, v2, v7
	v_add_f32_e32 v2, v6, v2
	;; [unrolled: 1-line block ×4, first 2 shown]
	v_sub_f32_e32 v7, v6, v69
	v_mul_f32_e32 v2, v68, v2
	v_sub_f32_e32 v7, v11, v7
	v_add_f32_e32 v2, v7, v2
	v_add_f32_e32 v11, v6, v2
	v_mul_f32_e32 v25, v11, v11
	v_mov_b32_e32 v7, 0x3ecc95a3
	v_fmac_f32_e32 v7, 0x3e9b6dac, v25
	v_sub_f32_e32 v6, v11, v6
	v_fmaak_f32 v7, v25, v7, 0x3f2aaada
	v_sub_f32_e32 v2, v2, v6
	v_mul_f32_e32 v25, v11, v25
	v_mov_b32_e32 v6, 0x3f317218
	v_pk_mul_f32 v[6:7], v[24:25], v[6:7]
	v_ldexp_f32 v27, v11, 1
	v_fma_f32 v11, v24, s4, -v6
	v_fmamk_f32 v26, v24, 0xb102e308, v11
	v_pk_add_f32 v[24:25], v[6:7], v[26:27]
	v_ldexp_f32 v2, v2, 1
	v_sub_f32_e32 v11, v25, v27
	v_sub_f32_e32 v11, v7, v11
	v_add_f32_e32 v65, v2, v11
	v_mov_b32_e32 v64, v6
	v_pk_add_f32 v[6:7], v[24:25], v[6:7] neg_lo:[0,1] neg_hi:[0,1]
	v_pk_add_f32 v[66:67], v[24:25], v[64:65]
	v_mov_b32_e32 v27, v24
	v_mov_b32_e32 v7, v67
	v_pk_add_f32 v[68:69], v[26:27], v[6:7] neg_lo:[0,1] neg_hi:[0,1]
	v_pk_add_f32 v[6:7], v[26:27], v[6:7]
	s_mov_b32 s4, 0x33800000
	v_mov_b32_e32 v2, v7
	v_pk_add_f32 v[26:27], v[2:3], v[24:25] neg_lo:[0,1] neg_hi:[0,1]
	v_mov_b32_e32 v6, v67
	v_mov_b32_e32 v11, v26
	v_pk_add_f32 v[70:71], v[66:67], v[10:11] neg_lo:[0,1] neg_hi:[0,1]
	v_mov_b32_e32 v66, v25
	v_mov_b32_e32 v67, v26
	;; [unrolled: 1-line block ×3, first 2 shown]
	v_pk_add_f32 v[6:7], v[6:7], v[66:67] neg_lo:[0,1] neg_hi:[0,1]
	v_mov_b32_e32 v26, v65
	v_mov_b32_e32 v27, v24
	v_pk_add_f32 v[6:7], v[26:27], v[6:7] neg_lo:[0,1] neg_hi:[0,1]
	v_mov_b32_e32 v70, v68
	v_pk_add_f32 v[24:25], v[70:71], v[6:7]
	v_cmp_lt_f32_e64 s[4:5], |v19|, s4
	v_mov_b32_e32 v26, v25
	v_pk_add_f32 v[26:27], v[24:25], v[26:27]
	s_or_b64 vcc, vcc, s[4:5]
	v_pk_add_f32 v[64:65], v[2:3], v[26:27]
	v_mov_b32_e32 v7, v26
	v_mov_b32_e32 v25, v64
	v_pk_add_f32 v[66:67], v[24:25], v[68:69] neg_lo:[0,1] neg_hi:[0,1]
	s_nop 0
	v_sub_f32_e32 v2, v24, v66
	v_pk_add_f32 v[6:7], v[6:7], v[66:67] neg_lo:[0,1] neg_hi:[0,1]
	v_sub_f32_e32 v2, v68, v2
	v_add_f32_e32 v2, v6, v2
	v_add_f32_e32 v2, v2, v7
	;; [unrolled: 1-line block ×3, first 2 shown]
	v_cndmask_b32_e32 v2, v2, v19, vcc
	v_add_f32_e32 v2, v3, v2
	v_cvt_f16_f32_e32 v70, v2
	v_cvt_f32_f16_e32 v2, v70
	v_mov_b32_e32 v96, v70
.LBB360_374:
	s_or_b64 exec, exec, s[2:3]
	v_max_f32_e32 v3, v39, v39
	v_max_f32_e32 v7, v2, v2
	v_min_f32_e32 v6, v7, v3
	v_cmp_u_f16_e32 vcc, v70, v70
	v_max_f32_e32 v3, v7, v3
	s_movk_i32 s4, 0x1f8
	v_cndmask_b32_e32 v6, v6, v2, vcc
	v_cndmask_b32_e32 v3, v3, v2, vcc
	v_cndmask_b32_e64 v6, v6, v39, s[18:19]
	v_cndmask_b32_e64 v3, v3, v39, s[18:19]
	v_cmp_neq_f32_e32 vcc, v6, v3
	v_cmp_class_f32_e64 s[2:3], v6, s4
	s_or_b64 s[6:7], vcc, s[2:3]
	v_mov_b32_e32 v39, v96
	s_and_saveexec_b64 s[2:3], s[6:7]
	s_cbranch_execz .LBB360_376
; %bb.375:
	v_sub_f32_e32 v2, v6, v3
	s_mov_b32 s5, 0x3fb8aa3b
	v_mul_f32_e32 v6, 0x3fb8aa3b, v2
	v_fma_f32 v7, v2, s5, -v6
	v_rndne_f32_e32 v11, v6
	v_fmamk_f32 v7, v2, 0x32a5705f, v7
	v_sub_f32_e32 v6, v6, v11
	v_add_f32_e32 v6, v6, v7
	v_exp_f32_e32 v6, v6
	v_cvt_i32_f32_e32 v7, v11
	s_mov_b32 s5, 0xc2ce8ed0
	v_cmp_ngt_f32_e32 vcc, s5, v2
	s_mov_b32 s5, 0x42b17218
	v_ldexp_f32 v6, v6, v7
	v_cndmask_b32_e32 v6, 0, v6, vcc
	v_mov_b32_e32 v7, 0x7f800000
	v_cmp_nlt_f32_e32 vcc, s5, v2
	s_mov_b32 s5, 0x3f2aaaab
	s_mov_b32 s6, 0x7f800000
	v_cndmask_b32_e32 v19, v7, v6, vcc
	v_add_f32_e32 v2, 1.0, v19
	v_add_f32_e32 v6, -1.0, v2
	v_sub_f32_e32 v7, v6, v2
	v_add_f32_e32 v7, 1.0, v7
	v_sub_f32_e32 v6, v19, v6
	v_add_f32_e32 v11, v6, v7
	v_frexp_mant_f32_e32 v24, v2
	v_cvt_f64_f32_e32 v[6:7], v2
	v_frexp_exp_i32_f64_e32 v6, v[6:7]
	v_cmp_gt_f32_e32 vcc, s5, v24
	s_mov_b32 s5, 0x3f317218
	s_nop 0
	v_subbrev_co_u32_e32 v39, vcc, 0, v6, vcc
	v_sub_u32_e32 v6, 0, v39
	v_ldexp_f32 v2, v2, v6
	v_ldexp_f32 v6, v11, v6
	v_add_f32_e32 v11, -1.0, v2
	v_add_f32_e32 v7, 1.0, v11
	v_sub_f32_e32 v7, v2, v7
	v_add_f32_e32 v24, v6, v7
	v_add_f32_e32 v7, 1.0, v2
	v_add_f32_e32 v25, -1.0, v7
	v_sub_f32_e32 v2, v2, v25
	v_add_f32_e32 v2, v6, v2
	v_add_f32_e32 v66, v7, v2
	v_rcp_f32_e32 v67, v66
	v_sub_f32_e32 v6, v7, v66
	v_add_f32_e32 v7, v11, v24
	v_add_f32_e32 v2, v2, v6
	v_sub_f32_e32 v6, v11, v7
	v_mul_f32_e32 v68, v7, v67
	v_add_f32_e32 v11, v24, v6
	v_mul_f32_e32 v24, v66, v68
	v_fma_f32 v26, v68, v66, -v24
	v_fmac_f32_e32 v26, v68, v2
	v_add_f32_e32 v6, v24, v26
	v_sub_f32_e32 v25, v7, v6
	v_pk_add_f32 v[64:65], v[6:7], v[24:25] neg_lo:[0,1] neg_hi:[0,1]
	v_mov_b32_e32 v27, v6
	v_pk_add_f32 v[6:7], v[64:65], v[26:27] neg_lo:[0,1] neg_hi:[0,1]
	v_cmp_eq_f32_e32 vcc, s6, v19
	v_add_f32_e32 v7, v11, v7
	v_add_f32_e32 v6, v6, v7
	v_add_f32_e32 v7, v25, v6
	v_mul_f32_e32 v11, v67, v7
	v_mul_f32_e32 v24, v66, v11
	v_fma_f32 v26, v11, v66, -v24
	v_fmac_f32_e32 v26, v11, v2
	v_sub_f32_e32 v2, v25, v7
	v_add_f32_e32 v2, v6, v2
	v_add_f32_e32 v6, v24, v26
	v_sub_f32_e32 v25, v7, v6
	v_pk_add_f32 v[64:65], v[6:7], v[24:25] neg_lo:[0,1] neg_hi:[0,1]
	v_mov_b32_e32 v27, v6
	v_pk_add_f32 v[6:7], v[64:65], v[26:27] neg_lo:[0,1] neg_hi:[0,1]
	v_cvt_f32_i32_e32 v24, v39
	v_add_f32_e32 v2, v2, v7
	v_add_f32_e32 v2, v6, v2
	;; [unrolled: 1-line block ×4, first 2 shown]
	v_sub_f32_e32 v7, v6, v68
	v_mul_f32_e32 v2, v67, v2
	v_sub_f32_e32 v7, v11, v7
	v_add_f32_e32 v2, v7, v2
	v_add_f32_e32 v11, v6, v2
	v_mul_f32_e32 v25, v11, v11
	v_mov_b32_e32 v7, 0x3ecc95a3
	v_fmac_f32_e32 v7, 0x3e9b6dac, v25
	v_sub_f32_e32 v6, v11, v6
	v_fmaak_f32 v7, v25, v7, 0x3f2aaada
	v_sub_f32_e32 v2, v2, v6
	v_mul_f32_e32 v25, v11, v25
	v_mov_b32_e32 v6, 0x3f317218
	v_pk_mul_f32 v[6:7], v[24:25], v[6:7]
	v_ldexp_f32 v27, v11, 1
	v_fma_f32 v11, v24, s5, -v6
	v_fmamk_f32 v26, v24, 0xb102e308, v11
	v_pk_add_f32 v[24:25], v[6:7], v[26:27]
	v_ldexp_f32 v2, v2, 1
	v_sub_f32_e32 v11, v25, v27
	v_sub_f32_e32 v11, v7, v11
	v_add_f32_e32 v65, v2, v11
	v_mov_b32_e32 v64, v6
	v_pk_add_f32 v[6:7], v[24:25], v[6:7] neg_lo:[0,1] neg_hi:[0,1]
	v_pk_add_f32 v[66:67], v[24:25], v[64:65]
	v_mov_b32_e32 v27, v24
	v_mov_b32_e32 v7, v67
	v_pk_add_f32 v[68:69], v[26:27], v[6:7] neg_lo:[0,1] neg_hi:[0,1]
	v_pk_add_f32 v[6:7], v[26:27], v[6:7]
	s_mov_b32 s5, 0x33800000
	v_mov_b32_e32 v2, v7
	v_pk_add_f32 v[26:27], v[2:3], v[24:25] neg_lo:[0,1] neg_hi:[0,1]
	v_mov_b32_e32 v6, v67
	v_mov_b32_e32 v11, v26
	v_pk_add_f32 v[70:71], v[66:67], v[10:11] neg_lo:[0,1] neg_hi:[0,1]
	v_mov_b32_e32 v66, v25
	v_mov_b32_e32 v67, v26
	;; [unrolled: 1-line block ×3, first 2 shown]
	v_pk_add_f32 v[6:7], v[6:7], v[66:67] neg_lo:[0,1] neg_hi:[0,1]
	v_mov_b32_e32 v26, v65
	v_mov_b32_e32 v27, v24
	v_pk_add_f32 v[6:7], v[26:27], v[6:7] neg_lo:[0,1] neg_hi:[0,1]
	v_mov_b32_e32 v70, v68
	v_pk_add_f32 v[24:25], v[70:71], v[6:7]
	v_cmp_lt_f32_e64 s[6:7], |v19|, s5
	v_mov_b32_e32 v26, v25
	v_pk_add_f32 v[26:27], v[24:25], v[26:27]
	s_or_b64 vcc, vcc, s[6:7]
	v_pk_add_f32 v[64:65], v[2:3], v[26:27]
	v_mov_b32_e32 v7, v26
	v_mov_b32_e32 v25, v64
	v_pk_add_f32 v[66:67], v[24:25], v[68:69] neg_lo:[0,1] neg_hi:[0,1]
	s_nop 0
	v_sub_f32_e32 v2, v24, v66
	v_pk_add_f32 v[6:7], v[6:7], v[66:67] neg_lo:[0,1] neg_hi:[0,1]
	v_sub_f32_e32 v2, v68, v2
	v_add_f32_e32 v2, v6, v2
	v_add_f32_e32 v2, v2, v7
	;; [unrolled: 1-line block ×3, first 2 shown]
	v_cndmask_b32_e32 v2, v2, v19, vcc
	v_add_f32_e32 v2, v3, v2
	v_cvt_f16_f32_e32 v70, v2
	v_cvt_f32_f16_e32 v2, v70
	v_mov_b32_e32 v39, v70
.LBB360_376:
	s_or_b64 exec, exec, s[2:3]
	v_max_f32_e32 v3, v20, v20
	v_max_f32_e32 v7, v2, v2
	v_min_f32_e32 v6, v7, v3
	v_cmp_u_f16_e32 vcc, v70, v70
	v_max_f32_e32 v3, v7, v3
	v_mov_b32_e32 v64, v39
	v_cndmask_b32_e32 v6, v6, v2, vcc
	v_cndmask_b32_e32 v3, v3, v2, vcc
	v_cndmask_b32_e64 v6, v6, v20, s[20:21]
	v_cndmask_b32_e64 v3, v3, v20, s[20:21]
	v_cmp_neq_f32_e32 vcc, v6, v3
	v_cmp_class_f32_e64 s[2:3], v6, s4
	s_or_b64 s[4:5], vcc, s[2:3]
	s_and_saveexec_b64 s[2:3], s[4:5]
	s_cbranch_execz .LBB360_378
; %bb.377:
	v_sub_f32_e32 v2, v6, v3
	s_mov_b32 s4, 0x3fb8aa3b
	v_mul_f32_e32 v6, 0x3fb8aa3b, v2
	v_fma_f32 v7, v2, s4, -v6
	v_rndne_f32_e32 v11, v6
	v_fmamk_f32 v7, v2, 0x32a5705f, v7
	v_sub_f32_e32 v6, v6, v11
	v_add_f32_e32 v6, v6, v7
	v_exp_f32_e32 v6, v6
	v_cvt_i32_f32_e32 v7, v11
	s_mov_b32 s4, 0xc2ce8ed0
	v_cmp_ngt_f32_e32 vcc, s4, v2
	s_mov_b32 s4, 0x42b17218
	v_ldexp_f32 v6, v6, v7
	v_cndmask_b32_e32 v6, 0, v6, vcc
	v_mov_b32_e32 v7, 0x7f800000
	v_cmp_nlt_f32_e32 vcc, s4, v2
	s_mov_b32 s4, 0x3f2aaaab
	s_mov_b32 s5, 0x7f800000
	v_cndmask_b32_e32 v19, v7, v6, vcc
	v_add_f32_e32 v2, 1.0, v19
	v_add_f32_e32 v6, -1.0, v2
	v_sub_f32_e32 v7, v6, v2
	v_add_f32_e32 v7, 1.0, v7
	v_sub_f32_e32 v6, v19, v6
	v_add_f32_e32 v11, v6, v7
	v_frexp_mant_f32_e32 v20, v2
	v_cvt_f64_f32_e32 v[6:7], v2
	v_frexp_exp_i32_f64_e32 v6, v[6:7]
	v_cmp_gt_f32_e32 vcc, s4, v20
	s_mov_b32 s4, 0x3f317218
	s_nop 0
	v_subbrev_co_u32_e32 v20, vcc, 0, v6, vcc
	v_sub_u32_e32 v6, 0, v20
	v_ldexp_f32 v2, v2, v6
	v_ldexp_f32 v6, v11, v6
	v_add_f32_e32 v11, -1.0, v2
	v_add_f32_e32 v7, 1.0, v11
	v_sub_f32_e32 v7, v2, v7
	v_add_f32_e32 v24, v6, v7
	v_add_f32_e32 v7, 1.0, v2
	v_add_f32_e32 v25, -1.0, v7
	v_sub_f32_e32 v2, v2, v25
	v_add_f32_e32 v2, v6, v2
	v_add_f32_e32 v66, v7, v2
	v_rcp_f32_e32 v67, v66
	v_sub_f32_e32 v6, v7, v66
	v_add_f32_e32 v7, v11, v24
	v_add_f32_e32 v2, v2, v6
	v_sub_f32_e32 v6, v11, v7
	v_mul_f32_e32 v68, v7, v67
	v_add_f32_e32 v11, v24, v6
	v_mul_f32_e32 v24, v66, v68
	v_fma_f32 v26, v68, v66, -v24
	v_fmac_f32_e32 v26, v68, v2
	v_add_f32_e32 v6, v24, v26
	v_sub_f32_e32 v25, v7, v6
	v_pk_add_f32 v[64:65], v[6:7], v[24:25] neg_lo:[0,1] neg_hi:[0,1]
	v_mov_b32_e32 v27, v6
	v_pk_add_f32 v[6:7], v[64:65], v[26:27] neg_lo:[0,1] neg_hi:[0,1]
	v_cmp_eq_f32_e32 vcc, s5, v19
	v_add_f32_e32 v7, v11, v7
	v_add_f32_e32 v6, v6, v7
	;; [unrolled: 1-line block ×3, first 2 shown]
	v_mul_f32_e32 v11, v67, v7
	v_mul_f32_e32 v24, v66, v11
	v_fma_f32 v26, v11, v66, -v24
	v_fmac_f32_e32 v26, v11, v2
	v_sub_f32_e32 v2, v25, v7
	v_add_f32_e32 v2, v6, v2
	v_add_f32_e32 v6, v24, v26
	v_sub_f32_e32 v25, v7, v6
	v_pk_add_f32 v[64:65], v[6:7], v[24:25] neg_lo:[0,1] neg_hi:[0,1]
	v_mov_b32_e32 v27, v6
	v_pk_add_f32 v[6:7], v[64:65], v[26:27] neg_lo:[0,1] neg_hi:[0,1]
	v_cvt_f32_i32_e32 v24, v20
	v_add_f32_e32 v2, v2, v7
	v_add_f32_e32 v2, v6, v2
	;; [unrolled: 1-line block ×4, first 2 shown]
	v_sub_f32_e32 v7, v6, v68
	v_mul_f32_e32 v2, v67, v2
	v_sub_f32_e32 v7, v11, v7
	v_add_f32_e32 v2, v7, v2
	v_add_f32_e32 v11, v6, v2
	v_mul_f32_e32 v25, v11, v11
	v_mov_b32_e32 v7, 0x3ecc95a3
	v_fmac_f32_e32 v7, 0x3e9b6dac, v25
	v_sub_f32_e32 v6, v11, v6
	v_fmaak_f32 v7, v25, v7, 0x3f2aaada
	v_sub_f32_e32 v2, v2, v6
	v_mul_f32_e32 v25, v11, v25
	v_mov_b32_e32 v6, 0x3f317218
	v_pk_mul_f32 v[6:7], v[24:25], v[6:7]
	v_ldexp_f32 v27, v11, 1
	v_fma_f32 v11, v24, s4, -v6
	v_fmamk_f32 v26, v24, 0xb102e308, v11
	v_pk_add_f32 v[24:25], v[6:7], v[26:27]
	v_ldexp_f32 v2, v2, 1
	v_sub_f32_e32 v11, v25, v27
	v_sub_f32_e32 v11, v7, v11
	v_add_f32_e32 v65, v2, v11
	v_mov_b32_e32 v64, v6
	v_pk_add_f32 v[6:7], v[24:25], v[6:7] neg_lo:[0,1] neg_hi:[0,1]
	v_pk_add_f32 v[66:67], v[24:25], v[64:65]
	v_mov_b32_e32 v27, v24
	v_mov_b32_e32 v7, v67
	v_pk_add_f32 v[68:69], v[26:27], v[6:7] neg_lo:[0,1] neg_hi:[0,1]
	v_pk_add_f32 v[6:7], v[26:27], v[6:7]
	s_mov_b32 s4, 0x33800000
	v_mov_b32_e32 v2, v7
	v_pk_add_f32 v[26:27], v[2:3], v[24:25] neg_lo:[0,1] neg_hi:[0,1]
	v_mov_b32_e32 v6, v67
	v_mov_b32_e32 v11, v26
	v_pk_add_f32 v[70:71], v[66:67], v[10:11] neg_lo:[0,1] neg_hi:[0,1]
	v_mov_b32_e32 v66, v25
	v_mov_b32_e32 v67, v26
	;; [unrolled: 1-line block ×3, first 2 shown]
	v_pk_add_f32 v[6:7], v[6:7], v[66:67] neg_lo:[0,1] neg_hi:[0,1]
	v_mov_b32_e32 v26, v65
	v_mov_b32_e32 v27, v24
	v_pk_add_f32 v[6:7], v[26:27], v[6:7] neg_lo:[0,1] neg_hi:[0,1]
	v_mov_b32_e32 v70, v68
	v_pk_add_f32 v[24:25], v[70:71], v[6:7]
	v_cmp_lt_f32_e64 s[4:5], |v19|, s4
	v_mov_b32_e32 v20, v25
	v_pk_add_f32 v[26:27], v[24:25], v[20:21]
	s_or_b64 vcc, vcc, s[4:5]
	v_pk_add_f32 v[64:65], v[2:3], v[26:27]
	v_mov_b32_e32 v7, v26
	v_mov_b32_e32 v25, v64
	v_pk_add_f32 v[66:67], v[24:25], v[68:69] neg_lo:[0,1] neg_hi:[0,1]
	s_nop 0
	v_sub_f32_e32 v2, v24, v66
	v_pk_add_f32 v[6:7], v[6:7], v[66:67] neg_lo:[0,1] neg_hi:[0,1]
	v_sub_f32_e32 v2, v68, v2
	v_add_f32_e32 v2, v6, v2
	v_add_f32_e32 v2, v2, v7
	v_add_f32_e32 v2, v64, v2
	v_cndmask_b32_e32 v2, v2, v19, vcc
	v_add_f32_e32 v2, v3, v2
	v_cvt_f16_f32_e32 v70, v2
	v_cvt_f32_f16_e32 v2, v70
	v_mov_b32_e32 v64, v70
.LBB360_378:
	s_or_b64 exec, exec, s[2:3]
	v_max_f32_e32 v3, v49, v49
	v_max_f32_e32 v7, v2, v2
	v_min_f32_e32 v6, v7, v3
	v_cmp_u_f16_e32 vcc, v70, v70
	v_max_f32_e32 v3, v7, v3
	s_movk_i32 s4, 0x1f8
	v_cndmask_b32_e32 v6, v6, v2, vcc
	v_cndmask_b32_e32 v3, v3, v2, vcc
	v_cndmask_b32_e64 v6, v6, v49, s[22:23]
	v_cndmask_b32_e64 v3, v3, v49, s[22:23]
	v_cmp_neq_f32_e32 vcc, v6, v3
	v_cmp_class_f32_e64 s[2:3], v6, s4
	s_or_b64 s[6:7], vcc, s[2:3]
	v_mov_b32_e32 v49, v64
	s_and_saveexec_b64 s[2:3], s[6:7]
	s_cbranch_execz .LBB360_380
; %bb.379:
	v_sub_f32_e32 v2, v6, v3
	s_mov_b32 s5, 0x3fb8aa3b
	v_mul_f32_e32 v6, 0x3fb8aa3b, v2
	v_fma_f32 v7, v2, s5, -v6
	v_rndne_f32_e32 v11, v6
	v_fmamk_f32 v7, v2, 0x32a5705f, v7
	v_sub_f32_e32 v6, v6, v11
	v_add_f32_e32 v6, v6, v7
	v_exp_f32_e32 v6, v6
	v_cvt_i32_f32_e32 v7, v11
	s_mov_b32 s5, 0xc2ce8ed0
	v_cmp_ngt_f32_e32 vcc, s5, v2
	s_mov_b32 s5, 0x42b17218
	v_ldexp_f32 v6, v6, v7
	v_cndmask_b32_e32 v6, 0, v6, vcc
	v_mov_b32_e32 v7, 0x7f800000
	v_cmp_nlt_f32_e32 vcc, s5, v2
	s_mov_b32 s5, 0x3f2aaaab
	s_mov_b32 s6, 0x7f800000
	v_cndmask_b32_e32 v19, v7, v6, vcc
	v_add_f32_e32 v2, 1.0, v19
	v_add_f32_e32 v6, -1.0, v2
	v_sub_f32_e32 v7, v6, v2
	v_add_f32_e32 v7, 1.0, v7
	v_sub_f32_e32 v6, v19, v6
	v_add_f32_e32 v11, v6, v7
	v_frexp_mant_f32_e32 v20, v2
	v_cvt_f64_f32_e32 v[6:7], v2
	v_frexp_exp_i32_f64_e32 v6, v[6:7]
	v_cmp_gt_f32_e32 vcc, s5, v20
	s_mov_b32 s5, 0x3f317218
	s_nop 0
	v_subbrev_co_u32_e32 v20, vcc, 0, v6, vcc
	v_sub_u32_e32 v6, 0, v20
	v_ldexp_f32 v2, v2, v6
	v_ldexp_f32 v6, v11, v6
	v_add_f32_e32 v11, -1.0, v2
	v_add_f32_e32 v7, 1.0, v11
	v_sub_f32_e32 v7, v2, v7
	v_add_f32_e32 v24, v6, v7
	v_add_f32_e32 v7, 1.0, v2
	v_add_f32_e32 v25, -1.0, v7
	v_sub_f32_e32 v2, v2, v25
	v_add_f32_e32 v2, v6, v2
	v_add_f32_e32 v49, v7, v2
	v_rcp_f32_e32 v65, v49
	v_sub_f32_e32 v6, v7, v49
	v_add_f32_e32 v7, v11, v24
	v_add_f32_e32 v2, v2, v6
	v_sub_f32_e32 v6, v11, v7
	v_mul_f32_e32 v68, v7, v65
	v_add_f32_e32 v11, v24, v6
	v_mul_f32_e32 v24, v49, v68
	v_fma_f32 v26, v68, v49, -v24
	v_fmac_f32_e32 v26, v68, v2
	v_add_f32_e32 v6, v24, v26
	v_sub_f32_e32 v25, v7, v6
	v_pk_add_f32 v[66:67], v[6:7], v[24:25] neg_lo:[0,1] neg_hi:[0,1]
	v_mov_b32_e32 v27, v6
	v_pk_add_f32 v[6:7], v[66:67], v[26:27] neg_lo:[0,1] neg_hi:[0,1]
	v_cmp_eq_f32_e32 vcc, s6, v19
	v_add_f32_e32 v7, v11, v7
	v_add_f32_e32 v6, v6, v7
	;; [unrolled: 1-line block ×3, first 2 shown]
	v_mul_f32_e32 v11, v65, v7
	v_mul_f32_e32 v24, v49, v11
	v_fma_f32 v26, v11, v49, -v24
	v_fmac_f32_e32 v26, v11, v2
	v_sub_f32_e32 v2, v25, v7
	v_add_f32_e32 v2, v6, v2
	v_add_f32_e32 v6, v24, v26
	v_sub_f32_e32 v25, v7, v6
	v_pk_add_f32 v[66:67], v[6:7], v[24:25] neg_lo:[0,1] neg_hi:[0,1]
	v_mov_b32_e32 v27, v6
	v_pk_add_f32 v[6:7], v[66:67], v[26:27] neg_lo:[0,1] neg_hi:[0,1]
	v_cvt_f32_i32_e32 v24, v20
	v_add_f32_e32 v2, v2, v7
	v_add_f32_e32 v2, v6, v2
	;; [unrolled: 1-line block ×4, first 2 shown]
	v_sub_f32_e32 v7, v6, v68
	v_mul_f32_e32 v2, v65, v2
	v_sub_f32_e32 v7, v11, v7
	v_add_f32_e32 v2, v7, v2
	v_add_f32_e32 v11, v6, v2
	v_mul_f32_e32 v25, v11, v11
	v_mov_b32_e32 v7, 0x3ecc95a3
	v_fmac_f32_e32 v7, 0x3e9b6dac, v25
	v_sub_f32_e32 v6, v11, v6
	v_fmaak_f32 v7, v25, v7, 0x3f2aaada
	v_sub_f32_e32 v2, v2, v6
	v_mul_f32_e32 v25, v11, v25
	v_mov_b32_e32 v6, 0x3f317218
	v_pk_mul_f32 v[6:7], v[24:25], v[6:7]
	v_ldexp_f32 v27, v11, 1
	v_fma_f32 v11, v24, s5, -v6
	v_fmamk_f32 v26, v24, 0xb102e308, v11
	v_pk_add_f32 v[24:25], v[6:7], v[26:27]
	v_ldexp_f32 v2, v2, 1
	v_sub_f32_e32 v11, v25, v27
	v_sub_f32_e32 v11, v7, v11
	v_add_f32_e32 v67, v2, v11
	v_mov_b32_e32 v66, v6
	v_pk_add_f32 v[6:7], v[24:25], v[6:7] neg_lo:[0,1] neg_hi:[0,1]
	v_pk_add_f32 v[68:69], v[24:25], v[66:67]
	v_mov_b32_e32 v27, v24
	v_mov_b32_e32 v7, v69
	v_pk_add_f32 v[70:71], v[26:27], v[6:7] neg_lo:[0,1] neg_hi:[0,1]
	v_pk_add_f32 v[6:7], v[26:27], v[6:7]
	s_mov_b32 s5, 0x33800000
	v_mov_b32_e32 v2, v7
	v_pk_add_f32 v[26:27], v[2:3], v[24:25] neg_lo:[0,1] neg_hi:[0,1]
	v_mov_b32_e32 v6, v69
	v_mov_b32_e32 v11, v26
	v_pk_add_f32 v[80:81], v[68:69], v[10:11] neg_lo:[0,1] neg_hi:[0,1]
	v_mov_b32_e32 v68, v25
	v_mov_b32_e32 v69, v26
	;; [unrolled: 1-line block ×3, first 2 shown]
	v_pk_add_f32 v[6:7], v[6:7], v[68:69] neg_lo:[0,1] neg_hi:[0,1]
	v_mov_b32_e32 v26, v67
	v_mov_b32_e32 v27, v24
	v_pk_add_f32 v[6:7], v[26:27], v[6:7] neg_lo:[0,1] neg_hi:[0,1]
	v_mov_b32_e32 v80, v70
	v_pk_add_f32 v[24:25], v[80:81], v[6:7]
	v_cmp_lt_f32_e64 s[6:7], |v19|, s5
	v_mov_b32_e32 v20, v25
	v_pk_add_f32 v[26:27], v[24:25], v[20:21]
	s_or_b64 vcc, vcc, s[6:7]
	v_pk_add_f32 v[66:67], v[2:3], v[26:27]
	v_mov_b32_e32 v7, v26
	v_mov_b32_e32 v25, v66
	v_pk_add_f32 v[68:69], v[24:25], v[70:71] neg_lo:[0,1] neg_hi:[0,1]
	s_nop 0
	v_sub_f32_e32 v2, v24, v68
	v_pk_add_f32 v[6:7], v[6:7], v[68:69] neg_lo:[0,1] neg_hi:[0,1]
	v_sub_f32_e32 v2, v70, v2
	v_add_f32_e32 v2, v6, v2
	v_add_f32_e32 v2, v2, v7
	v_add_f32_e32 v2, v66, v2
	v_cndmask_b32_e32 v2, v2, v19, vcc
	v_add_f32_e32 v2, v3, v2
	v_cvt_f16_f32_e32 v70, v2
	v_cvt_f32_f16_e32 v2, v70
	v_mov_b32_e32 v49, v70
.LBB360_380:
	s_or_b64 exec, exec, s[2:3]
	v_max_f32_e32 v3, v21, v21
	v_max_f32_e32 v7, v2, v2
	v_min_f32_e32 v6, v7, v3
	v_cmp_u_f16_e32 vcc, v70, v70
	v_max_f32_e32 v3, v7, v3
	v_mov_b32_e32 v65, v49
	v_cndmask_b32_e32 v6, v6, v2, vcc
	v_cndmask_b32_e32 v3, v3, v2, vcc
	v_cndmask_b32_e64 v6, v6, v21, s[24:25]
	v_cndmask_b32_e64 v3, v3, v21, s[24:25]
	v_cmp_neq_f32_e32 vcc, v6, v3
	v_cmp_class_f32_e64 s[2:3], v6, s4
	s_or_b64 s[4:5], vcc, s[2:3]
	s_and_saveexec_b64 s[2:3], s[4:5]
	s_cbranch_execz .LBB360_382
; %bb.381:
	v_sub_f32_e32 v2, v6, v3
	s_mov_b32 s4, 0x3fb8aa3b
	v_mul_f32_e32 v6, 0x3fb8aa3b, v2
	v_fma_f32 v7, v2, s4, -v6
	v_rndne_f32_e32 v11, v6
	v_fmamk_f32 v7, v2, 0x32a5705f, v7
	v_sub_f32_e32 v6, v6, v11
	v_add_f32_e32 v6, v6, v7
	v_exp_f32_e32 v6, v6
	v_cvt_i32_f32_e32 v7, v11
	s_mov_b32 s4, 0xc2ce8ed0
	v_cmp_ngt_f32_e32 vcc, s4, v2
	s_mov_b32 s4, 0x42b17218
	v_ldexp_f32 v6, v6, v7
	v_cndmask_b32_e32 v6, 0, v6, vcc
	v_mov_b32_e32 v7, 0x7f800000
	v_cmp_nlt_f32_e32 vcc, s4, v2
	s_mov_b32 s4, 0x3f2aaaab
	s_mov_b32 s5, 0x7f800000
	v_cndmask_b32_e32 v19, v7, v6, vcc
	v_add_f32_e32 v2, 1.0, v19
	v_add_f32_e32 v6, -1.0, v2
	v_sub_f32_e32 v7, v6, v2
	v_add_f32_e32 v7, 1.0, v7
	v_sub_f32_e32 v6, v19, v6
	v_add_f32_e32 v11, v6, v7
	v_frexp_mant_f32_e32 v20, v2
	v_cvt_f64_f32_e32 v[6:7], v2
	v_frexp_exp_i32_f64_e32 v6, v[6:7]
	v_cmp_gt_f32_e32 vcc, s4, v20
	s_mov_b32 s4, 0x3f317218
	s_nop 0
	v_subbrev_co_u32_e32 v65, vcc, 0, v6, vcc
	v_sub_u32_e32 v6, 0, v65
	v_ldexp_f32 v2, v2, v6
	v_ldexp_f32 v6, v11, v6
	v_add_f32_e32 v11, -1.0, v2
	v_add_f32_e32 v7, 1.0, v11
	v_sub_f32_e32 v7, v2, v7
	v_add_f32_e32 v20, v6, v7
	v_add_f32_e32 v7, 1.0, v2
	v_add_f32_e32 v21, -1.0, v7
	v_sub_f32_e32 v2, v2, v21
	v_add_f32_e32 v2, v6, v2
	v_add_f32_e32 v66, v7, v2
	v_rcp_f32_e32 v67, v66
	v_sub_f32_e32 v6, v7, v66
	v_add_f32_e32 v7, v11, v20
	v_add_f32_e32 v2, v2, v6
	v_sub_f32_e32 v6, v11, v7
	v_mul_f32_e32 v68, v7, v67
	v_add_f32_e32 v11, v20, v6
	v_mul_f32_e32 v20, v66, v68
	v_fma_f32 v24, v68, v66, -v20
	v_fmac_f32_e32 v24, v68, v2
	v_add_f32_e32 v6, v20, v24
	v_sub_f32_e32 v21, v7, v6
	v_pk_add_f32 v[26:27], v[6:7], v[20:21] neg_lo:[0,1] neg_hi:[0,1]
	v_mov_b32_e32 v25, v6
	v_pk_add_f32 v[6:7], v[26:27], v[24:25] neg_lo:[0,1] neg_hi:[0,1]
	v_cmp_eq_f32_e32 vcc, s5, v19
	v_add_f32_e32 v7, v11, v7
	v_add_f32_e32 v6, v6, v7
	;; [unrolled: 1-line block ×3, first 2 shown]
	v_mul_f32_e32 v11, v67, v7
	v_mul_f32_e32 v20, v66, v11
	v_fma_f32 v24, v11, v66, -v20
	v_fmac_f32_e32 v24, v11, v2
	v_sub_f32_e32 v2, v21, v7
	v_add_f32_e32 v2, v6, v2
	v_add_f32_e32 v6, v20, v24
	v_sub_f32_e32 v21, v7, v6
	v_pk_add_f32 v[26:27], v[6:7], v[20:21] neg_lo:[0,1] neg_hi:[0,1]
	v_mov_b32_e32 v25, v6
	v_pk_add_f32 v[6:7], v[26:27], v[24:25] neg_lo:[0,1] neg_hi:[0,1]
	v_cvt_f32_i32_e32 v20, v65
	v_add_f32_e32 v2, v2, v7
	v_add_f32_e32 v2, v6, v2
	;; [unrolled: 1-line block ×4, first 2 shown]
	v_sub_f32_e32 v7, v6, v68
	v_mul_f32_e32 v2, v67, v2
	v_sub_f32_e32 v7, v11, v7
	v_add_f32_e32 v2, v7, v2
	v_add_f32_e32 v11, v6, v2
	v_mul_f32_e32 v21, v11, v11
	v_mov_b32_e32 v7, 0x3ecc95a3
	v_fmac_f32_e32 v7, 0x3e9b6dac, v21
	v_sub_f32_e32 v6, v11, v6
	v_fmaak_f32 v7, v21, v7, 0x3f2aaada
	v_sub_f32_e32 v2, v2, v6
	v_mul_f32_e32 v21, v11, v21
	v_mov_b32_e32 v6, 0x3f317218
	v_pk_mul_f32 v[6:7], v[20:21], v[6:7]
	v_ldexp_f32 v25, v11, 1
	v_fma_f32 v11, v20, s4, -v6
	v_fmamk_f32 v24, v20, 0xb102e308, v11
	v_pk_add_f32 v[20:21], v[6:7], v[24:25]
	v_ldexp_f32 v2, v2, 1
	v_sub_f32_e32 v11, v21, v25
	v_sub_f32_e32 v11, v7, v11
	v_add_f32_e32 v27, v2, v11
	v_mov_b32_e32 v26, v6
	v_pk_add_f32 v[6:7], v[20:21], v[6:7] neg_lo:[0,1] neg_hi:[0,1]
	v_pk_add_f32 v[66:67], v[20:21], v[26:27]
	v_mov_b32_e32 v25, v20
	v_mov_b32_e32 v7, v67
	v_pk_add_f32 v[68:69], v[24:25], v[6:7] neg_lo:[0,1] neg_hi:[0,1]
	v_pk_add_f32 v[6:7], v[24:25], v[6:7]
	s_mov_b32 s4, 0x33800000
	v_mov_b32_e32 v2, v7
	v_pk_add_f32 v[24:25], v[2:3], v[20:21] neg_lo:[0,1] neg_hi:[0,1]
	v_mov_b32_e32 v6, v67
	v_mov_b32_e32 v11, v24
	v_pk_add_f32 v[70:71], v[66:67], v[10:11] neg_lo:[0,1] neg_hi:[0,1]
	v_mov_b32_e32 v66, v21
	v_mov_b32_e32 v67, v24
	;; [unrolled: 1-line block ×3, first 2 shown]
	v_pk_add_f32 v[6:7], v[6:7], v[66:67] neg_lo:[0,1] neg_hi:[0,1]
	v_mov_b32_e32 v24, v27
	v_mov_b32_e32 v25, v20
	v_pk_add_f32 v[6:7], v[24:25], v[6:7] neg_lo:[0,1] neg_hi:[0,1]
	v_mov_b32_e32 v70, v68
	v_pk_add_f32 v[20:21], v[70:71], v[6:7]
	v_cmp_lt_f32_e64 s[4:5], |v19|, s4
	v_mov_b32_e32 v24, v21
	v_pk_add_f32 v[24:25], v[20:21], v[24:25]
	s_or_b64 vcc, vcc, s[4:5]
	v_pk_add_f32 v[26:27], v[2:3], v[24:25]
	v_mov_b32_e32 v7, v24
	v_mov_b32_e32 v21, v26
	v_pk_add_f32 v[66:67], v[20:21], v[68:69] neg_lo:[0,1] neg_hi:[0,1]
	s_nop 0
	v_sub_f32_e32 v2, v20, v66
	v_pk_add_f32 v[6:7], v[6:7], v[66:67] neg_lo:[0,1] neg_hi:[0,1]
	v_sub_f32_e32 v2, v68, v2
	v_add_f32_e32 v2, v6, v2
	v_add_f32_e32 v2, v2, v7
	;; [unrolled: 1-line block ×3, first 2 shown]
	v_cndmask_b32_e32 v2, v2, v19, vcc
	v_add_f32_e32 v2, v3, v2
	v_cvt_f16_f32_e32 v70, v2
	v_cvt_f32_f16_e32 v2, v70
	v_mov_b32_e32 v65, v70
.LBB360_382:
	s_or_b64 exec, exec, s[2:3]
	v_max_f32_e32 v3, v50, v50
	v_max_f32_e32 v7, v2, v2
	v_min_f32_e32 v6, v7, v3
	v_cmp_u_f16_e32 vcc, v70, v70
	v_max_f32_e32 v3, v7, v3
	s_movk_i32 s4, 0x1f8
	v_cndmask_b32_e32 v6, v6, v2, vcc
	v_cndmask_b32_e32 v3, v3, v2, vcc
	v_cndmask_b32_e64 v6, v6, v50, s[26:27]
	v_cndmask_b32_e64 v3, v3, v50, s[26:27]
	v_cmp_neq_f32_e32 vcc, v6, v3
	v_cmp_class_f32_e64 s[2:3], v6, s4
	s_or_b64 s[6:7], vcc, s[2:3]
	v_mov_b32_e32 v50, v65
	s_and_saveexec_b64 s[2:3], s[6:7]
	s_cbranch_execz .LBB360_384
; %bb.383:
	v_sub_f32_e32 v2, v6, v3
	s_mov_b32 s5, 0x3fb8aa3b
	v_mul_f32_e32 v6, 0x3fb8aa3b, v2
	v_fma_f32 v7, v2, s5, -v6
	v_rndne_f32_e32 v11, v6
	v_fmamk_f32 v7, v2, 0x32a5705f, v7
	v_sub_f32_e32 v6, v6, v11
	v_add_f32_e32 v6, v6, v7
	v_exp_f32_e32 v6, v6
	v_cvt_i32_f32_e32 v7, v11
	s_mov_b32 s5, 0xc2ce8ed0
	v_cmp_ngt_f32_e32 vcc, s5, v2
	s_mov_b32 s5, 0x42b17218
	v_ldexp_f32 v6, v6, v7
	v_cndmask_b32_e32 v6, 0, v6, vcc
	v_mov_b32_e32 v7, 0x7f800000
	v_cmp_nlt_f32_e32 vcc, s5, v2
	s_mov_b32 s5, 0x3f2aaaab
	s_mov_b32 s6, 0x7f800000
	v_cndmask_b32_e32 v19, v7, v6, vcc
	v_add_f32_e32 v2, 1.0, v19
	v_add_f32_e32 v6, -1.0, v2
	v_sub_f32_e32 v7, v6, v2
	v_add_f32_e32 v7, 1.0, v7
	v_sub_f32_e32 v6, v19, v6
	v_add_f32_e32 v11, v6, v7
	v_frexp_mant_f32_e32 v20, v2
	v_cvt_f64_f32_e32 v[6:7], v2
	v_frexp_exp_i32_f64_e32 v6, v[6:7]
	v_cmp_gt_f32_e32 vcc, s5, v20
	s_mov_b32 s5, 0x3f317218
	s_nop 0
	v_subbrev_co_u32_e32 v50, vcc, 0, v6, vcc
	v_sub_u32_e32 v6, 0, v50
	v_ldexp_f32 v2, v2, v6
	v_ldexp_f32 v6, v11, v6
	v_add_f32_e32 v11, -1.0, v2
	v_add_f32_e32 v7, 1.0, v11
	v_sub_f32_e32 v7, v2, v7
	v_add_f32_e32 v20, v6, v7
	v_add_f32_e32 v7, 1.0, v2
	v_add_f32_e32 v21, -1.0, v7
	v_sub_f32_e32 v2, v2, v21
	v_add_f32_e32 v2, v6, v2
	v_add_f32_e32 v66, v7, v2
	v_rcp_f32_e32 v67, v66
	v_sub_f32_e32 v6, v7, v66
	v_add_f32_e32 v7, v11, v20
	v_add_f32_e32 v2, v2, v6
	v_sub_f32_e32 v6, v11, v7
	v_mul_f32_e32 v68, v7, v67
	v_add_f32_e32 v11, v20, v6
	v_mul_f32_e32 v20, v66, v68
	v_fma_f32 v24, v68, v66, -v20
	v_fmac_f32_e32 v24, v68, v2
	v_add_f32_e32 v6, v20, v24
	v_sub_f32_e32 v21, v7, v6
	v_pk_add_f32 v[26:27], v[6:7], v[20:21] neg_lo:[0,1] neg_hi:[0,1]
	v_mov_b32_e32 v25, v6
	v_pk_add_f32 v[6:7], v[26:27], v[24:25] neg_lo:[0,1] neg_hi:[0,1]
	v_cmp_eq_f32_e32 vcc, s6, v19
	v_add_f32_e32 v7, v11, v7
	v_add_f32_e32 v6, v6, v7
	;; [unrolled: 1-line block ×3, first 2 shown]
	v_mul_f32_e32 v11, v67, v7
	v_mul_f32_e32 v20, v66, v11
	v_fma_f32 v24, v11, v66, -v20
	v_fmac_f32_e32 v24, v11, v2
	v_sub_f32_e32 v2, v21, v7
	v_add_f32_e32 v2, v6, v2
	v_add_f32_e32 v6, v20, v24
	v_sub_f32_e32 v21, v7, v6
	v_pk_add_f32 v[26:27], v[6:7], v[20:21] neg_lo:[0,1] neg_hi:[0,1]
	v_mov_b32_e32 v25, v6
	v_pk_add_f32 v[6:7], v[26:27], v[24:25] neg_lo:[0,1] neg_hi:[0,1]
	v_cvt_f32_i32_e32 v20, v50
	v_add_f32_e32 v2, v2, v7
	v_add_f32_e32 v2, v6, v2
	;; [unrolled: 1-line block ×4, first 2 shown]
	v_sub_f32_e32 v7, v6, v68
	v_mul_f32_e32 v2, v67, v2
	v_sub_f32_e32 v7, v11, v7
	v_add_f32_e32 v2, v7, v2
	v_add_f32_e32 v11, v6, v2
	v_mul_f32_e32 v21, v11, v11
	v_mov_b32_e32 v7, 0x3ecc95a3
	v_fmac_f32_e32 v7, 0x3e9b6dac, v21
	v_sub_f32_e32 v6, v11, v6
	v_fmaak_f32 v7, v21, v7, 0x3f2aaada
	v_sub_f32_e32 v2, v2, v6
	v_mul_f32_e32 v21, v11, v21
	v_mov_b32_e32 v6, 0x3f317218
	v_pk_mul_f32 v[6:7], v[20:21], v[6:7]
	v_ldexp_f32 v25, v11, 1
	v_fma_f32 v11, v20, s5, -v6
	v_fmamk_f32 v24, v20, 0xb102e308, v11
	v_pk_add_f32 v[20:21], v[6:7], v[24:25]
	v_ldexp_f32 v2, v2, 1
	v_sub_f32_e32 v11, v21, v25
	v_sub_f32_e32 v11, v7, v11
	v_add_f32_e32 v27, v2, v11
	v_mov_b32_e32 v26, v6
	v_pk_add_f32 v[6:7], v[20:21], v[6:7] neg_lo:[0,1] neg_hi:[0,1]
	v_pk_add_f32 v[66:67], v[20:21], v[26:27]
	v_mov_b32_e32 v25, v20
	v_mov_b32_e32 v7, v67
	v_pk_add_f32 v[68:69], v[24:25], v[6:7] neg_lo:[0,1] neg_hi:[0,1]
	v_pk_add_f32 v[6:7], v[24:25], v[6:7]
	s_mov_b32 s5, 0x33800000
	v_mov_b32_e32 v2, v7
	v_pk_add_f32 v[24:25], v[2:3], v[20:21] neg_lo:[0,1] neg_hi:[0,1]
	v_mov_b32_e32 v6, v67
	v_mov_b32_e32 v11, v24
	v_pk_add_f32 v[70:71], v[66:67], v[10:11] neg_lo:[0,1] neg_hi:[0,1]
	v_mov_b32_e32 v66, v21
	v_mov_b32_e32 v67, v24
	;; [unrolled: 1-line block ×3, first 2 shown]
	v_pk_add_f32 v[6:7], v[6:7], v[66:67] neg_lo:[0,1] neg_hi:[0,1]
	v_mov_b32_e32 v24, v27
	v_mov_b32_e32 v25, v20
	v_pk_add_f32 v[6:7], v[24:25], v[6:7] neg_lo:[0,1] neg_hi:[0,1]
	v_mov_b32_e32 v70, v68
	v_pk_add_f32 v[20:21], v[70:71], v[6:7]
	v_cmp_lt_f32_e64 s[6:7], |v19|, s5
	v_mov_b32_e32 v24, v21
	v_pk_add_f32 v[24:25], v[20:21], v[24:25]
	s_or_b64 vcc, vcc, s[6:7]
	v_pk_add_f32 v[26:27], v[2:3], v[24:25]
	v_mov_b32_e32 v7, v24
	v_mov_b32_e32 v21, v26
	v_pk_add_f32 v[66:67], v[20:21], v[68:69] neg_lo:[0,1] neg_hi:[0,1]
	s_nop 0
	v_sub_f32_e32 v2, v20, v66
	v_pk_add_f32 v[6:7], v[6:7], v[66:67] neg_lo:[0,1] neg_hi:[0,1]
	v_sub_f32_e32 v2, v68, v2
	v_add_f32_e32 v2, v6, v2
	v_add_f32_e32 v2, v2, v7
	;; [unrolled: 1-line block ×3, first 2 shown]
	v_cndmask_b32_e32 v2, v2, v19, vcc
	v_add_f32_e32 v2, v3, v2
	v_cvt_f16_f32_e32 v70, v2
	v_cvt_f32_f16_e32 v2, v70
	v_mov_b32_e32 v50, v70
.LBB360_384:
	s_or_b64 exec, exec, s[2:3]
	v_max_f32_e32 v3, v22, v22
	v_max_f32_e32 v7, v2, v2
	v_min_f32_e32 v6, v7, v3
	v_cmp_u_f16_e32 vcc, v70, v70
	v_max_f32_e32 v3, v7, v3
	v_mov_b32_e32 v66, v50
	v_cndmask_b32_e32 v6, v6, v2, vcc
	v_cndmask_b32_e32 v3, v3, v2, vcc
	v_cndmask_b32_e64 v6, v6, v22, s[28:29]
	v_cndmask_b32_e64 v3, v3, v22, s[28:29]
	v_cmp_neq_f32_e32 vcc, v6, v3
	v_cmp_class_f32_e64 s[2:3], v6, s4
	s_or_b64 s[4:5], vcc, s[2:3]
	s_and_saveexec_b64 s[2:3], s[4:5]
	s_cbranch_execz .LBB360_386
; %bb.385:
	v_sub_f32_e32 v2, v6, v3
	s_mov_b32 s4, 0x3fb8aa3b
	v_mul_f32_e32 v6, 0x3fb8aa3b, v2
	v_fma_f32 v7, v2, s4, -v6
	v_rndne_f32_e32 v11, v6
	v_fmamk_f32 v7, v2, 0x32a5705f, v7
	v_sub_f32_e32 v6, v6, v11
	v_add_f32_e32 v6, v6, v7
	v_exp_f32_e32 v6, v6
	v_cvt_i32_f32_e32 v7, v11
	s_mov_b32 s4, 0xc2ce8ed0
	v_cmp_ngt_f32_e32 vcc, s4, v2
	s_mov_b32 s4, 0x42b17218
	v_ldexp_f32 v6, v6, v7
	v_cndmask_b32_e32 v6, 0, v6, vcc
	v_mov_b32_e32 v7, 0x7f800000
	v_cmp_nlt_f32_e32 vcc, s4, v2
	s_mov_b32 s4, 0x3f2aaaab
	s_mov_b32 s5, 0x7f800000
	v_cndmask_b32_e32 v19, v7, v6, vcc
	v_add_f32_e32 v2, 1.0, v19
	v_add_f32_e32 v6, -1.0, v2
	v_sub_f32_e32 v7, v6, v2
	v_add_f32_e32 v7, 1.0, v7
	v_sub_f32_e32 v6, v19, v6
	v_add_f32_e32 v11, v6, v7
	v_frexp_mant_f32_e32 v20, v2
	v_cvt_f64_f32_e32 v[6:7], v2
	v_frexp_exp_i32_f64_e32 v6, v[6:7]
	v_cmp_gt_f32_e32 vcc, s4, v20
	s_mov_b32 s4, 0x3f317218
	s_nop 0
	v_subbrev_co_u32_e32 v22, vcc, 0, v6, vcc
	v_sub_u32_e32 v6, 0, v22
	v_ldexp_f32 v2, v2, v6
	v_ldexp_f32 v6, v11, v6
	v_add_f32_e32 v11, -1.0, v2
	v_add_f32_e32 v7, 1.0, v11
	v_sub_f32_e32 v7, v2, v7
	v_add_f32_e32 v20, v6, v7
	v_add_f32_e32 v7, 1.0, v2
	v_add_f32_e32 v21, -1.0, v7
	v_sub_f32_e32 v2, v2, v21
	v_add_f32_e32 v2, v6, v2
	v_add_f32_e32 v66, v7, v2
	v_rcp_f32_e32 v67, v66
	v_sub_f32_e32 v6, v7, v66
	v_add_f32_e32 v7, v11, v20
	v_add_f32_e32 v2, v2, v6
	v_sub_f32_e32 v6, v11, v7
	v_mul_f32_e32 v68, v7, v67
	v_add_f32_e32 v11, v20, v6
	v_mul_f32_e32 v20, v66, v68
	v_fma_f32 v24, v68, v66, -v20
	v_fmac_f32_e32 v24, v68, v2
	v_add_f32_e32 v6, v20, v24
	v_sub_f32_e32 v21, v7, v6
	v_pk_add_f32 v[26:27], v[6:7], v[20:21] neg_lo:[0,1] neg_hi:[0,1]
	v_mov_b32_e32 v25, v6
	v_pk_add_f32 v[6:7], v[26:27], v[24:25] neg_lo:[0,1] neg_hi:[0,1]
	v_cmp_eq_f32_e32 vcc, s5, v19
	v_add_f32_e32 v7, v11, v7
	v_add_f32_e32 v6, v6, v7
	;; [unrolled: 1-line block ×3, first 2 shown]
	v_mul_f32_e32 v11, v67, v7
	v_mul_f32_e32 v20, v66, v11
	v_fma_f32 v24, v11, v66, -v20
	v_fmac_f32_e32 v24, v11, v2
	v_sub_f32_e32 v2, v21, v7
	v_add_f32_e32 v2, v6, v2
	v_add_f32_e32 v6, v20, v24
	v_sub_f32_e32 v21, v7, v6
	v_pk_add_f32 v[26:27], v[6:7], v[20:21] neg_lo:[0,1] neg_hi:[0,1]
	v_mov_b32_e32 v25, v6
	v_pk_add_f32 v[6:7], v[26:27], v[24:25] neg_lo:[0,1] neg_hi:[0,1]
	v_cvt_f32_i32_e32 v20, v22
	v_add_f32_e32 v2, v2, v7
	v_add_f32_e32 v2, v6, v2
	;; [unrolled: 1-line block ×4, first 2 shown]
	v_sub_f32_e32 v7, v6, v68
	v_mul_f32_e32 v2, v67, v2
	v_sub_f32_e32 v7, v11, v7
	v_add_f32_e32 v2, v7, v2
	v_add_f32_e32 v11, v6, v2
	v_mul_f32_e32 v21, v11, v11
	v_mov_b32_e32 v7, 0x3ecc95a3
	v_fmac_f32_e32 v7, 0x3e9b6dac, v21
	v_sub_f32_e32 v6, v11, v6
	v_fmaak_f32 v7, v21, v7, 0x3f2aaada
	v_sub_f32_e32 v2, v2, v6
	v_mul_f32_e32 v21, v11, v21
	v_mov_b32_e32 v6, 0x3f317218
	v_pk_mul_f32 v[6:7], v[20:21], v[6:7]
	v_ldexp_f32 v25, v11, 1
	v_fma_f32 v11, v20, s4, -v6
	v_fmamk_f32 v24, v20, 0xb102e308, v11
	v_pk_add_f32 v[20:21], v[6:7], v[24:25]
	v_ldexp_f32 v2, v2, 1
	v_sub_f32_e32 v11, v21, v25
	v_sub_f32_e32 v11, v7, v11
	v_add_f32_e32 v27, v2, v11
	v_mov_b32_e32 v26, v6
	v_pk_add_f32 v[6:7], v[20:21], v[6:7] neg_lo:[0,1] neg_hi:[0,1]
	v_pk_add_f32 v[66:67], v[20:21], v[26:27]
	v_mov_b32_e32 v25, v20
	v_mov_b32_e32 v7, v67
	v_pk_add_f32 v[68:69], v[24:25], v[6:7] neg_lo:[0,1] neg_hi:[0,1]
	v_pk_add_f32 v[6:7], v[24:25], v[6:7]
	s_mov_b32 s4, 0x33800000
	v_mov_b32_e32 v2, v7
	v_pk_add_f32 v[24:25], v[2:3], v[20:21] neg_lo:[0,1] neg_hi:[0,1]
	v_mov_b32_e32 v6, v67
	v_mov_b32_e32 v11, v24
	v_pk_add_f32 v[70:71], v[66:67], v[10:11] neg_lo:[0,1] neg_hi:[0,1]
	v_mov_b32_e32 v66, v21
	v_mov_b32_e32 v67, v24
	;; [unrolled: 1-line block ×3, first 2 shown]
	v_pk_add_f32 v[6:7], v[6:7], v[66:67] neg_lo:[0,1] neg_hi:[0,1]
	v_mov_b32_e32 v24, v27
	v_mov_b32_e32 v25, v20
	v_pk_add_f32 v[6:7], v[24:25], v[6:7] neg_lo:[0,1] neg_hi:[0,1]
	v_mov_b32_e32 v70, v68
	v_pk_add_f32 v[20:21], v[70:71], v[6:7]
	v_cmp_lt_f32_e64 s[4:5], |v19|, s4
	v_mov_b32_e32 v22, v21
	v_pk_add_f32 v[24:25], v[20:21], v[22:23]
	s_or_b64 vcc, vcc, s[4:5]
	v_pk_add_f32 v[26:27], v[2:3], v[24:25]
	v_mov_b32_e32 v7, v24
	v_mov_b32_e32 v21, v26
	v_pk_add_f32 v[66:67], v[20:21], v[68:69] neg_lo:[0,1] neg_hi:[0,1]
	s_nop 0
	v_sub_f32_e32 v2, v20, v66
	v_pk_add_f32 v[6:7], v[6:7], v[66:67] neg_lo:[0,1] neg_hi:[0,1]
	v_sub_f32_e32 v2, v68, v2
	v_add_f32_e32 v2, v6, v2
	v_add_f32_e32 v2, v2, v7
	;; [unrolled: 1-line block ×3, first 2 shown]
	v_cndmask_b32_e32 v2, v2, v19, vcc
	v_add_f32_e32 v2, v3, v2
	v_cvt_f16_f32_e32 v70, v2
	v_cvt_f32_f16_e32 v2, v70
	v_mov_b32_e32 v66, v70
.LBB360_386:
	s_or_b64 exec, exec, s[2:3]
	v_max_f32_e32 v3, v51, v51
	v_max_f32_e32 v7, v2, v2
	v_min_f32_e32 v6, v7, v3
	v_cmp_u_f16_e32 vcc, v70, v70
	v_max_f32_e32 v3, v7, v3
	s_movk_i32 s4, 0x1f8
	v_cndmask_b32_e32 v6, v6, v2, vcc
	v_cndmask_b32_e32 v3, v3, v2, vcc
	v_cndmask_b32_e64 v6, v6, v51, s[30:31]
	v_cndmask_b32_e64 v3, v3, v51, s[30:31]
	v_cmp_neq_f32_e32 vcc, v6, v3
	v_cmp_class_f32_e64 s[2:3], v6, s4
	s_or_b64 s[6:7], vcc, s[2:3]
	v_mov_b32_e32 v51, v66
	s_and_saveexec_b64 s[2:3], s[6:7]
	s_cbranch_execz .LBB360_388
; %bb.387:
	v_sub_f32_e32 v2, v6, v3
	s_mov_b32 s5, 0x3fb8aa3b
	v_mul_f32_e32 v6, 0x3fb8aa3b, v2
	v_fma_f32 v7, v2, s5, -v6
	v_rndne_f32_e32 v11, v6
	v_fmamk_f32 v7, v2, 0x32a5705f, v7
	v_sub_f32_e32 v6, v6, v11
	v_add_f32_e32 v6, v6, v7
	v_exp_f32_e32 v6, v6
	v_cvt_i32_f32_e32 v7, v11
	s_mov_b32 s5, 0xc2ce8ed0
	v_cmp_ngt_f32_e32 vcc, s5, v2
	s_mov_b32 s5, 0x42b17218
	v_ldexp_f32 v6, v6, v7
	v_cndmask_b32_e32 v6, 0, v6, vcc
	v_mov_b32_e32 v7, 0x7f800000
	v_cmp_nlt_f32_e32 vcc, s5, v2
	s_mov_b32 s5, 0x3f2aaaab
	s_mov_b32 s6, 0x7f800000
	v_cndmask_b32_e32 v19, v7, v6, vcc
	v_add_f32_e32 v2, 1.0, v19
	v_add_f32_e32 v6, -1.0, v2
	v_sub_f32_e32 v7, v6, v2
	v_add_f32_e32 v7, 1.0, v7
	v_sub_f32_e32 v6, v19, v6
	v_add_f32_e32 v11, v6, v7
	v_frexp_mant_f32_e32 v20, v2
	v_cvt_f64_f32_e32 v[6:7], v2
	v_frexp_exp_i32_f64_e32 v6, v[6:7]
	v_cmp_gt_f32_e32 vcc, s5, v20
	s_mov_b32 s5, 0x3f317218
	s_nop 0
	v_subbrev_co_u32_e32 v22, vcc, 0, v6, vcc
	v_sub_u32_e32 v6, 0, v22
	v_ldexp_f32 v2, v2, v6
	v_ldexp_f32 v6, v11, v6
	v_add_f32_e32 v11, -1.0, v2
	v_add_f32_e32 v7, 1.0, v11
	v_sub_f32_e32 v7, v2, v7
	v_add_f32_e32 v20, v6, v7
	v_add_f32_e32 v7, 1.0, v2
	v_add_f32_e32 v21, -1.0, v7
	v_sub_f32_e32 v2, v2, v21
	v_add_f32_e32 v2, v6, v2
	v_add_f32_e32 v51, v7, v2
	v_rcp_f32_e32 v67, v51
	v_sub_f32_e32 v6, v7, v51
	v_add_f32_e32 v7, v11, v20
	v_add_f32_e32 v2, v2, v6
	v_sub_f32_e32 v6, v11, v7
	v_mul_f32_e32 v68, v7, v67
	v_add_f32_e32 v11, v20, v6
	v_mul_f32_e32 v20, v51, v68
	v_fma_f32 v24, v68, v51, -v20
	v_fmac_f32_e32 v24, v68, v2
	v_add_f32_e32 v6, v20, v24
	v_sub_f32_e32 v21, v7, v6
	v_pk_add_f32 v[26:27], v[6:7], v[20:21] neg_lo:[0,1] neg_hi:[0,1]
	v_mov_b32_e32 v25, v6
	v_pk_add_f32 v[6:7], v[26:27], v[24:25] neg_lo:[0,1] neg_hi:[0,1]
	v_cmp_eq_f32_e32 vcc, s6, v19
	v_add_f32_e32 v7, v11, v7
	v_add_f32_e32 v6, v6, v7
	;; [unrolled: 1-line block ×3, first 2 shown]
	v_mul_f32_e32 v11, v67, v7
	v_mul_f32_e32 v20, v51, v11
	v_fma_f32 v24, v11, v51, -v20
	v_fmac_f32_e32 v24, v11, v2
	v_sub_f32_e32 v2, v21, v7
	v_add_f32_e32 v2, v6, v2
	v_add_f32_e32 v6, v20, v24
	v_sub_f32_e32 v21, v7, v6
	v_pk_add_f32 v[26:27], v[6:7], v[20:21] neg_lo:[0,1] neg_hi:[0,1]
	v_mov_b32_e32 v25, v6
	v_pk_add_f32 v[6:7], v[26:27], v[24:25] neg_lo:[0,1] neg_hi:[0,1]
	v_cvt_f32_i32_e32 v20, v22
	v_add_f32_e32 v2, v2, v7
	v_add_f32_e32 v2, v6, v2
	;; [unrolled: 1-line block ×4, first 2 shown]
	v_sub_f32_e32 v7, v6, v68
	v_mul_f32_e32 v2, v67, v2
	v_sub_f32_e32 v7, v11, v7
	v_add_f32_e32 v2, v7, v2
	v_add_f32_e32 v11, v6, v2
	v_mul_f32_e32 v21, v11, v11
	v_mov_b32_e32 v7, 0x3ecc95a3
	v_fmac_f32_e32 v7, 0x3e9b6dac, v21
	v_sub_f32_e32 v6, v11, v6
	v_fmaak_f32 v7, v21, v7, 0x3f2aaada
	v_sub_f32_e32 v2, v2, v6
	v_mul_f32_e32 v21, v11, v21
	v_mov_b32_e32 v6, 0x3f317218
	v_pk_mul_f32 v[6:7], v[20:21], v[6:7]
	v_ldexp_f32 v25, v11, 1
	v_fma_f32 v11, v20, s5, -v6
	v_fmamk_f32 v24, v20, 0xb102e308, v11
	v_pk_add_f32 v[20:21], v[6:7], v[24:25]
	v_ldexp_f32 v2, v2, 1
	v_sub_f32_e32 v11, v21, v25
	v_sub_f32_e32 v11, v7, v11
	v_add_f32_e32 v27, v2, v11
	v_mov_b32_e32 v26, v6
	v_pk_add_f32 v[6:7], v[20:21], v[6:7] neg_lo:[0,1] neg_hi:[0,1]
	v_pk_add_f32 v[68:69], v[20:21], v[26:27]
	v_mov_b32_e32 v25, v20
	v_mov_b32_e32 v7, v69
	v_pk_add_f32 v[70:71], v[24:25], v[6:7] neg_lo:[0,1] neg_hi:[0,1]
	v_pk_add_f32 v[6:7], v[24:25], v[6:7]
	s_mov_b32 s5, 0x33800000
	v_mov_b32_e32 v2, v7
	v_pk_add_f32 v[24:25], v[2:3], v[20:21] neg_lo:[0,1] neg_hi:[0,1]
	v_mov_b32_e32 v6, v69
	v_mov_b32_e32 v11, v24
	v_pk_add_f32 v[80:81], v[68:69], v[10:11] neg_lo:[0,1] neg_hi:[0,1]
	v_mov_b32_e32 v68, v21
	v_mov_b32_e32 v69, v24
	;; [unrolled: 1-line block ×3, first 2 shown]
	v_pk_add_f32 v[6:7], v[6:7], v[68:69] neg_lo:[0,1] neg_hi:[0,1]
	v_mov_b32_e32 v24, v27
	v_mov_b32_e32 v25, v20
	v_pk_add_f32 v[6:7], v[24:25], v[6:7] neg_lo:[0,1] neg_hi:[0,1]
	v_mov_b32_e32 v80, v70
	v_pk_add_f32 v[20:21], v[80:81], v[6:7]
	v_cmp_lt_f32_e64 s[6:7], |v19|, s5
	v_mov_b32_e32 v22, v21
	v_pk_add_f32 v[24:25], v[20:21], v[22:23]
	s_or_b64 vcc, vcc, s[6:7]
	v_pk_add_f32 v[26:27], v[2:3], v[24:25]
	v_mov_b32_e32 v7, v24
	v_mov_b32_e32 v21, v26
	v_pk_add_f32 v[68:69], v[20:21], v[70:71] neg_lo:[0,1] neg_hi:[0,1]
	s_nop 0
	v_sub_f32_e32 v2, v20, v68
	v_pk_add_f32 v[6:7], v[6:7], v[68:69] neg_lo:[0,1] neg_hi:[0,1]
	v_sub_f32_e32 v2, v70, v2
	v_add_f32_e32 v2, v6, v2
	v_add_f32_e32 v2, v2, v7
	;; [unrolled: 1-line block ×3, first 2 shown]
	v_cndmask_b32_e32 v2, v2, v19, vcc
	v_add_f32_e32 v2, v3, v2
	v_cvt_f16_f32_e32 v70, v2
	v_cvt_f32_f16_e32 v2, v70
	v_mov_b32_e32 v51, v70
.LBB360_388:
	s_or_b64 exec, exec, s[2:3]
	v_max_f32_e32 v3, v23, v23
	v_max_f32_e32 v7, v2, v2
	v_min_f32_e32 v6, v7, v3
	v_cmp_u_f16_e32 vcc, v70, v70
	v_max_f32_e32 v3, v7, v3
	v_mov_b32_e32 v67, v51
	v_cndmask_b32_e32 v6, v6, v2, vcc
	v_cndmask_b32_e32 v3, v3, v2, vcc
	v_cndmask_b32_e64 v6, v6, v23, s[34:35]
	v_cndmask_b32_e64 v3, v3, v23, s[34:35]
	v_cmp_neq_f32_e32 vcc, v6, v3
	v_cmp_class_f32_e64 s[2:3], v6, s4
	s_or_b64 s[4:5], vcc, s[2:3]
	s_and_saveexec_b64 s[2:3], s[4:5]
	s_cbranch_execz .LBB360_390
; %bb.389:
	v_sub_f32_e32 v2, v6, v3
	s_mov_b32 s4, 0x3fb8aa3b
	v_mul_f32_e32 v6, 0x3fb8aa3b, v2
	v_fma_f32 v7, v2, s4, -v6
	v_rndne_f32_e32 v11, v6
	v_fmamk_f32 v7, v2, 0x32a5705f, v7
	v_sub_f32_e32 v6, v6, v11
	v_add_f32_e32 v6, v6, v7
	v_exp_f32_e32 v6, v6
	v_cvt_i32_f32_e32 v7, v11
	s_mov_b32 s4, 0xc2ce8ed0
	v_cmp_ngt_f32_e32 vcc, s4, v2
	s_mov_b32 s4, 0x42b17218
	v_ldexp_f32 v6, v6, v7
	v_cndmask_b32_e32 v6, 0, v6, vcc
	v_mov_b32_e32 v7, 0x7f800000
	v_cmp_nlt_f32_e32 vcc, s4, v2
	s_mov_b32 s4, 0x3f2aaaab
	s_mov_b32 s5, 0x7f800000
	v_cndmask_b32_e32 v19, v7, v6, vcc
	v_add_f32_e32 v2, 1.0, v19
	v_add_f32_e32 v6, -1.0, v2
	v_sub_f32_e32 v7, v6, v2
	v_add_f32_e32 v7, 1.0, v7
	v_sub_f32_e32 v6, v19, v6
	v_add_f32_e32 v11, v6, v7
	v_frexp_mant_f32_e32 v20, v2
	v_cvt_f64_f32_e32 v[6:7], v2
	v_frexp_exp_i32_f64_e32 v6, v[6:7]
	v_cmp_gt_f32_e32 vcc, s4, v20
	s_mov_b32 s4, 0x3f317218
	s_nop 0
	v_subbrev_co_u32_e32 v26, vcc, 0, v6, vcc
	v_sub_u32_e32 v6, 0, v26
	v_ldexp_f32 v2, v2, v6
	v_ldexp_f32 v6, v11, v6
	v_add_f32_e32 v11, -1.0, v2
	v_add_f32_e32 v7, 1.0, v11
	v_sub_f32_e32 v7, v2, v7
	v_add_f32_e32 v20, v6, v7
	v_add_f32_e32 v7, 1.0, v2
	v_add_f32_e32 v21, -1.0, v7
	v_sub_f32_e32 v2, v2, v21
	v_add_f32_e32 v2, v6, v2
	v_add_f32_e32 v27, v7, v2
	v_rcp_f32_e32 v67, v27
	v_sub_f32_e32 v6, v7, v27
	v_add_f32_e32 v7, v11, v20
	v_add_f32_e32 v2, v2, v6
	v_sub_f32_e32 v6, v11, v7
	v_mul_f32_e32 v68, v7, v67
	v_add_f32_e32 v11, v20, v6
	v_mul_f32_e32 v20, v27, v68
	v_fma_f32 v22, v68, v27, -v20
	v_fmac_f32_e32 v22, v68, v2
	v_add_f32_e32 v6, v20, v22
	v_sub_f32_e32 v21, v7, v6
	v_pk_add_f32 v[24:25], v[6:7], v[20:21] neg_lo:[0,1] neg_hi:[0,1]
	v_mov_b32_e32 v23, v6
	v_pk_add_f32 v[6:7], v[24:25], v[22:23] neg_lo:[0,1] neg_hi:[0,1]
	v_cmp_eq_f32_e32 vcc, s5, v19
	v_add_f32_e32 v7, v11, v7
	v_add_f32_e32 v6, v6, v7
	;; [unrolled: 1-line block ×3, first 2 shown]
	v_mul_f32_e32 v11, v67, v7
	v_mul_f32_e32 v20, v27, v11
	v_fma_f32 v22, v11, v27, -v20
	v_fmac_f32_e32 v22, v11, v2
	v_sub_f32_e32 v2, v21, v7
	v_add_f32_e32 v2, v6, v2
	v_add_f32_e32 v6, v20, v22
	v_sub_f32_e32 v21, v7, v6
	v_pk_add_f32 v[24:25], v[6:7], v[20:21] neg_lo:[0,1] neg_hi:[0,1]
	v_mov_b32_e32 v23, v6
	v_pk_add_f32 v[6:7], v[24:25], v[22:23] neg_lo:[0,1] neg_hi:[0,1]
	v_cvt_f32_i32_e32 v20, v26
	v_add_f32_e32 v2, v2, v7
	v_add_f32_e32 v2, v6, v2
	;; [unrolled: 1-line block ×4, first 2 shown]
	v_sub_f32_e32 v7, v6, v68
	v_mul_f32_e32 v2, v67, v2
	v_sub_f32_e32 v7, v11, v7
	v_add_f32_e32 v2, v7, v2
	v_add_f32_e32 v11, v6, v2
	v_mul_f32_e32 v21, v11, v11
	v_mov_b32_e32 v7, 0x3ecc95a3
	v_fmac_f32_e32 v7, 0x3e9b6dac, v21
	v_sub_f32_e32 v6, v11, v6
	v_fmaak_f32 v7, v21, v7, 0x3f2aaada
	v_sub_f32_e32 v2, v2, v6
	v_mul_f32_e32 v21, v11, v21
	v_mov_b32_e32 v6, 0x3f317218
	v_pk_mul_f32 v[6:7], v[20:21], v[6:7]
	v_ldexp_f32 v23, v11, 1
	v_fma_f32 v11, v20, s4, -v6
	v_fmamk_f32 v22, v20, 0xb102e308, v11
	v_pk_add_f32 v[20:21], v[6:7], v[22:23]
	v_ldexp_f32 v2, v2, 1
	v_sub_f32_e32 v11, v21, v23
	v_sub_f32_e32 v11, v7, v11
	v_add_f32_e32 v25, v2, v11
	v_mov_b32_e32 v24, v6
	v_pk_add_f32 v[6:7], v[20:21], v[6:7] neg_lo:[0,1] neg_hi:[0,1]
	v_pk_add_f32 v[26:27], v[20:21], v[24:25]
	v_mov_b32_e32 v23, v20
	v_mov_b32_e32 v7, v27
	v_pk_add_f32 v[68:69], v[22:23], v[6:7] neg_lo:[0,1] neg_hi:[0,1]
	v_pk_add_f32 v[6:7], v[22:23], v[6:7]
	s_mov_b32 s4, 0x33800000
	v_mov_b32_e32 v2, v7
	v_pk_add_f32 v[22:23], v[2:3], v[20:21] neg_lo:[0,1] neg_hi:[0,1]
	v_mov_b32_e32 v6, v27
	v_mov_b32_e32 v11, v22
	v_pk_add_f32 v[70:71], v[26:27], v[10:11] neg_lo:[0,1] neg_hi:[0,1]
	v_mov_b32_e32 v26, v21
	v_mov_b32_e32 v27, v22
	;; [unrolled: 1-line block ×3, first 2 shown]
	v_pk_add_f32 v[6:7], v[6:7], v[26:27] neg_lo:[0,1] neg_hi:[0,1]
	v_mov_b32_e32 v22, v25
	v_mov_b32_e32 v23, v20
	v_pk_add_f32 v[6:7], v[22:23], v[6:7] neg_lo:[0,1] neg_hi:[0,1]
	v_mov_b32_e32 v70, v68
	v_pk_add_f32 v[20:21], v[70:71], v[6:7]
	v_cmp_lt_f32_e64 s[4:5], |v19|, s4
	v_mov_b32_e32 v22, v21
	v_pk_add_f32 v[22:23], v[20:21], v[22:23]
	s_or_b64 vcc, vcc, s[4:5]
	v_pk_add_f32 v[24:25], v[2:3], v[22:23]
	v_mov_b32_e32 v7, v22
	v_mov_b32_e32 v21, v24
	v_pk_add_f32 v[26:27], v[20:21], v[68:69] neg_lo:[0,1] neg_hi:[0,1]
	s_nop 0
	v_sub_f32_e32 v2, v20, v26
	v_pk_add_f32 v[6:7], v[6:7], v[26:27] neg_lo:[0,1] neg_hi:[0,1]
	v_sub_f32_e32 v2, v68, v2
	v_add_f32_e32 v2, v6, v2
	v_add_f32_e32 v2, v2, v7
	;; [unrolled: 1-line block ×3, first 2 shown]
	v_cndmask_b32_e32 v2, v2, v19, vcc
	v_add_f32_e32 v2, v3, v2
	v_cvt_f16_f32_e32 v70, v2
	v_cvt_f32_f16_e32 v2, v70
	v_mov_b32_e32 v67, v70
.LBB360_390:
	s_or_b64 exec, exec, s[2:3]
	v_max_f32_e32 v3, v52, v52
	v_max_f32_e32 v7, v2, v2
	v_min_f32_e32 v6, v7, v3
	v_cmp_u_f16_e32 vcc, v70, v70
	v_max_f32_e32 v3, v7, v3
	s_movk_i32 s4, 0x1f8
	v_cndmask_b32_e32 v6, v6, v2, vcc
	v_cndmask_b32_e32 v3, v3, v2, vcc
	v_cndmask_b32_e64 v6, v6, v52, s[36:37]
	v_cndmask_b32_e64 v3, v3, v52, s[36:37]
	v_cmp_neq_f32_e32 vcc, v6, v3
	v_cmp_class_f32_e64 s[2:3], v6, s4
	s_or_b64 s[6:7], vcc, s[2:3]
	v_mov_b32_e32 v52, v67
	s_and_saveexec_b64 s[2:3], s[6:7]
	s_cbranch_execz .LBB360_392
; %bb.391:
	v_sub_f32_e32 v2, v6, v3
	s_mov_b32 s5, 0x3fb8aa3b
	v_mul_f32_e32 v6, 0x3fb8aa3b, v2
	v_fma_f32 v7, v2, s5, -v6
	v_rndne_f32_e32 v11, v6
	v_fmamk_f32 v7, v2, 0x32a5705f, v7
	v_sub_f32_e32 v6, v6, v11
	v_add_f32_e32 v6, v6, v7
	v_exp_f32_e32 v6, v6
	v_cvt_i32_f32_e32 v7, v11
	s_mov_b32 s5, 0xc2ce8ed0
	v_cmp_ngt_f32_e32 vcc, s5, v2
	s_mov_b32 s5, 0x42b17218
	v_ldexp_f32 v6, v6, v7
	v_cndmask_b32_e32 v6, 0, v6, vcc
	v_mov_b32_e32 v7, 0x7f800000
	v_cmp_nlt_f32_e32 vcc, s5, v2
	s_mov_b32 s5, 0x3f2aaaab
	s_mov_b32 s6, 0x7f800000
	v_cndmask_b32_e32 v19, v7, v6, vcc
	v_add_f32_e32 v2, 1.0, v19
	v_add_f32_e32 v6, -1.0, v2
	v_sub_f32_e32 v7, v6, v2
	v_add_f32_e32 v7, 1.0, v7
	v_sub_f32_e32 v6, v19, v6
	v_add_f32_e32 v11, v6, v7
	v_frexp_mant_f32_e32 v20, v2
	v_cvt_f64_f32_e32 v[6:7], v2
	v_frexp_exp_i32_f64_e32 v6, v[6:7]
	v_cmp_gt_f32_e32 vcc, s5, v20
	s_mov_b32 s5, 0x3f317218
	s_nop 0
	v_subbrev_co_u32_e32 v26, vcc, 0, v6, vcc
	v_sub_u32_e32 v6, 0, v26
	v_ldexp_f32 v2, v2, v6
	v_ldexp_f32 v6, v11, v6
	v_add_f32_e32 v11, -1.0, v2
	v_add_f32_e32 v7, 1.0, v11
	v_sub_f32_e32 v7, v2, v7
	v_add_f32_e32 v20, v6, v7
	v_add_f32_e32 v7, 1.0, v2
	v_add_f32_e32 v21, -1.0, v7
	v_sub_f32_e32 v2, v2, v21
	v_add_f32_e32 v2, v6, v2
	v_add_f32_e32 v27, v7, v2
	v_rcp_f32_e32 v52, v27
	v_sub_f32_e32 v6, v7, v27
	v_add_f32_e32 v7, v11, v20
	v_add_f32_e32 v2, v2, v6
	v_sub_f32_e32 v6, v11, v7
	v_mul_f32_e32 v68, v7, v52
	v_add_f32_e32 v11, v20, v6
	v_mul_f32_e32 v20, v27, v68
	v_fma_f32 v22, v68, v27, -v20
	v_fmac_f32_e32 v22, v68, v2
	v_add_f32_e32 v6, v20, v22
	v_sub_f32_e32 v21, v7, v6
	v_pk_add_f32 v[24:25], v[6:7], v[20:21] neg_lo:[0,1] neg_hi:[0,1]
	v_mov_b32_e32 v23, v6
	v_pk_add_f32 v[6:7], v[24:25], v[22:23] neg_lo:[0,1] neg_hi:[0,1]
	v_cmp_eq_f32_e32 vcc, s6, v19
	v_add_f32_e32 v7, v11, v7
	v_add_f32_e32 v6, v6, v7
	;; [unrolled: 1-line block ×3, first 2 shown]
	v_mul_f32_e32 v11, v52, v7
	v_mul_f32_e32 v20, v27, v11
	v_fma_f32 v22, v11, v27, -v20
	v_fmac_f32_e32 v22, v11, v2
	v_sub_f32_e32 v2, v21, v7
	v_add_f32_e32 v2, v6, v2
	v_add_f32_e32 v6, v20, v22
	v_sub_f32_e32 v21, v7, v6
	v_pk_add_f32 v[24:25], v[6:7], v[20:21] neg_lo:[0,1] neg_hi:[0,1]
	v_mov_b32_e32 v23, v6
	v_pk_add_f32 v[6:7], v[24:25], v[22:23] neg_lo:[0,1] neg_hi:[0,1]
	v_cvt_f32_i32_e32 v20, v26
	v_add_f32_e32 v2, v2, v7
	v_add_f32_e32 v2, v6, v2
	v_add_f32_e32 v6, v68, v11
	v_add_f32_e32 v2, v21, v2
	v_sub_f32_e32 v7, v6, v68
	v_mul_f32_e32 v2, v52, v2
	v_sub_f32_e32 v7, v11, v7
	v_add_f32_e32 v2, v7, v2
	v_add_f32_e32 v11, v6, v2
	v_mul_f32_e32 v21, v11, v11
	v_mov_b32_e32 v7, 0x3ecc95a3
	v_fmac_f32_e32 v7, 0x3e9b6dac, v21
	v_sub_f32_e32 v6, v11, v6
	v_fmaak_f32 v7, v21, v7, 0x3f2aaada
	v_sub_f32_e32 v2, v2, v6
	v_mul_f32_e32 v21, v11, v21
	v_mov_b32_e32 v6, 0x3f317218
	v_pk_mul_f32 v[6:7], v[20:21], v[6:7]
	v_ldexp_f32 v23, v11, 1
	v_fma_f32 v11, v20, s5, -v6
	v_fmamk_f32 v22, v20, 0xb102e308, v11
	v_pk_add_f32 v[20:21], v[6:7], v[22:23]
	v_ldexp_f32 v2, v2, 1
	v_sub_f32_e32 v11, v21, v23
	v_sub_f32_e32 v11, v7, v11
	v_add_f32_e32 v25, v2, v11
	v_mov_b32_e32 v24, v6
	v_pk_add_f32 v[6:7], v[20:21], v[6:7] neg_lo:[0,1] neg_hi:[0,1]
	v_pk_add_f32 v[26:27], v[20:21], v[24:25]
	v_mov_b32_e32 v23, v20
	v_mov_b32_e32 v7, v27
	v_pk_add_f32 v[68:69], v[22:23], v[6:7] neg_lo:[0,1] neg_hi:[0,1]
	v_pk_add_f32 v[6:7], v[22:23], v[6:7]
	s_mov_b32 s5, 0x33800000
	v_mov_b32_e32 v2, v7
	v_pk_add_f32 v[22:23], v[2:3], v[20:21] neg_lo:[0,1] neg_hi:[0,1]
	v_mov_b32_e32 v6, v27
	v_mov_b32_e32 v11, v22
	v_pk_add_f32 v[70:71], v[26:27], v[10:11] neg_lo:[0,1] neg_hi:[0,1]
	v_mov_b32_e32 v26, v21
	v_mov_b32_e32 v27, v22
	;; [unrolled: 1-line block ×3, first 2 shown]
	v_pk_add_f32 v[6:7], v[6:7], v[26:27] neg_lo:[0,1] neg_hi:[0,1]
	v_mov_b32_e32 v22, v25
	v_mov_b32_e32 v23, v20
	v_pk_add_f32 v[6:7], v[22:23], v[6:7] neg_lo:[0,1] neg_hi:[0,1]
	v_mov_b32_e32 v70, v68
	v_pk_add_f32 v[20:21], v[70:71], v[6:7]
	v_cmp_lt_f32_e64 s[6:7], |v19|, s5
	v_mov_b32_e32 v22, v21
	v_pk_add_f32 v[22:23], v[20:21], v[22:23]
	s_or_b64 vcc, vcc, s[6:7]
	v_pk_add_f32 v[24:25], v[2:3], v[22:23]
	v_mov_b32_e32 v7, v22
	v_mov_b32_e32 v21, v24
	v_pk_add_f32 v[26:27], v[20:21], v[68:69] neg_lo:[0,1] neg_hi:[0,1]
	s_nop 0
	v_sub_f32_e32 v2, v20, v26
	v_pk_add_f32 v[6:7], v[6:7], v[26:27] neg_lo:[0,1] neg_hi:[0,1]
	v_sub_f32_e32 v2, v68, v2
	v_add_f32_e32 v2, v6, v2
	v_add_f32_e32 v2, v2, v7
	;; [unrolled: 1-line block ×3, first 2 shown]
	v_cndmask_b32_e32 v2, v2, v19, vcc
	v_add_f32_e32 v2, v3, v2
	v_cvt_f16_f32_e32 v70, v2
	v_cvt_f32_f16_e32 v2, v70
	v_mov_b32_e32 v52, v70
.LBB360_392:
	s_or_b64 exec, exec, s[2:3]
	v_max_f32_e32 v3, v16, v16
	v_max_f32_e32 v7, v2, v2
	v_min_f32_e32 v6, v7, v3
	v_cmp_u_f16_e32 vcc, v70, v70
	v_max_f32_e32 v3, v7, v3
	v_mov_b32_e32 v68, v52
	v_cndmask_b32_e32 v6, v6, v2, vcc
	v_cndmask_b32_e32 v3, v3, v2, vcc
	v_cndmask_b32_e64 v6, v6, v16, s[38:39]
	v_cndmask_b32_e64 v3, v3, v16, s[38:39]
	v_cmp_neq_f32_e32 vcc, v6, v3
	v_cmp_class_f32_e64 s[2:3], v6, s4
	s_or_b64 s[4:5], vcc, s[2:3]
	s_and_saveexec_b64 s[2:3], s[4:5]
	s_cbranch_execz .LBB360_394
; %bb.393:
	v_sub_f32_e32 v2, v6, v3
	s_mov_b32 s4, 0x3fb8aa3b
	v_mul_f32_e32 v6, 0x3fb8aa3b, v2
	v_fma_f32 v7, v2, s4, -v6
	v_rndne_f32_e32 v11, v6
	v_fmamk_f32 v7, v2, 0x32a5705f, v7
	v_sub_f32_e32 v6, v6, v11
	v_add_f32_e32 v6, v6, v7
	v_exp_f32_e32 v6, v6
	v_cvt_i32_f32_e32 v7, v11
	s_mov_b32 s4, 0xc2ce8ed0
	v_cmp_ngt_f32_e32 vcc, s4, v2
	s_mov_b32 s4, 0x42b17218
	v_ldexp_f32 v6, v6, v7
	v_cndmask_b32_e32 v6, 0, v6, vcc
	v_mov_b32_e32 v7, 0x7f800000
	v_cmp_nlt_f32_e32 vcc, s4, v2
	s_mov_b32 s4, 0x3f2aaaab
	s_mov_b32 s5, 0x7f800000
	v_cndmask_b32_e32 v19, v7, v6, vcc
	v_add_f32_e32 v2, 1.0, v19
	v_add_f32_e32 v6, -1.0, v2
	v_sub_f32_e32 v7, v6, v2
	v_add_f32_e32 v7, 1.0, v7
	v_sub_f32_e32 v6, v19, v6
	v_add_f32_e32 v11, v6, v7
	v_frexp_mant_f32_e32 v16, v2
	v_cvt_f64_f32_e32 v[6:7], v2
	v_frexp_exp_i32_f64_e32 v6, v[6:7]
	v_cmp_gt_f32_e32 vcc, s4, v16
	s_mov_b32 s4, 0x3f317218
	s_nop 0
	v_subbrev_co_u32_e32 v16, vcc, 0, v6, vcc
	v_sub_u32_e32 v6, 0, v16
	v_ldexp_f32 v2, v2, v6
	v_ldexp_f32 v6, v11, v6
	v_add_f32_e32 v11, -1.0, v2
	v_add_f32_e32 v7, 1.0, v11
	v_sub_f32_e32 v7, v2, v7
	v_add_f32_e32 v20, v6, v7
	v_add_f32_e32 v7, 1.0, v2
	v_add_f32_e32 v21, -1.0, v7
	v_sub_f32_e32 v2, v2, v21
	v_add_f32_e32 v2, v6, v2
	v_add_f32_e32 v26, v7, v2
	v_rcp_f32_e32 v27, v26
	v_sub_f32_e32 v6, v7, v26
	v_add_f32_e32 v7, v11, v20
	v_add_f32_e32 v2, v2, v6
	v_sub_f32_e32 v6, v11, v7
	v_mul_f32_e32 v68, v7, v27
	v_add_f32_e32 v11, v20, v6
	v_mul_f32_e32 v20, v26, v68
	v_fma_f32 v22, v68, v26, -v20
	v_fmac_f32_e32 v22, v68, v2
	v_add_f32_e32 v6, v20, v22
	v_sub_f32_e32 v21, v7, v6
	v_pk_add_f32 v[24:25], v[6:7], v[20:21] neg_lo:[0,1] neg_hi:[0,1]
	v_mov_b32_e32 v23, v6
	v_pk_add_f32 v[6:7], v[24:25], v[22:23] neg_lo:[0,1] neg_hi:[0,1]
	v_cmp_eq_f32_e32 vcc, s5, v19
	v_add_f32_e32 v7, v11, v7
	v_add_f32_e32 v6, v6, v7
	;; [unrolled: 1-line block ×3, first 2 shown]
	v_mul_f32_e32 v11, v27, v7
	v_mul_f32_e32 v20, v26, v11
	v_fma_f32 v22, v11, v26, -v20
	v_fmac_f32_e32 v22, v11, v2
	v_sub_f32_e32 v2, v21, v7
	v_add_f32_e32 v2, v6, v2
	v_add_f32_e32 v6, v20, v22
	v_sub_f32_e32 v21, v7, v6
	v_pk_add_f32 v[24:25], v[6:7], v[20:21] neg_lo:[0,1] neg_hi:[0,1]
	v_mov_b32_e32 v23, v6
	v_pk_add_f32 v[6:7], v[24:25], v[22:23] neg_lo:[0,1] neg_hi:[0,1]
	v_cvt_f32_i32_e32 v20, v16
	v_add_f32_e32 v2, v2, v7
	v_add_f32_e32 v2, v6, v2
	;; [unrolled: 1-line block ×4, first 2 shown]
	v_sub_f32_e32 v7, v6, v68
	v_mul_f32_e32 v2, v27, v2
	v_sub_f32_e32 v7, v11, v7
	v_add_f32_e32 v2, v7, v2
	v_add_f32_e32 v11, v6, v2
	v_mul_f32_e32 v21, v11, v11
	v_mov_b32_e32 v7, 0x3ecc95a3
	v_fmac_f32_e32 v7, 0x3e9b6dac, v21
	v_sub_f32_e32 v6, v11, v6
	v_fmaak_f32 v7, v21, v7, 0x3f2aaada
	v_sub_f32_e32 v2, v2, v6
	v_mul_f32_e32 v21, v11, v21
	v_mov_b32_e32 v6, 0x3f317218
	v_pk_mul_f32 v[6:7], v[20:21], v[6:7]
	v_ldexp_f32 v23, v11, 1
	v_fma_f32 v11, v20, s4, -v6
	v_fmamk_f32 v22, v20, 0xb102e308, v11
	v_pk_add_f32 v[20:21], v[6:7], v[22:23]
	v_ldexp_f32 v2, v2, 1
	v_sub_f32_e32 v11, v21, v23
	v_sub_f32_e32 v11, v7, v11
	v_add_f32_e32 v25, v2, v11
	v_mov_b32_e32 v24, v6
	v_pk_add_f32 v[6:7], v[20:21], v[6:7] neg_lo:[0,1] neg_hi:[0,1]
	v_pk_add_f32 v[26:27], v[20:21], v[24:25]
	v_mov_b32_e32 v23, v20
	v_mov_b32_e32 v7, v27
	v_pk_add_f32 v[68:69], v[22:23], v[6:7] neg_lo:[0,1] neg_hi:[0,1]
	v_pk_add_f32 v[6:7], v[22:23], v[6:7]
	s_mov_b32 s4, 0x33800000
	v_mov_b32_e32 v2, v7
	v_pk_add_f32 v[22:23], v[2:3], v[20:21] neg_lo:[0,1] neg_hi:[0,1]
	v_mov_b32_e32 v6, v27
	v_mov_b32_e32 v11, v22
	v_pk_add_f32 v[70:71], v[26:27], v[10:11] neg_lo:[0,1] neg_hi:[0,1]
	v_mov_b32_e32 v26, v21
	v_mov_b32_e32 v27, v22
	;; [unrolled: 1-line block ×3, first 2 shown]
	v_pk_add_f32 v[6:7], v[6:7], v[26:27] neg_lo:[0,1] neg_hi:[0,1]
	v_mov_b32_e32 v22, v25
	v_mov_b32_e32 v23, v20
	v_pk_add_f32 v[6:7], v[22:23], v[6:7] neg_lo:[0,1] neg_hi:[0,1]
	v_mov_b32_e32 v70, v68
	v_pk_add_f32 v[20:21], v[70:71], v[6:7]
	v_cmp_lt_f32_e64 s[4:5], |v19|, s4
	v_mov_b32_e32 v16, v21
	v_pk_add_f32 v[22:23], v[20:21], v[16:17]
	s_or_b64 vcc, vcc, s[4:5]
	v_pk_add_f32 v[24:25], v[2:3], v[22:23]
	v_mov_b32_e32 v7, v22
	v_mov_b32_e32 v21, v24
	v_pk_add_f32 v[26:27], v[20:21], v[68:69] neg_lo:[0,1] neg_hi:[0,1]
	s_nop 0
	v_sub_f32_e32 v2, v20, v26
	v_pk_add_f32 v[6:7], v[6:7], v[26:27] neg_lo:[0,1] neg_hi:[0,1]
	v_sub_f32_e32 v2, v68, v2
	v_add_f32_e32 v2, v6, v2
	v_add_f32_e32 v2, v2, v7
	;; [unrolled: 1-line block ×3, first 2 shown]
	v_cndmask_b32_e32 v2, v2, v19, vcc
	v_add_f32_e32 v2, v3, v2
	v_cvt_f16_f32_e32 v70, v2
	v_cvt_f32_f16_e32 v2, v70
	v_mov_b32_e32 v68, v70
.LBB360_394:
	s_or_b64 exec, exec, s[2:3]
	v_max_f32_e32 v3, v53, v53
	v_max_f32_e32 v7, v2, v2
	v_min_f32_e32 v6, v7, v3
	v_cmp_u_f16_e32 vcc, v70, v70
	v_max_f32_e32 v3, v7, v3
	s_movk_i32 s4, 0x1f8
	v_cndmask_b32_e32 v6, v6, v2, vcc
	v_cndmask_b32_e32 v3, v3, v2, vcc
	v_cndmask_b32_e64 v6, v6, v53, s[40:41]
	v_cndmask_b32_e64 v3, v3, v53, s[40:41]
	v_cmp_neq_f32_e32 vcc, v6, v3
	v_cmp_class_f32_e64 s[2:3], v6, s4
	s_or_b64 s[6:7], vcc, s[2:3]
	v_mov_b32_e32 v53, v68
	s_and_saveexec_b64 s[2:3], s[6:7]
	s_cbranch_execz .LBB360_396
; %bb.395:
	v_sub_f32_e32 v2, v6, v3
	s_mov_b32 s5, 0x3fb8aa3b
	v_mul_f32_e32 v6, 0x3fb8aa3b, v2
	v_fma_f32 v7, v2, s5, -v6
	v_rndne_f32_e32 v11, v6
	v_fmamk_f32 v7, v2, 0x32a5705f, v7
	v_sub_f32_e32 v6, v6, v11
	v_add_f32_e32 v6, v6, v7
	v_exp_f32_e32 v6, v6
	v_cvt_i32_f32_e32 v7, v11
	s_mov_b32 s5, 0xc2ce8ed0
	v_cmp_ngt_f32_e32 vcc, s5, v2
	s_mov_b32 s5, 0x42b17218
	v_ldexp_f32 v6, v6, v7
	v_cndmask_b32_e32 v6, 0, v6, vcc
	v_mov_b32_e32 v7, 0x7f800000
	v_cmp_nlt_f32_e32 vcc, s5, v2
	s_mov_b32 s5, 0x3f2aaaab
	s_mov_b32 s6, 0x7f800000
	v_cndmask_b32_e32 v19, v7, v6, vcc
	v_add_f32_e32 v2, 1.0, v19
	v_add_f32_e32 v6, -1.0, v2
	v_sub_f32_e32 v7, v6, v2
	v_add_f32_e32 v7, 1.0, v7
	v_sub_f32_e32 v6, v19, v6
	v_add_f32_e32 v11, v6, v7
	v_frexp_mant_f32_e32 v16, v2
	v_cvt_f64_f32_e32 v[6:7], v2
	v_frexp_exp_i32_f64_e32 v6, v[6:7]
	v_cmp_gt_f32_e32 vcc, s5, v16
	s_mov_b32 s5, 0x3f317218
	s_nop 0
	v_subbrev_co_u32_e32 v16, vcc, 0, v6, vcc
	v_sub_u32_e32 v6, 0, v16
	v_ldexp_f32 v2, v2, v6
	v_ldexp_f32 v6, v11, v6
	v_add_f32_e32 v11, -1.0, v2
	v_add_f32_e32 v7, 1.0, v11
	v_sub_f32_e32 v7, v2, v7
	v_add_f32_e32 v20, v6, v7
	v_add_f32_e32 v7, 1.0, v2
	v_add_f32_e32 v21, -1.0, v7
	v_sub_f32_e32 v2, v2, v21
	v_add_f32_e32 v2, v6, v2
	v_add_f32_e32 v26, v7, v2
	v_rcp_f32_e32 v27, v26
	v_sub_f32_e32 v6, v7, v26
	v_add_f32_e32 v7, v11, v20
	v_add_f32_e32 v2, v2, v6
	v_sub_f32_e32 v6, v11, v7
	v_mul_f32_e32 v53, v7, v27
	v_add_f32_e32 v11, v20, v6
	v_mul_f32_e32 v20, v26, v53
	v_fma_f32 v22, v53, v26, -v20
	v_fmac_f32_e32 v22, v53, v2
	v_add_f32_e32 v6, v20, v22
	v_sub_f32_e32 v21, v7, v6
	v_pk_add_f32 v[24:25], v[6:7], v[20:21] neg_lo:[0,1] neg_hi:[0,1]
	v_mov_b32_e32 v23, v6
	v_pk_add_f32 v[6:7], v[24:25], v[22:23] neg_lo:[0,1] neg_hi:[0,1]
	v_cmp_eq_f32_e32 vcc, s6, v19
	v_add_f32_e32 v7, v11, v7
	v_add_f32_e32 v6, v6, v7
	;; [unrolled: 1-line block ×3, first 2 shown]
	v_mul_f32_e32 v11, v27, v7
	v_mul_f32_e32 v20, v26, v11
	v_fma_f32 v22, v11, v26, -v20
	v_fmac_f32_e32 v22, v11, v2
	v_sub_f32_e32 v2, v21, v7
	v_add_f32_e32 v2, v6, v2
	v_add_f32_e32 v6, v20, v22
	v_sub_f32_e32 v21, v7, v6
	v_pk_add_f32 v[24:25], v[6:7], v[20:21] neg_lo:[0,1] neg_hi:[0,1]
	v_mov_b32_e32 v23, v6
	v_pk_add_f32 v[6:7], v[24:25], v[22:23] neg_lo:[0,1] neg_hi:[0,1]
	v_cvt_f32_i32_e32 v20, v16
	v_add_f32_e32 v2, v2, v7
	v_add_f32_e32 v2, v6, v2
	;; [unrolled: 1-line block ×4, first 2 shown]
	v_sub_f32_e32 v7, v6, v53
	v_mul_f32_e32 v2, v27, v2
	v_sub_f32_e32 v7, v11, v7
	v_add_f32_e32 v2, v7, v2
	v_add_f32_e32 v11, v6, v2
	v_mul_f32_e32 v21, v11, v11
	v_mov_b32_e32 v7, 0x3ecc95a3
	v_fmac_f32_e32 v7, 0x3e9b6dac, v21
	v_sub_f32_e32 v6, v11, v6
	v_fmaak_f32 v7, v21, v7, 0x3f2aaada
	v_sub_f32_e32 v2, v2, v6
	v_mul_f32_e32 v21, v11, v21
	v_mov_b32_e32 v6, 0x3f317218
	v_pk_mul_f32 v[6:7], v[20:21], v[6:7]
	v_ldexp_f32 v23, v11, 1
	v_fma_f32 v11, v20, s5, -v6
	v_fmamk_f32 v22, v20, 0xb102e308, v11
	v_pk_add_f32 v[20:21], v[6:7], v[22:23]
	v_ldexp_f32 v2, v2, 1
	v_sub_f32_e32 v11, v21, v23
	v_sub_f32_e32 v11, v7, v11
	v_add_f32_e32 v25, v2, v11
	v_mov_b32_e32 v24, v6
	v_pk_add_f32 v[6:7], v[20:21], v[6:7] neg_lo:[0,1] neg_hi:[0,1]
	v_pk_add_f32 v[26:27], v[20:21], v[24:25]
	v_mov_b32_e32 v23, v20
	v_mov_b32_e32 v7, v27
	v_pk_add_f32 v[70:71], v[22:23], v[6:7] neg_lo:[0,1] neg_hi:[0,1]
	v_pk_add_f32 v[6:7], v[22:23], v[6:7]
	s_mov_b32 s5, 0x33800000
	v_mov_b32_e32 v2, v7
	v_pk_add_f32 v[22:23], v[2:3], v[20:21] neg_lo:[0,1] neg_hi:[0,1]
	v_mov_b32_e32 v6, v27
	v_mov_b32_e32 v11, v22
	v_pk_add_f32 v[80:81], v[26:27], v[10:11] neg_lo:[0,1] neg_hi:[0,1]
	v_mov_b32_e32 v26, v21
	v_mov_b32_e32 v27, v22
	v_mov_b32_e32 v71, v7
	v_pk_add_f32 v[6:7], v[6:7], v[26:27] neg_lo:[0,1] neg_hi:[0,1]
	v_mov_b32_e32 v22, v25
	v_mov_b32_e32 v23, v20
	v_pk_add_f32 v[6:7], v[22:23], v[6:7] neg_lo:[0,1] neg_hi:[0,1]
	v_mov_b32_e32 v80, v70
	v_pk_add_f32 v[20:21], v[80:81], v[6:7]
	v_cmp_lt_f32_e64 s[6:7], |v19|, s5
	v_mov_b32_e32 v16, v21
	v_pk_add_f32 v[22:23], v[20:21], v[16:17]
	s_or_b64 vcc, vcc, s[6:7]
	v_pk_add_f32 v[24:25], v[2:3], v[22:23]
	v_mov_b32_e32 v7, v22
	v_mov_b32_e32 v21, v24
	v_pk_add_f32 v[26:27], v[20:21], v[70:71] neg_lo:[0,1] neg_hi:[0,1]
	s_nop 0
	v_sub_f32_e32 v2, v20, v26
	v_pk_add_f32 v[6:7], v[6:7], v[26:27] neg_lo:[0,1] neg_hi:[0,1]
	v_sub_f32_e32 v2, v70, v2
	v_add_f32_e32 v2, v6, v2
	v_add_f32_e32 v2, v2, v7
	;; [unrolled: 1-line block ×3, first 2 shown]
	v_cndmask_b32_e32 v2, v2, v19, vcc
	v_add_f32_e32 v2, v3, v2
	v_cvt_f16_f32_e32 v70, v2
	v_cvt_f32_f16_e32 v2, v70
	v_mov_b32_e32 v53, v70
.LBB360_396:
	s_or_b64 exec, exec, s[2:3]
	v_max_f32_e32 v3, v17, v17
	v_max_f32_e32 v7, v2, v2
	v_min_f32_e32 v6, v7, v3
	v_cmp_u_f16_e32 vcc, v70, v70
	v_max_f32_e32 v3, v7, v3
	v_mov_b32_e32 v69, v53
	v_cndmask_b32_e32 v6, v6, v2, vcc
	v_cndmask_b32_e32 v3, v3, v2, vcc
	v_cndmask_b32_e64 v6, v6, v17, s[42:43]
	v_cndmask_b32_e64 v3, v3, v17, s[42:43]
	v_cmp_neq_f32_e32 vcc, v6, v3
	v_cmp_class_f32_e64 s[2:3], v6, s4
	s_or_b64 s[4:5], vcc, s[2:3]
	s_and_saveexec_b64 s[2:3], s[4:5]
	s_cbranch_execz .LBB360_398
; %bb.397:
	v_sub_f32_e32 v2, v6, v3
	s_mov_b32 s4, 0x3fb8aa3b
	v_mul_f32_e32 v6, 0x3fb8aa3b, v2
	v_fma_f32 v7, v2, s4, -v6
	v_rndne_f32_e32 v11, v6
	v_fmamk_f32 v7, v2, 0x32a5705f, v7
	v_sub_f32_e32 v6, v6, v11
	v_add_f32_e32 v6, v6, v7
	v_exp_f32_e32 v6, v6
	v_cvt_i32_f32_e32 v7, v11
	s_mov_b32 s4, 0xc2ce8ed0
	v_cmp_ngt_f32_e32 vcc, s4, v2
	s_mov_b32 s4, 0x42b17218
	v_ldexp_f32 v6, v6, v7
	v_cndmask_b32_e32 v6, 0, v6, vcc
	v_mov_b32_e32 v7, 0x7f800000
	v_cmp_nlt_f32_e32 vcc, s4, v2
	s_mov_b32 s4, 0x3f2aaaab
	s_mov_b32 s5, 0x7f800000
	v_cndmask_b32_e32 v19, v7, v6, vcc
	v_add_f32_e32 v2, 1.0, v19
	v_add_f32_e32 v6, -1.0, v2
	v_sub_f32_e32 v7, v6, v2
	v_add_f32_e32 v7, 1.0, v7
	v_sub_f32_e32 v6, v19, v6
	v_add_f32_e32 v11, v6, v7
	v_frexp_mant_f32_e32 v16, v2
	v_cvt_f64_f32_e32 v[6:7], v2
	v_frexp_exp_i32_f64_e32 v6, v[6:7]
	v_cmp_gt_f32_e32 vcc, s4, v16
	s_mov_b32 s4, 0x3f317218
	s_nop 0
	v_subbrev_co_u32_e32 v24, vcc, 0, v6, vcc
	v_sub_u32_e32 v6, 0, v24
	v_ldexp_f32 v2, v2, v6
	v_ldexp_f32 v6, v11, v6
	v_add_f32_e32 v11, -1.0, v2
	v_add_f32_e32 v7, 1.0, v11
	v_sub_f32_e32 v7, v2, v7
	v_add_f32_e32 v16, v6, v7
	v_add_f32_e32 v7, 1.0, v2
	v_add_f32_e32 v17, -1.0, v7
	v_sub_f32_e32 v2, v2, v17
	v_add_f32_e32 v2, v6, v2
	v_add_f32_e32 v25, v7, v2
	v_rcp_f32_e32 v26, v25
	v_sub_f32_e32 v6, v7, v25
	v_add_f32_e32 v7, v11, v16
	v_add_f32_e32 v2, v2, v6
	v_sub_f32_e32 v6, v11, v7
	v_mul_f32_e32 v27, v7, v26
	v_add_f32_e32 v11, v16, v6
	v_mul_f32_e32 v16, v25, v27
	v_fma_f32 v20, v27, v25, -v16
	v_fmac_f32_e32 v20, v27, v2
	v_add_f32_e32 v6, v16, v20
	v_sub_f32_e32 v17, v7, v6
	v_pk_add_f32 v[22:23], v[6:7], v[16:17] neg_lo:[0,1] neg_hi:[0,1]
	v_mov_b32_e32 v21, v6
	v_pk_add_f32 v[6:7], v[22:23], v[20:21] neg_lo:[0,1] neg_hi:[0,1]
	v_cmp_eq_f32_e32 vcc, s5, v19
	v_add_f32_e32 v7, v11, v7
	v_add_f32_e32 v6, v6, v7
	;; [unrolled: 1-line block ×3, first 2 shown]
	v_mul_f32_e32 v11, v26, v7
	v_mul_f32_e32 v16, v25, v11
	v_fma_f32 v20, v11, v25, -v16
	v_fmac_f32_e32 v20, v11, v2
	v_sub_f32_e32 v2, v17, v7
	v_add_f32_e32 v2, v6, v2
	v_add_f32_e32 v6, v16, v20
	v_sub_f32_e32 v17, v7, v6
	v_pk_add_f32 v[22:23], v[6:7], v[16:17] neg_lo:[0,1] neg_hi:[0,1]
	v_mov_b32_e32 v21, v6
	v_pk_add_f32 v[6:7], v[22:23], v[20:21] neg_lo:[0,1] neg_hi:[0,1]
	v_cvt_f32_i32_e32 v16, v24
	v_add_f32_e32 v2, v2, v7
	v_add_f32_e32 v2, v6, v2
	;; [unrolled: 1-line block ×4, first 2 shown]
	v_sub_f32_e32 v7, v6, v27
	v_mul_f32_e32 v2, v26, v2
	v_sub_f32_e32 v7, v11, v7
	v_add_f32_e32 v2, v7, v2
	v_add_f32_e32 v11, v6, v2
	v_mul_f32_e32 v17, v11, v11
	v_mov_b32_e32 v7, 0x3ecc95a3
	v_fmac_f32_e32 v7, 0x3e9b6dac, v17
	v_sub_f32_e32 v6, v11, v6
	v_fmaak_f32 v7, v17, v7, 0x3f2aaada
	v_sub_f32_e32 v2, v2, v6
	v_mul_f32_e32 v17, v11, v17
	v_mov_b32_e32 v6, 0x3f317218
	v_pk_mul_f32 v[6:7], v[16:17], v[6:7]
	v_ldexp_f32 v21, v11, 1
	v_fma_f32 v11, v16, s4, -v6
	v_fmamk_f32 v20, v16, 0xb102e308, v11
	v_pk_add_f32 v[16:17], v[6:7], v[20:21]
	v_ldexp_f32 v2, v2, 1
	v_sub_f32_e32 v11, v17, v21
	v_sub_f32_e32 v11, v7, v11
	v_add_f32_e32 v23, v2, v11
	v_mov_b32_e32 v22, v6
	v_pk_add_f32 v[6:7], v[16:17], v[6:7] neg_lo:[0,1] neg_hi:[0,1]
	v_pk_add_f32 v[24:25], v[16:17], v[22:23]
	v_mov_b32_e32 v21, v16
	v_mov_b32_e32 v7, v25
	v_pk_add_f32 v[26:27], v[20:21], v[6:7] neg_lo:[0,1] neg_hi:[0,1]
	v_pk_add_f32 v[6:7], v[20:21], v[6:7]
	s_mov_b32 s4, 0x33800000
	v_mov_b32_e32 v2, v7
	v_pk_add_f32 v[20:21], v[2:3], v[16:17] neg_lo:[0,1] neg_hi:[0,1]
	v_mov_b32_e32 v6, v25
	v_mov_b32_e32 v11, v20
	v_pk_add_f32 v[70:71], v[24:25], v[10:11] neg_lo:[0,1] neg_hi:[0,1]
	v_mov_b32_e32 v24, v17
	v_mov_b32_e32 v25, v20
	;; [unrolled: 1-line block ×3, first 2 shown]
	v_pk_add_f32 v[6:7], v[6:7], v[24:25] neg_lo:[0,1] neg_hi:[0,1]
	v_mov_b32_e32 v20, v23
	v_mov_b32_e32 v21, v16
	v_pk_add_f32 v[6:7], v[20:21], v[6:7] neg_lo:[0,1] neg_hi:[0,1]
	v_mov_b32_e32 v70, v26
	v_pk_add_f32 v[16:17], v[70:71], v[6:7]
	v_cmp_lt_f32_e64 s[4:5], |v19|, s4
	v_mov_b32_e32 v20, v17
	v_pk_add_f32 v[20:21], v[16:17], v[20:21]
	s_or_b64 vcc, vcc, s[4:5]
	v_pk_add_f32 v[22:23], v[2:3], v[20:21]
	v_mov_b32_e32 v7, v20
	v_mov_b32_e32 v17, v22
	v_pk_add_f32 v[24:25], v[16:17], v[26:27] neg_lo:[0,1] neg_hi:[0,1]
	s_nop 0
	v_sub_f32_e32 v2, v16, v24
	v_pk_add_f32 v[6:7], v[6:7], v[24:25] neg_lo:[0,1] neg_hi:[0,1]
	v_sub_f32_e32 v2, v26, v2
	v_add_f32_e32 v2, v6, v2
	v_add_f32_e32 v2, v2, v7
	;; [unrolled: 1-line block ×3, first 2 shown]
	v_cndmask_b32_e32 v2, v2, v19, vcc
	v_add_f32_e32 v2, v3, v2
	v_cvt_f16_f32_e32 v70, v2
	v_cvt_f32_f16_e32 v2, v70
	v_mov_b32_e32 v69, v70
.LBB360_398:
	s_or_b64 exec, exec, s[2:3]
	v_max_f32_e32 v3, v54, v54
	v_max_f32_e32 v7, v2, v2
	v_min_f32_e32 v6, v7, v3
	v_cmp_u_f16_e32 vcc, v70, v70
	v_max_f32_e32 v3, v7, v3
	s_movk_i32 s4, 0x1f8
	v_cndmask_b32_e32 v6, v6, v2, vcc
	v_cndmask_b32_e32 v3, v3, v2, vcc
	v_cndmask_b32_e64 v6, v6, v54, s[44:45]
	v_cndmask_b32_e64 v3, v3, v54, s[44:45]
	v_cmp_neq_f32_e32 vcc, v6, v3
	v_cmp_class_f32_e64 s[2:3], v6, s4
	s_or_b64 s[6:7], vcc, s[2:3]
	v_mov_b32_e32 v54, v69
	s_and_saveexec_b64 s[2:3], s[6:7]
	s_cbranch_execz .LBB360_400
; %bb.399:
	v_sub_f32_e32 v2, v6, v3
	s_mov_b32 s5, 0x3fb8aa3b
	v_mul_f32_e32 v6, 0x3fb8aa3b, v2
	v_fma_f32 v7, v2, s5, -v6
	v_rndne_f32_e32 v11, v6
	v_fmamk_f32 v7, v2, 0x32a5705f, v7
	v_sub_f32_e32 v6, v6, v11
	v_add_f32_e32 v6, v6, v7
	v_exp_f32_e32 v6, v6
	v_cvt_i32_f32_e32 v7, v11
	s_mov_b32 s5, 0xc2ce8ed0
	v_cmp_ngt_f32_e32 vcc, s5, v2
	s_mov_b32 s5, 0x42b17218
	v_ldexp_f32 v6, v6, v7
	v_cndmask_b32_e32 v6, 0, v6, vcc
	v_mov_b32_e32 v7, 0x7f800000
	v_cmp_nlt_f32_e32 vcc, s5, v2
	s_mov_b32 s5, 0x3f2aaaab
	s_mov_b32 s6, 0x7f800000
	v_cndmask_b32_e32 v19, v7, v6, vcc
	v_add_f32_e32 v2, 1.0, v19
	v_add_f32_e32 v6, -1.0, v2
	v_sub_f32_e32 v7, v6, v2
	v_add_f32_e32 v7, 1.0, v7
	v_sub_f32_e32 v6, v19, v6
	v_add_f32_e32 v11, v6, v7
	v_frexp_mant_f32_e32 v16, v2
	v_cvt_f64_f32_e32 v[6:7], v2
	v_frexp_exp_i32_f64_e32 v6, v[6:7]
	v_cmp_gt_f32_e32 vcc, s5, v16
	s_mov_b32 s5, 0x3f317218
	s_nop 0
	v_subbrev_co_u32_e32 v24, vcc, 0, v6, vcc
	v_sub_u32_e32 v6, 0, v24
	v_ldexp_f32 v2, v2, v6
	v_ldexp_f32 v6, v11, v6
	v_add_f32_e32 v11, -1.0, v2
	v_add_f32_e32 v7, 1.0, v11
	v_sub_f32_e32 v7, v2, v7
	v_add_f32_e32 v16, v6, v7
	v_add_f32_e32 v7, 1.0, v2
	v_add_f32_e32 v17, -1.0, v7
	v_sub_f32_e32 v2, v2, v17
	v_add_f32_e32 v2, v6, v2
	v_add_f32_e32 v25, v7, v2
	v_rcp_f32_e32 v26, v25
	v_sub_f32_e32 v6, v7, v25
	v_add_f32_e32 v7, v11, v16
	v_add_f32_e32 v2, v2, v6
	v_sub_f32_e32 v6, v11, v7
	v_mul_f32_e32 v27, v7, v26
	v_add_f32_e32 v11, v16, v6
	v_mul_f32_e32 v16, v25, v27
	v_fma_f32 v20, v27, v25, -v16
	v_fmac_f32_e32 v20, v27, v2
	v_add_f32_e32 v6, v16, v20
	v_sub_f32_e32 v17, v7, v6
	v_pk_add_f32 v[22:23], v[6:7], v[16:17] neg_lo:[0,1] neg_hi:[0,1]
	v_mov_b32_e32 v21, v6
	v_pk_add_f32 v[6:7], v[22:23], v[20:21] neg_lo:[0,1] neg_hi:[0,1]
	v_cmp_eq_f32_e32 vcc, s6, v19
	v_add_f32_e32 v7, v11, v7
	v_add_f32_e32 v6, v6, v7
	;; [unrolled: 1-line block ×3, first 2 shown]
	v_mul_f32_e32 v11, v26, v7
	v_mul_f32_e32 v16, v25, v11
	v_fma_f32 v20, v11, v25, -v16
	v_fmac_f32_e32 v20, v11, v2
	v_sub_f32_e32 v2, v17, v7
	v_add_f32_e32 v2, v6, v2
	v_add_f32_e32 v6, v16, v20
	v_sub_f32_e32 v17, v7, v6
	v_pk_add_f32 v[22:23], v[6:7], v[16:17] neg_lo:[0,1] neg_hi:[0,1]
	v_mov_b32_e32 v21, v6
	v_pk_add_f32 v[6:7], v[22:23], v[20:21] neg_lo:[0,1] neg_hi:[0,1]
	v_cvt_f32_i32_e32 v16, v24
	v_add_f32_e32 v2, v2, v7
	v_add_f32_e32 v2, v6, v2
	;; [unrolled: 1-line block ×4, first 2 shown]
	v_sub_f32_e32 v7, v6, v27
	v_mul_f32_e32 v2, v26, v2
	v_sub_f32_e32 v7, v11, v7
	v_add_f32_e32 v2, v7, v2
	v_add_f32_e32 v11, v6, v2
	v_mul_f32_e32 v17, v11, v11
	v_mov_b32_e32 v7, 0x3ecc95a3
	v_fmac_f32_e32 v7, 0x3e9b6dac, v17
	v_sub_f32_e32 v6, v11, v6
	v_fmaak_f32 v7, v17, v7, 0x3f2aaada
	v_sub_f32_e32 v2, v2, v6
	v_mul_f32_e32 v17, v11, v17
	v_mov_b32_e32 v6, 0x3f317218
	v_pk_mul_f32 v[6:7], v[16:17], v[6:7]
	v_ldexp_f32 v21, v11, 1
	v_fma_f32 v11, v16, s5, -v6
	v_fmamk_f32 v20, v16, 0xb102e308, v11
	v_pk_add_f32 v[16:17], v[6:7], v[20:21]
	v_ldexp_f32 v2, v2, 1
	v_sub_f32_e32 v11, v17, v21
	v_sub_f32_e32 v11, v7, v11
	v_add_f32_e32 v23, v2, v11
	v_mov_b32_e32 v22, v6
	v_pk_add_f32 v[6:7], v[16:17], v[6:7] neg_lo:[0,1] neg_hi:[0,1]
	v_pk_add_f32 v[24:25], v[16:17], v[22:23]
	v_mov_b32_e32 v21, v16
	v_mov_b32_e32 v7, v25
	v_pk_add_f32 v[26:27], v[20:21], v[6:7] neg_lo:[0,1] neg_hi:[0,1]
	v_pk_add_f32 v[6:7], v[20:21], v[6:7]
	s_mov_b32 s5, 0x33800000
	v_mov_b32_e32 v2, v7
	v_pk_add_f32 v[20:21], v[2:3], v[16:17] neg_lo:[0,1] neg_hi:[0,1]
	v_mov_b32_e32 v6, v25
	v_mov_b32_e32 v11, v20
	v_pk_add_f32 v[70:71], v[24:25], v[10:11] neg_lo:[0,1] neg_hi:[0,1]
	v_mov_b32_e32 v24, v17
	v_mov_b32_e32 v25, v20
	;; [unrolled: 1-line block ×3, first 2 shown]
	v_pk_add_f32 v[6:7], v[6:7], v[24:25] neg_lo:[0,1] neg_hi:[0,1]
	v_mov_b32_e32 v20, v23
	v_mov_b32_e32 v21, v16
	v_pk_add_f32 v[6:7], v[20:21], v[6:7] neg_lo:[0,1] neg_hi:[0,1]
	v_mov_b32_e32 v70, v26
	v_pk_add_f32 v[16:17], v[70:71], v[6:7]
	v_cmp_lt_f32_e64 s[6:7], |v19|, s5
	v_mov_b32_e32 v20, v17
	v_pk_add_f32 v[20:21], v[16:17], v[20:21]
	s_or_b64 vcc, vcc, s[6:7]
	v_pk_add_f32 v[22:23], v[2:3], v[20:21]
	v_mov_b32_e32 v7, v20
	v_mov_b32_e32 v17, v22
	v_pk_add_f32 v[24:25], v[16:17], v[26:27] neg_lo:[0,1] neg_hi:[0,1]
	s_nop 0
	v_sub_f32_e32 v2, v16, v24
	v_pk_add_f32 v[6:7], v[6:7], v[24:25] neg_lo:[0,1] neg_hi:[0,1]
	v_sub_f32_e32 v2, v26, v2
	v_add_f32_e32 v2, v6, v2
	v_add_f32_e32 v2, v2, v7
	;; [unrolled: 1-line block ×3, first 2 shown]
	v_cndmask_b32_e32 v2, v2, v19, vcc
	v_add_f32_e32 v2, v3, v2
	v_cvt_f16_f32_e32 v70, v2
	v_cvt_f32_f16_e32 v2, v70
	v_mov_b32_e32 v54, v70
.LBB360_400:
	s_or_b64 exec, exec, s[2:3]
	v_max_f32_e32 v3, v18, v18
	v_max_f32_e32 v7, v2, v2
	v_min_f32_e32 v6, v7, v3
	v_cmp_u_f16_e32 vcc, v70, v70
	v_max_f32_e32 v3, v7, v3
	v_mov_b32_e32 v71, v54
	v_cndmask_b32_e32 v6, v6, v2, vcc
	v_cndmask_b32_e32 v3, v3, v2, vcc
	v_cndmask_b32_e64 v6, v6, v18, s[46:47]
	v_cndmask_b32_e64 v3, v3, v18, s[46:47]
	v_cmp_neq_f32_e32 vcc, v6, v3
	v_cmp_class_f32_e64 s[2:3], v6, s4
	s_or_b64 s[4:5], vcc, s[2:3]
	s_and_saveexec_b64 s[2:3], s[4:5]
	s_cbranch_execz .LBB360_402
; %bb.401:
	v_sub_f32_e32 v2, v6, v3
	s_mov_b32 s4, 0x3fb8aa3b
	v_mul_f32_e32 v6, 0x3fb8aa3b, v2
	v_fma_f32 v7, v2, s4, -v6
	v_rndne_f32_e32 v11, v6
	v_fmamk_f32 v7, v2, 0x32a5705f, v7
	v_sub_f32_e32 v6, v6, v11
	v_add_f32_e32 v6, v6, v7
	v_exp_f32_e32 v6, v6
	v_cvt_i32_f32_e32 v7, v11
	s_mov_b32 s4, 0xc2ce8ed0
	v_cmp_ngt_f32_e32 vcc, s4, v2
	s_mov_b32 s4, 0x42b17218
	v_ldexp_f32 v6, v6, v7
	v_cndmask_b32_e32 v6, 0, v6, vcc
	v_mov_b32_e32 v7, 0x7f800000
	v_cmp_nlt_f32_e32 vcc, s4, v2
	s_mov_b32 s4, 0x3f2aaaab
	s_mov_b32 s5, 0x7f800000
	v_cndmask_b32_e32 v70, v7, v6, vcc
	v_add_f32_e32 v2, 1.0, v70
	v_add_f32_e32 v6, -1.0, v2
	v_sub_f32_e32 v7, v6, v2
	v_add_f32_e32 v7, 1.0, v7
	v_sub_f32_e32 v6, v70, v6
	v_add_f32_e32 v11, v6, v7
	v_frexp_mant_f32_e32 v16, v2
	v_cvt_f64_f32_e32 v[6:7], v2
	v_frexp_exp_i32_f64_e32 v6, v[6:7]
	v_cmp_gt_f32_e32 vcc, s4, v16
	s_mov_b32 s4, 0x3f317218
	s_nop 0
	v_subbrev_co_u32_e32 v22, vcc, 0, v6, vcc
	v_sub_u32_e32 v6, 0, v22
	v_ldexp_f32 v2, v2, v6
	v_ldexp_f32 v6, v11, v6
	v_add_f32_e32 v11, -1.0, v2
	v_add_f32_e32 v7, 1.0, v11
	v_sub_f32_e32 v7, v2, v7
	v_add_f32_e32 v16, v6, v7
	v_add_f32_e32 v7, 1.0, v2
	v_add_f32_e32 v17, -1.0, v7
	v_sub_f32_e32 v2, v2, v17
	v_add_f32_e32 v2, v6, v2
	v_add_f32_e32 v23, v7, v2
	v_rcp_f32_e32 v24, v23
	v_sub_f32_e32 v6, v7, v23
	v_add_f32_e32 v7, v11, v16
	v_add_f32_e32 v2, v2, v6
	v_sub_f32_e32 v6, v11, v7
	v_mul_f32_e32 v25, v7, v24
	v_add_f32_e32 v11, v16, v6
	v_mul_f32_e32 v16, v23, v25
	v_fma_f32 v18, v25, v23, -v16
	v_fmac_f32_e32 v18, v25, v2
	v_add_f32_e32 v6, v16, v18
	v_sub_f32_e32 v17, v7, v6
	v_pk_add_f32 v[20:21], v[6:7], v[16:17] neg_lo:[0,1] neg_hi:[0,1]
	v_mov_b32_e32 v19, v6
	v_pk_add_f32 v[6:7], v[20:21], v[18:19] neg_lo:[0,1] neg_hi:[0,1]
	v_cmp_eq_f32_e32 vcc, s5, v70
	v_add_f32_e32 v7, v11, v7
	v_add_f32_e32 v6, v6, v7
	;; [unrolled: 1-line block ×3, first 2 shown]
	v_mul_f32_e32 v11, v24, v7
	v_mul_f32_e32 v16, v23, v11
	v_fma_f32 v18, v11, v23, -v16
	v_fmac_f32_e32 v18, v11, v2
	v_sub_f32_e32 v2, v17, v7
	v_add_f32_e32 v2, v6, v2
	v_add_f32_e32 v6, v16, v18
	v_sub_f32_e32 v17, v7, v6
	v_pk_add_f32 v[20:21], v[6:7], v[16:17] neg_lo:[0,1] neg_hi:[0,1]
	v_mov_b32_e32 v19, v6
	v_pk_add_f32 v[6:7], v[20:21], v[18:19] neg_lo:[0,1] neg_hi:[0,1]
	v_cvt_f32_i32_e32 v16, v22
	v_add_f32_e32 v2, v2, v7
	v_add_f32_e32 v2, v6, v2
	;; [unrolled: 1-line block ×4, first 2 shown]
	v_sub_f32_e32 v7, v6, v25
	v_mul_f32_e32 v2, v24, v2
	v_sub_f32_e32 v7, v11, v7
	v_add_f32_e32 v2, v7, v2
	v_add_f32_e32 v11, v6, v2
	v_mul_f32_e32 v17, v11, v11
	v_mov_b32_e32 v7, 0x3ecc95a3
	v_fmac_f32_e32 v7, 0x3e9b6dac, v17
	v_sub_f32_e32 v6, v11, v6
	v_fmaak_f32 v7, v17, v7, 0x3f2aaada
	v_sub_f32_e32 v2, v2, v6
	v_mul_f32_e32 v17, v11, v17
	v_mov_b32_e32 v6, 0x3f317218
	v_pk_mul_f32 v[6:7], v[16:17], v[6:7]
	v_ldexp_f32 v19, v11, 1
	v_fma_f32 v11, v16, s4, -v6
	v_fmamk_f32 v18, v16, 0xb102e308, v11
	v_pk_add_f32 v[16:17], v[6:7], v[18:19]
	v_ldexp_f32 v2, v2, 1
	v_sub_f32_e32 v11, v17, v19
	v_sub_f32_e32 v11, v7, v11
	v_add_f32_e32 v21, v2, v11
	v_mov_b32_e32 v20, v6
	v_pk_add_f32 v[6:7], v[16:17], v[6:7] neg_lo:[0,1] neg_hi:[0,1]
	v_pk_add_f32 v[22:23], v[16:17], v[20:21]
	v_mov_b32_e32 v19, v16
	v_mov_b32_e32 v7, v23
	v_pk_add_f32 v[24:25], v[18:19], v[6:7] neg_lo:[0,1] neg_hi:[0,1]
	v_pk_add_f32 v[6:7], v[18:19], v[6:7]
	s_mov_b32 s4, 0x33800000
	v_mov_b32_e32 v2, v7
	v_pk_add_f32 v[18:19], v[2:3], v[16:17] neg_lo:[0,1] neg_hi:[0,1]
	v_mov_b32_e32 v6, v23
	v_mov_b32_e32 v11, v18
	v_pk_add_f32 v[26:27], v[22:23], v[10:11] neg_lo:[0,1] neg_hi:[0,1]
	v_mov_b32_e32 v22, v17
	v_mov_b32_e32 v23, v18
	;; [unrolled: 1-line block ×3, first 2 shown]
	v_pk_add_f32 v[6:7], v[6:7], v[22:23] neg_lo:[0,1] neg_hi:[0,1]
	v_mov_b32_e32 v18, v21
	v_mov_b32_e32 v19, v16
	v_pk_add_f32 v[6:7], v[18:19], v[6:7] neg_lo:[0,1] neg_hi:[0,1]
	v_mov_b32_e32 v26, v24
	v_pk_add_f32 v[16:17], v[26:27], v[6:7]
	v_cmp_lt_f32_e64 s[4:5], |v70|, s4
	v_mov_b32_e32 v18, v17
	v_pk_add_f32 v[18:19], v[16:17], v[18:19]
	s_or_b64 vcc, vcc, s[4:5]
	v_pk_add_f32 v[20:21], v[2:3], v[18:19]
	v_mov_b32_e32 v7, v18
	v_mov_b32_e32 v17, v20
	v_pk_add_f32 v[22:23], v[16:17], v[24:25] neg_lo:[0,1] neg_hi:[0,1]
	s_nop 0
	v_sub_f32_e32 v2, v16, v22
	v_pk_add_f32 v[6:7], v[6:7], v[22:23] neg_lo:[0,1] neg_hi:[0,1]
	v_sub_f32_e32 v2, v24, v2
	v_add_f32_e32 v2, v6, v2
	v_add_f32_e32 v2, v2, v7
	;; [unrolled: 1-line block ×3, first 2 shown]
	v_cndmask_b32_e32 v2, v2, v70, vcc
	v_add_f32_e32 v2, v3, v2
	v_cvt_f16_f32_e32 v70, v2
	v_cvt_f32_f16_e32 v2, v70
	v_mov_b32_e32 v71, v70
.LBB360_402:
	s_or_b64 exec, exec, s[2:3]
	v_max_f32_e32 v6, v55, v55
	v_max_f32_e32 v7, v2, v2
	v_min_f32_e32 v3, v7, v6
	v_cmp_u_f16_e32 vcc, v70, v70
	v_max_f32_e32 v6, v7, v6
	s_movk_i32 s2, 0x1f8
	v_cndmask_b32_e32 v3, v3, v2, vcc
	v_cndmask_b32_e32 v2, v6, v2, vcc
	v_cndmask_b32_e64 v3, v3, v55, s[48:49]
	v_cndmask_b32_e64 v2, v2, v55, s[48:49]
	v_cmp_neq_f32_e32 vcc, v3, v2
	v_cmp_class_f32_e64 s[2:3], v3, s2
	s_or_b64 s[4:5], vcc, s[2:3]
	v_mov_b32_e32 v55, v71
	s_and_saveexec_b64 s[2:3], s[4:5]
	s_cbranch_execz .LBB360_404
; %bb.403:
	v_sub_f32_e32 v3, v3, v2
	s_mov_b32 s4, 0x3fb8aa3b
	v_mul_f32_e32 v6, 0x3fb8aa3b, v3
	v_fma_f32 v7, v3, s4, -v6
	v_rndne_f32_e32 v11, v6
	v_fmamk_f32 v7, v3, 0x32a5705f, v7
	v_sub_f32_e32 v6, v6, v11
	v_add_f32_e32 v6, v6, v7
	v_exp_f32_e32 v6, v6
	v_cvt_i32_f32_e32 v7, v11
	s_mov_b32 s4, 0xc2ce8ed0
	v_cmp_ngt_f32_e32 vcc, s4, v3
	s_mov_b32 s4, 0x42b17218
	v_ldexp_f32 v6, v6, v7
	v_cndmask_b32_e32 v6, 0, v6, vcc
	v_mov_b32_e32 v7, 0x7f800000
	v_cmp_nlt_f32_e32 vcc, s4, v3
	s_mov_b32 s4, 0x3f2aaaab
	s_mov_b32 s5, 0x7f800000
	v_cndmask_b32_e32 v11, v7, v6, vcc
	v_add_f32_e32 v3, 1.0, v11
	v_add_f32_e32 v6, -1.0, v3
	v_sub_f32_e32 v7, v6, v3
	v_add_f32_e32 v7, 1.0, v7
	v_sub_f32_e32 v6, v11, v6
	v_add_f32_e32 v16, v6, v7
	v_frexp_mant_f32_e32 v17, v3
	v_cvt_f64_f32_e32 v[6:7], v3
	v_frexp_exp_i32_f64_e32 v6, v[6:7]
	v_cmp_gt_f32_e32 vcc, s4, v17
	s_mov_b32 s4, 0x3f317218
	s_nop 0
	v_subbrev_co_u32_e32 v22, vcc, 0, v6, vcc
	v_sub_u32_e32 v6, 0, v22
	v_ldexp_f32 v3, v3, v6
	v_ldexp_f32 v6, v16, v6
	v_add_f32_e32 v16, -1.0, v3
	v_add_f32_e32 v7, 1.0, v16
	v_sub_f32_e32 v7, v3, v7
	v_add_f32_e32 v17, v6, v7
	v_add_f32_e32 v7, 1.0, v3
	v_add_f32_e32 v18, -1.0, v7
	v_sub_f32_e32 v3, v3, v18
	v_add_f32_e32 v3, v6, v3
	v_add_f32_e32 v23, v7, v3
	v_rcp_f32_e32 v24, v23
	v_sub_f32_e32 v6, v7, v23
	v_add_f32_e32 v7, v16, v17
	v_add_f32_e32 v3, v3, v6
	v_mul_f32_e32 v26, v7, v24
	v_sub_f32_e32 v6, v16, v7
	v_mul_f32_e32 v16, v23, v26
	v_fma_f32 v18, v26, v23, -v16
	v_fmac_f32_e32 v18, v26, v3
	v_add_f32_e32 v25, v17, v6
	v_add_f32_e32 v6, v16, v18
	v_sub_f32_e32 v17, v7, v6
	v_pk_add_f32 v[20:21], v[6:7], v[16:17] neg_lo:[0,1] neg_hi:[0,1]
	v_mov_b32_e32 v19, v6
	v_pk_add_f32 v[6:7], v[20:21], v[18:19] neg_lo:[0,1] neg_hi:[0,1]
	v_cmp_eq_f32_e32 vcc, s5, v11
	v_add_f32_e32 v7, v25, v7
	v_add_f32_e32 v6, v6, v7
	;; [unrolled: 1-line block ×3, first 2 shown]
	v_mul_f32_e32 v25, v24, v7
	v_mul_f32_e32 v16, v23, v25
	v_fma_f32 v18, v25, v23, -v16
	v_fmac_f32_e32 v18, v25, v3
	v_sub_f32_e32 v3, v17, v7
	v_add_f32_e32 v3, v6, v3
	v_add_f32_e32 v6, v16, v18
	v_sub_f32_e32 v17, v7, v6
	v_pk_add_f32 v[20:21], v[6:7], v[16:17] neg_lo:[0,1] neg_hi:[0,1]
	v_mov_b32_e32 v19, v6
	v_pk_add_f32 v[6:7], v[20:21], v[18:19] neg_lo:[0,1] neg_hi:[0,1]
	v_cvt_f32_i32_e32 v16, v22
	v_add_f32_e32 v3, v3, v7
	v_add_f32_e32 v3, v6, v3
	;; [unrolled: 1-line block ×4, first 2 shown]
	v_sub_f32_e32 v7, v6, v26
	v_mul_f32_e32 v3, v24, v3
	v_sub_f32_e32 v7, v25, v7
	v_add_f32_e32 v3, v7, v3
	v_add_f32_e32 v17, v6, v3
	v_mul_f32_e32 v18, v17, v17
	v_mov_b32_e32 v7, 0x3ecc95a3
	v_fmac_f32_e32 v7, 0x3e9b6dac, v18
	v_sub_f32_e32 v6, v17, v6
	v_fmaak_f32 v7, v18, v7, 0x3f2aaada
	v_sub_f32_e32 v3, v3, v6
	v_ldexp_f32 v19, v17, 1
	v_mul_f32_e32 v17, v17, v18
	v_mov_b32_e32 v6, 0x3f317218
	v_pk_mul_f32 v[6:7], v[16:17], v[6:7]
	v_ldexp_f32 v3, v3, 1
	v_fma_f32 v17, v16, s4, -v6
	v_fmamk_f32 v18, v16, 0xb102e308, v17
	v_pk_add_f32 v[16:17], v[6:7], v[18:19]
	v_mov_b32_e32 v20, v6
	v_sub_f32_e32 v19, v17, v19
	v_sub_f32_e32 v19, v7, v19
	v_add_f32_e32 v21, v3, v19
	v_pk_add_f32 v[6:7], v[16:17], v[6:7] neg_lo:[0,1] neg_hi:[0,1]
	v_pk_add_f32 v[22:23], v[16:17], v[20:21]
	v_mov_b32_e32 v19, v16
	v_mov_b32_e32 v7, v23
	v_pk_add_f32 v[24:25], v[18:19], v[6:7] neg_lo:[0,1] neg_hi:[0,1]
	v_pk_add_f32 v[6:7], v[18:19], v[6:7]
	v_mov_b32_e32 v20, v21
	v_mov_b32_e32 v18, v7
	v_pk_add_f32 v[26:27], v[18:19], v[16:17] neg_lo:[0,1] neg_hi:[0,1]
	v_mov_b32_e32 v6, v23
	v_mov_b32_e32 v3, v26
	v_pk_add_f32 v[80:81], v[22:23], v[2:3] neg_lo:[0,1] neg_hi:[0,1]
	v_mov_b32_e32 v22, v17
	v_mov_b32_e32 v23, v26
	;; [unrolled: 1-line block ×3, first 2 shown]
	v_pk_add_f32 v[6:7], v[6:7], v[22:23] neg_lo:[0,1] neg_hi:[0,1]
	v_mov_b32_e32 v21, v16
	v_pk_add_f32 v[6:7], v[20:21], v[6:7] neg_lo:[0,1] neg_hi:[0,1]
	v_mov_b32_e32 v80, v24
	v_pk_add_f32 v[16:17], v[80:81], v[6:7]
	s_mov_b32 s4, 0x33800000
	v_mov_b32_e32 v20, v17
	v_pk_add_f32 v[20:21], v[16:17], v[20:21]
	v_cmp_lt_f32_e64 s[4:5], |v11|, s4
	v_pk_add_f32 v[18:19], v[18:19], v[20:21]
	v_mov_b32_e32 v7, v20
	v_mov_b32_e32 v17, v18
	v_pk_add_f32 v[22:23], v[16:17], v[24:25] neg_lo:[0,1] neg_hi:[0,1]
	s_or_b64 vcc, vcc, s[4:5]
	v_sub_f32_e32 v3, v16, v22
	v_pk_add_f32 v[6:7], v[6:7], v[22:23] neg_lo:[0,1] neg_hi:[0,1]
	v_sub_f32_e32 v3, v24, v3
	v_add_f32_e32 v3, v6, v3
	v_add_f32_e32 v3, v3, v7
	;; [unrolled: 1-line block ×3, first 2 shown]
	v_cndmask_b32_e32 v3, v3, v11, vcc
	v_add_f32_e32 v2, v2, v3
	v_cvt_f16_f32_e32 v55, v2
.LBB360_404:
	s_or_b64 exec, exec, s[2:3]
	s_movk_i32 s2, 0xff
	v_cmp_eq_u32_e32 vcc, s2, v0
	s_and_saveexec_b64 s[2:3], vcc
	s_cbranch_execz .LBB360_406
; %bb.405:
	s_mov_b32 s4, 0x20000
	v_or_b32_sdwa v2, v55, s4 dst_sel:DWORD dst_unused:UNUSED_PAD src0_sel:WORD_0 src1_sel:DWORD
	flat_store_dword v[28:29], v2 offset:256 sc1
.LBB360_406:
	s_or_b64 exec, exec, s[2:3]
.LBB360_407:
	v_lshl_add_u64 v[2:3], v[12:13], 1, v[14:15]
	v_lshl_add_u64 v[2:3], s[58:59], 1, v[2:3]
	s_waitcnt lgkmcnt(0)
	s_barrier
	s_and_saveexec_b64 s[2:3], s[0:1]
	s_xor_b64 s[0:1], exec, s[2:3]
	s_cbranch_execz .LBB360_409
; %bb.408:
	s_mov_b32 s2, 0x5040100
	v_perm_b32 v7, v87, v38, s2
	v_perm_b32 v6, v37, v36, s2
	;; [unrolled: 1-line block ×4, first 2 shown]
	ds_write_b128 v1, v[4:7]
	v_perm_b32 v7, v51, v66, s2
	v_perm_b32 v6, v50, v65, s2
	;; [unrolled: 1-line block ×4, first 2 shown]
	ds_write_b128 v1, v[4:7] offset:16
	v_perm_b32 v7, v55, v71, s2
	v_perm_b32 v6, v54, v69, s2
	v_perm_b32 v5, v53, v68, s2
	v_perm_b32 v4, v52, v67, s2
	v_mov_b32_e32 v11, 0
	ds_write_b128 v1, v[4:7] offset:32
	s_waitcnt lgkmcnt(0)
	s_barrier
	ds_read_u16 v4, v10
	ds_read_u16 v5, v10 offset:512
	ds_read_u16 v6, v10 offset:1024
	;; [unrolled: 1-line block ×23, first 2 shown]
	v_lshl_add_u64 v[0:1], v[2:3], 0, v[10:11]
	s_movk_i32 s2, 0x1000
	v_add_co_u32_e32 v2, vcc, s2, v0
	s_waitcnt lgkmcnt(0)
	flat_store_short v[0:1], v4
	flat_store_short v[0:1], v5 offset:512
	flat_store_short v[0:1], v6 offset:1024
	;; [unrolled: 1-line block ×7, first 2 shown]
	v_addc_co_u32_e32 v3, vcc, 0, v1, vcc
	v_add_co_u32_e32 v0, vcc, 0x2000, v0
	flat_store_short v[2:3], v14
	flat_store_short v[2:3], v15 offset:512
	flat_store_short v[2:3], v16 offset:1024
	;; [unrolled: 1-line block ×7, first 2 shown]
	v_addc_co_u32_e32 v1, vcc, 0, v1, vcc
                                        ; implicit-def: $vgpr2_vgpr3_vgpr4_vgpr5
	flat_store_short v[0:1], v22
	flat_store_short v[0:1], v23 offset:512
	flat_store_short v[0:1], v24 offset:1024
	;; [unrolled: 1-line block ×7, first 2 shown]
                                        ; implicit-def: $vgpr6_vgpr7_vgpr8_vgpr9
                                        ; implicit-def: $vgpr0
                                        ; implicit-def: $vgpr30_vgpr31
                                        ; implicit-def: $vgpr1
                                        ; implicit-def: $vgpr32
                                        ; implicit-def: $vgpr33
                                        ; implicit-def: $vgpr34
                                        ; implicit-def: $vgpr35
                                        ; implicit-def: $vgpr36
                                        ; implicit-def: $vgpr37
                                        ; implicit-def: $vgpr38
                                        ; implicit-def: $vgpr87
                                        ; implicit-def: $vgpr96
                                        ; implicit-def: $vgpr39
                                        ; implicit-def: $vgpr64
                                        ; implicit-def: $vgpr49
                                        ; implicit-def: $vgpr65
                                        ; implicit-def: $vgpr50
                                        ; implicit-def: $vgpr66
                                        ; implicit-def: $vgpr51
                                        ; implicit-def: $vgpr67
                                        ; implicit-def: $vgpr52
                                        ; implicit-def: $vgpr68
                                        ; implicit-def: $vgpr53
                                        ; implicit-def: $vgpr69
                                        ; implicit-def: $vgpr54
                                        ; implicit-def: $vgpr71
                                        ; implicit-def: $vgpr55
                                        ; implicit-def: $vgpr2_vgpr3
                                        ; implicit-def: $vgpr48
                                        ; implicit-def: $vgpr10
.LBB360_409:
	s_andn2_saveexec_b64 s[2:3], s[0:1]
	s_cbranch_execz .LBB360_550
; %bb.410:
	s_mov_b32 s0, 0x5040100
	v_perm_b32 v15, v87, v38, s0
	v_perm_b32 v14, v37, v36, s0
	;; [unrolled: 1-line block ×4, first 2 shown]
	ds_write_b128 v1, v[12:15]
	v_perm_b32 v15, v51, v66, s0
	v_perm_b32 v14, v50, v65, s0
	;; [unrolled: 1-line block ×4, first 2 shown]
	ds_write_b128 v1, v[12:15] offset:16
	v_perm_b32 v15, v55, v71, s0
	v_perm_b32 v14, v54, v69, s0
	;; [unrolled: 1-line block ×4, first 2 shown]
	ds_write_b128 v1, v[12:15] offset:32
	s_waitcnt lgkmcnt(0)
	s_barrier
	ds_read_u16 v7, v10
	ds_read_u16 v6, v10 offset:512
	ds_read_u16 v13, v10 offset:1024
	;; [unrolled: 1-line block ×23, first 2 shown]
	v_mov_b32_e32 v11, 0
	v_lshl_add_u64 v[2:3], v[2:3], 0, v[10:11]
	v_cmp_lt_u32_e32 vcc, v0, v30
	s_and_saveexec_b64 s[0:1], vcc
	s_cbranch_execz .LBB360_412
; %bb.411:
	s_waitcnt lgkmcnt(0)
	flat_store_short v[2:3], v7
.LBB360_412:
	s_or_b64 exec, exec, s[0:1]
	v_add_u32_e32 v1, 0x100, v0
	v_cmp_lt_u32_e32 vcc, v1, v30
	s_and_saveexec_b64 s[0:1], vcc
	s_cbranch_execz .LBB360_414
; %bb.413:
	s_waitcnt lgkmcnt(0)
	flat_store_short v[2:3], v6 offset:512
.LBB360_414:
	s_or_b64 exec, exec, s[0:1]
	v_add_u32_e32 v1, 0x200, v0
	v_cmp_lt_u32_e32 vcc, v1, v30
	s_and_saveexec_b64 s[0:1], vcc
	s_cbranch_execz .LBB360_416
; %bb.415:
	s_waitcnt lgkmcnt(0)
	flat_store_short v[2:3], v13 offset:1024
.LBB360_416:
	;; [unrolled: 9-line block ×3, first 2 shown]
	s_or_b64 exec, exec, s[0:1]
	v_or_b32_e32 v1, 0x400, v0
	v_cmp_lt_u32_e32 vcc, v1, v30
	s_and_saveexec_b64 s[0:1], vcc
	s_cbranch_execz .LBB360_420
; %bb.419:
	s_waitcnt lgkmcnt(0)
	flat_store_short v[2:3], v12 offset:2048
.LBB360_420:
	s_or_b64 exec, exec, s[0:1]
	v_add_u32_e32 v1, 0x500, v0
	v_cmp_lt_u32_e32 vcc, v1, v30
	s_and_saveexec_b64 s[0:1], vcc
	s_cbranch_execz .LBB360_422
; %bb.421:
	s_waitcnt lgkmcnt(0)
	flat_store_short v[2:3], v15 offset:2560
.LBB360_422:
	s_or_b64 exec, exec, s[0:1]
	v_add_u32_e32 v1, 0x600, v0
	v_cmp_lt_u32_e32 vcc, v1, v30
	s_and_saveexec_b64 s[0:1], vcc
	s_cbranch_execz .LBB360_424
; %bb.423:
	s_waitcnt lgkmcnt(0)
	flat_store_short v[2:3], v23 offset:3072
.LBB360_424:
	s_or_b64 exec, exec, s[0:1]
	v_add_u32_e32 v1, 0x700, v0
	v_cmp_lt_u32_e32 vcc, v1, v30
	s_and_saveexec_b64 s[0:1], vcc
	s_cbranch_execz .LBB360_426
; %bb.425:
	s_waitcnt lgkmcnt(0)
	flat_store_short v[2:3], v21 offset:3584
.LBB360_426:
	s_or_b64 exec, exec, s[0:1]
	v_or_b32_e32 v1, 0x800, v0
	v_cmp_lt_u32_e32 vcc, v1, v30
	s_and_saveexec_b64 s[0:1], vcc
	s_cbranch_execz .LBB360_428
; %bb.427:
	v_add_co_u32_e32 v36, vcc, 0x1000, v2
	s_nop 1
	v_addc_co_u32_e32 v37, vcc, 0, v3, vcc
	s_waitcnt lgkmcnt(0)
	flat_store_short v[36:37], v22
.LBB360_428:
	s_or_b64 exec, exec, s[0:1]
	v_add_u32_e32 v1, 0x900, v0
	v_cmp_lt_u32_e32 vcc, v1, v30
	s_and_saveexec_b64 s[0:1], vcc
	s_cbranch_execz .LBB360_430
; %bb.429:
	v_add_co_u32_e32 v36, vcc, 0x1000, v2
	s_nop 1
	v_addc_co_u32_e32 v37, vcc, 0, v3, vcc
	s_waitcnt lgkmcnt(0)
	flat_store_short v[36:37], v29 offset:512
.LBB360_430:
	s_or_b64 exec, exec, s[0:1]
	v_add_u32_e32 v1, 0xa00, v0
	v_cmp_lt_u32_e32 vcc, v1, v30
	s_and_saveexec_b64 s[0:1], vcc
	s_cbranch_execz .LBB360_432
; %bb.431:
	v_add_co_u32_e32 v36, vcc, 0x1000, v2
	s_nop 1
	v_addc_co_u32_e32 v37, vcc, 0, v3, vcc
	s_waitcnt lgkmcnt(0)
	flat_store_short v[36:37], v26 offset:1024
.LBB360_432:
	s_or_b64 exec, exec, s[0:1]
	v_add_u32_e32 v1, 0xb00, v0
	v_cmp_lt_u32_e32 vcc, v1, v30
	s_and_saveexec_b64 s[0:1], vcc
	s_cbranch_execz .LBB360_434
; %bb.433:
	v_add_co_u32_e32 v36, vcc, 0x1000, v2
	s_nop 1
	v_addc_co_u32_e32 v37, vcc, 0, v3, vcc
	s_waitcnt lgkmcnt(0)
	flat_store_short v[36:37], v25 offset:1536
.LBB360_434:
	s_or_b64 exec, exec, s[0:1]
	v_or_b32_e32 v1, 0xc00, v0
	v_cmp_lt_u32_e32 vcc, v1, v30
	s_and_saveexec_b64 s[0:1], vcc
	s_cbranch_execz .LBB360_436
; %bb.435:
	v_add_co_u32_e32 v36, vcc, 0x1000, v2
	s_nop 1
	v_addc_co_u32_e32 v37, vcc, 0, v3, vcc
	s_waitcnt lgkmcnt(0)
	flat_store_short v[36:37], v24 offset:2048
.LBB360_436:
	s_or_b64 exec, exec, s[0:1]
	v_add_u32_e32 v1, 0xd00, v0
	v_cmp_lt_u32_e32 vcc, v1, v30
	s_and_saveexec_b64 s[0:1], vcc
	s_cbranch_execz .LBB360_438
; %bb.437:
	v_add_co_u32_e32 v36, vcc, 0x1000, v2
	s_nop 1
	v_addc_co_u32_e32 v37, vcc, 0, v3, vcc
	s_waitcnt lgkmcnt(0)
	flat_store_short v[36:37], v19 offset:2560
.LBB360_438:
	s_or_b64 exec, exec, s[0:1]
	v_add_u32_e32 v1, 0xe00, v0
	;; [unrolled: 12-line block ×3, first 2 shown]
	v_cmp_lt_u32_e32 vcc, v1, v30
	s_and_saveexec_b64 s[0:1], vcc
	s_cbranch_execz .LBB360_442
; %bb.441:
	v_add_co_u32_e32 v36, vcc, 0x1000, v2
	s_nop 1
	v_addc_co_u32_e32 v37, vcc, 0, v3, vcc
	s_waitcnt lgkmcnt(0)
	flat_store_short v[36:37], v16 offset:3584
.LBB360_442:
	s_or_b64 exec, exec, s[0:1]
	v_or_b32_e32 v1, 0x1000, v0
	v_cmp_lt_u32_e32 vcc, v1, v30
	s_and_saveexec_b64 s[0:1], vcc
	s_cbranch_execz .LBB360_444
; %bb.443:
	v_add_co_u32_e32 v36, vcc, 0x2000, v2
	s_nop 1
	v_addc_co_u32_e32 v37, vcc, 0, v3, vcc
	s_waitcnt lgkmcnt(0)
	flat_store_short v[36:37], v28
.LBB360_444:
	s_or_b64 exec, exec, s[0:1]
	v_add_u32_e32 v1, 0x1100, v0
	v_cmp_lt_u32_e32 vcc, v1, v30
	s_and_saveexec_b64 s[0:1], vcc
	s_cbranch_execz .LBB360_446
; %bb.445:
	v_add_co_u32_e32 v36, vcc, 0x2000, v2
	s_nop 1
	v_addc_co_u32_e32 v37, vcc, 0, v3, vcc
	s_waitcnt lgkmcnt(0)
	flat_store_short v[36:37], v34 offset:512
.LBB360_446:
	s_or_b64 exec, exec, s[0:1]
	v_add_u32_e32 v1, 0x1200, v0
	v_cmp_lt_u32_e32 vcc, v1, v30
	s_and_saveexec_b64 s[0:1], vcc
	s_cbranch_execz .LBB360_448
; %bb.447:
	v_add_co_u32_e32 v36, vcc, 0x2000, v2
	s_nop 1
	v_addc_co_u32_e32 v37, vcc, 0, v3, vcc
	s_waitcnt lgkmcnt(0)
	flat_store_short v[36:37], v32 offset:1024
.LBB360_448:
	;; [unrolled: 12-line block ×3, first 2 shown]
	s_or_b64 exec, exec, s[0:1]
	v_or_b32_e32 v1, 0x1400, v0
	v_cmp_lt_u32_e32 vcc, v1, v30
	s_and_saveexec_b64 s[0:1], vcc
	s_cbranch_execz .LBB360_452
; %bb.451:
	v_add_co_u32_e32 v36, vcc, 0x2000, v2
	s_nop 1
	v_addc_co_u32_e32 v37, vcc, 0, v3, vcc
	s_waitcnt lgkmcnt(0)
	flat_store_short v[36:37], v18 offset:2048
.LBB360_452:
	s_or_b64 exec, exec, s[0:1]
	v_add_u32_e32 v1, 0x1500, v0
	v_cmp_lt_u32_e32 vcc, v1, v30
	s_and_saveexec_b64 s[0:1], vcc
	s_cbranch_execz .LBB360_454
; %bb.453:
	v_add_co_u32_e32 v36, vcc, 0x2000, v2
	s_nop 1
	v_addc_co_u32_e32 v37, vcc, 0, v3, vcc
	s_waitcnt lgkmcnt(0)
	flat_store_short v[36:37], v17 offset:2560
.LBB360_454:
	s_or_b64 exec, exec, s[0:1]
	v_add_u32_e32 v1, 0x1600, v0
	;; [unrolled: 12-line block ×3, first 2 shown]
	v_cmp_lt_u32_e32 vcc, v1, v30
	s_and_saveexec_b64 s[0:1], vcc
	s_cbranch_execz .LBB360_458
; %bb.457:
	v_add_co_u32_e32 v2, vcc, 0x2000, v2
	s_nop 1
	v_addc_co_u32_e32 v3, vcc, 0, v3, vcc
	s_waitcnt lgkmcnt(0)
	flat_store_short v[2:3], v35 offset:3584
.LBB360_458:
	s_or_b64 exec, exec, s[0:1]
	v_cmp_lt_u64_e32 vcc, 1, v[8:9]
	s_and_saveexec_b64 s[4:5], vcc
	s_cbranch_execz .LBB360_549
; %bb.459:
	s_add_u32 s0, 0, 0xaaaa0000
	s_addc_u32 s1, 0, 42
	s_add_i32 s1, s1, 0xaaaaa80
	s_mul_hi_u32 s9, s0, 0xffffffe8
	s_sub_i32 s9, s9, s0
	s_mul_i32 s10, s1, 0xffffffe8
	s_mul_i32 s6, s0, 0xffffffe8
	s_add_i32 s9, s9, s10
	s_mul_hi_u32 s7, s1, s6
	s_mul_i32 s8, s1, s6
	s_mul_i32 s11, s0, s9
	s_mul_hi_u32 s6, s0, s6
	s_mul_hi_u32 s10, s0, s9
	s_add_u32 s6, s6, s11
	s_addc_u32 s10, 0, s10
	s_add_u32 s6, s6, s8
	s_mul_hi_u32 s11, s1, s9
	s_addc_u32 s6, s10, s7
	s_addc_u32 s7, s11, 0
	s_mul_i32 s8, s1, s9
	s_add_u32 s6, s6, s8
	v_mov_b32_e32 v8, s6
	s_addc_u32 s7, 0, s7
	v_add_co_u32_e32 v36, vcc, s0, v8
	s_cmp_lg_u64 vcc, 0
	v_lshl_add_u64 v[2:3], v[30:31], 0, -1
	s_addc_u32 s6, s1, s7
	v_mov_b32_e32 v1, v11
	v_mad_u64_u32 v[8:9], s[0:1], v2, s6, 0
	v_mul_hi_u32 v10, v2, v36
	v_mov_b32_e32 v11, 0
	v_lshl_add_u64 v[8:9], v[10:11], 0, v[8:9]
	v_mad_u64_u32 v[36:37], s[0:1], v3, v36, 0
	v_add_co_u32_e32 v8, vcc, v8, v36
	v_mad_u64_u32 v[30:31], s[0:1], v3, s6, 0
	s_nop 0
	v_addc_co_u32_e32 v10, vcc, v9, v37, vcc
	s_nop 1
	v_addc_co_u32_e32 v31, vcc, 0, v31, vcc
	v_lshl_add_u64 v[8:9], v[10:11], 0, v[30:31]
	v_mad_u64_u32 v[10:11], s[0:1], v8, 24, 0
	v_mov_b32_e32 v30, v11
	v_mad_u64_u32 v[30:31], s[0:1], v9, 24, v[30:31]
	v_sub_co_u32_e32 v36, vcc, v2, v10
	v_cmp_lt_u32_e64 s[0:1], 23, v36
	s_nop 0
	v_subb_co_u32_e32 v37, vcc, v3, v30, vcc
	v_subrev_co_u32_e32 v10, vcc, 24, v36
	v_lshl_add_u64 v[30:31], v[8:9], 0, 1
	s_nop 0
	v_subbrev_co_u32_e32 v11, vcc, 0, v37, vcc
	v_cmp_lt_u32_e32 vcc, 23, v10
	s_nop 1
	v_cndmask_b32_e64 v10, 0, -1, vcc
	v_cmp_eq_u32_e32 vcc, 0, v11
	s_nop 1
	v_cndmask_b32_e32 v38, -1, v10, vcc
	v_lshl_add_u64 v[10:11], v[8:9], 0, 2
	v_cmp_ne_u32_e32 vcc, 0, v38
	s_nop 1
	v_cndmask_b32_e32 v11, v31, v11, vcc
	v_cndmask_b32_e64 v31, 0, -1, s[0:1]
	v_cmp_eq_u32_e64 s[0:1], 0, v37
	v_cndmask_b32_e32 v10, v30, v10, vcc
	s_nop 0
	v_cndmask_b32_e64 v31, -1, v31, s[0:1]
	v_cmp_ne_u32_e64 s[0:1], 0, v31
	s_nop 1
	v_cndmask_b32_e64 v9, v9, v11, s[0:1]
	v_cndmask_b32_e64 v8, v8, v10, s[0:1]
	v_cmp_eq_u64_e32 vcc, v[8:9], v[0:1]
	s_and_b64 exec, exec, vcc
	s_cbranch_execz .LBB360_549
; %bb.460:
	v_mul_hi_u32_u24_e32 v1, 24, v0
	v_sub_co_u32_e32 v0, vcc, v2, v48
	s_mov_b64 s[0:1], 0
	s_nop 0
	v_subb_co_u32_e32 v1, vcc, v3, v1, vcc
	v_cmp_lt_i64_e32 vcc, 11, v[0:1]
	s_mov_b64 s[12:13], 0
	s_mov_b64 s[10:11], 0
	;; [unrolled: 1-line block ×3, first 2 shown]
	s_and_saveexec_b64 s[6:7], vcc
	s_xor_b64 s[6:7], exec, s[6:7]
	s_cbranch_execnz .LBB360_466
; %bb.461:
	s_andn2_saveexec_b64 s[6:7], s[6:7]
	s_cbranch_execnz .LBB360_511
.LBB360_462:
	s_or_b64 exec, exec, s[6:7]
	s_and_saveexec_b64 s[6:7], s[12:13]
	s_cbranch_execnz .LBB360_528
.LBB360_463:
	s_or_b64 exec, exec, s[6:7]
	s_and_saveexec_b64 s[6:7], s[10:11]
	s_cbranch_execnz .LBB360_529
.LBB360_464:
	s_or_b64 exec, exec, s[6:7]
	s_and_saveexec_b64 s[6:7], s[8:9]
	s_xor_b64 s[6:7], exec, s[6:7]
	s_cbranch_execnz .LBB360_530
.LBB360_465:
	s_or_b64 exec, exec, s[6:7]
	s_and_b64 exec, exec, s[0:1]
	s_cbranch_execnz .LBB360_531
	s_branch .LBB360_549
.LBB360_466:
	v_cmp_lt_i64_e32 vcc, 17, v[0:1]
	s_and_saveexec_b64 s[14:15], vcc
	s_xor_b64 s[14:15], exec, s[14:15]
	s_cbranch_execz .LBB360_488
; %bb.467:
	v_cmp_lt_i64_e32 vcc, 20, v[0:1]
                                        ; implicit-def: $vgpr16
	s_and_saveexec_b64 s[16:17], vcc
	s_xor_b64 s[16:17], exec, s[16:17]
	s_cbranch_execz .LBB360_477
; %bb.468:
	v_cmp_lt_i64_e32 vcc, 21, v[0:1]
	s_mov_b64 s[18:19], 0
                                        ; implicit-def: $vgpr16
	s_and_saveexec_b64 s[8:9], vcc
	s_xor_b64 s[8:9], exec, s[8:9]
	s_cbranch_execz .LBB360_474
; %bb.469:
	v_cmp_lt_i64_e32 vcc, 22, v[0:1]
	s_and_saveexec_b64 s[18:19], vcc
	s_xor_b64 s[18:19], exec, s[18:19]
	s_cbranch_execz .LBB360_471
; %bb.470:
	s_waitcnt lgkmcnt(0)
	flat_store_short v[4:5], v35
                                        ; implicit-def: $vgpr33
.LBB360_471:
	s_or_saveexec_b64 s[18:19], s[18:19]
	s_mov_b64 s[20:21], 0
	s_xor_b64 exec, exec, s[18:19]
; %bb.472:
	s_mov_b64 s[20:21], exec
; %bb.473:
	s_or_b64 exec, exec, s[18:19]
	s_and_b64 s[18:19], s[20:21], exec
	s_waitcnt lgkmcnt(0)
	v_mov_b32_e32 v16, v33
                                        ; implicit-def: $vgpr17
.LBB360_474:
	s_andn2_saveexec_b64 s[8:9], s[8:9]
; %bb.475:
	s_mov_b64 s[10:11], exec
                                        ; implicit-def: $vgpr16
; %bb.476:
	s_or_b64 exec, exec, s[8:9]
	s_and_b64 s[8:9], s[18:19], exec
	s_and_b64 s[10:11], s[10:11], exec
                                        ; implicit-def: $vgpr32
                                        ; implicit-def: $vgpr18
                                        ; implicit-def: $vgpr27
.LBB360_477:
	s_andn2_saveexec_b64 s[16:17], s[16:17]
	s_cbranch_execz .LBB360_487
; %bb.478:
	v_cmp_lt_i64_e32 vcc, 18, v[0:1]
	s_mov_b64 s[18:19], 0
	s_and_saveexec_b64 s[12:13], vcc
	s_xor_b64 s[12:13], exec, s[12:13]
	s_cbranch_execz .LBB360_484
; %bb.479:
	v_cmp_lt_i64_e32 vcc, 19, v[0:1]
	s_and_saveexec_b64 s[20:21], vcc
	s_xor_b64 s[20:21], exec, s[20:21]
; %bb.480:
	s_mov_b64 s[18:19], exec
                                        ; implicit-def: $vgpr27
; %bb.481:
	s_andn2_saveexec_b64 s[20:21], s[20:21]
	s_cbranch_execz .LBB360_483
; %bb.482:
	s_waitcnt lgkmcnt(0)
	flat_store_short v[4:5], v27
                                        ; implicit-def: $vgpr18
.LBB360_483:
	s_or_b64 exec, exec, s[20:21]
	s_and_b64 s[18:19], s[18:19], exec
                                        ; implicit-def: $vgpr32
.LBB360_484:
	s_andn2_saveexec_b64 s[12:13], s[12:13]
	s_cbranch_execz .LBB360_486
; %bb.485:
	s_waitcnt lgkmcnt(0)
	flat_store_short v[4:5], v32
                                        ; implicit-def: $vgpr18
.LBB360_486:
	s_or_b64 exec, exec, s[12:13]
	s_and_b64 s[12:13], s[18:19], exec
                                        ; implicit-def: $vgpr16
                                        ; implicit-def: $vgpr17
.LBB360_487:
	s_or_b64 exec, exec, s[16:17]
	s_and_b64 s[8:9], s[8:9], exec
	s_and_b64 s[10:11], s[10:11], exec
	;; [unrolled: 1-line block ×3, first 2 shown]
                                        ; implicit-def: $vgpr24
                                        ; implicit-def: $vgpr19
                                        ; implicit-def: $vgpr20
                                        ; implicit-def: $vgpr28
                                        ; implicit-def: $vgpr34
.LBB360_488:
	s_andn2_saveexec_b64 s[14:15], s[14:15]
	s_cbranch_execz .LBB360_510
; %bb.489:
	v_cmp_lt_i64_e32 vcc, 14, v[0:1]
	s_mov_b64 s[16:17], s[8:9]
	s_and_saveexec_b64 s[18:19], vcc
	s_xor_b64 s[18:19], exec, s[18:19]
	s_cbranch_execz .LBB360_499
; %bb.490:
	v_cmp_lt_i64_e32 vcc, 15, v[0:1]
	s_and_saveexec_b64 s[16:17], vcc
	s_xor_b64 s[16:17], exec, s[16:17]
	s_cbranch_execz .LBB360_496
; %bb.491:
	v_cmp_lt_i64_e32 vcc, 16, v[0:1]
	s_and_saveexec_b64 s[20:21], vcc
	s_xor_b64 s[20:21], exec, s[20:21]
	s_cbranch_execz .LBB360_493
; %bb.492:
	s_waitcnt lgkmcnt(0)
	flat_store_short v[4:5], v34
                                        ; implicit-def: $vgpr28
.LBB360_493:
	s_andn2_saveexec_b64 s[20:21], s[20:21]
	s_cbranch_execz .LBB360_495
; %bb.494:
	s_waitcnt lgkmcnt(0)
	flat_store_short v[4:5], v28
.LBB360_495:
	s_or_b64 exec, exec, s[20:21]
                                        ; implicit-def: $vgpr16
.LBB360_496:
	s_or_saveexec_b64 s[16:17], s[16:17]
	s_mov_b64 s[20:21], s[8:9]
	s_xor_b64 exec, exec, s[16:17]
; %bb.497:
	s_or_b64 s[20:21], s[8:9], exec
; %bb.498:
	s_or_b64 exec, exec, s[16:17]
	s_andn2_b64 s[16:17], s[8:9], exec
	s_and_b64 s[20:21], s[20:21], exec
	s_or_b64 s[16:17], s[16:17], s[20:21]
                                        ; implicit-def: $vgpr24
                                        ; implicit-def: $vgpr19
                                        ; implicit-def: $vgpr20
.LBB360_499:
	s_or_saveexec_b64 s[18:19], s[18:19]
	s_mov_b64 s[20:21], s[10:11]
                                        ; implicit-def: $vgpr17
	s_xor_b64 exec, exec, s[18:19]
	s_cbranch_execz .LBB360_509
; %bb.500:
	v_cmp_lt_i64_e32 vcc, 12, v[0:1]
	s_mov_b64 s[22:23], s[10:11]
	s_mov_b64 s[24:25], s[16:17]
                                        ; implicit-def: $vgpr16
                                        ; implicit-def: $vgpr17
	s_and_saveexec_b64 s[20:21], vcc
	s_xor_b64 s[20:21], exec, s[20:21]
	s_cbranch_execz .LBB360_506
; %bb.501:
	v_cmp_lt_i64_e32 vcc, 13, v[0:1]
	s_mov_b64 s[22:23], s[16:17]
	s_and_saveexec_b64 s[24:25], vcc
	s_xor_b64 s[24:25], exec, s[24:25]
; %bb.502:
	s_or_b64 s[22:23], s[16:17], exec
                                        ; implicit-def: $vgpr19
; %bb.503:
	s_or_saveexec_b64 s[24:25], s[24:25]
	s_mov_b64 s[26:27], s[10:11]
	s_xor_b64 exec, exec, s[24:25]
; %bb.504:
	s_or_b64 s[26:27], s[10:11], exec
                                        ; implicit-def: $vgpr20
; %bb.505:
	s_or_b64 exec, exec, s[24:25]
	s_andn2_b64 s[24:25], s[16:17], exec
	s_and_b64 s[22:23], s[22:23], exec
	s_or_b64 s[24:25], s[24:25], s[22:23]
	s_andn2_b64 s[22:23], s[10:11], exec
	s_and_b64 s[26:27], s[26:27], exec
	s_or_b64 s[22:23], s[22:23], s[26:27]
	s_waitcnt lgkmcnt(0)
	v_mov_b32_e32 v16, v20
	v_mov_b32_e32 v17, v19
                                        ; implicit-def: $vgpr24
.LBB360_506:
	s_andn2_saveexec_b64 s[20:21], s[20:21]
	s_cbranch_execz .LBB360_508
; %bb.507:
	s_or_b64 s[22:23], s[22:23], exec
                                        ; implicit-def: $vgpr16
	s_waitcnt lgkmcnt(0)
	v_mov_b32_e32 v17, v24
.LBB360_508:
	s_or_b64 exec, exec, s[20:21]
	s_andn2_b64 s[16:17], s[16:17], exec
	s_and_b64 s[20:21], s[24:25], exec
	s_or_b64 s[16:17], s[16:17], s[20:21]
	s_andn2_b64 s[20:21], s[10:11], exec
	s_and_b64 s[22:23], s[22:23], exec
	s_or_b64 s[20:21], s[20:21], s[22:23]
.LBB360_509:
	s_or_b64 exec, exec, s[18:19]
	s_andn2_b64 s[8:9], s[8:9], exec
	s_and_b64 s[16:17], s[16:17], exec
	s_or_b64 s[8:9], s[8:9], s[16:17]
	s_andn2_b64 s[10:11], s[10:11], exec
	s_and_b64 s[16:17], s[20:21], exec
	s_or_b64 s[10:11], s[10:11], s[16:17]
                                        ; implicit-def: $vgpr18
.LBB360_510:
	s_or_b64 exec, exec, s[14:15]
	s_and_b64 s[8:9], s[8:9], exec
	s_and_b64 s[10:11], s[10:11], exec
	;; [unrolled: 1-line block ×3, first 2 shown]
                                        ; implicit-def: $vgpr23
                                        ; implicit-def: $vgpr21
                                        ; implicit-def: $vgpr22
                                        ; implicit-def: $vgpr29
                                        ; implicit-def: $vgpr26
                                        ; implicit-def: $vgpr25
	s_andn2_saveexec_b64 s[6:7], s[6:7]
	s_cbranch_execz .LBB360_462
.LBB360_511:
	v_cmp_lt_i64_e32 vcc, 5, v[0:1]
	s_mov_b64 s[16:17], -1
	s_mov_b64 s[14:15], s[12:13]
	s_mov_b64 s[18:19], s[10:11]
	;; [unrolled: 1-line block ×3, first 2 shown]
                                        ; implicit-def: $vgpr16
                                        ; implicit-def: $vgpr17
                                        ; implicit-def: $vgpr18
	s_and_saveexec_b64 s[0:1], vcc
	s_cbranch_execz .LBB360_527
; %bb.512:
	v_cmp_lt_i64_e32 vcc, 8, v[0:1]
	s_mov_b64 s[14:15], s[12:13]
                                        ; implicit-def: $vgpr18
	s_and_saveexec_b64 s[16:17], vcc
	s_xor_b64 s[16:17], exec, s[16:17]
	s_cbranch_execz .LBB360_522
; %bb.513:
	v_cmp_lt_i64_e32 vcc, 9, v[0:1]
	s_and_saveexec_b64 s[14:15], vcc
	s_xor_b64 s[14:15], exec, s[14:15]
	s_cbranch_execz .LBB360_519
; %bb.514:
	v_cmp_lt_i64_e32 vcc, 10, v[0:1]
	s_and_saveexec_b64 s[18:19], vcc
	s_xor_b64 s[18:19], exec, s[18:19]
; %bb.515:
                                        ; implicit-def: $vgpr26
; %bb.516:
	s_andn2_saveexec_b64 s[18:19], s[18:19]
	s_cbranch_execz .LBB360_518
; %bb.517:
	s_waitcnt lgkmcnt(0)
	v_mov_b32_e32 v25, v26
.LBB360_518:
	s_or_b64 exec, exec, s[18:19]
                                        ; implicit-def: $vgpr29
.LBB360_519:
	s_andn2_saveexec_b64 s[14:15], s[14:15]
	s_cbranch_execz .LBB360_521
; %bb.520:
	s_waitcnt lgkmcnt(0)
	v_mov_b32_e32 v25, v29
.LBB360_521:
	s_or_b64 exec, exec, s[14:15]
	s_or_b64 s[14:15], s[12:13], exec
	s_waitcnt lgkmcnt(0)
	v_mov_b32_e32 v18, v25
                                        ; implicit-def: $vgpr23
                                        ; implicit-def: $vgpr21
                                        ; implicit-def: $vgpr22
.LBB360_522:
	s_or_saveexec_b64 s[16:17], s[16:17]
	s_mov_b64 s[18:19], s[10:11]
	s_mov_b64 s[22:23], s[8:9]
                                        ; implicit-def: $vgpr16
                                        ; implicit-def: $vgpr17
	s_xor_b64 exec, exec, s[16:17]
	s_cbranch_execz .LBB360_526
; %bb.523:
	v_cmp_lt_i64_e32 vcc, 6, v[0:1]
	s_mov_b64 s[22:23], -1
	s_mov_b64 s[20:21], s[14:15]
	s_mov_b64 s[18:19], s[10:11]
	s_and_saveexec_b64 s[24:25], vcc
; %bb.524:
	v_cmp_lt_i64_e32 vcc, 7, v[0:1]
	s_andn2_b64 s[20:21], s[14:15], exec
	s_and_b64 s[26:27], vcc, exec
	s_xor_b64 s[22:23], exec, -1
	s_or_b64 s[18:19], s[10:11], exec
	s_or_b64 s[20:21], s[20:21], s[26:27]
                                        ; implicit-def: $vgpr23
; %bb.525:
	s_or_b64 exec, exec, s[24:25]
	s_andn2_b64 s[24:25], s[8:9], exec
	s_and_b64 s[22:23], s[22:23], exec
	s_or_b64 s[22:23], s[24:25], s[22:23]
	s_andn2_b64 s[24:25], s[10:11], exec
	s_and_b64 s[18:19], s[18:19], exec
	s_andn2_b64 s[14:15], s[14:15], exec
	s_and_b64 s[20:21], s[20:21], exec
	s_or_b64 s[18:19], s[24:25], s[18:19]
	s_or_b64 s[14:15], s[14:15], s[20:21]
	s_waitcnt lgkmcnt(0)
	v_mov_b32_e32 v16, v23
	v_mov_b32_e32 v17, v21
	;; [unrolled: 1-line block ×3, first 2 shown]
.LBB360_526:
	s_or_b64 exec, exec, s[16:17]
	s_andn2_b64 s[20:21], s[8:9], exec
	s_and_b64 s[22:23], s[22:23], exec
	s_or_b64 s[20:21], s[20:21], s[22:23]
	s_andn2_b64 s[22:23], s[10:11], exec
	s_and_b64 s[18:19], s[18:19], exec
	s_or_b64 s[18:19], s[22:23], s[18:19]
	s_andn2_b64 s[22:23], s[12:13], exec
	s_and_b64 s[14:15], s[14:15], exec
	s_xor_b64 s[16:17], exec, -1
	s_or_b64 s[14:15], s[22:23], s[14:15]
.LBB360_527:
	s_or_b64 exec, exec, s[0:1]
	s_and_b64 s[0:1], s[16:17], exec
	s_andn2_b64 s[8:9], s[8:9], exec
	s_and_b64 s[16:17], s[20:21], exec
	s_or_b64 s[8:9], s[8:9], s[16:17]
	s_andn2_b64 s[10:11], s[10:11], exec
	s_and_b64 s[16:17], s[18:19], exec
	s_andn2_b64 s[12:13], s[12:13], exec
	s_and_b64 s[14:15], s[14:15], exec
	s_or_b64 s[10:11], s[10:11], s[16:17]
	s_or_b64 s[12:13], s[12:13], s[14:15]
	s_or_b64 exec, exec, s[6:7]
	s_and_saveexec_b64 s[6:7], s[12:13]
	s_cbranch_execz .LBB360_463
.LBB360_528:
	s_andn2_b64 s[10:11], s[10:11], exec
	s_waitcnt lgkmcnt(0)
	flat_store_short v[4:5], v18
                                        ; implicit-def: $vgpr16
                                        ; implicit-def: $vgpr17
	s_or_b64 exec, exec, s[6:7]
	s_and_saveexec_b64 s[6:7], s[10:11]
	s_cbranch_execz .LBB360_464
.LBB360_529:
	s_waitcnt lgkmcnt(0)
	flat_store_short v[4:5], v17
                                        ; implicit-def: $vgpr16
	s_or_b64 exec, exec, s[6:7]
	s_and_saveexec_b64 s[6:7], s[8:9]
	s_xor_b64 s[6:7], exec, s[6:7]
	s_cbranch_execz .LBB360_465
.LBB360_530:
	s_waitcnt lgkmcnt(0)
	flat_store_short v[4:5], v16
	s_or_b64 exec, exec, s[6:7]
	s_and_b64 exec, exec, s[0:1]
	s_cbranch_execz .LBB360_549
.LBB360_531:
	v_cmp_lt_i64_e32 vcc, 2, v[0:1]
	s_and_saveexec_b64 s[0:1], vcc
	s_xor_b64 s[0:1], exec, s[0:1]
	s_cbranch_execz .LBB360_541
; %bb.532:
	v_cmp_lt_i64_e32 vcc, 3, v[0:1]
	s_and_saveexec_b64 s[6:7], vcc
	s_xor_b64 s[6:7], exec, s[6:7]
	s_cbranch_execz .LBB360_538
; %bb.533:
	;; [unrolled: 5-line block ×3, first 2 shown]
	s_waitcnt lgkmcnt(0)
	flat_store_short v[4:5], v15
                                        ; implicit-def: $vgpr4_vgpr5
                                        ; implicit-def: $vgpr12
.LBB360_535:
	s_andn2_saveexec_b64 s[8:9], s[8:9]
	s_cbranch_execz .LBB360_537
; %bb.536:
	s_waitcnt lgkmcnt(0)
	flat_store_short v[4:5], v12
.LBB360_537:
	s_or_b64 exec, exec, s[8:9]
                                        ; implicit-def: $vgpr4_vgpr5
                                        ; implicit-def: $vgpr14
.LBB360_538:
	s_andn2_saveexec_b64 s[6:7], s[6:7]
	s_cbranch_execz .LBB360_540
; %bb.539:
	s_waitcnt lgkmcnt(0)
	flat_store_short v[4:5], v14
.LBB360_540:
	s_or_b64 exec, exec, s[6:7]
                                        ; implicit-def: $vgpr0_vgpr1
                                        ; implicit-def: $vgpr4_vgpr5
                                        ; implicit-def: $vgpr13
                                        ; implicit-def: $vgpr6
                                        ; implicit-def: $vgpr7
.LBB360_541:
	s_andn2_saveexec_b64 s[0:1], s[0:1]
	s_cbranch_execz .LBB360_549
; %bb.542:
	v_cmp_lt_i64_e32 vcc, 1, v[0:1]
	s_and_saveexec_b64 s[0:1], vcc
	s_xor_b64 s[0:1], exec, s[0:1]
	s_cbranch_execz .LBB360_544
; %bb.543:
	s_waitcnt lgkmcnt(0)
	flat_store_short v[4:5], v13
                                        ; implicit-def: $vgpr4_vgpr5
                                        ; implicit-def: $vgpr6
                                        ; implicit-def: $vgpr0_vgpr1
                                        ; implicit-def: $vgpr7
.LBB360_544:
	s_andn2_saveexec_b64 s[0:1], s[0:1]
	s_cbranch_execz .LBB360_549
; %bb.545:
	v_cmp_ne_u64_e32 vcc, 1, v[0:1]
	s_and_saveexec_b64 s[0:1], vcc
	s_xor_b64 s[0:1], exec, s[0:1]
	s_cbranch_execz .LBB360_547
; %bb.546:
	s_waitcnt lgkmcnt(0)
	flat_store_short v[4:5], v7
                                        ; implicit-def: $vgpr4_vgpr5
                                        ; implicit-def: $vgpr6
.LBB360_547:
	s_andn2_saveexec_b64 s[0:1], s[0:1]
	s_cbranch_execz .LBB360_549
; %bb.548:
	s_waitcnt lgkmcnt(0)
	flat_store_short v[4:5], v6
.LBB360_549:
	s_or_b64 exec, exec, s[4:5]
.LBB360_550:
	s_or_b64 exec, exec, s[2:3]
	v_readlane_b32 s30, v40, 0
	v_readlane_b32 s31, v40, 1
	s_or_saveexec_b64 s[0:1], -1
	scratch_load_dword v40, off, s32        ; 4-byte Folded Reload
	s_mov_b64 exec, s[0:1]
	s_waitcnt vmcnt(0) lgkmcnt(0)
	s_setpc_b64 s[30:31]
.Lfunc_end360:
	.size	_ZZZN7rocprim17ROCPRIM_400000_NS6detail9scan_implILNS1_25lookback_scan_determinismE0ELb0ELb0ENS0_14default_configEPKN3c104HalfEPS6_S6_ZZZN2at6native31launch_logcumsumexp_cuda_kernelERKNSA_10TensorBaseESE_lENKUlvE_clEvENKUlvE3_clEvEUlS6_S6_E_S6_EEDaPvRmT3_T4_T5_mT6_P12ihipStream_tbENKUlT_T0_E_clISt17integral_constantIbLb0EESV_EEDaSQ_SR_ENKUlSQ_E_clINS1_13target_configIS4_NS1_20scan_config_selectorIS6_EENS1_11comp_targetILNS1_3genE5ELNS1_11target_archE942ELNS1_3gpuE9ELNS1_3repE0EEELNS0_4arch9wavefront6targetE1EEEEEDaSQ_, .Lfunc_end360-_ZZZN7rocprim17ROCPRIM_400000_NS6detail9scan_implILNS1_25lookback_scan_determinismE0ELb0ELb0ENS0_14default_configEPKN3c104HalfEPS6_S6_ZZZN2at6native31launch_logcumsumexp_cuda_kernelERKNSA_10TensorBaseESE_lENKUlvE_clEvENKUlvE3_clEvEUlS6_S6_E_S6_EEDaPvRmT3_T4_T5_mT6_P12ihipStream_tbENKUlT_T0_E_clISt17integral_constantIbLb0EESV_EEDaSQ_SR_ENKUlSQ_E_clINS1_13target_configIS4_NS1_20scan_config_selectorIS6_EENS1_11comp_targetILNS1_3genE5ELNS1_11target_archE942ELNS1_3gpuE9ELNS1_3repE0EEELNS0_4arch9wavefront6targetE1EEEEEDaSQ_
                                        ; -- End function
	.section	.AMDGPU.csdata,"",@progbits
; Function info:
; codeLenInByte = 116076
; NumSgprs: 80
; NumVgprs: 165
; NumAgprs: 0
; TotalNumVgprs: 165
; ScratchSize: 8
; MemoryBound: 0
	.section	.text._ZN7rocprim17ROCPRIM_400000_NS6detail17trampoline_kernelINS0_14default_configENS1_20scan_config_selectorIN3c104HalfEEEZZNS1_9scan_implILNS1_25lookback_scan_determinismE0ELb0ELb0ES3_PKS6_PS6_S6_ZZZN2at6native31launch_logcumsumexp_cuda_kernelERKNSD_10TensorBaseESH_lENKUlvE_clEvENKUlvE3_clEvEUlS6_S6_E_S6_EEDaPvRmT3_T4_T5_mT6_P12ihipStream_tbENKUlT_T0_E_clISt17integral_constantIbLb0EESY_EEDaST_SU_EUlST_E_NS1_11comp_targetILNS1_3genE5ELNS1_11target_archE942ELNS1_3gpuE9ELNS1_3repE0EEENS1_30default_config_static_selectorELNS0_4arch9wavefront6targetE1EEEvT1_,"axG",@progbits,_ZN7rocprim17ROCPRIM_400000_NS6detail17trampoline_kernelINS0_14default_configENS1_20scan_config_selectorIN3c104HalfEEEZZNS1_9scan_implILNS1_25lookback_scan_determinismE0ELb0ELb0ES3_PKS6_PS6_S6_ZZZN2at6native31launch_logcumsumexp_cuda_kernelERKNSD_10TensorBaseESH_lENKUlvE_clEvENKUlvE3_clEvEUlS6_S6_E_S6_EEDaPvRmT3_T4_T5_mT6_P12ihipStream_tbENKUlT_T0_E_clISt17integral_constantIbLb0EESY_EEDaST_SU_EUlST_E_NS1_11comp_targetILNS1_3genE5ELNS1_11target_archE942ELNS1_3gpuE9ELNS1_3repE0EEENS1_30default_config_static_selectorELNS0_4arch9wavefront6targetE1EEEvT1_,comdat
	.globl	_ZN7rocprim17ROCPRIM_400000_NS6detail17trampoline_kernelINS0_14default_configENS1_20scan_config_selectorIN3c104HalfEEEZZNS1_9scan_implILNS1_25lookback_scan_determinismE0ELb0ELb0ES3_PKS6_PS6_S6_ZZZN2at6native31launch_logcumsumexp_cuda_kernelERKNSD_10TensorBaseESH_lENKUlvE_clEvENKUlvE3_clEvEUlS6_S6_E_S6_EEDaPvRmT3_T4_T5_mT6_P12ihipStream_tbENKUlT_T0_E_clISt17integral_constantIbLb0EESY_EEDaST_SU_EUlST_E_NS1_11comp_targetILNS1_3genE5ELNS1_11target_archE942ELNS1_3gpuE9ELNS1_3repE0EEENS1_30default_config_static_selectorELNS0_4arch9wavefront6targetE1EEEvT1_ ; -- Begin function _ZN7rocprim17ROCPRIM_400000_NS6detail17trampoline_kernelINS0_14default_configENS1_20scan_config_selectorIN3c104HalfEEEZZNS1_9scan_implILNS1_25lookback_scan_determinismE0ELb0ELb0ES3_PKS6_PS6_S6_ZZZN2at6native31launch_logcumsumexp_cuda_kernelERKNSD_10TensorBaseESH_lENKUlvE_clEvENKUlvE3_clEvEUlS6_S6_E_S6_EEDaPvRmT3_T4_T5_mT6_P12ihipStream_tbENKUlT_T0_E_clISt17integral_constantIbLb0EESY_EEDaST_SU_EUlST_E_NS1_11comp_targetILNS1_3genE5ELNS1_11target_archE942ELNS1_3gpuE9ELNS1_3repE0EEENS1_30default_config_static_selectorELNS0_4arch9wavefront6targetE1EEEvT1_
	.p2align	8
	.type	_ZN7rocprim17ROCPRIM_400000_NS6detail17trampoline_kernelINS0_14default_configENS1_20scan_config_selectorIN3c104HalfEEEZZNS1_9scan_implILNS1_25lookback_scan_determinismE0ELb0ELb0ES3_PKS6_PS6_S6_ZZZN2at6native31launch_logcumsumexp_cuda_kernelERKNSD_10TensorBaseESH_lENKUlvE_clEvENKUlvE3_clEvEUlS6_S6_E_S6_EEDaPvRmT3_T4_T5_mT6_P12ihipStream_tbENKUlT_T0_E_clISt17integral_constantIbLb0EESY_EEDaST_SU_EUlST_E_NS1_11comp_targetILNS1_3genE5ELNS1_11target_archE942ELNS1_3gpuE9ELNS1_3repE0EEENS1_30default_config_static_selectorELNS0_4arch9wavefront6targetE1EEEvT1_,@function
_ZN7rocprim17ROCPRIM_400000_NS6detail17trampoline_kernelINS0_14default_configENS1_20scan_config_selectorIN3c104HalfEEEZZNS1_9scan_implILNS1_25lookback_scan_determinismE0ELb0ELb0ES3_PKS6_PS6_S6_ZZZN2at6native31launch_logcumsumexp_cuda_kernelERKNSD_10TensorBaseESH_lENKUlvE_clEvENKUlvE3_clEvEUlS6_S6_E_S6_EEDaPvRmT3_T4_T5_mT6_P12ihipStream_tbENKUlT_T0_E_clISt17integral_constantIbLb0EESY_EEDaST_SU_EUlST_E_NS1_11comp_targetILNS1_3genE5ELNS1_11target_archE942ELNS1_3gpuE9ELNS1_3repE0EEENS1_30default_config_static_selectorELNS0_4arch9wavefront6targetE1EEEvT1_: ; @_ZN7rocprim17ROCPRIM_400000_NS6detail17trampoline_kernelINS0_14default_configENS1_20scan_config_selectorIN3c104HalfEEEZZNS1_9scan_implILNS1_25lookback_scan_determinismE0ELb0ELb0ES3_PKS6_PS6_S6_ZZZN2at6native31launch_logcumsumexp_cuda_kernelERKNSD_10TensorBaseESH_lENKUlvE_clEvENKUlvE3_clEvEUlS6_S6_E_S6_EEDaPvRmT3_T4_T5_mT6_P12ihipStream_tbENKUlT_T0_E_clISt17integral_constantIbLb0EESY_EEDaST_SU_EUlST_E_NS1_11comp_targetILNS1_3genE5ELNS1_11target_archE942ELNS1_3gpuE9ELNS1_3repE0EEENS1_30default_config_static_selectorELNS0_4arch9wavefront6targetE1EEEvT1_
; %bb.0:
	s_load_dwordx8 s[4:11], s[0:1], 0x0
	s_load_dwordx8 s[12:19], s[0:1], 0x20
	s_mov_b64 s[20:21], src_private_base
	v_mov_b32_e32 v31, v0
	v_mov_b32_e32 v0, 0
	s_waitcnt lgkmcnt(0)
	v_mov_b64_e32 v[2:3], s[4:5]
	v_mov_b64_e32 v[4:5], s[6:7]
	scratch_store_dwordx4 off, v[2:5], off
	v_mov_b32_e32 v1, s21
	s_movk_i32 s32, 0x70
	v_mov_b64_e32 v[2:3], s[8:9]
	v_mov_b64_e32 v[4:5], s[10:11]
	s_load_dwordx8 s[4:11], s[0:1], 0x40
	scratch_store_dwordx4 off, v[2:5], off offset:16
	s_nop 1
	v_mov_b64_e32 v[2:3], s[12:13]
	v_mov_b64_e32 v[4:5], s[14:15]
	scratch_store_dwordx4 off, v[2:5], off offset:32
	s_mov_b32 s12, s2
	s_nop 0
	v_mov_b64_e32 v[2:3], s[16:17]
	v_mov_b64_e32 v[4:5], s[18:19]
	scratch_store_dwordx4 off, v[2:5], off offset:48
	s_waitcnt lgkmcnt(0)
	s_nop 0
	v_mov_b64_e32 v[2:3], s[4:5]
	v_mov_b64_e32 v[4:5], s[6:7]
	scratch_store_dwordx4 off, v[2:5], off offset:64
	s_nop 1
	v_mov_b64_e32 v[2:3], s[8:9]
	v_mov_b64_e32 v[4:5], s[10:11]
	s_add_u32 s8, s0, 0x60
	s_addc_u32 s9, s1, 0
	scratch_store_dwordx4 off, v[2:5], off offset:80
	s_getpc_b64 s[0:1]
	s_add_u32 s0, s0, _ZZZN7rocprim17ROCPRIM_400000_NS6detail9scan_implILNS1_25lookback_scan_determinismE0ELb0ELb0ENS0_14default_configEPKN3c104HalfEPS6_S6_ZZZN2at6native31launch_logcumsumexp_cuda_kernelERKNSA_10TensorBaseESE_lENKUlvE_clEvENKUlvE3_clEvEUlS6_S6_E_S6_EEDaPvRmT3_T4_T5_mT6_P12ihipStream_tbENKUlT_T0_E_clISt17integral_constantIbLb0EESV_EEDaSQ_SR_ENKUlSQ_E_clINS1_13target_configIS4_NS1_20scan_config_selectorIS6_EENS1_11comp_targetILNS1_3genE5ELNS1_11target_archE942ELNS1_3gpuE9ELNS1_3repE0EEELNS0_4arch9wavefront6targetE1EEEEEDaSQ_@rel32@lo+4
	s_addc_u32 s1, s1, _ZZZN7rocprim17ROCPRIM_400000_NS6detail9scan_implILNS1_25lookback_scan_determinismE0ELb0ELb0ENS0_14default_configEPKN3c104HalfEPS6_S6_ZZZN2at6native31launch_logcumsumexp_cuda_kernelERKNSA_10TensorBaseESE_lENKUlvE_clEvENKUlvE3_clEvEUlS6_S6_E_S6_EEDaPvRmT3_T4_T5_mT6_P12ihipStream_tbENKUlT_T0_E_clISt17integral_constantIbLb0EESV_EEDaSQ_SR_ENKUlSQ_E_clINS1_13target_configIS4_NS1_20scan_config_selectorIS6_EENS1_11comp_targetILNS1_3genE5ELNS1_11target_archE942ELNS1_3gpuE9ELNS1_3repE0EEELNS0_4arch9wavefront6targetE1EEEEEDaSQ_@rel32@hi+12
	s_swappc_b64 s[30:31], s[0:1]
	s_endpgm
	.section	.rodata,"a",@progbits
	.p2align	6, 0x0
	.amdhsa_kernel _ZN7rocprim17ROCPRIM_400000_NS6detail17trampoline_kernelINS0_14default_configENS1_20scan_config_selectorIN3c104HalfEEEZZNS1_9scan_implILNS1_25lookback_scan_determinismE0ELb0ELb0ES3_PKS6_PS6_S6_ZZZN2at6native31launch_logcumsumexp_cuda_kernelERKNSD_10TensorBaseESH_lENKUlvE_clEvENKUlvE3_clEvEUlS6_S6_E_S6_EEDaPvRmT3_T4_T5_mT6_P12ihipStream_tbENKUlT_T0_E_clISt17integral_constantIbLb0EESY_EEDaST_SU_EUlST_E_NS1_11comp_targetILNS1_3genE5ELNS1_11target_archE942ELNS1_3gpuE9ELNS1_3repE0EEENS1_30default_config_static_selectorELNS0_4arch9wavefront6targetE1EEEvT1_
		.amdhsa_group_segment_fixed_size 12288
		.amdhsa_private_segment_fixed_size 120
		.amdhsa_kernarg_size 352
		.amdhsa_user_sgpr_count 2
		.amdhsa_user_sgpr_dispatch_ptr 0
		.amdhsa_user_sgpr_queue_ptr 0
		.amdhsa_user_sgpr_kernarg_segment_ptr 1
		.amdhsa_user_sgpr_dispatch_id 0
		.amdhsa_user_sgpr_kernarg_preload_length 0
		.amdhsa_user_sgpr_kernarg_preload_offset 0
		.amdhsa_user_sgpr_private_segment_size 0
		.amdhsa_uses_dynamic_stack 0
		.amdhsa_enable_private_segment 1
		.amdhsa_system_sgpr_workgroup_id_x 1
		.amdhsa_system_sgpr_workgroup_id_y 0
		.amdhsa_system_sgpr_workgroup_id_z 0
		.amdhsa_system_sgpr_workgroup_info 0
		.amdhsa_system_vgpr_workitem_id 0
		.amdhsa_next_free_vgpr 165
		.amdhsa_next_free_sgpr 74
		.amdhsa_accum_offset 168
		.amdhsa_reserve_vcc 1
		.amdhsa_float_round_mode_32 0
		.amdhsa_float_round_mode_16_64 0
		.amdhsa_float_denorm_mode_32 3
		.amdhsa_float_denorm_mode_16_64 3
		.amdhsa_dx10_clamp 1
		.amdhsa_ieee_mode 1
		.amdhsa_fp16_overflow 0
		.amdhsa_tg_split 0
		.amdhsa_exception_fp_ieee_invalid_op 0
		.amdhsa_exception_fp_denorm_src 0
		.amdhsa_exception_fp_ieee_div_zero 0
		.amdhsa_exception_fp_ieee_overflow 0
		.amdhsa_exception_fp_ieee_underflow 0
		.amdhsa_exception_fp_ieee_inexact 0
		.amdhsa_exception_int_div_zero 0
	.end_amdhsa_kernel
	.section	.text._ZN7rocprim17ROCPRIM_400000_NS6detail17trampoline_kernelINS0_14default_configENS1_20scan_config_selectorIN3c104HalfEEEZZNS1_9scan_implILNS1_25lookback_scan_determinismE0ELb0ELb0ES3_PKS6_PS6_S6_ZZZN2at6native31launch_logcumsumexp_cuda_kernelERKNSD_10TensorBaseESH_lENKUlvE_clEvENKUlvE3_clEvEUlS6_S6_E_S6_EEDaPvRmT3_T4_T5_mT6_P12ihipStream_tbENKUlT_T0_E_clISt17integral_constantIbLb0EESY_EEDaST_SU_EUlST_E_NS1_11comp_targetILNS1_3genE5ELNS1_11target_archE942ELNS1_3gpuE9ELNS1_3repE0EEENS1_30default_config_static_selectorELNS0_4arch9wavefront6targetE1EEEvT1_,"axG",@progbits,_ZN7rocprim17ROCPRIM_400000_NS6detail17trampoline_kernelINS0_14default_configENS1_20scan_config_selectorIN3c104HalfEEEZZNS1_9scan_implILNS1_25lookback_scan_determinismE0ELb0ELb0ES3_PKS6_PS6_S6_ZZZN2at6native31launch_logcumsumexp_cuda_kernelERKNSD_10TensorBaseESH_lENKUlvE_clEvENKUlvE3_clEvEUlS6_S6_E_S6_EEDaPvRmT3_T4_T5_mT6_P12ihipStream_tbENKUlT_T0_E_clISt17integral_constantIbLb0EESY_EEDaST_SU_EUlST_E_NS1_11comp_targetILNS1_3genE5ELNS1_11target_archE942ELNS1_3gpuE9ELNS1_3repE0EEENS1_30default_config_static_selectorELNS0_4arch9wavefront6targetE1EEEvT1_,comdat
.Lfunc_end361:
	.size	_ZN7rocprim17ROCPRIM_400000_NS6detail17trampoline_kernelINS0_14default_configENS1_20scan_config_selectorIN3c104HalfEEEZZNS1_9scan_implILNS1_25lookback_scan_determinismE0ELb0ELb0ES3_PKS6_PS6_S6_ZZZN2at6native31launch_logcumsumexp_cuda_kernelERKNSD_10TensorBaseESH_lENKUlvE_clEvENKUlvE3_clEvEUlS6_S6_E_S6_EEDaPvRmT3_T4_T5_mT6_P12ihipStream_tbENKUlT_T0_E_clISt17integral_constantIbLb0EESY_EEDaST_SU_EUlST_E_NS1_11comp_targetILNS1_3genE5ELNS1_11target_archE942ELNS1_3gpuE9ELNS1_3repE0EEENS1_30default_config_static_selectorELNS0_4arch9wavefront6targetE1EEEvT1_, .Lfunc_end361-_ZN7rocprim17ROCPRIM_400000_NS6detail17trampoline_kernelINS0_14default_configENS1_20scan_config_selectorIN3c104HalfEEEZZNS1_9scan_implILNS1_25lookback_scan_determinismE0ELb0ELb0ES3_PKS6_PS6_S6_ZZZN2at6native31launch_logcumsumexp_cuda_kernelERKNSD_10TensorBaseESH_lENKUlvE_clEvENKUlvE3_clEvEUlS6_S6_E_S6_EEDaPvRmT3_T4_T5_mT6_P12ihipStream_tbENKUlT_T0_E_clISt17integral_constantIbLb0EESY_EEDaST_SU_EUlST_E_NS1_11comp_targetILNS1_3genE5ELNS1_11target_archE942ELNS1_3gpuE9ELNS1_3repE0EEENS1_30default_config_static_selectorELNS0_4arch9wavefront6targetE1EEEvT1_
                                        ; -- End function
	.section	.AMDGPU.csdata,"",@progbits
; Kernel info:
; codeLenInByte = 208
; NumSgprs: 80
; NumVgprs: 165
; NumAgprs: 0
; TotalNumVgprs: 165
; ScratchSize: 120
; MemoryBound: 0
; FloatMode: 240
; IeeeMode: 1
; LDSByteSize: 12288 bytes/workgroup (compile time only)
; SGPRBlocks: 9
; VGPRBlocks: 20
; NumSGPRsForWavesPerEU: 80
; NumVGPRsForWavesPerEU: 165
; AccumOffset: 168
; Occupancy: 3
; WaveLimiterHint : 1
; COMPUTE_PGM_RSRC2:SCRATCH_EN: 1
; COMPUTE_PGM_RSRC2:USER_SGPR: 2
; COMPUTE_PGM_RSRC2:TRAP_HANDLER: 0
; COMPUTE_PGM_RSRC2:TGID_X_EN: 1
; COMPUTE_PGM_RSRC2:TGID_Y_EN: 0
; COMPUTE_PGM_RSRC2:TGID_Z_EN: 0
; COMPUTE_PGM_RSRC2:TIDIG_COMP_CNT: 0
; COMPUTE_PGM_RSRC3_GFX90A:ACCUM_OFFSET: 41
; COMPUTE_PGM_RSRC3_GFX90A:TG_SPLIT: 0
	.section	.text._ZN7rocprim17ROCPRIM_400000_NS6detail17trampoline_kernelINS0_14default_configENS1_20scan_config_selectorIN3c104HalfEEEZZNS1_9scan_implILNS1_25lookback_scan_determinismE0ELb0ELb0ES3_PKS6_PS6_S6_ZZZN2at6native31launch_logcumsumexp_cuda_kernelERKNSD_10TensorBaseESH_lENKUlvE_clEvENKUlvE3_clEvEUlS6_S6_E_S6_EEDaPvRmT3_T4_T5_mT6_P12ihipStream_tbENKUlT_T0_E_clISt17integral_constantIbLb0EESY_EEDaST_SU_EUlST_E_NS1_11comp_targetILNS1_3genE4ELNS1_11target_archE910ELNS1_3gpuE8ELNS1_3repE0EEENS1_30default_config_static_selectorELNS0_4arch9wavefront6targetE1EEEvT1_,"axG",@progbits,_ZN7rocprim17ROCPRIM_400000_NS6detail17trampoline_kernelINS0_14default_configENS1_20scan_config_selectorIN3c104HalfEEEZZNS1_9scan_implILNS1_25lookback_scan_determinismE0ELb0ELb0ES3_PKS6_PS6_S6_ZZZN2at6native31launch_logcumsumexp_cuda_kernelERKNSD_10TensorBaseESH_lENKUlvE_clEvENKUlvE3_clEvEUlS6_S6_E_S6_EEDaPvRmT3_T4_T5_mT6_P12ihipStream_tbENKUlT_T0_E_clISt17integral_constantIbLb0EESY_EEDaST_SU_EUlST_E_NS1_11comp_targetILNS1_3genE4ELNS1_11target_archE910ELNS1_3gpuE8ELNS1_3repE0EEENS1_30default_config_static_selectorELNS0_4arch9wavefront6targetE1EEEvT1_,comdat
	.globl	_ZN7rocprim17ROCPRIM_400000_NS6detail17trampoline_kernelINS0_14default_configENS1_20scan_config_selectorIN3c104HalfEEEZZNS1_9scan_implILNS1_25lookback_scan_determinismE0ELb0ELb0ES3_PKS6_PS6_S6_ZZZN2at6native31launch_logcumsumexp_cuda_kernelERKNSD_10TensorBaseESH_lENKUlvE_clEvENKUlvE3_clEvEUlS6_S6_E_S6_EEDaPvRmT3_T4_T5_mT6_P12ihipStream_tbENKUlT_T0_E_clISt17integral_constantIbLb0EESY_EEDaST_SU_EUlST_E_NS1_11comp_targetILNS1_3genE4ELNS1_11target_archE910ELNS1_3gpuE8ELNS1_3repE0EEENS1_30default_config_static_selectorELNS0_4arch9wavefront6targetE1EEEvT1_ ; -- Begin function _ZN7rocprim17ROCPRIM_400000_NS6detail17trampoline_kernelINS0_14default_configENS1_20scan_config_selectorIN3c104HalfEEEZZNS1_9scan_implILNS1_25lookback_scan_determinismE0ELb0ELb0ES3_PKS6_PS6_S6_ZZZN2at6native31launch_logcumsumexp_cuda_kernelERKNSD_10TensorBaseESH_lENKUlvE_clEvENKUlvE3_clEvEUlS6_S6_E_S6_EEDaPvRmT3_T4_T5_mT6_P12ihipStream_tbENKUlT_T0_E_clISt17integral_constantIbLb0EESY_EEDaST_SU_EUlST_E_NS1_11comp_targetILNS1_3genE4ELNS1_11target_archE910ELNS1_3gpuE8ELNS1_3repE0EEENS1_30default_config_static_selectorELNS0_4arch9wavefront6targetE1EEEvT1_
	.p2align	8
	.type	_ZN7rocprim17ROCPRIM_400000_NS6detail17trampoline_kernelINS0_14default_configENS1_20scan_config_selectorIN3c104HalfEEEZZNS1_9scan_implILNS1_25lookback_scan_determinismE0ELb0ELb0ES3_PKS6_PS6_S6_ZZZN2at6native31launch_logcumsumexp_cuda_kernelERKNSD_10TensorBaseESH_lENKUlvE_clEvENKUlvE3_clEvEUlS6_S6_E_S6_EEDaPvRmT3_T4_T5_mT6_P12ihipStream_tbENKUlT_T0_E_clISt17integral_constantIbLb0EESY_EEDaST_SU_EUlST_E_NS1_11comp_targetILNS1_3genE4ELNS1_11target_archE910ELNS1_3gpuE8ELNS1_3repE0EEENS1_30default_config_static_selectorELNS0_4arch9wavefront6targetE1EEEvT1_,@function
_ZN7rocprim17ROCPRIM_400000_NS6detail17trampoline_kernelINS0_14default_configENS1_20scan_config_selectorIN3c104HalfEEEZZNS1_9scan_implILNS1_25lookback_scan_determinismE0ELb0ELb0ES3_PKS6_PS6_S6_ZZZN2at6native31launch_logcumsumexp_cuda_kernelERKNSD_10TensorBaseESH_lENKUlvE_clEvENKUlvE3_clEvEUlS6_S6_E_S6_EEDaPvRmT3_T4_T5_mT6_P12ihipStream_tbENKUlT_T0_E_clISt17integral_constantIbLb0EESY_EEDaST_SU_EUlST_E_NS1_11comp_targetILNS1_3genE4ELNS1_11target_archE910ELNS1_3gpuE8ELNS1_3repE0EEENS1_30default_config_static_selectorELNS0_4arch9wavefront6targetE1EEEvT1_: ; @_ZN7rocprim17ROCPRIM_400000_NS6detail17trampoline_kernelINS0_14default_configENS1_20scan_config_selectorIN3c104HalfEEEZZNS1_9scan_implILNS1_25lookback_scan_determinismE0ELb0ELb0ES3_PKS6_PS6_S6_ZZZN2at6native31launch_logcumsumexp_cuda_kernelERKNSD_10TensorBaseESH_lENKUlvE_clEvENKUlvE3_clEvEUlS6_S6_E_S6_EEDaPvRmT3_T4_T5_mT6_P12ihipStream_tbENKUlT_T0_E_clISt17integral_constantIbLb0EESY_EEDaST_SU_EUlST_E_NS1_11comp_targetILNS1_3genE4ELNS1_11target_archE910ELNS1_3gpuE8ELNS1_3repE0EEENS1_30default_config_static_selectorELNS0_4arch9wavefront6targetE1EEEvT1_
; %bb.0:
	.section	.rodata,"a",@progbits
	.p2align	6, 0x0
	.amdhsa_kernel _ZN7rocprim17ROCPRIM_400000_NS6detail17trampoline_kernelINS0_14default_configENS1_20scan_config_selectorIN3c104HalfEEEZZNS1_9scan_implILNS1_25lookback_scan_determinismE0ELb0ELb0ES3_PKS6_PS6_S6_ZZZN2at6native31launch_logcumsumexp_cuda_kernelERKNSD_10TensorBaseESH_lENKUlvE_clEvENKUlvE3_clEvEUlS6_S6_E_S6_EEDaPvRmT3_T4_T5_mT6_P12ihipStream_tbENKUlT_T0_E_clISt17integral_constantIbLb0EESY_EEDaST_SU_EUlST_E_NS1_11comp_targetILNS1_3genE4ELNS1_11target_archE910ELNS1_3gpuE8ELNS1_3repE0EEENS1_30default_config_static_selectorELNS0_4arch9wavefront6targetE1EEEvT1_
		.amdhsa_group_segment_fixed_size 0
		.amdhsa_private_segment_fixed_size 0
		.amdhsa_kernarg_size 96
		.amdhsa_user_sgpr_count 2
		.amdhsa_user_sgpr_dispatch_ptr 0
		.amdhsa_user_sgpr_queue_ptr 0
		.amdhsa_user_sgpr_kernarg_segment_ptr 1
		.amdhsa_user_sgpr_dispatch_id 0
		.amdhsa_user_sgpr_kernarg_preload_length 0
		.amdhsa_user_sgpr_kernarg_preload_offset 0
		.amdhsa_user_sgpr_private_segment_size 0
		.amdhsa_uses_dynamic_stack 0
		.amdhsa_enable_private_segment 0
		.amdhsa_system_sgpr_workgroup_id_x 1
		.amdhsa_system_sgpr_workgroup_id_y 0
		.amdhsa_system_sgpr_workgroup_id_z 0
		.amdhsa_system_sgpr_workgroup_info 0
		.amdhsa_system_vgpr_workitem_id 0
		.amdhsa_next_free_vgpr 1
		.amdhsa_next_free_sgpr 0
		.amdhsa_accum_offset 4
		.amdhsa_reserve_vcc 0
		.amdhsa_float_round_mode_32 0
		.amdhsa_float_round_mode_16_64 0
		.amdhsa_float_denorm_mode_32 3
		.amdhsa_float_denorm_mode_16_64 3
		.amdhsa_dx10_clamp 1
		.amdhsa_ieee_mode 1
		.amdhsa_fp16_overflow 0
		.amdhsa_tg_split 0
		.amdhsa_exception_fp_ieee_invalid_op 0
		.amdhsa_exception_fp_denorm_src 0
		.amdhsa_exception_fp_ieee_div_zero 0
		.amdhsa_exception_fp_ieee_overflow 0
		.amdhsa_exception_fp_ieee_underflow 0
		.amdhsa_exception_fp_ieee_inexact 0
		.amdhsa_exception_int_div_zero 0
	.end_amdhsa_kernel
	.section	.text._ZN7rocprim17ROCPRIM_400000_NS6detail17trampoline_kernelINS0_14default_configENS1_20scan_config_selectorIN3c104HalfEEEZZNS1_9scan_implILNS1_25lookback_scan_determinismE0ELb0ELb0ES3_PKS6_PS6_S6_ZZZN2at6native31launch_logcumsumexp_cuda_kernelERKNSD_10TensorBaseESH_lENKUlvE_clEvENKUlvE3_clEvEUlS6_S6_E_S6_EEDaPvRmT3_T4_T5_mT6_P12ihipStream_tbENKUlT_T0_E_clISt17integral_constantIbLb0EESY_EEDaST_SU_EUlST_E_NS1_11comp_targetILNS1_3genE4ELNS1_11target_archE910ELNS1_3gpuE8ELNS1_3repE0EEENS1_30default_config_static_selectorELNS0_4arch9wavefront6targetE1EEEvT1_,"axG",@progbits,_ZN7rocprim17ROCPRIM_400000_NS6detail17trampoline_kernelINS0_14default_configENS1_20scan_config_selectorIN3c104HalfEEEZZNS1_9scan_implILNS1_25lookback_scan_determinismE0ELb0ELb0ES3_PKS6_PS6_S6_ZZZN2at6native31launch_logcumsumexp_cuda_kernelERKNSD_10TensorBaseESH_lENKUlvE_clEvENKUlvE3_clEvEUlS6_S6_E_S6_EEDaPvRmT3_T4_T5_mT6_P12ihipStream_tbENKUlT_T0_E_clISt17integral_constantIbLb0EESY_EEDaST_SU_EUlST_E_NS1_11comp_targetILNS1_3genE4ELNS1_11target_archE910ELNS1_3gpuE8ELNS1_3repE0EEENS1_30default_config_static_selectorELNS0_4arch9wavefront6targetE1EEEvT1_,comdat
.Lfunc_end362:
	.size	_ZN7rocprim17ROCPRIM_400000_NS6detail17trampoline_kernelINS0_14default_configENS1_20scan_config_selectorIN3c104HalfEEEZZNS1_9scan_implILNS1_25lookback_scan_determinismE0ELb0ELb0ES3_PKS6_PS6_S6_ZZZN2at6native31launch_logcumsumexp_cuda_kernelERKNSD_10TensorBaseESH_lENKUlvE_clEvENKUlvE3_clEvEUlS6_S6_E_S6_EEDaPvRmT3_T4_T5_mT6_P12ihipStream_tbENKUlT_T0_E_clISt17integral_constantIbLb0EESY_EEDaST_SU_EUlST_E_NS1_11comp_targetILNS1_3genE4ELNS1_11target_archE910ELNS1_3gpuE8ELNS1_3repE0EEENS1_30default_config_static_selectorELNS0_4arch9wavefront6targetE1EEEvT1_, .Lfunc_end362-_ZN7rocprim17ROCPRIM_400000_NS6detail17trampoline_kernelINS0_14default_configENS1_20scan_config_selectorIN3c104HalfEEEZZNS1_9scan_implILNS1_25lookback_scan_determinismE0ELb0ELb0ES3_PKS6_PS6_S6_ZZZN2at6native31launch_logcumsumexp_cuda_kernelERKNSD_10TensorBaseESH_lENKUlvE_clEvENKUlvE3_clEvEUlS6_S6_E_S6_EEDaPvRmT3_T4_T5_mT6_P12ihipStream_tbENKUlT_T0_E_clISt17integral_constantIbLb0EESY_EEDaST_SU_EUlST_E_NS1_11comp_targetILNS1_3genE4ELNS1_11target_archE910ELNS1_3gpuE8ELNS1_3repE0EEENS1_30default_config_static_selectorELNS0_4arch9wavefront6targetE1EEEvT1_
                                        ; -- End function
	.section	.AMDGPU.csdata,"",@progbits
; Kernel info:
; codeLenInByte = 0
; NumSgprs: 6
; NumVgprs: 0
; NumAgprs: 0
; TotalNumVgprs: 0
; ScratchSize: 0
; MemoryBound: 0
; FloatMode: 240
; IeeeMode: 1
; LDSByteSize: 0 bytes/workgroup (compile time only)
; SGPRBlocks: 0
; VGPRBlocks: 0
; NumSGPRsForWavesPerEU: 6
; NumVGPRsForWavesPerEU: 1
; AccumOffset: 4
; Occupancy: 8
; WaveLimiterHint : 0
; COMPUTE_PGM_RSRC2:SCRATCH_EN: 0
; COMPUTE_PGM_RSRC2:USER_SGPR: 2
; COMPUTE_PGM_RSRC2:TRAP_HANDLER: 0
; COMPUTE_PGM_RSRC2:TGID_X_EN: 1
; COMPUTE_PGM_RSRC2:TGID_Y_EN: 0
; COMPUTE_PGM_RSRC2:TGID_Z_EN: 0
; COMPUTE_PGM_RSRC2:TIDIG_COMP_CNT: 0
; COMPUTE_PGM_RSRC3_GFX90A:ACCUM_OFFSET: 0
; COMPUTE_PGM_RSRC3_GFX90A:TG_SPLIT: 0
	.section	.text._ZN7rocprim17ROCPRIM_400000_NS6detail17trampoline_kernelINS0_14default_configENS1_20scan_config_selectorIN3c104HalfEEEZZNS1_9scan_implILNS1_25lookback_scan_determinismE0ELb0ELb0ES3_PKS6_PS6_S6_ZZZN2at6native31launch_logcumsumexp_cuda_kernelERKNSD_10TensorBaseESH_lENKUlvE_clEvENKUlvE3_clEvEUlS6_S6_E_S6_EEDaPvRmT3_T4_T5_mT6_P12ihipStream_tbENKUlT_T0_E_clISt17integral_constantIbLb0EESY_EEDaST_SU_EUlST_E_NS1_11comp_targetILNS1_3genE3ELNS1_11target_archE908ELNS1_3gpuE7ELNS1_3repE0EEENS1_30default_config_static_selectorELNS0_4arch9wavefront6targetE1EEEvT1_,"axG",@progbits,_ZN7rocprim17ROCPRIM_400000_NS6detail17trampoline_kernelINS0_14default_configENS1_20scan_config_selectorIN3c104HalfEEEZZNS1_9scan_implILNS1_25lookback_scan_determinismE0ELb0ELb0ES3_PKS6_PS6_S6_ZZZN2at6native31launch_logcumsumexp_cuda_kernelERKNSD_10TensorBaseESH_lENKUlvE_clEvENKUlvE3_clEvEUlS6_S6_E_S6_EEDaPvRmT3_T4_T5_mT6_P12ihipStream_tbENKUlT_T0_E_clISt17integral_constantIbLb0EESY_EEDaST_SU_EUlST_E_NS1_11comp_targetILNS1_3genE3ELNS1_11target_archE908ELNS1_3gpuE7ELNS1_3repE0EEENS1_30default_config_static_selectorELNS0_4arch9wavefront6targetE1EEEvT1_,comdat
	.globl	_ZN7rocprim17ROCPRIM_400000_NS6detail17trampoline_kernelINS0_14default_configENS1_20scan_config_selectorIN3c104HalfEEEZZNS1_9scan_implILNS1_25lookback_scan_determinismE0ELb0ELb0ES3_PKS6_PS6_S6_ZZZN2at6native31launch_logcumsumexp_cuda_kernelERKNSD_10TensorBaseESH_lENKUlvE_clEvENKUlvE3_clEvEUlS6_S6_E_S6_EEDaPvRmT3_T4_T5_mT6_P12ihipStream_tbENKUlT_T0_E_clISt17integral_constantIbLb0EESY_EEDaST_SU_EUlST_E_NS1_11comp_targetILNS1_3genE3ELNS1_11target_archE908ELNS1_3gpuE7ELNS1_3repE0EEENS1_30default_config_static_selectorELNS0_4arch9wavefront6targetE1EEEvT1_ ; -- Begin function _ZN7rocprim17ROCPRIM_400000_NS6detail17trampoline_kernelINS0_14default_configENS1_20scan_config_selectorIN3c104HalfEEEZZNS1_9scan_implILNS1_25lookback_scan_determinismE0ELb0ELb0ES3_PKS6_PS6_S6_ZZZN2at6native31launch_logcumsumexp_cuda_kernelERKNSD_10TensorBaseESH_lENKUlvE_clEvENKUlvE3_clEvEUlS6_S6_E_S6_EEDaPvRmT3_T4_T5_mT6_P12ihipStream_tbENKUlT_T0_E_clISt17integral_constantIbLb0EESY_EEDaST_SU_EUlST_E_NS1_11comp_targetILNS1_3genE3ELNS1_11target_archE908ELNS1_3gpuE7ELNS1_3repE0EEENS1_30default_config_static_selectorELNS0_4arch9wavefront6targetE1EEEvT1_
	.p2align	8
	.type	_ZN7rocprim17ROCPRIM_400000_NS6detail17trampoline_kernelINS0_14default_configENS1_20scan_config_selectorIN3c104HalfEEEZZNS1_9scan_implILNS1_25lookback_scan_determinismE0ELb0ELb0ES3_PKS6_PS6_S6_ZZZN2at6native31launch_logcumsumexp_cuda_kernelERKNSD_10TensorBaseESH_lENKUlvE_clEvENKUlvE3_clEvEUlS6_S6_E_S6_EEDaPvRmT3_T4_T5_mT6_P12ihipStream_tbENKUlT_T0_E_clISt17integral_constantIbLb0EESY_EEDaST_SU_EUlST_E_NS1_11comp_targetILNS1_3genE3ELNS1_11target_archE908ELNS1_3gpuE7ELNS1_3repE0EEENS1_30default_config_static_selectorELNS0_4arch9wavefront6targetE1EEEvT1_,@function
_ZN7rocprim17ROCPRIM_400000_NS6detail17trampoline_kernelINS0_14default_configENS1_20scan_config_selectorIN3c104HalfEEEZZNS1_9scan_implILNS1_25lookback_scan_determinismE0ELb0ELb0ES3_PKS6_PS6_S6_ZZZN2at6native31launch_logcumsumexp_cuda_kernelERKNSD_10TensorBaseESH_lENKUlvE_clEvENKUlvE3_clEvEUlS6_S6_E_S6_EEDaPvRmT3_T4_T5_mT6_P12ihipStream_tbENKUlT_T0_E_clISt17integral_constantIbLb0EESY_EEDaST_SU_EUlST_E_NS1_11comp_targetILNS1_3genE3ELNS1_11target_archE908ELNS1_3gpuE7ELNS1_3repE0EEENS1_30default_config_static_selectorELNS0_4arch9wavefront6targetE1EEEvT1_: ; @_ZN7rocprim17ROCPRIM_400000_NS6detail17trampoline_kernelINS0_14default_configENS1_20scan_config_selectorIN3c104HalfEEEZZNS1_9scan_implILNS1_25lookback_scan_determinismE0ELb0ELb0ES3_PKS6_PS6_S6_ZZZN2at6native31launch_logcumsumexp_cuda_kernelERKNSD_10TensorBaseESH_lENKUlvE_clEvENKUlvE3_clEvEUlS6_S6_E_S6_EEDaPvRmT3_T4_T5_mT6_P12ihipStream_tbENKUlT_T0_E_clISt17integral_constantIbLb0EESY_EEDaST_SU_EUlST_E_NS1_11comp_targetILNS1_3genE3ELNS1_11target_archE908ELNS1_3gpuE7ELNS1_3repE0EEENS1_30default_config_static_selectorELNS0_4arch9wavefront6targetE1EEEvT1_
; %bb.0:
	.section	.rodata,"a",@progbits
	.p2align	6, 0x0
	.amdhsa_kernel _ZN7rocprim17ROCPRIM_400000_NS6detail17trampoline_kernelINS0_14default_configENS1_20scan_config_selectorIN3c104HalfEEEZZNS1_9scan_implILNS1_25lookback_scan_determinismE0ELb0ELb0ES3_PKS6_PS6_S6_ZZZN2at6native31launch_logcumsumexp_cuda_kernelERKNSD_10TensorBaseESH_lENKUlvE_clEvENKUlvE3_clEvEUlS6_S6_E_S6_EEDaPvRmT3_T4_T5_mT6_P12ihipStream_tbENKUlT_T0_E_clISt17integral_constantIbLb0EESY_EEDaST_SU_EUlST_E_NS1_11comp_targetILNS1_3genE3ELNS1_11target_archE908ELNS1_3gpuE7ELNS1_3repE0EEENS1_30default_config_static_selectorELNS0_4arch9wavefront6targetE1EEEvT1_
		.amdhsa_group_segment_fixed_size 0
		.amdhsa_private_segment_fixed_size 0
		.amdhsa_kernarg_size 96
		.amdhsa_user_sgpr_count 2
		.amdhsa_user_sgpr_dispatch_ptr 0
		.amdhsa_user_sgpr_queue_ptr 0
		.amdhsa_user_sgpr_kernarg_segment_ptr 1
		.amdhsa_user_sgpr_dispatch_id 0
		.amdhsa_user_sgpr_kernarg_preload_length 0
		.amdhsa_user_sgpr_kernarg_preload_offset 0
		.amdhsa_user_sgpr_private_segment_size 0
		.amdhsa_uses_dynamic_stack 0
		.amdhsa_enable_private_segment 0
		.amdhsa_system_sgpr_workgroup_id_x 1
		.amdhsa_system_sgpr_workgroup_id_y 0
		.amdhsa_system_sgpr_workgroup_id_z 0
		.amdhsa_system_sgpr_workgroup_info 0
		.amdhsa_system_vgpr_workitem_id 0
		.amdhsa_next_free_vgpr 1
		.amdhsa_next_free_sgpr 0
		.amdhsa_accum_offset 4
		.amdhsa_reserve_vcc 0
		.amdhsa_float_round_mode_32 0
		.amdhsa_float_round_mode_16_64 0
		.amdhsa_float_denorm_mode_32 3
		.amdhsa_float_denorm_mode_16_64 3
		.amdhsa_dx10_clamp 1
		.amdhsa_ieee_mode 1
		.amdhsa_fp16_overflow 0
		.amdhsa_tg_split 0
		.amdhsa_exception_fp_ieee_invalid_op 0
		.amdhsa_exception_fp_denorm_src 0
		.amdhsa_exception_fp_ieee_div_zero 0
		.amdhsa_exception_fp_ieee_overflow 0
		.amdhsa_exception_fp_ieee_underflow 0
		.amdhsa_exception_fp_ieee_inexact 0
		.amdhsa_exception_int_div_zero 0
	.end_amdhsa_kernel
	.section	.text._ZN7rocprim17ROCPRIM_400000_NS6detail17trampoline_kernelINS0_14default_configENS1_20scan_config_selectorIN3c104HalfEEEZZNS1_9scan_implILNS1_25lookback_scan_determinismE0ELb0ELb0ES3_PKS6_PS6_S6_ZZZN2at6native31launch_logcumsumexp_cuda_kernelERKNSD_10TensorBaseESH_lENKUlvE_clEvENKUlvE3_clEvEUlS6_S6_E_S6_EEDaPvRmT3_T4_T5_mT6_P12ihipStream_tbENKUlT_T0_E_clISt17integral_constantIbLb0EESY_EEDaST_SU_EUlST_E_NS1_11comp_targetILNS1_3genE3ELNS1_11target_archE908ELNS1_3gpuE7ELNS1_3repE0EEENS1_30default_config_static_selectorELNS0_4arch9wavefront6targetE1EEEvT1_,"axG",@progbits,_ZN7rocprim17ROCPRIM_400000_NS6detail17trampoline_kernelINS0_14default_configENS1_20scan_config_selectorIN3c104HalfEEEZZNS1_9scan_implILNS1_25lookback_scan_determinismE0ELb0ELb0ES3_PKS6_PS6_S6_ZZZN2at6native31launch_logcumsumexp_cuda_kernelERKNSD_10TensorBaseESH_lENKUlvE_clEvENKUlvE3_clEvEUlS6_S6_E_S6_EEDaPvRmT3_T4_T5_mT6_P12ihipStream_tbENKUlT_T0_E_clISt17integral_constantIbLb0EESY_EEDaST_SU_EUlST_E_NS1_11comp_targetILNS1_3genE3ELNS1_11target_archE908ELNS1_3gpuE7ELNS1_3repE0EEENS1_30default_config_static_selectorELNS0_4arch9wavefront6targetE1EEEvT1_,comdat
.Lfunc_end363:
	.size	_ZN7rocprim17ROCPRIM_400000_NS6detail17trampoline_kernelINS0_14default_configENS1_20scan_config_selectorIN3c104HalfEEEZZNS1_9scan_implILNS1_25lookback_scan_determinismE0ELb0ELb0ES3_PKS6_PS6_S6_ZZZN2at6native31launch_logcumsumexp_cuda_kernelERKNSD_10TensorBaseESH_lENKUlvE_clEvENKUlvE3_clEvEUlS6_S6_E_S6_EEDaPvRmT3_T4_T5_mT6_P12ihipStream_tbENKUlT_T0_E_clISt17integral_constantIbLb0EESY_EEDaST_SU_EUlST_E_NS1_11comp_targetILNS1_3genE3ELNS1_11target_archE908ELNS1_3gpuE7ELNS1_3repE0EEENS1_30default_config_static_selectorELNS0_4arch9wavefront6targetE1EEEvT1_, .Lfunc_end363-_ZN7rocprim17ROCPRIM_400000_NS6detail17trampoline_kernelINS0_14default_configENS1_20scan_config_selectorIN3c104HalfEEEZZNS1_9scan_implILNS1_25lookback_scan_determinismE0ELb0ELb0ES3_PKS6_PS6_S6_ZZZN2at6native31launch_logcumsumexp_cuda_kernelERKNSD_10TensorBaseESH_lENKUlvE_clEvENKUlvE3_clEvEUlS6_S6_E_S6_EEDaPvRmT3_T4_T5_mT6_P12ihipStream_tbENKUlT_T0_E_clISt17integral_constantIbLb0EESY_EEDaST_SU_EUlST_E_NS1_11comp_targetILNS1_3genE3ELNS1_11target_archE908ELNS1_3gpuE7ELNS1_3repE0EEENS1_30default_config_static_selectorELNS0_4arch9wavefront6targetE1EEEvT1_
                                        ; -- End function
	.section	.AMDGPU.csdata,"",@progbits
; Kernel info:
; codeLenInByte = 0
; NumSgprs: 6
; NumVgprs: 0
; NumAgprs: 0
; TotalNumVgprs: 0
; ScratchSize: 0
; MemoryBound: 0
; FloatMode: 240
; IeeeMode: 1
; LDSByteSize: 0 bytes/workgroup (compile time only)
; SGPRBlocks: 0
; VGPRBlocks: 0
; NumSGPRsForWavesPerEU: 6
; NumVGPRsForWavesPerEU: 1
; AccumOffset: 4
; Occupancy: 8
; WaveLimiterHint : 0
; COMPUTE_PGM_RSRC2:SCRATCH_EN: 0
; COMPUTE_PGM_RSRC2:USER_SGPR: 2
; COMPUTE_PGM_RSRC2:TRAP_HANDLER: 0
; COMPUTE_PGM_RSRC2:TGID_X_EN: 1
; COMPUTE_PGM_RSRC2:TGID_Y_EN: 0
; COMPUTE_PGM_RSRC2:TGID_Z_EN: 0
; COMPUTE_PGM_RSRC2:TIDIG_COMP_CNT: 0
; COMPUTE_PGM_RSRC3_GFX90A:ACCUM_OFFSET: 0
; COMPUTE_PGM_RSRC3_GFX90A:TG_SPLIT: 0
	.section	.text._ZN7rocprim17ROCPRIM_400000_NS6detail17trampoline_kernelINS0_14default_configENS1_20scan_config_selectorIN3c104HalfEEEZZNS1_9scan_implILNS1_25lookback_scan_determinismE0ELb0ELb0ES3_PKS6_PS6_S6_ZZZN2at6native31launch_logcumsumexp_cuda_kernelERKNSD_10TensorBaseESH_lENKUlvE_clEvENKUlvE3_clEvEUlS6_S6_E_S6_EEDaPvRmT3_T4_T5_mT6_P12ihipStream_tbENKUlT_T0_E_clISt17integral_constantIbLb0EESY_EEDaST_SU_EUlST_E_NS1_11comp_targetILNS1_3genE2ELNS1_11target_archE906ELNS1_3gpuE6ELNS1_3repE0EEENS1_30default_config_static_selectorELNS0_4arch9wavefront6targetE1EEEvT1_,"axG",@progbits,_ZN7rocprim17ROCPRIM_400000_NS6detail17trampoline_kernelINS0_14default_configENS1_20scan_config_selectorIN3c104HalfEEEZZNS1_9scan_implILNS1_25lookback_scan_determinismE0ELb0ELb0ES3_PKS6_PS6_S6_ZZZN2at6native31launch_logcumsumexp_cuda_kernelERKNSD_10TensorBaseESH_lENKUlvE_clEvENKUlvE3_clEvEUlS6_S6_E_S6_EEDaPvRmT3_T4_T5_mT6_P12ihipStream_tbENKUlT_T0_E_clISt17integral_constantIbLb0EESY_EEDaST_SU_EUlST_E_NS1_11comp_targetILNS1_3genE2ELNS1_11target_archE906ELNS1_3gpuE6ELNS1_3repE0EEENS1_30default_config_static_selectorELNS0_4arch9wavefront6targetE1EEEvT1_,comdat
	.globl	_ZN7rocprim17ROCPRIM_400000_NS6detail17trampoline_kernelINS0_14default_configENS1_20scan_config_selectorIN3c104HalfEEEZZNS1_9scan_implILNS1_25lookback_scan_determinismE0ELb0ELb0ES3_PKS6_PS6_S6_ZZZN2at6native31launch_logcumsumexp_cuda_kernelERKNSD_10TensorBaseESH_lENKUlvE_clEvENKUlvE3_clEvEUlS6_S6_E_S6_EEDaPvRmT3_T4_T5_mT6_P12ihipStream_tbENKUlT_T0_E_clISt17integral_constantIbLb0EESY_EEDaST_SU_EUlST_E_NS1_11comp_targetILNS1_3genE2ELNS1_11target_archE906ELNS1_3gpuE6ELNS1_3repE0EEENS1_30default_config_static_selectorELNS0_4arch9wavefront6targetE1EEEvT1_ ; -- Begin function _ZN7rocprim17ROCPRIM_400000_NS6detail17trampoline_kernelINS0_14default_configENS1_20scan_config_selectorIN3c104HalfEEEZZNS1_9scan_implILNS1_25lookback_scan_determinismE0ELb0ELb0ES3_PKS6_PS6_S6_ZZZN2at6native31launch_logcumsumexp_cuda_kernelERKNSD_10TensorBaseESH_lENKUlvE_clEvENKUlvE3_clEvEUlS6_S6_E_S6_EEDaPvRmT3_T4_T5_mT6_P12ihipStream_tbENKUlT_T0_E_clISt17integral_constantIbLb0EESY_EEDaST_SU_EUlST_E_NS1_11comp_targetILNS1_3genE2ELNS1_11target_archE906ELNS1_3gpuE6ELNS1_3repE0EEENS1_30default_config_static_selectorELNS0_4arch9wavefront6targetE1EEEvT1_
	.p2align	8
	.type	_ZN7rocprim17ROCPRIM_400000_NS6detail17trampoline_kernelINS0_14default_configENS1_20scan_config_selectorIN3c104HalfEEEZZNS1_9scan_implILNS1_25lookback_scan_determinismE0ELb0ELb0ES3_PKS6_PS6_S6_ZZZN2at6native31launch_logcumsumexp_cuda_kernelERKNSD_10TensorBaseESH_lENKUlvE_clEvENKUlvE3_clEvEUlS6_S6_E_S6_EEDaPvRmT3_T4_T5_mT6_P12ihipStream_tbENKUlT_T0_E_clISt17integral_constantIbLb0EESY_EEDaST_SU_EUlST_E_NS1_11comp_targetILNS1_3genE2ELNS1_11target_archE906ELNS1_3gpuE6ELNS1_3repE0EEENS1_30default_config_static_selectorELNS0_4arch9wavefront6targetE1EEEvT1_,@function
_ZN7rocprim17ROCPRIM_400000_NS6detail17trampoline_kernelINS0_14default_configENS1_20scan_config_selectorIN3c104HalfEEEZZNS1_9scan_implILNS1_25lookback_scan_determinismE0ELb0ELb0ES3_PKS6_PS6_S6_ZZZN2at6native31launch_logcumsumexp_cuda_kernelERKNSD_10TensorBaseESH_lENKUlvE_clEvENKUlvE3_clEvEUlS6_S6_E_S6_EEDaPvRmT3_T4_T5_mT6_P12ihipStream_tbENKUlT_T0_E_clISt17integral_constantIbLb0EESY_EEDaST_SU_EUlST_E_NS1_11comp_targetILNS1_3genE2ELNS1_11target_archE906ELNS1_3gpuE6ELNS1_3repE0EEENS1_30default_config_static_selectorELNS0_4arch9wavefront6targetE1EEEvT1_: ; @_ZN7rocprim17ROCPRIM_400000_NS6detail17trampoline_kernelINS0_14default_configENS1_20scan_config_selectorIN3c104HalfEEEZZNS1_9scan_implILNS1_25lookback_scan_determinismE0ELb0ELb0ES3_PKS6_PS6_S6_ZZZN2at6native31launch_logcumsumexp_cuda_kernelERKNSD_10TensorBaseESH_lENKUlvE_clEvENKUlvE3_clEvEUlS6_S6_E_S6_EEDaPvRmT3_T4_T5_mT6_P12ihipStream_tbENKUlT_T0_E_clISt17integral_constantIbLb0EESY_EEDaST_SU_EUlST_E_NS1_11comp_targetILNS1_3genE2ELNS1_11target_archE906ELNS1_3gpuE6ELNS1_3repE0EEENS1_30default_config_static_selectorELNS0_4arch9wavefront6targetE1EEEvT1_
; %bb.0:
	.section	.rodata,"a",@progbits
	.p2align	6, 0x0
	.amdhsa_kernel _ZN7rocprim17ROCPRIM_400000_NS6detail17trampoline_kernelINS0_14default_configENS1_20scan_config_selectorIN3c104HalfEEEZZNS1_9scan_implILNS1_25lookback_scan_determinismE0ELb0ELb0ES3_PKS6_PS6_S6_ZZZN2at6native31launch_logcumsumexp_cuda_kernelERKNSD_10TensorBaseESH_lENKUlvE_clEvENKUlvE3_clEvEUlS6_S6_E_S6_EEDaPvRmT3_T4_T5_mT6_P12ihipStream_tbENKUlT_T0_E_clISt17integral_constantIbLb0EESY_EEDaST_SU_EUlST_E_NS1_11comp_targetILNS1_3genE2ELNS1_11target_archE906ELNS1_3gpuE6ELNS1_3repE0EEENS1_30default_config_static_selectorELNS0_4arch9wavefront6targetE1EEEvT1_
		.amdhsa_group_segment_fixed_size 0
		.amdhsa_private_segment_fixed_size 0
		.amdhsa_kernarg_size 96
		.amdhsa_user_sgpr_count 2
		.amdhsa_user_sgpr_dispatch_ptr 0
		.amdhsa_user_sgpr_queue_ptr 0
		.amdhsa_user_sgpr_kernarg_segment_ptr 1
		.amdhsa_user_sgpr_dispatch_id 0
		.amdhsa_user_sgpr_kernarg_preload_length 0
		.amdhsa_user_sgpr_kernarg_preload_offset 0
		.amdhsa_user_sgpr_private_segment_size 0
		.amdhsa_uses_dynamic_stack 0
		.amdhsa_enable_private_segment 0
		.amdhsa_system_sgpr_workgroup_id_x 1
		.amdhsa_system_sgpr_workgroup_id_y 0
		.amdhsa_system_sgpr_workgroup_id_z 0
		.amdhsa_system_sgpr_workgroup_info 0
		.amdhsa_system_vgpr_workitem_id 0
		.amdhsa_next_free_vgpr 1
		.amdhsa_next_free_sgpr 0
		.amdhsa_accum_offset 4
		.amdhsa_reserve_vcc 0
		.amdhsa_float_round_mode_32 0
		.amdhsa_float_round_mode_16_64 0
		.amdhsa_float_denorm_mode_32 3
		.amdhsa_float_denorm_mode_16_64 3
		.amdhsa_dx10_clamp 1
		.amdhsa_ieee_mode 1
		.amdhsa_fp16_overflow 0
		.amdhsa_tg_split 0
		.amdhsa_exception_fp_ieee_invalid_op 0
		.amdhsa_exception_fp_denorm_src 0
		.amdhsa_exception_fp_ieee_div_zero 0
		.amdhsa_exception_fp_ieee_overflow 0
		.amdhsa_exception_fp_ieee_underflow 0
		.amdhsa_exception_fp_ieee_inexact 0
		.amdhsa_exception_int_div_zero 0
	.end_amdhsa_kernel
	.section	.text._ZN7rocprim17ROCPRIM_400000_NS6detail17trampoline_kernelINS0_14default_configENS1_20scan_config_selectorIN3c104HalfEEEZZNS1_9scan_implILNS1_25lookback_scan_determinismE0ELb0ELb0ES3_PKS6_PS6_S6_ZZZN2at6native31launch_logcumsumexp_cuda_kernelERKNSD_10TensorBaseESH_lENKUlvE_clEvENKUlvE3_clEvEUlS6_S6_E_S6_EEDaPvRmT3_T4_T5_mT6_P12ihipStream_tbENKUlT_T0_E_clISt17integral_constantIbLb0EESY_EEDaST_SU_EUlST_E_NS1_11comp_targetILNS1_3genE2ELNS1_11target_archE906ELNS1_3gpuE6ELNS1_3repE0EEENS1_30default_config_static_selectorELNS0_4arch9wavefront6targetE1EEEvT1_,"axG",@progbits,_ZN7rocprim17ROCPRIM_400000_NS6detail17trampoline_kernelINS0_14default_configENS1_20scan_config_selectorIN3c104HalfEEEZZNS1_9scan_implILNS1_25lookback_scan_determinismE0ELb0ELb0ES3_PKS6_PS6_S6_ZZZN2at6native31launch_logcumsumexp_cuda_kernelERKNSD_10TensorBaseESH_lENKUlvE_clEvENKUlvE3_clEvEUlS6_S6_E_S6_EEDaPvRmT3_T4_T5_mT6_P12ihipStream_tbENKUlT_T0_E_clISt17integral_constantIbLb0EESY_EEDaST_SU_EUlST_E_NS1_11comp_targetILNS1_3genE2ELNS1_11target_archE906ELNS1_3gpuE6ELNS1_3repE0EEENS1_30default_config_static_selectorELNS0_4arch9wavefront6targetE1EEEvT1_,comdat
.Lfunc_end364:
	.size	_ZN7rocprim17ROCPRIM_400000_NS6detail17trampoline_kernelINS0_14default_configENS1_20scan_config_selectorIN3c104HalfEEEZZNS1_9scan_implILNS1_25lookback_scan_determinismE0ELb0ELb0ES3_PKS6_PS6_S6_ZZZN2at6native31launch_logcumsumexp_cuda_kernelERKNSD_10TensorBaseESH_lENKUlvE_clEvENKUlvE3_clEvEUlS6_S6_E_S6_EEDaPvRmT3_T4_T5_mT6_P12ihipStream_tbENKUlT_T0_E_clISt17integral_constantIbLb0EESY_EEDaST_SU_EUlST_E_NS1_11comp_targetILNS1_3genE2ELNS1_11target_archE906ELNS1_3gpuE6ELNS1_3repE0EEENS1_30default_config_static_selectorELNS0_4arch9wavefront6targetE1EEEvT1_, .Lfunc_end364-_ZN7rocprim17ROCPRIM_400000_NS6detail17trampoline_kernelINS0_14default_configENS1_20scan_config_selectorIN3c104HalfEEEZZNS1_9scan_implILNS1_25lookback_scan_determinismE0ELb0ELb0ES3_PKS6_PS6_S6_ZZZN2at6native31launch_logcumsumexp_cuda_kernelERKNSD_10TensorBaseESH_lENKUlvE_clEvENKUlvE3_clEvEUlS6_S6_E_S6_EEDaPvRmT3_T4_T5_mT6_P12ihipStream_tbENKUlT_T0_E_clISt17integral_constantIbLb0EESY_EEDaST_SU_EUlST_E_NS1_11comp_targetILNS1_3genE2ELNS1_11target_archE906ELNS1_3gpuE6ELNS1_3repE0EEENS1_30default_config_static_selectorELNS0_4arch9wavefront6targetE1EEEvT1_
                                        ; -- End function
	.section	.AMDGPU.csdata,"",@progbits
; Kernel info:
; codeLenInByte = 0
; NumSgprs: 6
; NumVgprs: 0
; NumAgprs: 0
; TotalNumVgprs: 0
; ScratchSize: 0
; MemoryBound: 0
; FloatMode: 240
; IeeeMode: 1
; LDSByteSize: 0 bytes/workgroup (compile time only)
; SGPRBlocks: 0
; VGPRBlocks: 0
; NumSGPRsForWavesPerEU: 6
; NumVGPRsForWavesPerEU: 1
; AccumOffset: 4
; Occupancy: 8
; WaveLimiterHint : 0
; COMPUTE_PGM_RSRC2:SCRATCH_EN: 0
; COMPUTE_PGM_RSRC2:USER_SGPR: 2
; COMPUTE_PGM_RSRC2:TRAP_HANDLER: 0
; COMPUTE_PGM_RSRC2:TGID_X_EN: 1
; COMPUTE_PGM_RSRC2:TGID_Y_EN: 0
; COMPUTE_PGM_RSRC2:TGID_Z_EN: 0
; COMPUTE_PGM_RSRC2:TIDIG_COMP_CNT: 0
; COMPUTE_PGM_RSRC3_GFX90A:ACCUM_OFFSET: 0
; COMPUTE_PGM_RSRC3_GFX90A:TG_SPLIT: 0
	.section	.text._ZN7rocprim17ROCPRIM_400000_NS6detail17trampoline_kernelINS0_14default_configENS1_20scan_config_selectorIN3c104HalfEEEZZNS1_9scan_implILNS1_25lookback_scan_determinismE0ELb0ELb0ES3_PKS6_PS6_S6_ZZZN2at6native31launch_logcumsumexp_cuda_kernelERKNSD_10TensorBaseESH_lENKUlvE_clEvENKUlvE3_clEvEUlS6_S6_E_S6_EEDaPvRmT3_T4_T5_mT6_P12ihipStream_tbENKUlT_T0_E_clISt17integral_constantIbLb0EESY_EEDaST_SU_EUlST_E_NS1_11comp_targetILNS1_3genE10ELNS1_11target_archE1201ELNS1_3gpuE5ELNS1_3repE0EEENS1_30default_config_static_selectorELNS0_4arch9wavefront6targetE1EEEvT1_,"axG",@progbits,_ZN7rocprim17ROCPRIM_400000_NS6detail17trampoline_kernelINS0_14default_configENS1_20scan_config_selectorIN3c104HalfEEEZZNS1_9scan_implILNS1_25lookback_scan_determinismE0ELb0ELb0ES3_PKS6_PS6_S6_ZZZN2at6native31launch_logcumsumexp_cuda_kernelERKNSD_10TensorBaseESH_lENKUlvE_clEvENKUlvE3_clEvEUlS6_S6_E_S6_EEDaPvRmT3_T4_T5_mT6_P12ihipStream_tbENKUlT_T0_E_clISt17integral_constantIbLb0EESY_EEDaST_SU_EUlST_E_NS1_11comp_targetILNS1_3genE10ELNS1_11target_archE1201ELNS1_3gpuE5ELNS1_3repE0EEENS1_30default_config_static_selectorELNS0_4arch9wavefront6targetE1EEEvT1_,comdat
	.globl	_ZN7rocprim17ROCPRIM_400000_NS6detail17trampoline_kernelINS0_14default_configENS1_20scan_config_selectorIN3c104HalfEEEZZNS1_9scan_implILNS1_25lookback_scan_determinismE0ELb0ELb0ES3_PKS6_PS6_S6_ZZZN2at6native31launch_logcumsumexp_cuda_kernelERKNSD_10TensorBaseESH_lENKUlvE_clEvENKUlvE3_clEvEUlS6_S6_E_S6_EEDaPvRmT3_T4_T5_mT6_P12ihipStream_tbENKUlT_T0_E_clISt17integral_constantIbLb0EESY_EEDaST_SU_EUlST_E_NS1_11comp_targetILNS1_3genE10ELNS1_11target_archE1201ELNS1_3gpuE5ELNS1_3repE0EEENS1_30default_config_static_selectorELNS0_4arch9wavefront6targetE1EEEvT1_ ; -- Begin function _ZN7rocprim17ROCPRIM_400000_NS6detail17trampoline_kernelINS0_14default_configENS1_20scan_config_selectorIN3c104HalfEEEZZNS1_9scan_implILNS1_25lookback_scan_determinismE0ELb0ELb0ES3_PKS6_PS6_S6_ZZZN2at6native31launch_logcumsumexp_cuda_kernelERKNSD_10TensorBaseESH_lENKUlvE_clEvENKUlvE3_clEvEUlS6_S6_E_S6_EEDaPvRmT3_T4_T5_mT6_P12ihipStream_tbENKUlT_T0_E_clISt17integral_constantIbLb0EESY_EEDaST_SU_EUlST_E_NS1_11comp_targetILNS1_3genE10ELNS1_11target_archE1201ELNS1_3gpuE5ELNS1_3repE0EEENS1_30default_config_static_selectorELNS0_4arch9wavefront6targetE1EEEvT1_
	.p2align	8
	.type	_ZN7rocprim17ROCPRIM_400000_NS6detail17trampoline_kernelINS0_14default_configENS1_20scan_config_selectorIN3c104HalfEEEZZNS1_9scan_implILNS1_25lookback_scan_determinismE0ELb0ELb0ES3_PKS6_PS6_S6_ZZZN2at6native31launch_logcumsumexp_cuda_kernelERKNSD_10TensorBaseESH_lENKUlvE_clEvENKUlvE3_clEvEUlS6_S6_E_S6_EEDaPvRmT3_T4_T5_mT6_P12ihipStream_tbENKUlT_T0_E_clISt17integral_constantIbLb0EESY_EEDaST_SU_EUlST_E_NS1_11comp_targetILNS1_3genE10ELNS1_11target_archE1201ELNS1_3gpuE5ELNS1_3repE0EEENS1_30default_config_static_selectorELNS0_4arch9wavefront6targetE1EEEvT1_,@function
_ZN7rocprim17ROCPRIM_400000_NS6detail17trampoline_kernelINS0_14default_configENS1_20scan_config_selectorIN3c104HalfEEEZZNS1_9scan_implILNS1_25lookback_scan_determinismE0ELb0ELb0ES3_PKS6_PS6_S6_ZZZN2at6native31launch_logcumsumexp_cuda_kernelERKNSD_10TensorBaseESH_lENKUlvE_clEvENKUlvE3_clEvEUlS6_S6_E_S6_EEDaPvRmT3_T4_T5_mT6_P12ihipStream_tbENKUlT_T0_E_clISt17integral_constantIbLb0EESY_EEDaST_SU_EUlST_E_NS1_11comp_targetILNS1_3genE10ELNS1_11target_archE1201ELNS1_3gpuE5ELNS1_3repE0EEENS1_30default_config_static_selectorELNS0_4arch9wavefront6targetE1EEEvT1_: ; @_ZN7rocprim17ROCPRIM_400000_NS6detail17trampoline_kernelINS0_14default_configENS1_20scan_config_selectorIN3c104HalfEEEZZNS1_9scan_implILNS1_25lookback_scan_determinismE0ELb0ELb0ES3_PKS6_PS6_S6_ZZZN2at6native31launch_logcumsumexp_cuda_kernelERKNSD_10TensorBaseESH_lENKUlvE_clEvENKUlvE3_clEvEUlS6_S6_E_S6_EEDaPvRmT3_T4_T5_mT6_P12ihipStream_tbENKUlT_T0_E_clISt17integral_constantIbLb0EESY_EEDaST_SU_EUlST_E_NS1_11comp_targetILNS1_3genE10ELNS1_11target_archE1201ELNS1_3gpuE5ELNS1_3repE0EEENS1_30default_config_static_selectorELNS0_4arch9wavefront6targetE1EEEvT1_
; %bb.0:
	.section	.rodata,"a",@progbits
	.p2align	6, 0x0
	.amdhsa_kernel _ZN7rocprim17ROCPRIM_400000_NS6detail17trampoline_kernelINS0_14default_configENS1_20scan_config_selectorIN3c104HalfEEEZZNS1_9scan_implILNS1_25lookback_scan_determinismE0ELb0ELb0ES3_PKS6_PS6_S6_ZZZN2at6native31launch_logcumsumexp_cuda_kernelERKNSD_10TensorBaseESH_lENKUlvE_clEvENKUlvE3_clEvEUlS6_S6_E_S6_EEDaPvRmT3_T4_T5_mT6_P12ihipStream_tbENKUlT_T0_E_clISt17integral_constantIbLb0EESY_EEDaST_SU_EUlST_E_NS1_11comp_targetILNS1_3genE10ELNS1_11target_archE1201ELNS1_3gpuE5ELNS1_3repE0EEENS1_30default_config_static_selectorELNS0_4arch9wavefront6targetE1EEEvT1_
		.amdhsa_group_segment_fixed_size 0
		.amdhsa_private_segment_fixed_size 0
		.amdhsa_kernarg_size 96
		.amdhsa_user_sgpr_count 2
		.amdhsa_user_sgpr_dispatch_ptr 0
		.amdhsa_user_sgpr_queue_ptr 0
		.amdhsa_user_sgpr_kernarg_segment_ptr 1
		.amdhsa_user_sgpr_dispatch_id 0
		.amdhsa_user_sgpr_kernarg_preload_length 0
		.amdhsa_user_sgpr_kernarg_preload_offset 0
		.amdhsa_user_sgpr_private_segment_size 0
		.amdhsa_uses_dynamic_stack 0
		.amdhsa_enable_private_segment 0
		.amdhsa_system_sgpr_workgroup_id_x 1
		.amdhsa_system_sgpr_workgroup_id_y 0
		.amdhsa_system_sgpr_workgroup_id_z 0
		.amdhsa_system_sgpr_workgroup_info 0
		.amdhsa_system_vgpr_workitem_id 0
		.amdhsa_next_free_vgpr 1
		.amdhsa_next_free_sgpr 0
		.amdhsa_accum_offset 4
		.amdhsa_reserve_vcc 0
		.amdhsa_float_round_mode_32 0
		.amdhsa_float_round_mode_16_64 0
		.amdhsa_float_denorm_mode_32 3
		.amdhsa_float_denorm_mode_16_64 3
		.amdhsa_dx10_clamp 1
		.amdhsa_ieee_mode 1
		.amdhsa_fp16_overflow 0
		.amdhsa_tg_split 0
		.amdhsa_exception_fp_ieee_invalid_op 0
		.amdhsa_exception_fp_denorm_src 0
		.amdhsa_exception_fp_ieee_div_zero 0
		.amdhsa_exception_fp_ieee_overflow 0
		.amdhsa_exception_fp_ieee_underflow 0
		.amdhsa_exception_fp_ieee_inexact 0
		.amdhsa_exception_int_div_zero 0
	.end_amdhsa_kernel
	.section	.text._ZN7rocprim17ROCPRIM_400000_NS6detail17trampoline_kernelINS0_14default_configENS1_20scan_config_selectorIN3c104HalfEEEZZNS1_9scan_implILNS1_25lookback_scan_determinismE0ELb0ELb0ES3_PKS6_PS6_S6_ZZZN2at6native31launch_logcumsumexp_cuda_kernelERKNSD_10TensorBaseESH_lENKUlvE_clEvENKUlvE3_clEvEUlS6_S6_E_S6_EEDaPvRmT3_T4_T5_mT6_P12ihipStream_tbENKUlT_T0_E_clISt17integral_constantIbLb0EESY_EEDaST_SU_EUlST_E_NS1_11comp_targetILNS1_3genE10ELNS1_11target_archE1201ELNS1_3gpuE5ELNS1_3repE0EEENS1_30default_config_static_selectorELNS0_4arch9wavefront6targetE1EEEvT1_,"axG",@progbits,_ZN7rocprim17ROCPRIM_400000_NS6detail17trampoline_kernelINS0_14default_configENS1_20scan_config_selectorIN3c104HalfEEEZZNS1_9scan_implILNS1_25lookback_scan_determinismE0ELb0ELb0ES3_PKS6_PS6_S6_ZZZN2at6native31launch_logcumsumexp_cuda_kernelERKNSD_10TensorBaseESH_lENKUlvE_clEvENKUlvE3_clEvEUlS6_S6_E_S6_EEDaPvRmT3_T4_T5_mT6_P12ihipStream_tbENKUlT_T0_E_clISt17integral_constantIbLb0EESY_EEDaST_SU_EUlST_E_NS1_11comp_targetILNS1_3genE10ELNS1_11target_archE1201ELNS1_3gpuE5ELNS1_3repE0EEENS1_30default_config_static_selectorELNS0_4arch9wavefront6targetE1EEEvT1_,comdat
.Lfunc_end365:
	.size	_ZN7rocprim17ROCPRIM_400000_NS6detail17trampoline_kernelINS0_14default_configENS1_20scan_config_selectorIN3c104HalfEEEZZNS1_9scan_implILNS1_25lookback_scan_determinismE0ELb0ELb0ES3_PKS6_PS6_S6_ZZZN2at6native31launch_logcumsumexp_cuda_kernelERKNSD_10TensorBaseESH_lENKUlvE_clEvENKUlvE3_clEvEUlS6_S6_E_S6_EEDaPvRmT3_T4_T5_mT6_P12ihipStream_tbENKUlT_T0_E_clISt17integral_constantIbLb0EESY_EEDaST_SU_EUlST_E_NS1_11comp_targetILNS1_3genE10ELNS1_11target_archE1201ELNS1_3gpuE5ELNS1_3repE0EEENS1_30default_config_static_selectorELNS0_4arch9wavefront6targetE1EEEvT1_, .Lfunc_end365-_ZN7rocprim17ROCPRIM_400000_NS6detail17trampoline_kernelINS0_14default_configENS1_20scan_config_selectorIN3c104HalfEEEZZNS1_9scan_implILNS1_25lookback_scan_determinismE0ELb0ELb0ES3_PKS6_PS6_S6_ZZZN2at6native31launch_logcumsumexp_cuda_kernelERKNSD_10TensorBaseESH_lENKUlvE_clEvENKUlvE3_clEvEUlS6_S6_E_S6_EEDaPvRmT3_T4_T5_mT6_P12ihipStream_tbENKUlT_T0_E_clISt17integral_constantIbLb0EESY_EEDaST_SU_EUlST_E_NS1_11comp_targetILNS1_3genE10ELNS1_11target_archE1201ELNS1_3gpuE5ELNS1_3repE0EEENS1_30default_config_static_selectorELNS0_4arch9wavefront6targetE1EEEvT1_
                                        ; -- End function
	.section	.AMDGPU.csdata,"",@progbits
; Kernel info:
; codeLenInByte = 0
; NumSgprs: 6
; NumVgprs: 0
; NumAgprs: 0
; TotalNumVgprs: 0
; ScratchSize: 0
; MemoryBound: 0
; FloatMode: 240
; IeeeMode: 1
; LDSByteSize: 0 bytes/workgroup (compile time only)
; SGPRBlocks: 0
; VGPRBlocks: 0
; NumSGPRsForWavesPerEU: 6
; NumVGPRsForWavesPerEU: 1
; AccumOffset: 4
; Occupancy: 8
; WaveLimiterHint : 0
; COMPUTE_PGM_RSRC2:SCRATCH_EN: 0
; COMPUTE_PGM_RSRC2:USER_SGPR: 2
; COMPUTE_PGM_RSRC2:TRAP_HANDLER: 0
; COMPUTE_PGM_RSRC2:TGID_X_EN: 1
; COMPUTE_PGM_RSRC2:TGID_Y_EN: 0
; COMPUTE_PGM_RSRC2:TGID_Z_EN: 0
; COMPUTE_PGM_RSRC2:TIDIG_COMP_CNT: 0
; COMPUTE_PGM_RSRC3_GFX90A:ACCUM_OFFSET: 0
; COMPUTE_PGM_RSRC3_GFX90A:TG_SPLIT: 0
	.section	.text._ZN7rocprim17ROCPRIM_400000_NS6detail17trampoline_kernelINS0_14default_configENS1_20scan_config_selectorIN3c104HalfEEEZZNS1_9scan_implILNS1_25lookback_scan_determinismE0ELb0ELb0ES3_PKS6_PS6_S6_ZZZN2at6native31launch_logcumsumexp_cuda_kernelERKNSD_10TensorBaseESH_lENKUlvE_clEvENKUlvE3_clEvEUlS6_S6_E_S6_EEDaPvRmT3_T4_T5_mT6_P12ihipStream_tbENKUlT_T0_E_clISt17integral_constantIbLb0EESY_EEDaST_SU_EUlST_E_NS1_11comp_targetILNS1_3genE10ELNS1_11target_archE1200ELNS1_3gpuE4ELNS1_3repE0EEENS1_30default_config_static_selectorELNS0_4arch9wavefront6targetE1EEEvT1_,"axG",@progbits,_ZN7rocprim17ROCPRIM_400000_NS6detail17trampoline_kernelINS0_14default_configENS1_20scan_config_selectorIN3c104HalfEEEZZNS1_9scan_implILNS1_25lookback_scan_determinismE0ELb0ELb0ES3_PKS6_PS6_S6_ZZZN2at6native31launch_logcumsumexp_cuda_kernelERKNSD_10TensorBaseESH_lENKUlvE_clEvENKUlvE3_clEvEUlS6_S6_E_S6_EEDaPvRmT3_T4_T5_mT6_P12ihipStream_tbENKUlT_T0_E_clISt17integral_constantIbLb0EESY_EEDaST_SU_EUlST_E_NS1_11comp_targetILNS1_3genE10ELNS1_11target_archE1200ELNS1_3gpuE4ELNS1_3repE0EEENS1_30default_config_static_selectorELNS0_4arch9wavefront6targetE1EEEvT1_,comdat
	.globl	_ZN7rocprim17ROCPRIM_400000_NS6detail17trampoline_kernelINS0_14default_configENS1_20scan_config_selectorIN3c104HalfEEEZZNS1_9scan_implILNS1_25lookback_scan_determinismE0ELb0ELb0ES3_PKS6_PS6_S6_ZZZN2at6native31launch_logcumsumexp_cuda_kernelERKNSD_10TensorBaseESH_lENKUlvE_clEvENKUlvE3_clEvEUlS6_S6_E_S6_EEDaPvRmT3_T4_T5_mT6_P12ihipStream_tbENKUlT_T0_E_clISt17integral_constantIbLb0EESY_EEDaST_SU_EUlST_E_NS1_11comp_targetILNS1_3genE10ELNS1_11target_archE1200ELNS1_3gpuE4ELNS1_3repE0EEENS1_30default_config_static_selectorELNS0_4arch9wavefront6targetE1EEEvT1_ ; -- Begin function _ZN7rocprim17ROCPRIM_400000_NS6detail17trampoline_kernelINS0_14default_configENS1_20scan_config_selectorIN3c104HalfEEEZZNS1_9scan_implILNS1_25lookback_scan_determinismE0ELb0ELb0ES3_PKS6_PS6_S6_ZZZN2at6native31launch_logcumsumexp_cuda_kernelERKNSD_10TensorBaseESH_lENKUlvE_clEvENKUlvE3_clEvEUlS6_S6_E_S6_EEDaPvRmT3_T4_T5_mT6_P12ihipStream_tbENKUlT_T0_E_clISt17integral_constantIbLb0EESY_EEDaST_SU_EUlST_E_NS1_11comp_targetILNS1_3genE10ELNS1_11target_archE1200ELNS1_3gpuE4ELNS1_3repE0EEENS1_30default_config_static_selectorELNS0_4arch9wavefront6targetE1EEEvT1_
	.p2align	8
	.type	_ZN7rocprim17ROCPRIM_400000_NS6detail17trampoline_kernelINS0_14default_configENS1_20scan_config_selectorIN3c104HalfEEEZZNS1_9scan_implILNS1_25lookback_scan_determinismE0ELb0ELb0ES3_PKS6_PS6_S6_ZZZN2at6native31launch_logcumsumexp_cuda_kernelERKNSD_10TensorBaseESH_lENKUlvE_clEvENKUlvE3_clEvEUlS6_S6_E_S6_EEDaPvRmT3_T4_T5_mT6_P12ihipStream_tbENKUlT_T0_E_clISt17integral_constantIbLb0EESY_EEDaST_SU_EUlST_E_NS1_11comp_targetILNS1_3genE10ELNS1_11target_archE1200ELNS1_3gpuE4ELNS1_3repE0EEENS1_30default_config_static_selectorELNS0_4arch9wavefront6targetE1EEEvT1_,@function
_ZN7rocprim17ROCPRIM_400000_NS6detail17trampoline_kernelINS0_14default_configENS1_20scan_config_selectorIN3c104HalfEEEZZNS1_9scan_implILNS1_25lookback_scan_determinismE0ELb0ELb0ES3_PKS6_PS6_S6_ZZZN2at6native31launch_logcumsumexp_cuda_kernelERKNSD_10TensorBaseESH_lENKUlvE_clEvENKUlvE3_clEvEUlS6_S6_E_S6_EEDaPvRmT3_T4_T5_mT6_P12ihipStream_tbENKUlT_T0_E_clISt17integral_constantIbLb0EESY_EEDaST_SU_EUlST_E_NS1_11comp_targetILNS1_3genE10ELNS1_11target_archE1200ELNS1_3gpuE4ELNS1_3repE0EEENS1_30default_config_static_selectorELNS0_4arch9wavefront6targetE1EEEvT1_: ; @_ZN7rocprim17ROCPRIM_400000_NS6detail17trampoline_kernelINS0_14default_configENS1_20scan_config_selectorIN3c104HalfEEEZZNS1_9scan_implILNS1_25lookback_scan_determinismE0ELb0ELb0ES3_PKS6_PS6_S6_ZZZN2at6native31launch_logcumsumexp_cuda_kernelERKNSD_10TensorBaseESH_lENKUlvE_clEvENKUlvE3_clEvEUlS6_S6_E_S6_EEDaPvRmT3_T4_T5_mT6_P12ihipStream_tbENKUlT_T0_E_clISt17integral_constantIbLb0EESY_EEDaST_SU_EUlST_E_NS1_11comp_targetILNS1_3genE10ELNS1_11target_archE1200ELNS1_3gpuE4ELNS1_3repE0EEENS1_30default_config_static_selectorELNS0_4arch9wavefront6targetE1EEEvT1_
; %bb.0:
	.section	.rodata,"a",@progbits
	.p2align	6, 0x0
	.amdhsa_kernel _ZN7rocprim17ROCPRIM_400000_NS6detail17trampoline_kernelINS0_14default_configENS1_20scan_config_selectorIN3c104HalfEEEZZNS1_9scan_implILNS1_25lookback_scan_determinismE0ELb0ELb0ES3_PKS6_PS6_S6_ZZZN2at6native31launch_logcumsumexp_cuda_kernelERKNSD_10TensorBaseESH_lENKUlvE_clEvENKUlvE3_clEvEUlS6_S6_E_S6_EEDaPvRmT3_T4_T5_mT6_P12ihipStream_tbENKUlT_T0_E_clISt17integral_constantIbLb0EESY_EEDaST_SU_EUlST_E_NS1_11comp_targetILNS1_3genE10ELNS1_11target_archE1200ELNS1_3gpuE4ELNS1_3repE0EEENS1_30default_config_static_selectorELNS0_4arch9wavefront6targetE1EEEvT1_
		.amdhsa_group_segment_fixed_size 0
		.amdhsa_private_segment_fixed_size 0
		.amdhsa_kernarg_size 96
		.amdhsa_user_sgpr_count 2
		.amdhsa_user_sgpr_dispatch_ptr 0
		.amdhsa_user_sgpr_queue_ptr 0
		.amdhsa_user_sgpr_kernarg_segment_ptr 1
		.amdhsa_user_sgpr_dispatch_id 0
		.amdhsa_user_sgpr_kernarg_preload_length 0
		.amdhsa_user_sgpr_kernarg_preload_offset 0
		.amdhsa_user_sgpr_private_segment_size 0
		.amdhsa_uses_dynamic_stack 0
		.amdhsa_enable_private_segment 0
		.amdhsa_system_sgpr_workgroup_id_x 1
		.amdhsa_system_sgpr_workgroup_id_y 0
		.amdhsa_system_sgpr_workgroup_id_z 0
		.amdhsa_system_sgpr_workgroup_info 0
		.amdhsa_system_vgpr_workitem_id 0
		.amdhsa_next_free_vgpr 1
		.amdhsa_next_free_sgpr 0
		.amdhsa_accum_offset 4
		.amdhsa_reserve_vcc 0
		.amdhsa_float_round_mode_32 0
		.amdhsa_float_round_mode_16_64 0
		.amdhsa_float_denorm_mode_32 3
		.amdhsa_float_denorm_mode_16_64 3
		.amdhsa_dx10_clamp 1
		.amdhsa_ieee_mode 1
		.amdhsa_fp16_overflow 0
		.amdhsa_tg_split 0
		.amdhsa_exception_fp_ieee_invalid_op 0
		.amdhsa_exception_fp_denorm_src 0
		.amdhsa_exception_fp_ieee_div_zero 0
		.amdhsa_exception_fp_ieee_overflow 0
		.amdhsa_exception_fp_ieee_underflow 0
		.amdhsa_exception_fp_ieee_inexact 0
		.amdhsa_exception_int_div_zero 0
	.end_amdhsa_kernel
	.section	.text._ZN7rocprim17ROCPRIM_400000_NS6detail17trampoline_kernelINS0_14default_configENS1_20scan_config_selectorIN3c104HalfEEEZZNS1_9scan_implILNS1_25lookback_scan_determinismE0ELb0ELb0ES3_PKS6_PS6_S6_ZZZN2at6native31launch_logcumsumexp_cuda_kernelERKNSD_10TensorBaseESH_lENKUlvE_clEvENKUlvE3_clEvEUlS6_S6_E_S6_EEDaPvRmT3_T4_T5_mT6_P12ihipStream_tbENKUlT_T0_E_clISt17integral_constantIbLb0EESY_EEDaST_SU_EUlST_E_NS1_11comp_targetILNS1_3genE10ELNS1_11target_archE1200ELNS1_3gpuE4ELNS1_3repE0EEENS1_30default_config_static_selectorELNS0_4arch9wavefront6targetE1EEEvT1_,"axG",@progbits,_ZN7rocprim17ROCPRIM_400000_NS6detail17trampoline_kernelINS0_14default_configENS1_20scan_config_selectorIN3c104HalfEEEZZNS1_9scan_implILNS1_25lookback_scan_determinismE0ELb0ELb0ES3_PKS6_PS6_S6_ZZZN2at6native31launch_logcumsumexp_cuda_kernelERKNSD_10TensorBaseESH_lENKUlvE_clEvENKUlvE3_clEvEUlS6_S6_E_S6_EEDaPvRmT3_T4_T5_mT6_P12ihipStream_tbENKUlT_T0_E_clISt17integral_constantIbLb0EESY_EEDaST_SU_EUlST_E_NS1_11comp_targetILNS1_3genE10ELNS1_11target_archE1200ELNS1_3gpuE4ELNS1_3repE0EEENS1_30default_config_static_selectorELNS0_4arch9wavefront6targetE1EEEvT1_,comdat
.Lfunc_end366:
	.size	_ZN7rocprim17ROCPRIM_400000_NS6detail17trampoline_kernelINS0_14default_configENS1_20scan_config_selectorIN3c104HalfEEEZZNS1_9scan_implILNS1_25lookback_scan_determinismE0ELb0ELb0ES3_PKS6_PS6_S6_ZZZN2at6native31launch_logcumsumexp_cuda_kernelERKNSD_10TensorBaseESH_lENKUlvE_clEvENKUlvE3_clEvEUlS6_S6_E_S6_EEDaPvRmT3_T4_T5_mT6_P12ihipStream_tbENKUlT_T0_E_clISt17integral_constantIbLb0EESY_EEDaST_SU_EUlST_E_NS1_11comp_targetILNS1_3genE10ELNS1_11target_archE1200ELNS1_3gpuE4ELNS1_3repE0EEENS1_30default_config_static_selectorELNS0_4arch9wavefront6targetE1EEEvT1_, .Lfunc_end366-_ZN7rocprim17ROCPRIM_400000_NS6detail17trampoline_kernelINS0_14default_configENS1_20scan_config_selectorIN3c104HalfEEEZZNS1_9scan_implILNS1_25lookback_scan_determinismE0ELb0ELb0ES3_PKS6_PS6_S6_ZZZN2at6native31launch_logcumsumexp_cuda_kernelERKNSD_10TensorBaseESH_lENKUlvE_clEvENKUlvE3_clEvEUlS6_S6_E_S6_EEDaPvRmT3_T4_T5_mT6_P12ihipStream_tbENKUlT_T0_E_clISt17integral_constantIbLb0EESY_EEDaST_SU_EUlST_E_NS1_11comp_targetILNS1_3genE10ELNS1_11target_archE1200ELNS1_3gpuE4ELNS1_3repE0EEENS1_30default_config_static_selectorELNS0_4arch9wavefront6targetE1EEEvT1_
                                        ; -- End function
	.section	.AMDGPU.csdata,"",@progbits
; Kernel info:
; codeLenInByte = 0
; NumSgprs: 6
; NumVgprs: 0
; NumAgprs: 0
; TotalNumVgprs: 0
; ScratchSize: 0
; MemoryBound: 0
; FloatMode: 240
; IeeeMode: 1
; LDSByteSize: 0 bytes/workgroup (compile time only)
; SGPRBlocks: 0
; VGPRBlocks: 0
; NumSGPRsForWavesPerEU: 6
; NumVGPRsForWavesPerEU: 1
; AccumOffset: 4
; Occupancy: 8
; WaveLimiterHint : 0
; COMPUTE_PGM_RSRC2:SCRATCH_EN: 0
; COMPUTE_PGM_RSRC2:USER_SGPR: 2
; COMPUTE_PGM_RSRC2:TRAP_HANDLER: 0
; COMPUTE_PGM_RSRC2:TGID_X_EN: 1
; COMPUTE_PGM_RSRC2:TGID_Y_EN: 0
; COMPUTE_PGM_RSRC2:TGID_Z_EN: 0
; COMPUTE_PGM_RSRC2:TIDIG_COMP_CNT: 0
; COMPUTE_PGM_RSRC3_GFX90A:ACCUM_OFFSET: 0
; COMPUTE_PGM_RSRC3_GFX90A:TG_SPLIT: 0
	.section	.text._ZN7rocprim17ROCPRIM_400000_NS6detail17trampoline_kernelINS0_14default_configENS1_20scan_config_selectorIN3c104HalfEEEZZNS1_9scan_implILNS1_25lookback_scan_determinismE0ELb0ELb0ES3_PKS6_PS6_S6_ZZZN2at6native31launch_logcumsumexp_cuda_kernelERKNSD_10TensorBaseESH_lENKUlvE_clEvENKUlvE3_clEvEUlS6_S6_E_S6_EEDaPvRmT3_T4_T5_mT6_P12ihipStream_tbENKUlT_T0_E_clISt17integral_constantIbLb0EESY_EEDaST_SU_EUlST_E_NS1_11comp_targetILNS1_3genE9ELNS1_11target_archE1100ELNS1_3gpuE3ELNS1_3repE0EEENS1_30default_config_static_selectorELNS0_4arch9wavefront6targetE1EEEvT1_,"axG",@progbits,_ZN7rocprim17ROCPRIM_400000_NS6detail17trampoline_kernelINS0_14default_configENS1_20scan_config_selectorIN3c104HalfEEEZZNS1_9scan_implILNS1_25lookback_scan_determinismE0ELb0ELb0ES3_PKS6_PS6_S6_ZZZN2at6native31launch_logcumsumexp_cuda_kernelERKNSD_10TensorBaseESH_lENKUlvE_clEvENKUlvE3_clEvEUlS6_S6_E_S6_EEDaPvRmT3_T4_T5_mT6_P12ihipStream_tbENKUlT_T0_E_clISt17integral_constantIbLb0EESY_EEDaST_SU_EUlST_E_NS1_11comp_targetILNS1_3genE9ELNS1_11target_archE1100ELNS1_3gpuE3ELNS1_3repE0EEENS1_30default_config_static_selectorELNS0_4arch9wavefront6targetE1EEEvT1_,comdat
	.globl	_ZN7rocprim17ROCPRIM_400000_NS6detail17trampoline_kernelINS0_14default_configENS1_20scan_config_selectorIN3c104HalfEEEZZNS1_9scan_implILNS1_25lookback_scan_determinismE0ELb0ELb0ES3_PKS6_PS6_S6_ZZZN2at6native31launch_logcumsumexp_cuda_kernelERKNSD_10TensorBaseESH_lENKUlvE_clEvENKUlvE3_clEvEUlS6_S6_E_S6_EEDaPvRmT3_T4_T5_mT6_P12ihipStream_tbENKUlT_T0_E_clISt17integral_constantIbLb0EESY_EEDaST_SU_EUlST_E_NS1_11comp_targetILNS1_3genE9ELNS1_11target_archE1100ELNS1_3gpuE3ELNS1_3repE0EEENS1_30default_config_static_selectorELNS0_4arch9wavefront6targetE1EEEvT1_ ; -- Begin function _ZN7rocprim17ROCPRIM_400000_NS6detail17trampoline_kernelINS0_14default_configENS1_20scan_config_selectorIN3c104HalfEEEZZNS1_9scan_implILNS1_25lookback_scan_determinismE0ELb0ELb0ES3_PKS6_PS6_S6_ZZZN2at6native31launch_logcumsumexp_cuda_kernelERKNSD_10TensorBaseESH_lENKUlvE_clEvENKUlvE3_clEvEUlS6_S6_E_S6_EEDaPvRmT3_T4_T5_mT6_P12ihipStream_tbENKUlT_T0_E_clISt17integral_constantIbLb0EESY_EEDaST_SU_EUlST_E_NS1_11comp_targetILNS1_3genE9ELNS1_11target_archE1100ELNS1_3gpuE3ELNS1_3repE0EEENS1_30default_config_static_selectorELNS0_4arch9wavefront6targetE1EEEvT1_
	.p2align	8
	.type	_ZN7rocprim17ROCPRIM_400000_NS6detail17trampoline_kernelINS0_14default_configENS1_20scan_config_selectorIN3c104HalfEEEZZNS1_9scan_implILNS1_25lookback_scan_determinismE0ELb0ELb0ES3_PKS6_PS6_S6_ZZZN2at6native31launch_logcumsumexp_cuda_kernelERKNSD_10TensorBaseESH_lENKUlvE_clEvENKUlvE3_clEvEUlS6_S6_E_S6_EEDaPvRmT3_T4_T5_mT6_P12ihipStream_tbENKUlT_T0_E_clISt17integral_constantIbLb0EESY_EEDaST_SU_EUlST_E_NS1_11comp_targetILNS1_3genE9ELNS1_11target_archE1100ELNS1_3gpuE3ELNS1_3repE0EEENS1_30default_config_static_selectorELNS0_4arch9wavefront6targetE1EEEvT1_,@function
_ZN7rocprim17ROCPRIM_400000_NS6detail17trampoline_kernelINS0_14default_configENS1_20scan_config_selectorIN3c104HalfEEEZZNS1_9scan_implILNS1_25lookback_scan_determinismE0ELb0ELb0ES3_PKS6_PS6_S6_ZZZN2at6native31launch_logcumsumexp_cuda_kernelERKNSD_10TensorBaseESH_lENKUlvE_clEvENKUlvE3_clEvEUlS6_S6_E_S6_EEDaPvRmT3_T4_T5_mT6_P12ihipStream_tbENKUlT_T0_E_clISt17integral_constantIbLb0EESY_EEDaST_SU_EUlST_E_NS1_11comp_targetILNS1_3genE9ELNS1_11target_archE1100ELNS1_3gpuE3ELNS1_3repE0EEENS1_30default_config_static_selectorELNS0_4arch9wavefront6targetE1EEEvT1_: ; @_ZN7rocprim17ROCPRIM_400000_NS6detail17trampoline_kernelINS0_14default_configENS1_20scan_config_selectorIN3c104HalfEEEZZNS1_9scan_implILNS1_25lookback_scan_determinismE0ELb0ELb0ES3_PKS6_PS6_S6_ZZZN2at6native31launch_logcumsumexp_cuda_kernelERKNSD_10TensorBaseESH_lENKUlvE_clEvENKUlvE3_clEvEUlS6_S6_E_S6_EEDaPvRmT3_T4_T5_mT6_P12ihipStream_tbENKUlT_T0_E_clISt17integral_constantIbLb0EESY_EEDaST_SU_EUlST_E_NS1_11comp_targetILNS1_3genE9ELNS1_11target_archE1100ELNS1_3gpuE3ELNS1_3repE0EEENS1_30default_config_static_selectorELNS0_4arch9wavefront6targetE1EEEvT1_
; %bb.0:
	.section	.rodata,"a",@progbits
	.p2align	6, 0x0
	.amdhsa_kernel _ZN7rocprim17ROCPRIM_400000_NS6detail17trampoline_kernelINS0_14default_configENS1_20scan_config_selectorIN3c104HalfEEEZZNS1_9scan_implILNS1_25lookback_scan_determinismE0ELb0ELb0ES3_PKS6_PS6_S6_ZZZN2at6native31launch_logcumsumexp_cuda_kernelERKNSD_10TensorBaseESH_lENKUlvE_clEvENKUlvE3_clEvEUlS6_S6_E_S6_EEDaPvRmT3_T4_T5_mT6_P12ihipStream_tbENKUlT_T0_E_clISt17integral_constantIbLb0EESY_EEDaST_SU_EUlST_E_NS1_11comp_targetILNS1_3genE9ELNS1_11target_archE1100ELNS1_3gpuE3ELNS1_3repE0EEENS1_30default_config_static_selectorELNS0_4arch9wavefront6targetE1EEEvT1_
		.amdhsa_group_segment_fixed_size 0
		.amdhsa_private_segment_fixed_size 0
		.amdhsa_kernarg_size 96
		.amdhsa_user_sgpr_count 2
		.amdhsa_user_sgpr_dispatch_ptr 0
		.amdhsa_user_sgpr_queue_ptr 0
		.amdhsa_user_sgpr_kernarg_segment_ptr 1
		.amdhsa_user_sgpr_dispatch_id 0
		.amdhsa_user_sgpr_kernarg_preload_length 0
		.amdhsa_user_sgpr_kernarg_preload_offset 0
		.amdhsa_user_sgpr_private_segment_size 0
		.amdhsa_uses_dynamic_stack 0
		.amdhsa_enable_private_segment 0
		.amdhsa_system_sgpr_workgroup_id_x 1
		.amdhsa_system_sgpr_workgroup_id_y 0
		.amdhsa_system_sgpr_workgroup_id_z 0
		.amdhsa_system_sgpr_workgroup_info 0
		.amdhsa_system_vgpr_workitem_id 0
		.amdhsa_next_free_vgpr 1
		.amdhsa_next_free_sgpr 0
		.amdhsa_accum_offset 4
		.amdhsa_reserve_vcc 0
		.amdhsa_float_round_mode_32 0
		.amdhsa_float_round_mode_16_64 0
		.amdhsa_float_denorm_mode_32 3
		.amdhsa_float_denorm_mode_16_64 3
		.amdhsa_dx10_clamp 1
		.amdhsa_ieee_mode 1
		.amdhsa_fp16_overflow 0
		.amdhsa_tg_split 0
		.amdhsa_exception_fp_ieee_invalid_op 0
		.amdhsa_exception_fp_denorm_src 0
		.amdhsa_exception_fp_ieee_div_zero 0
		.amdhsa_exception_fp_ieee_overflow 0
		.amdhsa_exception_fp_ieee_underflow 0
		.amdhsa_exception_fp_ieee_inexact 0
		.amdhsa_exception_int_div_zero 0
	.end_amdhsa_kernel
	.section	.text._ZN7rocprim17ROCPRIM_400000_NS6detail17trampoline_kernelINS0_14default_configENS1_20scan_config_selectorIN3c104HalfEEEZZNS1_9scan_implILNS1_25lookback_scan_determinismE0ELb0ELb0ES3_PKS6_PS6_S6_ZZZN2at6native31launch_logcumsumexp_cuda_kernelERKNSD_10TensorBaseESH_lENKUlvE_clEvENKUlvE3_clEvEUlS6_S6_E_S6_EEDaPvRmT3_T4_T5_mT6_P12ihipStream_tbENKUlT_T0_E_clISt17integral_constantIbLb0EESY_EEDaST_SU_EUlST_E_NS1_11comp_targetILNS1_3genE9ELNS1_11target_archE1100ELNS1_3gpuE3ELNS1_3repE0EEENS1_30default_config_static_selectorELNS0_4arch9wavefront6targetE1EEEvT1_,"axG",@progbits,_ZN7rocprim17ROCPRIM_400000_NS6detail17trampoline_kernelINS0_14default_configENS1_20scan_config_selectorIN3c104HalfEEEZZNS1_9scan_implILNS1_25lookback_scan_determinismE0ELb0ELb0ES3_PKS6_PS6_S6_ZZZN2at6native31launch_logcumsumexp_cuda_kernelERKNSD_10TensorBaseESH_lENKUlvE_clEvENKUlvE3_clEvEUlS6_S6_E_S6_EEDaPvRmT3_T4_T5_mT6_P12ihipStream_tbENKUlT_T0_E_clISt17integral_constantIbLb0EESY_EEDaST_SU_EUlST_E_NS1_11comp_targetILNS1_3genE9ELNS1_11target_archE1100ELNS1_3gpuE3ELNS1_3repE0EEENS1_30default_config_static_selectorELNS0_4arch9wavefront6targetE1EEEvT1_,comdat
.Lfunc_end367:
	.size	_ZN7rocprim17ROCPRIM_400000_NS6detail17trampoline_kernelINS0_14default_configENS1_20scan_config_selectorIN3c104HalfEEEZZNS1_9scan_implILNS1_25lookback_scan_determinismE0ELb0ELb0ES3_PKS6_PS6_S6_ZZZN2at6native31launch_logcumsumexp_cuda_kernelERKNSD_10TensorBaseESH_lENKUlvE_clEvENKUlvE3_clEvEUlS6_S6_E_S6_EEDaPvRmT3_T4_T5_mT6_P12ihipStream_tbENKUlT_T0_E_clISt17integral_constantIbLb0EESY_EEDaST_SU_EUlST_E_NS1_11comp_targetILNS1_3genE9ELNS1_11target_archE1100ELNS1_3gpuE3ELNS1_3repE0EEENS1_30default_config_static_selectorELNS0_4arch9wavefront6targetE1EEEvT1_, .Lfunc_end367-_ZN7rocprim17ROCPRIM_400000_NS6detail17trampoline_kernelINS0_14default_configENS1_20scan_config_selectorIN3c104HalfEEEZZNS1_9scan_implILNS1_25lookback_scan_determinismE0ELb0ELb0ES3_PKS6_PS6_S6_ZZZN2at6native31launch_logcumsumexp_cuda_kernelERKNSD_10TensorBaseESH_lENKUlvE_clEvENKUlvE3_clEvEUlS6_S6_E_S6_EEDaPvRmT3_T4_T5_mT6_P12ihipStream_tbENKUlT_T0_E_clISt17integral_constantIbLb0EESY_EEDaST_SU_EUlST_E_NS1_11comp_targetILNS1_3genE9ELNS1_11target_archE1100ELNS1_3gpuE3ELNS1_3repE0EEENS1_30default_config_static_selectorELNS0_4arch9wavefront6targetE1EEEvT1_
                                        ; -- End function
	.section	.AMDGPU.csdata,"",@progbits
; Kernel info:
; codeLenInByte = 0
; NumSgprs: 6
; NumVgprs: 0
; NumAgprs: 0
; TotalNumVgprs: 0
; ScratchSize: 0
; MemoryBound: 0
; FloatMode: 240
; IeeeMode: 1
; LDSByteSize: 0 bytes/workgroup (compile time only)
; SGPRBlocks: 0
; VGPRBlocks: 0
; NumSGPRsForWavesPerEU: 6
; NumVGPRsForWavesPerEU: 1
; AccumOffset: 4
; Occupancy: 8
; WaveLimiterHint : 0
; COMPUTE_PGM_RSRC2:SCRATCH_EN: 0
; COMPUTE_PGM_RSRC2:USER_SGPR: 2
; COMPUTE_PGM_RSRC2:TRAP_HANDLER: 0
; COMPUTE_PGM_RSRC2:TGID_X_EN: 1
; COMPUTE_PGM_RSRC2:TGID_Y_EN: 0
; COMPUTE_PGM_RSRC2:TGID_Z_EN: 0
; COMPUTE_PGM_RSRC2:TIDIG_COMP_CNT: 0
; COMPUTE_PGM_RSRC3_GFX90A:ACCUM_OFFSET: 0
; COMPUTE_PGM_RSRC3_GFX90A:TG_SPLIT: 0
	.section	.text._ZN7rocprim17ROCPRIM_400000_NS6detail17trampoline_kernelINS0_14default_configENS1_20scan_config_selectorIN3c104HalfEEEZZNS1_9scan_implILNS1_25lookback_scan_determinismE0ELb0ELb0ES3_PKS6_PS6_S6_ZZZN2at6native31launch_logcumsumexp_cuda_kernelERKNSD_10TensorBaseESH_lENKUlvE_clEvENKUlvE3_clEvEUlS6_S6_E_S6_EEDaPvRmT3_T4_T5_mT6_P12ihipStream_tbENKUlT_T0_E_clISt17integral_constantIbLb0EESY_EEDaST_SU_EUlST_E_NS1_11comp_targetILNS1_3genE8ELNS1_11target_archE1030ELNS1_3gpuE2ELNS1_3repE0EEENS1_30default_config_static_selectorELNS0_4arch9wavefront6targetE1EEEvT1_,"axG",@progbits,_ZN7rocprim17ROCPRIM_400000_NS6detail17trampoline_kernelINS0_14default_configENS1_20scan_config_selectorIN3c104HalfEEEZZNS1_9scan_implILNS1_25lookback_scan_determinismE0ELb0ELb0ES3_PKS6_PS6_S6_ZZZN2at6native31launch_logcumsumexp_cuda_kernelERKNSD_10TensorBaseESH_lENKUlvE_clEvENKUlvE3_clEvEUlS6_S6_E_S6_EEDaPvRmT3_T4_T5_mT6_P12ihipStream_tbENKUlT_T0_E_clISt17integral_constantIbLb0EESY_EEDaST_SU_EUlST_E_NS1_11comp_targetILNS1_3genE8ELNS1_11target_archE1030ELNS1_3gpuE2ELNS1_3repE0EEENS1_30default_config_static_selectorELNS0_4arch9wavefront6targetE1EEEvT1_,comdat
	.globl	_ZN7rocprim17ROCPRIM_400000_NS6detail17trampoline_kernelINS0_14default_configENS1_20scan_config_selectorIN3c104HalfEEEZZNS1_9scan_implILNS1_25lookback_scan_determinismE0ELb0ELb0ES3_PKS6_PS6_S6_ZZZN2at6native31launch_logcumsumexp_cuda_kernelERKNSD_10TensorBaseESH_lENKUlvE_clEvENKUlvE3_clEvEUlS6_S6_E_S6_EEDaPvRmT3_T4_T5_mT6_P12ihipStream_tbENKUlT_T0_E_clISt17integral_constantIbLb0EESY_EEDaST_SU_EUlST_E_NS1_11comp_targetILNS1_3genE8ELNS1_11target_archE1030ELNS1_3gpuE2ELNS1_3repE0EEENS1_30default_config_static_selectorELNS0_4arch9wavefront6targetE1EEEvT1_ ; -- Begin function _ZN7rocprim17ROCPRIM_400000_NS6detail17trampoline_kernelINS0_14default_configENS1_20scan_config_selectorIN3c104HalfEEEZZNS1_9scan_implILNS1_25lookback_scan_determinismE0ELb0ELb0ES3_PKS6_PS6_S6_ZZZN2at6native31launch_logcumsumexp_cuda_kernelERKNSD_10TensorBaseESH_lENKUlvE_clEvENKUlvE3_clEvEUlS6_S6_E_S6_EEDaPvRmT3_T4_T5_mT6_P12ihipStream_tbENKUlT_T0_E_clISt17integral_constantIbLb0EESY_EEDaST_SU_EUlST_E_NS1_11comp_targetILNS1_3genE8ELNS1_11target_archE1030ELNS1_3gpuE2ELNS1_3repE0EEENS1_30default_config_static_selectorELNS0_4arch9wavefront6targetE1EEEvT1_
	.p2align	8
	.type	_ZN7rocprim17ROCPRIM_400000_NS6detail17trampoline_kernelINS0_14default_configENS1_20scan_config_selectorIN3c104HalfEEEZZNS1_9scan_implILNS1_25lookback_scan_determinismE0ELb0ELb0ES3_PKS6_PS6_S6_ZZZN2at6native31launch_logcumsumexp_cuda_kernelERKNSD_10TensorBaseESH_lENKUlvE_clEvENKUlvE3_clEvEUlS6_S6_E_S6_EEDaPvRmT3_T4_T5_mT6_P12ihipStream_tbENKUlT_T0_E_clISt17integral_constantIbLb0EESY_EEDaST_SU_EUlST_E_NS1_11comp_targetILNS1_3genE8ELNS1_11target_archE1030ELNS1_3gpuE2ELNS1_3repE0EEENS1_30default_config_static_selectorELNS0_4arch9wavefront6targetE1EEEvT1_,@function
_ZN7rocprim17ROCPRIM_400000_NS6detail17trampoline_kernelINS0_14default_configENS1_20scan_config_selectorIN3c104HalfEEEZZNS1_9scan_implILNS1_25lookback_scan_determinismE0ELb0ELb0ES3_PKS6_PS6_S6_ZZZN2at6native31launch_logcumsumexp_cuda_kernelERKNSD_10TensorBaseESH_lENKUlvE_clEvENKUlvE3_clEvEUlS6_S6_E_S6_EEDaPvRmT3_T4_T5_mT6_P12ihipStream_tbENKUlT_T0_E_clISt17integral_constantIbLb0EESY_EEDaST_SU_EUlST_E_NS1_11comp_targetILNS1_3genE8ELNS1_11target_archE1030ELNS1_3gpuE2ELNS1_3repE0EEENS1_30default_config_static_selectorELNS0_4arch9wavefront6targetE1EEEvT1_: ; @_ZN7rocprim17ROCPRIM_400000_NS6detail17trampoline_kernelINS0_14default_configENS1_20scan_config_selectorIN3c104HalfEEEZZNS1_9scan_implILNS1_25lookback_scan_determinismE0ELb0ELb0ES3_PKS6_PS6_S6_ZZZN2at6native31launch_logcumsumexp_cuda_kernelERKNSD_10TensorBaseESH_lENKUlvE_clEvENKUlvE3_clEvEUlS6_S6_E_S6_EEDaPvRmT3_T4_T5_mT6_P12ihipStream_tbENKUlT_T0_E_clISt17integral_constantIbLb0EESY_EEDaST_SU_EUlST_E_NS1_11comp_targetILNS1_3genE8ELNS1_11target_archE1030ELNS1_3gpuE2ELNS1_3repE0EEENS1_30default_config_static_selectorELNS0_4arch9wavefront6targetE1EEEvT1_
; %bb.0:
	.section	.rodata,"a",@progbits
	.p2align	6, 0x0
	.amdhsa_kernel _ZN7rocprim17ROCPRIM_400000_NS6detail17trampoline_kernelINS0_14default_configENS1_20scan_config_selectorIN3c104HalfEEEZZNS1_9scan_implILNS1_25lookback_scan_determinismE0ELb0ELb0ES3_PKS6_PS6_S6_ZZZN2at6native31launch_logcumsumexp_cuda_kernelERKNSD_10TensorBaseESH_lENKUlvE_clEvENKUlvE3_clEvEUlS6_S6_E_S6_EEDaPvRmT3_T4_T5_mT6_P12ihipStream_tbENKUlT_T0_E_clISt17integral_constantIbLb0EESY_EEDaST_SU_EUlST_E_NS1_11comp_targetILNS1_3genE8ELNS1_11target_archE1030ELNS1_3gpuE2ELNS1_3repE0EEENS1_30default_config_static_selectorELNS0_4arch9wavefront6targetE1EEEvT1_
		.amdhsa_group_segment_fixed_size 0
		.amdhsa_private_segment_fixed_size 0
		.amdhsa_kernarg_size 96
		.amdhsa_user_sgpr_count 2
		.amdhsa_user_sgpr_dispatch_ptr 0
		.amdhsa_user_sgpr_queue_ptr 0
		.amdhsa_user_sgpr_kernarg_segment_ptr 1
		.amdhsa_user_sgpr_dispatch_id 0
		.amdhsa_user_sgpr_kernarg_preload_length 0
		.amdhsa_user_sgpr_kernarg_preload_offset 0
		.amdhsa_user_sgpr_private_segment_size 0
		.amdhsa_uses_dynamic_stack 0
		.amdhsa_enable_private_segment 0
		.amdhsa_system_sgpr_workgroup_id_x 1
		.amdhsa_system_sgpr_workgroup_id_y 0
		.amdhsa_system_sgpr_workgroup_id_z 0
		.amdhsa_system_sgpr_workgroup_info 0
		.amdhsa_system_vgpr_workitem_id 0
		.amdhsa_next_free_vgpr 1
		.amdhsa_next_free_sgpr 0
		.amdhsa_accum_offset 4
		.amdhsa_reserve_vcc 0
		.amdhsa_float_round_mode_32 0
		.amdhsa_float_round_mode_16_64 0
		.amdhsa_float_denorm_mode_32 3
		.amdhsa_float_denorm_mode_16_64 3
		.amdhsa_dx10_clamp 1
		.amdhsa_ieee_mode 1
		.amdhsa_fp16_overflow 0
		.amdhsa_tg_split 0
		.amdhsa_exception_fp_ieee_invalid_op 0
		.amdhsa_exception_fp_denorm_src 0
		.amdhsa_exception_fp_ieee_div_zero 0
		.amdhsa_exception_fp_ieee_overflow 0
		.amdhsa_exception_fp_ieee_underflow 0
		.amdhsa_exception_fp_ieee_inexact 0
		.amdhsa_exception_int_div_zero 0
	.end_amdhsa_kernel
	.section	.text._ZN7rocprim17ROCPRIM_400000_NS6detail17trampoline_kernelINS0_14default_configENS1_20scan_config_selectorIN3c104HalfEEEZZNS1_9scan_implILNS1_25lookback_scan_determinismE0ELb0ELb0ES3_PKS6_PS6_S6_ZZZN2at6native31launch_logcumsumexp_cuda_kernelERKNSD_10TensorBaseESH_lENKUlvE_clEvENKUlvE3_clEvEUlS6_S6_E_S6_EEDaPvRmT3_T4_T5_mT6_P12ihipStream_tbENKUlT_T0_E_clISt17integral_constantIbLb0EESY_EEDaST_SU_EUlST_E_NS1_11comp_targetILNS1_3genE8ELNS1_11target_archE1030ELNS1_3gpuE2ELNS1_3repE0EEENS1_30default_config_static_selectorELNS0_4arch9wavefront6targetE1EEEvT1_,"axG",@progbits,_ZN7rocprim17ROCPRIM_400000_NS6detail17trampoline_kernelINS0_14default_configENS1_20scan_config_selectorIN3c104HalfEEEZZNS1_9scan_implILNS1_25lookback_scan_determinismE0ELb0ELb0ES3_PKS6_PS6_S6_ZZZN2at6native31launch_logcumsumexp_cuda_kernelERKNSD_10TensorBaseESH_lENKUlvE_clEvENKUlvE3_clEvEUlS6_S6_E_S6_EEDaPvRmT3_T4_T5_mT6_P12ihipStream_tbENKUlT_T0_E_clISt17integral_constantIbLb0EESY_EEDaST_SU_EUlST_E_NS1_11comp_targetILNS1_3genE8ELNS1_11target_archE1030ELNS1_3gpuE2ELNS1_3repE0EEENS1_30default_config_static_selectorELNS0_4arch9wavefront6targetE1EEEvT1_,comdat
.Lfunc_end368:
	.size	_ZN7rocprim17ROCPRIM_400000_NS6detail17trampoline_kernelINS0_14default_configENS1_20scan_config_selectorIN3c104HalfEEEZZNS1_9scan_implILNS1_25lookback_scan_determinismE0ELb0ELb0ES3_PKS6_PS6_S6_ZZZN2at6native31launch_logcumsumexp_cuda_kernelERKNSD_10TensorBaseESH_lENKUlvE_clEvENKUlvE3_clEvEUlS6_S6_E_S6_EEDaPvRmT3_T4_T5_mT6_P12ihipStream_tbENKUlT_T0_E_clISt17integral_constantIbLb0EESY_EEDaST_SU_EUlST_E_NS1_11comp_targetILNS1_3genE8ELNS1_11target_archE1030ELNS1_3gpuE2ELNS1_3repE0EEENS1_30default_config_static_selectorELNS0_4arch9wavefront6targetE1EEEvT1_, .Lfunc_end368-_ZN7rocprim17ROCPRIM_400000_NS6detail17trampoline_kernelINS0_14default_configENS1_20scan_config_selectorIN3c104HalfEEEZZNS1_9scan_implILNS1_25lookback_scan_determinismE0ELb0ELb0ES3_PKS6_PS6_S6_ZZZN2at6native31launch_logcumsumexp_cuda_kernelERKNSD_10TensorBaseESH_lENKUlvE_clEvENKUlvE3_clEvEUlS6_S6_E_S6_EEDaPvRmT3_T4_T5_mT6_P12ihipStream_tbENKUlT_T0_E_clISt17integral_constantIbLb0EESY_EEDaST_SU_EUlST_E_NS1_11comp_targetILNS1_3genE8ELNS1_11target_archE1030ELNS1_3gpuE2ELNS1_3repE0EEENS1_30default_config_static_selectorELNS0_4arch9wavefront6targetE1EEEvT1_
                                        ; -- End function
	.section	.AMDGPU.csdata,"",@progbits
; Kernel info:
; codeLenInByte = 0
; NumSgprs: 6
; NumVgprs: 0
; NumAgprs: 0
; TotalNumVgprs: 0
; ScratchSize: 0
; MemoryBound: 0
; FloatMode: 240
; IeeeMode: 1
; LDSByteSize: 0 bytes/workgroup (compile time only)
; SGPRBlocks: 0
; VGPRBlocks: 0
; NumSGPRsForWavesPerEU: 6
; NumVGPRsForWavesPerEU: 1
; AccumOffset: 4
; Occupancy: 8
; WaveLimiterHint : 0
; COMPUTE_PGM_RSRC2:SCRATCH_EN: 0
; COMPUTE_PGM_RSRC2:USER_SGPR: 2
; COMPUTE_PGM_RSRC2:TRAP_HANDLER: 0
; COMPUTE_PGM_RSRC2:TGID_X_EN: 1
; COMPUTE_PGM_RSRC2:TGID_Y_EN: 0
; COMPUTE_PGM_RSRC2:TGID_Z_EN: 0
; COMPUTE_PGM_RSRC2:TIDIG_COMP_CNT: 0
; COMPUTE_PGM_RSRC3_GFX90A:ACCUM_OFFSET: 0
; COMPUTE_PGM_RSRC3_GFX90A:TG_SPLIT: 0
	.section	.text._ZN7rocprim17ROCPRIM_400000_NS6detail17trampoline_kernelINS0_14default_configENS1_25transform_config_selectorIN3c104HalfELb1EEEZNS1_14transform_implILb1ES3_S7_PS6_S9_NS0_8identityIS6_EEEE10hipError_tT2_T3_mT4_P12ihipStream_tbEUlT_E_NS1_11comp_targetILNS1_3genE0ELNS1_11target_archE4294967295ELNS1_3gpuE0ELNS1_3repE0EEENS1_30default_config_static_selectorELNS0_4arch9wavefront6targetE1EEEvT1_,"axG",@progbits,_ZN7rocprim17ROCPRIM_400000_NS6detail17trampoline_kernelINS0_14default_configENS1_25transform_config_selectorIN3c104HalfELb1EEEZNS1_14transform_implILb1ES3_S7_PS6_S9_NS0_8identityIS6_EEEE10hipError_tT2_T3_mT4_P12ihipStream_tbEUlT_E_NS1_11comp_targetILNS1_3genE0ELNS1_11target_archE4294967295ELNS1_3gpuE0ELNS1_3repE0EEENS1_30default_config_static_selectorELNS0_4arch9wavefront6targetE1EEEvT1_,comdat
	.protected	_ZN7rocprim17ROCPRIM_400000_NS6detail17trampoline_kernelINS0_14default_configENS1_25transform_config_selectorIN3c104HalfELb1EEEZNS1_14transform_implILb1ES3_S7_PS6_S9_NS0_8identityIS6_EEEE10hipError_tT2_T3_mT4_P12ihipStream_tbEUlT_E_NS1_11comp_targetILNS1_3genE0ELNS1_11target_archE4294967295ELNS1_3gpuE0ELNS1_3repE0EEENS1_30default_config_static_selectorELNS0_4arch9wavefront6targetE1EEEvT1_ ; -- Begin function _ZN7rocprim17ROCPRIM_400000_NS6detail17trampoline_kernelINS0_14default_configENS1_25transform_config_selectorIN3c104HalfELb1EEEZNS1_14transform_implILb1ES3_S7_PS6_S9_NS0_8identityIS6_EEEE10hipError_tT2_T3_mT4_P12ihipStream_tbEUlT_E_NS1_11comp_targetILNS1_3genE0ELNS1_11target_archE4294967295ELNS1_3gpuE0ELNS1_3repE0EEENS1_30default_config_static_selectorELNS0_4arch9wavefront6targetE1EEEvT1_
	.globl	_ZN7rocprim17ROCPRIM_400000_NS6detail17trampoline_kernelINS0_14default_configENS1_25transform_config_selectorIN3c104HalfELb1EEEZNS1_14transform_implILb1ES3_S7_PS6_S9_NS0_8identityIS6_EEEE10hipError_tT2_T3_mT4_P12ihipStream_tbEUlT_E_NS1_11comp_targetILNS1_3genE0ELNS1_11target_archE4294967295ELNS1_3gpuE0ELNS1_3repE0EEENS1_30default_config_static_selectorELNS0_4arch9wavefront6targetE1EEEvT1_
	.p2align	8
	.type	_ZN7rocprim17ROCPRIM_400000_NS6detail17trampoline_kernelINS0_14default_configENS1_25transform_config_selectorIN3c104HalfELb1EEEZNS1_14transform_implILb1ES3_S7_PS6_S9_NS0_8identityIS6_EEEE10hipError_tT2_T3_mT4_P12ihipStream_tbEUlT_E_NS1_11comp_targetILNS1_3genE0ELNS1_11target_archE4294967295ELNS1_3gpuE0ELNS1_3repE0EEENS1_30default_config_static_selectorELNS0_4arch9wavefront6targetE1EEEvT1_,@function
_ZN7rocprim17ROCPRIM_400000_NS6detail17trampoline_kernelINS0_14default_configENS1_25transform_config_selectorIN3c104HalfELb1EEEZNS1_14transform_implILb1ES3_S7_PS6_S9_NS0_8identityIS6_EEEE10hipError_tT2_T3_mT4_P12ihipStream_tbEUlT_E_NS1_11comp_targetILNS1_3genE0ELNS1_11target_archE4294967295ELNS1_3gpuE0ELNS1_3repE0EEENS1_30default_config_static_selectorELNS0_4arch9wavefront6targetE1EEEvT1_: ; @_ZN7rocprim17ROCPRIM_400000_NS6detail17trampoline_kernelINS0_14default_configENS1_25transform_config_selectorIN3c104HalfELb1EEEZNS1_14transform_implILb1ES3_S7_PS6_S9_NS0_8identityIS6_EEEE10hipError_tT2_T3_mT4_P12ihipStream_tbEUlT_E_NS1_11comp_targetILNS1_3genE0ELNS1_11target_archE4294967295ELNS1_3gpuE0ELNS1_3repE0EEENS1_30default_config_static_selectorELNS0_4arch9wavefront6targetE1EEEvT1_
; %bb.0:
	.section	.rodata,"a",@progbits
	.p2align	6, 0x0
	.amdhsa_kernel _ZN7rocprim17ROCPRIM_400000_NS6detail17trampoline_kernelINS0_14default_configENS1_25transform_config_selectorIN3c104HalfELb1EEEZNS1_14transform_implILb1ES3_S7_PS6_S9_NS0_8identityIS6_EEEE10hipError_tT2_T3_mT4_P12ihipStream_tbEUlT_E_NS1_11comp_targetILNS1_3genE0ELNS1_11target_archE4294967295ELNS1_3gpuE0ELNS1_3repE0EEENS1_30default_config_static_selectorELNS0_4arch9wavefront6targetE1EEEvT1_
		.amdhsa_group_segment_fixed_size 0
		.amdhsa_private_segment_fixed_size 0
		.amdhsa_kernarg_size 40
		.amdhsa_user_sgpr_count 2
		.amdhsa_user_sgpr_dispatch_ptr 0
		.amdhsa_user_sgpr_queue_ptr 0
		.amdhsa_user_sgpr_kernarg_segment_ptr 1
		.amdhsa_user_sgpr_dispatch_id 0
		.amdhsa_user_sgpr_kernarg_preload_length 0
		.amdhsa_user_sgpr_kernarg_preload_offset 0
		.amdhsa_user_sgpr_private_segment_size 0
		.amdhsa_uses_dynamic_stack 0
		.amdhsa_enable_private_segment 0
		.amdhsa_system_sgpr_workgroup_id_x 1
		.amdhsa_system_sgpr_workgroup_id_y 0
		.amdhsa_system_sgpr_workgroup_id_z 0
		.amdhsa_system_sgpr_workgroup_info 0
		.amdhsa_system_vgpr_workitem_id 0
		.amdhsa_next_free_vgpr 1
		.amdhsa_next_free_sgpr 0
		.amdhsa_accum_offset 4
		.amdhsa_reserve_vcc 0
		.amdhsa_float_round_mode_32 0
		.amdhsa_float_round_mode_16_64 0
		.amdhsa_float_denorm_mode_32 3
		.amdhsa_float_denorm_mode_16_64 3
		.amdhsa_dx10_clamp 1
		.amdhsa_ieee_mode 1
		.amdhsa_fp16_overflow 0
		.amdhsa_tg_split 0
		.amdhsa_exception_fp_ieee_invalid_op 0
		.amdhsa_exception_fp_denorm_src 0
		.amdhsa_exception_fp_ieee_div_zero 0
		.amdhsa_exception_fp_ieee_overflow 0
		.amdhsa_exception_fp_ieee_underflow 0
		.amdhsa_exception_fp_ieee_inexact 0
		.amdhsa_exception_int_div_zero 0
	.end_amdhsa_kernel
	.section	.text._ZN7rocprim17ROCPRIM_400000_NS6detail17trampoline_kernelINS0_14default_configENS1_25transform_config_selectorIN3c104HalfELb1EEEZNS1_14transform_implILb1ES3_S7_PS6_S9_NS0_8identityIS6_EEEE10hipError_tT2_T3_mT4_P12ihipStream_tbEUlT_E_NS1_11comp_targetILNS1_3genE0ELNS1_11target_archE4294967295ELNS1_3gpuE0ELNS1_3repE0EEENS1_30default_config_static_selectorELNS0_4arch9wavefront6targetE1EEEvT1_,"axG",@progbits,_ZN7rocprim17ROCPRIM_400000_NS6detail17trampoline_kernelINS0_14default_configENS1_25transform_config_selectorIN3c104HalfELb1EEEZNS1_14transform_implILb1ES3_S7_PS6_S9_NS0_8identityIS6_EEEE10hipError_tT2_T3_mT4_P12ihipStream_tbEUlT_E_NS1_11comp_targetILNS1_3genE0ELNS1_11target_archE4294967295ELNS1_3gpuE0ELNS1_3repE0EEENS1_30default_config_static_selectorELNS0_4arch9wavefront6targetE1EEEvT1_,comdat
.Lfunc_end369:
	.size	_ZN7rocprim17ROCPRIM_400000_NS6detail17trampoline_kernelINS0_14default_configENS1_25transform_config_selectorIN3c104HalfELb1EEEZNS1_14transform_implILb1ES3_S7_PS6_S9_NS0_8identityIS6_EEEE10hipError_tT2_T3_mT4_P12ihipStream_tbEUlT_E_NS1_11comp_targetILNS1_3genE0ELNS1_11target_archE4294967295ELNS1_3gpuE0ELNS1_3repE0EEENS1_30default_config_static_selectorELNS0_4arch9wavefront6targetE1EEEvT1_, .Lfunc_end369-_ZN7rocprim17ROCPRIM_400000_NS6detail17trampoline_kernelINS0_14default_configENS1_25transform_config_selectorIN3c104HalfELb1EEEZNS1_14transform_implILb1ES3_S7_PS6_S9_NS0_8identityIS6_EEEE10hipError_tT2_T3_mT4_P12ihipStream_tbEUlT_E_NS1_11comp_targetILNS1_3genE0ELNS1_11target_archE4294967295ELNS1_3gpuE0ELNS1_3repE0EEENS1_30default_config_static_selectorELNS0_4arch9wavefront6targetE1EEEvT1_
                                        ; -- End function
	.section	.AMDGPU.csdata,"",@progbits
; Kernel info:
; codeLenInByte = 0
; NumSgprs: 6
; NumVgprs: 0
; NumAgprs: 0
; TotalNumVgprs: 0
; ScratchSize: 0
; MemoryBound: 0
; FloatMode: 240
; IeeeMode: 1
; LDSByteSize: 0 bytes/workgroup (compile time only)
; SGPRBlocks: 0
; VGPRBlocks: 0
; NumSGPRsForWavesPerEU: 6
; NumVGPRsForWavesPerEU: 1
; AccumOffset: 4
; Occupancy: 8
; WaveLimiterHint : 0
; COMPUTE_PGM_RSRC2:SCRATCH_EN: 0
; COMPUTE_PGM_RSRC2:USER_SGPR: 2
; COMPUTE_PGM_RSRC2:TRAP_HANDLER: 0
; COMPUTE_PGM_RSRC2:TGID_X_EN: 1
; COMPUTE_PGM_RSRC2:TGID_Y_EN: 0
; COMPUTE_PGM_RSRC2:TGID_Z_EN: 0
; COMPUTE_PGM_RSRC2:TIDIG_COMP_CNT: 0
; COMPUTE_PGM_RSRC3_GFX90A:ACCUM_OFFSET: 0
; COMPUTE_PGM_RSRC3_GFX90A:TG_SPLIT: 0
	.section	.text._ZN7rocprim17ROCPRIM_400000_NS6detail17trampoline_kernelINS0_14default_configENS1_25transform_config_selectorIN3c104HalfELb1EEEZNS1_14transform_implILb1ES3_S7_PS6_S9_NS0_8identityIS6_EEEE10hipError_tT2_T3_mT4_P12ihipStream_tbEUlT_E_NS1_11comp_targetILNS1_3genE10ELNS1_11target_archE1201ELNS1_3gpuE5ELNS1_3repE0EEENS1_30default_config_static_selectorELNS0_4arch9wavefront6targetE1EEEvT1_,"axG",@progbits,_ZN7rocprim17ROCPRIM_400000_NS6detail17trampoline_kernelINS0_14default_configENS1_25transform_config_selectorIN3c104HalfELb1EEEZNS1_14transform_implILb1ES3_S7_PS6_S9_NS0_8identityIS6_EEEE10hipError_tT2_T3_mT4_P12ihipStream_tbEUlT_E_NS1_11comp_targetILNS1_3genE10ELNS1_11target_archE1201ELNS1_3gpuE5ELNS1_3repE0EEENS1_30default_config_static_selectorELNS0_4arch9wavefront6targetE1EEEvT1_,comdat
	.protected	_ZN7rocprim17ROCPRIM_400000_NS6detail17trampoline_kernelINS0_14default_configENS1_25transform_config_selectorIN3c104HalfELb1EEEZNS1_14transform_implILb1ES3_S7_PS6_S9_NS0_8identityIS6_EEEE10hipError_tT2_T3_mT4_P12ihipStream_tbEUlT_E_NS1_11comp_targetILNS1_3genE10ELNS1_11target_archE1201ELNS1_3gpuE5ELNS1_3repE0EEENS1_30default_config_static_selectorELNS0_4arch9wavefront6targetE1EEEvT1_ ; -- Begin function _ZN7rocprim17ROCPRIM_400000_NS6detail17trampoline_kernelINS0_14default_configENS1_25transform_config_selectorIN3c104HalfELb1EEEZNS1_14transform_implILb1ES3_S7_PS6_S9_NS0_8identityIS6_EEEE10hipError_tT2_T3_mT4_P12ihipStream_tbEUlT_E_NS1_11comp_targetILNS1_3genE10ELNS1_11target_archE1201ELNS1_3gpuE5ELNS1_3repE0EEENS1_30default_config_static_selectorELNS0_4arch9wavefront6targetE1EEEvT1_
	.globl	_ZN7rocprim17ROCPRIM_400000_NS6detail17trampoline_kernelINS0_14default_configENS1_25transform_config_selectorIN3c104HalfELb1EEEZNS1_14transform_implILb1ES3_S7_PS6_S9_NS0_8identityIS6_EEEE10hipError_tT2_T3_mT4_P12ihipStream_tbEUlT_E_NS1_11comp_targetILNS1_3genE10ELNS1_11target_archE1201ELNS1_3gpuE5ELNS1_3repE0EEENS1_30default_config_static_selectorELNS0_4arch9wavefront6targetE1EEEvT1_
	.p2align	8
	.type	_ZN7rocprim17ROCPRIM_400000_NS6detail17trampoline_kernelINS0_14default_configENS1_25transform_config_selectorIN3c104HalfELb1EEEZNS1_14transform_implILb1ES3_S7_PS6_S9_NS0_8identityIS6_EEEE10hipError_tT2_T3_mT4_P12ihipStream_tbEUlT_E_NS1_11comp_targetILNS1_3genE10ELNS1_11target_archE1201ELNS1_3gpuE5ELNS1_3repE0EEENS1_30default_config_static_selectorELNS0_4arch9wavefront6targetE1EEEvT1_,@function
_ZN7rocprim17ROCPRIM_400000_NS6detail17trampoline_kernelINS0_14default_configENS1_25transform_config_selectorIN3c104HalfELb1EEEZNS1_14transform_implILb1ES3_S7_PS6_S9_NS0_8identityIS6_EEEE10hipError_tT2_T3_mT4_P12ihipStream_tbEUlT_E_NS1_11comp_targetILNS1_3genE10ELNS1_11target_archE1201ELNS1_3gpuE5ELNS1_3repE0EEENS1_30default_config_static_selectorELNS0_4arch9wavefront6targetE1EEEvT1_: ; @_ZN7rocprim17ROCPRIM_400000_NS6detail17trampoline_kernelINS0_14default_configENS1_25transform_config_selectorIN3c104HalfELb1EEEZNS1_14transform_implILb1ES3_S7_PS6_S9_NS0_8identityIS6_EEEE10hipError_tT2_T3_mT4_P12ihipStream_tbEUlT_E_NS1_11comp_targetILNS1_3genE10ELNS1_11target_archE1201ELNS1_3gpuE5ELNS1_3repE0EEENS1_30default_config_static_selectorELNS0_4arch9wavefront6targetE1EEEvT1_
; %bb.0:
	.section	.rodata,"a",@progbits
	.p2align	6, 0x0
	.amdhsa_kernel _ZN7rocprim17ROCPRIM_400000_NS6detail17trampoline_kernelINS0_14default_configENS1_25transform_config_selectorIN3c104HalfELb1EEEZNS1_14transform_implILb1ES3_S7_PS6_S9_NS0_8identityIS6_EEEE10hipError_tT2_T3_mT4_P12ihipStream_tbEUlT_E_NS1_11comp_targetILNS1_3genE10ELNS1_11target_archE1201ELNS1_3gpuE5ELNS1_3repE0EEENS1_30default_config_static_selectorELNS0_4arch9wavefront6targetE1EEEvT1_
		.amdhsa_group_segment_fixed_size 0
		.amdhsa_private_segment_fixed_size 0
		.amdhsa_kernarg_size 40
		.amdhsa_user_sgpr_count 2
		.amdhsa_user_sgpr_dispatch_ptr 0
		.amdhsa_user_sgpr_queue_ptr 0
		.amdhsa_user_sgpr_kernarg_segment_ptr 1
		.amdhsa_user_sgpr_dispatch_id 0
		.amdhsa_user_sgpr_kernarg_preload_length 0
		.amdhsa_user_sgpr_kernarg_preload_offset 0
		.amdhsa_user_sgpr_private_segment_size 0
		.amdhsa_uses_dynamic_stack 0
		.amdhsa_enable_private_segment 0
		.amdhsa_system_sgpr_workgroup_id_x 1
		.amdhsa_system_sgpr_workgroup_id_y 0
		.amdhsa_system_sgpr_workgroup_id_z 0
		.amdhsa_system_sgpr_workgroup_info 0
		.amdhsa_system_vgpr_workitem_id 0
		.amdhsa_next_free_vgpr 1
		.amdhsa_next_free_sgpr 0
		.amdhsa_accum_offset 4
		.amdhsa_reserve_vcc 0
		.amdhsa_float_round_mode_32 0
		.amdhsa_float_round_mode_16_64 0
		.amdhsa_float_denorm_mode_32 3
		.amdhsa_float_denorm_mode_16_64 3
		.amdhsa_dx10_clamp 1
		.amdhsa_ieee_mode 1
		.amdhsa_fp16_overflow 0
		.amdhsa_tg_split 0
		.amdhsa_exception_fp_ieee_invalid_op 0
		.amdhsa_exception_fp_denorm_src 0
		.amdhsa_exception_fp_ieee_div_zero 0
		.amdhsa_exception_fp_ieee_overflow 0
		.amdhsa_exception_fp_ieee_underflow 0
		.amdhsa_exception_fp_ieee_inexact 0
		.amdhsa_exception_int_div_zero 0
	.end_amdhsa_kernel
	.section	.text._ZN7rocprim17ROCPRIM_400000_NS6detail17trampoline_kernelINS0_14default_configENS1_25transform_config_selectorIN3c104HalfELb1EEEZNS1_14transform_implILb1ES3_S7_PS6_S9_NS0_8identityIS6_EEEE10hipError_tT2_T3_mT4_P12ihipStream_tbEUlT_E_NS1_11comp_targetILNS1_3genE10ELNS1_11target_archE1201ELNS1_3gpuE5ELNS1_3repE0EEENS1_30default_config_static_selectorELNS0_4arch9wavefront6targetE1EEEvT1_,"axG",@progbits,_ZN7rocprim17ROCPRIM_400000_NS6detail17trampoline_kernelINS0_14default_configENS1_25transform_config_selectorIN3c104HalfELb1EEEZNS1_14transform_implILb1ES3_S7_PS6_S9_NS0_8identityIS6_EEEE10hipError_tT2_T3_mT4_P12ihipStream_tbEUlT_E_NS1_11comp_targetILNS1_3genE10ELNS1_11target_archE1201ELNS1_3gpuE5ELNS1_3repE0EEENS1_30default_config_static_selectorELNS0_4arch9wavefront6targetE1EEEvT1_,comdat
.Lfunc_end370:
	.size	_ZN7rocprim17ROCPRIM_400000_NS6detail17trampoline_kernelINS0_14default_configENS1_25transform_config_selectorIN3c104HalfELb1EEEZNS1_14transform_implILb1ES3_S7_PS6_S9_NS0_8identityIS6_EEEE10hipError_tT2_T3_mT4_P12ihipStream_tbEUlT_E_NS1_11comp_targetILNS1_3genE10ELNS1_11target_archE1201ELNS1_3gpuE5ELNS1_3repE0EEENS1_30default_config_static_selectorELNS0_4arch9wavefront6targetE1EEEvT1_, .Lfunc_end370-_ZN7rocprim17ROCPRIM_400000_NS6detail17trampoline_kernelINS0_14default_configENS1_25transform_config_selectorIN3c104HalfELb1EEEZNS1_14transform_implILb1ES3_S7_PS6_S9_NS0_8identityIS6_EEEE10hipError_tT2_T3_mT4_P12ihipStream_tbEUlT_E_NS1_11comp_targetILNS1_3genE10ELNS1_11target_archE1201ELNS1_3gpuE5ELNS1_3repE0EEENS1_30default_config_static_selectorELNS0_4arch9wavefront6targetE1EEEvT1_
                                        ; -- End function
	.section	.AMDGPU.csdata,"",@progbits
; Kernel info:
; codeLenInByte = 0
; NumSgprs: 6
; NumVgprs: 0
; NumAgprs: 0
; TotalNumVgprs: 0
; ScratchSize: 0
; MemoryBound: 0
; FloatMode: 240
; IeeeMode: 1
; LDSByteSize: 0 bytes/workgroup (compile time only)
; SGPRBlocks: 0
; VGPRBlocks: 0
; NumSGPRsForWavesPerEU: 6
; NumVGPRsForWavesPerEU: 1
; AccumOffset: 4
; Occupancy: 8
; WaveLimiterHint : 0
; COMPUTE_PGM_RSRC2:SCRATCH_EN: 0
; COMPUTE_PGM_RSRC2:USER_SGPR: 2
; COMPUTE_PGM_RSRC2:TRAP_HANDLER: 0
; COMPUTE_PGM_RSRC2:TGID_X_EN: 1
; COMPUTE_PGM_RSRC2:TGID_Y_EN: 0
; COMPUTE_PGM_RSRC2:TGID_Z_EN: 0
; COMPUTE_PGM_RSRC2:TIDIG_COMP_CNT: 0
; COMPUTE_PGM_RSRC3_GFX90A:ACCUM_OFFSET: 0
; COMPUTE_PGM_RSRC3_GFX90A:TG_SPLIT: 0
	.section	.text._ZN7rocprim17ROCPRIM_400000_NS6detail17trampoline_kernelINS0_14default_configENS1_25transform_config_selectorIN3c104HalfELb1EEEZNS1_14transform_implILb1ES3_S7_PS6_S9_NS0_8identityIS6_EEEE10hipError_tT2_T3_mT4_P12ihipStream_tbEUlT_E_NS1_11comp_targetILNS1_3genE5ELNS1_11target_archE942ELNS1_3gpuE9ELNS1_3repE0EEENS1_30default_config_static_selectorELNS0_4arch9wavefront6targetE1EEEvT1_,"axG",@progbits,_ZN7rocprim17ROCPRIM_400000_NS6detail17trampoline_kernelINS0_14default_configENS1_25transform_config_selectorIN3c104HalfELb1EEEZNS1_14transform_implILb1ES3_S7_PS6_S9_NS0_8identityIS6_EEEE10hipError_tT2_T3_mT4_P12ihipStream_tbEUlT_E_NS1_11comp_targetILNS1_3genE5ELNS1_11target_archE942ELNS1_3gpuE9ELNS1_3repE0EEENS1_30default_config_static_selectorELNS0_4arch9wavefront6targetE1EEEvT1_,comdat
	.protected	_ZN7rocprim17ROCPRIM_400000_NS6detail17trampoline_kernelINS0_14default_configENS1_25transform_config_selectorIN3c104HalfELb1EEEZNS1_14transform_implILb1ES3_S7_PS6_S9_NS0_8identityIS6_EEEE10hipError_tT2_T3_mT4_P12ihipStream_tbEUlT_E_NS1_11comp_targetILNS1_3genE5ELNS1_11target_archE942ELNS1_3gpuE9ELNS1_3repE0EEENS1_30default_config_static_selectorELNS0_4arch9wavefront6targetE1EEEvT1_ ; -- Begin function _ZN7rocprim17ROCPRIM_400000_NS6detail17trampoline_kernelINS0_14default_configENS1_25transform_config_selectorIN3c104HalfELb1EEEZNS1_14transform_implILb1ES3_S7_PS6_S9_NS0_8identityIS6_EEEE10hipError_tT2_T3_mT4_P12ihipStream_tbEUlT_E_NS1_11comp_targetILNS1_3genE5ELNS1_11target_archE942ELNS1_3gpuE9ELNS1_3repE0EEENS1_30default_config_static_selectorELNS0_4arch9wavefront6targetE1EEEvT1_
	.globl	_ZN7rocprim17ROCPRIM_400000_NS6detail17trampoline_kernelINS0_14default_configENS1_25transform_config_selectorIN3c104HalfELb1EEEZNS1_14transform_implILb1ES3_S7_PS6_S9_NS0_8identityIS6_EEEE10hipError_tT2_T3_mT4_P12ihipStream_tbEUlT_E_NS1_11comp_targetILNS1_3genE5ELNS1_11target_archE942ELNS1_3gpuE9ELNS1_3repE0EEENS1_30default_config_static_selectorELNS0_4arch9wavefront6targetE1EEEvT1_
	.p2align	8
	.type	_ZN7rocprim17ROCPRIM_400000_NS6detail17trampoline_kernelINS0_14default_configENS1_25transform_config_selectorIN3c104HalfELb1EEEZNS1_14transform_implILb1ES3_S7_PS6_S9_NS0_8identityIS6_EEEE10hipError_tT2_T3_mT4_P12ihipStream_tbEUlT_E_NS1_11comp_targetILNS1_3genE5ELNS1_11target_archE942ELNS1_3gpuE9ELNS1_3repE0EEENS1_30default_config_static_selectorELNS0_4arch9wavefront6targetE1EEEvT1_,@function
_ZN7rocprim17ROCPRIM_400000_NS6detail17trampoline_kernelINS0_14default_configENS1_25transform_config_selectorIN3c104HalfELb1EEEZNS1_14transform_implILb1ES3_S7_PS6_S9_NS0_8identityIS6_EEEE10hipError_tT2_T3_mT4_P12ihipStream_tbEUlT_E_NS1_11comp_targetILNS1_3genE5ELNS1_11target_archE942ELNS1_3gpuE9ELNS1_3repE0EEENS1_30default_config_static_selectorELNS0_4arch9wavefront6targetE1EEEvT1_: ; @_ZN7rocprim17ROCPRIM_400000_NS6detail17trampoline_kernelINS0_14default_configENS1_25transform_config_selectorIN3c104HalfELb1EEEZNS1_14transform_implILb1ES3_S7_PS6_S9_NS0_8identityIS6_EEEE10hipError_tT2_T3_mT4_P12ihipStream_tbEUlT_E_NS1_11comp_targetILNS1_3genE5ELNS1_11target_archE942ELNS1_3gpuE9ELNS1_3repE0EEENS1_30default_config_static_selectorELNS0_4arch9wavefront6targetE1EEEvT1_
; %bb.0:
	s_load_dwordx8 s[4:11], s[0:1], 0x0
	s_load_dword s3, s[0:1], 0x28
	s_waitcnt lgkmcnt(0)
	s_lshl_b64 s[0:1], s[6:7], 1
	s_add_u32 s4, s4, s0
	s_addc_u32 s5, s5, s1
	s_add_u32 s20, s10, s0
	s_addc_u32 s21, s11, s1
	s_lshl_b32 s0, s2, 11
	s_mov_b32 s1, 0
	s_add_i32 s3, s3, -1
	s_lshl_b64 s[16:17], s[0:1], 1
	s_add_u32 s18, s4, s16
	s_addc_u32 s19, s5, s17
	s_cmp_lg_u32 s2, s3
	s_mov_b64 s[2:3], -1
	s_cbranch_scc0 .LBB371_2
; %bb.1:
	v_lshlrev_b32_e32 v1, 4, v0
	global_load_dwordx4 v[2:5], v1, s[18:19] nt
	s_add_u32 s2, s20, s16
	s_addc_u32 s3, s21, s17
	s_waitcnt vmcnt(0)
	global_store_dwordx4 v1, v[2:5], s[2:3]
	s_mov_b64 s[2:3], 0
.LBB371_2:
	s_andn2_b64 vcc, exec, s[2:3]
	s_cbranch_vccnz .LBB371_30
; %bb.3:
	s_sub_i32 s14, s8, s0
	v_cmp_gt_u32_e32 vcc, s14, v0
	v_lshlrev_b32_e32 v8, 1, v0
                                        ; implicit-def: $vgpr2
	s_and_saveexec_b64 s[0:1], vcc
	s_cbranch_execz .LBB371_5
; %bb.4:
	global_load_ushort v2, v8, s[18:19]
.LBB371_5:
	s_or_b64 exec, exec, s[0:1]
	v_or_b32_e32 v1, 0x100, v0
	v_cmp_gt_u32_e64 s[0:1], s14, v1
                                        ; implicit-def: $vgpr3
	s_and_saveexec_b64 s[2:3], s[0:1]
	s_cbranch_execz .LBB371_7
; %bb.6:
	global_load_ushort v3, v8, s[18:19] offset:512
.LBB371_7:
	s_or_b64 exec, exec, s[2:3]
	v_or_b32_e32 v1, 0x200, v0
	v_cmp_gt_u32_e64 s[2:3], s14, v1
                                        ; implicit-def: $vgpr4
	s_and_saveexec_b64 s[4:5], s[2:3]
	s_cbranch_execz .LBB371_9
; %bb.8:
	global_load_ushort v4, v8, s[18:19] offset:1024
.LBB371_9:
	s_or_b64 exec, exec, s[4:5]
	v_or_b32_e32 v1, 0x300, v0
	v_cmp_gt_u32_e64 s[4:5], s14, v1
                                        ; implicit-def: $vgpr5
	s_and_saveexec_b64 s[6:7], s[4:5]
	s_cbranch_execz .LBB371_11
; %bb.10:
	global_load_ushort v5, v8, s[18:19] offset:1536
.LBB371_11:
	s_or_b64 exec, exec, s[6:7]
	v_or_b32_e32 v1, 0x400, v0
	v_cmp_gt_u32_e64 s[6:7], s14, v1
                                        ; implicit-def: $vgpr6
	s_and_saveexec_b64 s[8:9], s[6:7]
	s_cbranch_execz .LBB371_13
; %bb.12:
	global_load_ushort v6, v8, s[18:19] offset:2048
.LBB371_13:
	s_or_b64 exec, exec, s[8:9]
	v_or_b32_e32 v1, 0x500, v0
	v_cmp_gt_u32_e64 s[8:9], s14, v1
                                        ; implicit-def: $vgpr7
	s_and_saveexec_b64 s[10:11], s[8:9]
	s_cbranch_execz .LBB371_15
; %bb.14:
	global_load_ushort v7, v8, s[18:19] offset:2560
.LBB371_15:
	s_or_b64 exec, exec, s[10:11]
	v_or_b32_e32 v1, 0x600, v0
	v_cmp_gt_u32_e64 s[10:11], s14, v1
                                        ; implicit-def: $vgpr9
	s_and_saveexec_b64 s[12:13], s[10:11]
	s_cbranch_execz .LBB371_17
; %bb.16:
	global_load_ushort v9, v8, s[18:19] offset:3072
.LBB371_17:
	s_or_b64 exec, exec, s[12:13]
	v_or_b32_e32 v1, 0x700, v0
	v_cmp_gt_u32_e64 s[12:13], s14, v1
	v_cmp_le_u32_e64 s[14:15], s14, v1
	s_and_saveexec_b64 s[22:23], s[14:15]
	s_xor_b64 s[14:15], exec, s[22:23]
; %bb.18:
	v_mov_b32_e32 v1, 0
                                        ; implicit-def: $vgpr8
; %bb.19:
	s_or_saveexec_b64 s[14:15], s[14:15]
                                        ; implicit-def: $vgpr10
	s_xor_b64 exec, exec, s[14:15]
	s_cbranch_execz .LBB371_21
; %bb.20:
	global_load_ushort v10, v8, s[18:19] offset:3584
	v_mov_b32_e32 v1, 0
.LBB371_21:
	s_or_b64 exec, exec, s[14:15]
	s_add_u32 s14, s20, s16
	s_addc_u32 s15, s21, s17
	v_lshl_add_u64 v[0:1], v[0:1], 1, s[14:15]
	s_and_saveexec_b64 s[14:15], vcc
	s_xor_b64 s[14:15], exec, s[14:15]
	s_cbranch_execnz .LBB371_31
; %bb.22:
	s_or_b64 exec, exec, s[14:15]
	s_and_saveexec_b64 s[14:15], s[0:1]
	s_cbranch_execnz .LBB371_32
.LBB371_23:
	s_or_b64 exec, exec, s[14:15]
	s_and_saveexec_b64 s[0:1], s[2:3]
	s_cbranch_execnz .LBB371_33
.LBB371_24:
	s_or_b64 exec, exec, s[0:1]
	s_and_saveexec_b64 s[0:1], s[4:5]
	s_cbranch_execnz .LBB371_34
.LBB371_25:
	s_or_b64 exec, exec, s[0:1]
	s_and_saveexec_b64 s[0:1], s[6:7]
	s_cbranch_execnz .LBB371_35
.LBB371_26:
	s_or_b64 exec, exec, s[0:1]
	s_and_saveexec_b64 s[0:1], s[8:9]
	s_cbranch_execnz .LBB371_36
.LBB371_27:
	s_or_b64 exec, exec, s[0:1]
	s_and_saveexec_b64 s[0:1], s[10:11]
	s_cbranch_execnz .LBB371_37
.LBB371_28:
	s_or_b64 exec, exec, s[0:1]
	s_and_saveexec_b64 s[0:1], s[12:13]
	s_cbranch_execz .LBB371_30
.LBB371_29:
	s_waitcnt vmcnt(0)
	global_store_short v[0:1], v10, off offset:3584
.LBB371_30:
	s_endpgm
.LBB371_31:
	s_waitcnt vmcnt(0)
	global_store_short v[0:1], v2, off
	s_or_b64 exec, exec, s[14:15]
	s_and_saveexec_b64 s[14:15], s[0:1]
	s_cbranch_execz .LBB371_23
.LBB371_32:
	s_waitcnt vmcnt(0)
	global_store_short v[0:1], v3, off offset:512
	s_or_b64 exec, exec, s[14:15]
	s_and_saveexec_b64 s[0:1], s[2:3]
	s_cbranch_execz .LBB371_24
.LBB371_33:
	s_waitcnt vmcnt(0)
	global_store_short v[0:1], v4, off offset:1024
	s_or_b64 exec, exec, s[0:1]
	s_and_saveexec_b64 s[0:1], s[4:5]
	s_cbranch_execz .LBB371_25
.LBB371_34:
	s_waitcnt vmcnt(0)
	global_store_short v[0:1], v5, off offset:1536
	s_or_b64 exec, exec, s[0:1]
	s_and_saveexec_b64 s[0:1], s[6:7]
	s_cbranch_execz .LBB371_26
.LBB371_35:
	s_waitcnt vmcnt(0)
	global_store_short v[0:1], v6, off offset:2048
	s_or_b64 exec, exec, s[0:1]
	s_and_saveexec_b64 s[0:1], s[8:9]
	s_cbranch_execz .LBB371_27
.LBB371_36:
	s_waitcnt vmcnt(0)
	global_store_short v[0:1], v7, off offset:2560
	s_or_b64 exec, exec, s[0:1]
	s_and_saveexec_b64 s[0:1], s[10:11]
	s_cbranch_execz .LBB371_28
.LBB371_37:
	s_waitcnt vmcnt(0)
	global_store_short v[0:1], v9, off offset:3072
	s_or_b64 exec, exec, s[0:1]
	s_and_saveexec_b64 s[0:1], s[12:13]
	s_cbranch_execnz .LBB371_29
	s_branch .LBB371_30
	.section	.rodata,"a",@progbits
	.p2align	6, 0x0
	.amdhsa_kernel _ZN7rocprim17ROCPRIM_400000_NS6detail17trampoline_kernelINS0_14default_configENS1_25transform_config_selectorIN3c104HalfELb1EEEZNS1_14transform_implILb1ES3_S7_PS6_S9_NS0_8identityIS6_EEEE10hipError_tT2_T3_mT4_P12ihipStream_tbEUlT_E_NS1_11comp_targetILNS1_3genE5ELNS1_11target_archE942ELNS1_3gpuE9ELNS1_3repE0EEENS1_30default_config_static_selectorELNS0_4arch9wavefront6targetE1EEEvT1_
		.amdhsa_group_segment_fixed_size 0
		.amdhsa_private_segment_fixed_size 0
		.amdhsa_kernarg_size 296
		.amdhsa_user_sgpr_count 2
		.amdhsa_user_sgpr_dispatch_ptr 0
		.amdhsa_user_sgpr_queue_ptr 0
		.amdhsa_user_sgpr_kernarg_segment_ptr 1
		.amdhsa_user_sgpr_dispatch_id 0
		.amdhsa_user_sgpr_kernarg_preload_length 0
		.amdhsa_user_sgpr_kernarg_preload_offset 0
		.amdhsa_user_sgpr_private_segment_size 0
		.amdhsa_uses_dynamic_stack 0
		.amdhsa_enable_private_segment 0
		.amdhsa_system_sgpr_workgroup_id_x 1
		.amdhsa_system_sgpr_workgroup_id_y 0
		.amdhsa_system_sgpr_workgroup_id_z 0
		.amdhsa_system_sgpr_workgroup_info 0
		.amdhsa_system_vgpr_workitem_id 0
		.amdhsa_next_free_vgpr 11
		.amdhsa_next_free_sgpr 24
		.amdhsa_accum_offset 12
		.amdhsa_reserve_vcc 1
		.amdhsa_float_round_mode_32 0
		.amdhsa_float_round_mode_16_64 0
		.amdhsa_float_denorm_mode_32 3
		.amdhsa_float_denorm_mode_16_64 3
		.amdhsa_dx10_clamp 1
		.amdhsa_ieee_mode 1
		.amdhsa_fp16_overflow 0
		.amdhsa_tg_split 0
		.amdhsa_exception_fp_ieee_invalid_op 0
		.amdhsa_exception_fp_denorm_src 0
		.amdhsa_exception_fp_ieee_div_zero 0
		.amdhsa_exception_fp_ieee_overflow 0
		.amdhsa_exception_fp_ieee_underflow 0
		.amdhsa_exception_fp_ieee_inexact 0
		.amdhsa_exception_int_div_zero 0
	.end_amdhsa_kernel
	.section	.text._ZN7rocprim17ROCPRIM_400000_NS6detail17trampoline_kernelINS0_14default_configENS1_25transform_config_selectorIN3c104HalfELb1EEEZNS1_14transform_implILb1ES3_S7_PS6_S9_NS0_8identityIS6_EEEE10hipError_tT2_T3_mT4_P12ihipStream_tbEUlT_E_NS1_11comp_targetILNS1_3genE5ELNS1_11target_archE942ELNS1_3gpuE9ELNS1_3repE0EEENS1_30default_config_static_selectorELNS0_4arch9wavefront6targetE1EEEvT1_,"axG",@progbits,_ZN7rocprim17ROCPRIM_400000_NS6detail17trampoline_kernelINS0_14default_configENS1_25transform_config_selectorIN3c104HalfELb1EEEZNS1_14transform_implILb1ES3_S7_PS6_S9_NS0_8identityIS6_EEEE10hipError_tT2_T3_mT4_P12ihipStream_tbEUlT_E_NS1_11comp_targetILNS1_3genE5ELNS1_11target_archE942ELNS1_3gpuE9ELNS1_3repE0EEENS1_30default_config_static_selectorELNS0_4arch9wavefront6targetE1EEEvT1_,comdat
.Lfunc_end371:
	.size	_ZN7rocprim17ROCPRIM_400000_NS6detail17trampoline_kernelINS0_14default_configENS1_25transform_config_selectorIN3c104HalfELb1EEEZNS1_14transform_implILb1ES3_S7_PS6_S9_NS0_8identityIS6_EEEE10hipError_tT2_T3_mT4_P12ihipStream_tbEUlT_E_NS1_11comp_targetILNS1_3genE5ELNS1_11target_archE942ELNS1_3gpuE9ELNS1_3repE0EEENS1_30default_config_static_selectorELNS0_4arch9wavefront6targetE1EEEvT1_, .Lfunc_end371-_ZN7rocprim17ROCPRIM_400000_NS6detail17trampoline_kernelINS0_14default_configENS1_25transform_config_selectorIN3c104HalfELb1EEEZNS1_14transform_implILb1ES3_S7_PS6_S9_NS0_8identityIS6_EEEE10hipError_tT2_T3_mT4_P12ihipStream_tbEUlT_E_NS1_11comp_targetILNS1_3genE5ELNS1_11target_archE942ELNS1_3gpuE9ELNS1_3repE0EEENS1_30default_config_static_selectorELNS0_4arch9wavefront6targetE1EEEvT1_
                                        ; -- End function
	.section	.AMDGPU.csdata,"",@progbits
; Kernel info:
; codeLenInByte = 732
; NumSgprs: 30
; NumVgprs: 11
; NumAgprs: 0
; TotalNumVgprs: 11
; ScratchSize: 0
; MemoryBound: 1
; FloatMode: 240
; IeeeMode: 1
; LDSByteSize: 0 bytes/workgroup (compile time only)
; SGPRBlocks: 3
; VGPRBlocks: 1
; NumSGPRsForWavesPerEU: 30
; NumVGPRsForWavesPerEU: 11
; AccumOffset: 12
; Occupancy: 8
; WaveLimiterHint : 0
; COMPUTE_PGM_RSRC2:SCRATCH_EN: 0
; COMPUTE_PGM_RSRC2:USER_SGPR: 2
; COMPUTE_PGM_RSRC2:TRAP_HANDLER: 0
; COMPUTE_PGM_RSRC2:TGID_X_EN: 1
; COMPUTE_PGM_RSRC2:TGID_Y_EN: 0
; COMPUTE_PGM_RSRC2:TGID_Z_EN: 0
; COMPUTE_PGM_RSRC2:TIDIG_COMP_CNT: 0
; COMPUTE_PGM_RSRC3_GFX90A:ACCUM_OFFSET: 2
; COMPUTE_PGM_RSRC3_GFX90A:TG_SPLIT: 0
	.section	.text._ZN7rocprim17ROCPRIM_400000_NS6detail17trampoline_kernelINS0_14default_configENS1_25transform_config_selectorIN3c104HalfELb1EEEZNS1_14transform_implILb1ES3_S7_PS6_S9_NS0_8identityIS6_EEEE10hipError_tT2_T3_mT4_P12ihipStream_tbEUlT_E_NS1_11comp_targetILNS1_3genE4ELNS1_11target_archE910ELNS1_3gpuE8ELNS1_3repE0EEENS1_30default_config_static_selectorELNS0_4arch9wavefront6targetE1EEEvT1_,"axG",@progbits,_ZN7rocprim17ROCPRIM_400000_NS6detail17trampoline_kernelINS0_14default_configENS1_25transform_config_selectorIN3c104HalfELb1EEEZNS1_14transform_implILb1ES3_S7_PS6_S9_NS0_8identityIS6_EEEE10hipError_tT2_T3_mT4_P12ihipStream_tbEUlT_E_NS1_11comp_targetILNS1_3genE4ELNS1_11target_archE910ELNS1_3gpuE8ELNS1_3repE0EEENS1_30default_config_static_selectorELNS0_4arch9wavefront6targetE1EEEvT1_,comdat
	.protected	_ZN7rocprim17ROCPRIM_400000_NS6detail17trampoline_kernelINS0_14default_configENS1_25transform_config_selectorIN3c104HalfELb1EEEZNS1_14transform_implILb1ES3_S7_PS6_S9_NS0_8identityIS6_EEEE10hipError_tT2_T3_mT4_P12ihipStream_tbEUlT_E_NS1_11comp_targetILNS1_3genE4ELNS1_11target_archE910ELNS1_3gpuE8ELNS1_3repE0EEENS1_30default_config_static_selectorELNS0_4arch9wavefront6targetE1EEEvT1_ ; -- Begin function _ZN7rocprim17ROCPRIM_400000_NS6detail17trampoline_kernelINS0_14default_configENS1_25transform_config_selectorIN3c104HalfELb1EEEZNS1_14transform_implILb1ES3_S7_PS6_S9_NS0_8identityIS6_EEEE10hipError_tT2_T3_mT4_P12ihipStream_tbEUlT_E_NS1_11comp_targetILNS1_3genE4ELNS1_11target_archE910ELNS1_3gpuE8ELNS1_3repE0EEENS1_30default_config_static_selectorELNS0_4arch9wavefront6targetE1EEEvT1_
	.globl	_ZN7rocprim17ROCPRIM_400000_NS6detail17trampoline_kernelINS0_14default_configENS1_25transform_config_selectorIN3c104HalfELb1EEEZNS1_14transform_implILb1ES3_S7_PS6_S9_NS0_8identityIS6_EEEE10hipError_tT2_T3_mT4_P12ihipStream_tbEUlT_E_NS1_11comp_targetILNS1_3genE4ELNS1_11target_archE910ELNS1_3gpuE8ELNS1_3repE0EEENS1_30default_config_static_selectorELNS0_4arch9wavefront6targetE1EEEvT1_
	.p2align	8
	.type	_ZN7rocprim17ROCPRIM_400000_NS6detail17trampoline_kernelINS0_14default_configENS1_25transform_config_selectorIN3c104HalfELb1EEEZNS1_14transform_implILb1ES3_S7_PS6_S9_NS0_8identityIS6_EEEE10hipError_tT2_T3_mT4_P12ihipStream_tbEUlT_E_NS1_11comp_targetILNS1_3genE4ELNS1_11target_archE910ELNS1_3gpuE8ELNS1_3repE0EEENS1_30default_config_static_selectorELNS0_4arch9wavefront6targetE1EEEvT1_,@function
_ZN7rocprim17ROCPRIM_400000_NS6detail17trampoline_kernelINS0_14default_configENS1_25transform_config_selectorIN3c104HalfELb1EEEZNS1_14transform_implILb1ES3_S7_PS6_S9_NS0_8identityIS6_EEEE10hipError_tT2_T3_mT4_P12ihipStream_tbEUlT_E_NS1_11comp_targetILNS1_3genE4ELNS1_11target_archE910ELNS1_3gpuE8ELNS1_3repE0EEENS1_30default_config_static_selectorELNS0_4arch9wavefront6targetE1EEEvT1_: ; @_ZN7rocprim17ROCPRIM_400000_NS6detail17trampoline_kernelINS0_14default_configENS1_25transform_config_selectorIN3c104HalfELb1EEEZNS1_14transform_implILb1ES3_S7_PS6_S9_NS0_8identityIS6_EEEE10hipError_tT2_T3_mT4_P12ihipStream_tbEUlT_E_NS1_11comp_targetILNS1_3genE4ELNS1_11target_archE910ELNS1_3gpuE8ELNS1_3repE0EEENS1_30default_config_static_selectorELNS0_4arch9wavefront6targetE1EEEvT1_
; %bb.0:
	.section	.rodata,"a",@progbits
	.p2align	6, 0x0
	.amdhsa_kernel _ZN7rocprim17ROCPRIM_400000_NS6detail17trampoline_kernelINS0_14default_configENS1_25transform_config_selectorIN3c104HalfELb1EEEZNS1_14transform_implILb1ES3_S7_PS6_S9_NS0_8identityIS6_EEEE10hipError_tT2_T3_mT4_P12ihipStream_tbEUlT_E_NS1_11comp_targetILNS1_3genE4ELNS1_11target_archE910ELNS1_3gpuE8ELNS1_3repE0EEENS1_30default_config_static_selectorELNS0_4arch9wavefront6targetE1EEEvT1_
		.amdhsa_group_segment_fixed_size 0
		.amdhsa_private_segment_fixed_size 0
		.amdhsa_kernarg_size 40
		.amdhsa_user_sgpr_count 2
		.amdhsa_user_sgpr_dispatch_ptr 0
		.amdhsa_user_sgpr_queue_ptr 0
		.amdhsa_user_sgpr_kernarg_segment_ptr 1
		.amdhsa_user_sgpr_dispatch_id 0
		.amdhsa_user_sgpr_kernarg_preload_length 0
		.amdhsa_user_sgpr_kernarg_preload_offset 0
		.amdhsa_user_sgpr_private_segment_size 0
		.amdhsa_uses_dynamic_stack 0
		.amdhsa_enable_private_segment 0
		.amdhsa_system_sgpr_workgroup_id_x 1
		.amdhsa_system_sgpr_workgroup_id_y 0
		.amdhsa_system_sgpr_workgroup_id_z 0
		.amdhsa_system_sgpr_workgroup_info 0
		.amdhsa_system_vgpr_workitem_id 0
		.amdhsa_next_free_vgpr 1
		.amdhsa_next_free_sgpr 0
		.amdhsa_accum_offset 4
		.amdhsa_reserve_vcc 0
		.amdhsa_float_round_mode_32 0
		.amdhsa_float_round_mode_16_64 0
		.amdhsa_float_denorm_mode_32 3
		.amdhsa_float_denorm_mode_16_64 3
		.amdhsa_dx10_clamp 1
		.amdhsa_ieee_mode 1
		.amdhsa_fp16_overflow 0
		.amdhsa_tg_split 0
		.amdhsa_exception_fp_ieee_invalid_op 0
		.amdhsa_exception_fp_denorm_src 0
		.amdhsa_exception_fp_ieee_div_zero 0
		.amdhsa_exception_fp_ieee_overflow 0
		.amdhsa_exception_fp_ieee_underflow 0
		.amdhsa_exception_fp_ieee_inexact 0
		.amdhsa_exception_int_div_zero 0
	.end_amdhsa_kernel
	.section	.text._ZN7rocprim17ROCPRIM_400000_NS6detail17trampoline_kernelINS0_14default_configENS1_25transform_config_selectorIN3c104HalfELb1EEEZNS1_14transform_implILb1ES3_S7_PS6_S9_NS0_8identityIS6_EEEE10hipError_tT2_T3_mT4_P12ihipStream_tbEUlT_E_NS1_11comp_targetILNS1_3genE4ELNS1_11target_archE910ELNS1_3gpuE8ELNS1_3repE0EEENS1_30default_config_static_selectorELNS0_4arch9wavefront6targetE1EEEvT1_,"axG",@progbits,_ZN7rocprim17ROCPRIM_400000_NS6detail17trampoline_kernelINS0_14default_configENS1_25transform_config_selectorIN3c104HalfELb1EEEZNS1_14transform_implILb1ES3_S7_PS6_S9_NS0_8identityIS6_EEEE10hipError_tT2_T3_mT4_P12ihipStream_tbEUlT_E_NS1_11comp_targetILNS1_3genE4ELNS1_11target_archE910ELNS1_3gpuE8ELNS1_3repE0EEENS1_30default_config_static_selectorELNS0_4arch9wavefront6targetE1EEEvT1_,comdat
.Lfunc_end372:
	.size	_ZN7rocprim17ROCPRIM_400000_NS6detail17trampoline_kernelINS0_14default_configENS1_25transform_config_selectorIN3c104HalfELb1EEEZNS1_14transform_implILb1ES3_S7_PS6_S9_NS0_8identityIS6_EEEE10hipError_tT2_T3_mT4_P12ihipStream_tbEUlT_E_NS1_11comp_targetILNS1_3genE4ELNS1_11target_archE910ELNS1_3gpuE8ELNS1_3repE0EEENS1_30default_config_static_selectorELNS0_4arch9wavefront6targetE1EEEvT1_, .Lfunc_end372-_ZN7rocprim17ROCPRIM_400000_NS6detail17trampoline_kernelINS0_14default_configENS1_25transform_config_selectorIN3c104HalfELb1EEEZNS1_14transform_implILb1ES3_S7_PS6_S9_NS0_8identityIS6_EEEE10hipError_tT2_T3_mT4_P12ihipStream_tbEUlT_E_NS1_11comp_targetILNS1_3genE4ELNS1_11target_archE910ELNS1_3gpuE8ELNS1_3repE0EEENS1_30default_config_static_selectorELNS0_4arch9wavefront6targetE1EEEvT1_
                                        ; -- End function
	.section	.AMDGPU.csdata,"",@progbits
; Kernel info:
; codeLenInByte = 0
; NumSgprs: 6
; NumVgprs: 0
; NumAgprs: 0
; TotalNumVgprs: 0
; ScratchSize: 0
; MemoryBound: 0
; FloatMode: 240
; IeeeMode: 1
; LDSByteSize: 0 bytes/workgroup (compile time only)
; SGPRBlocks: 0
; VGPRBlocks: 0
; NumSGPRsForWavesPerEU: 6
; NumVGPRsForWavesPerEU: 1
; AccumOffset: 4
; Occupancy: 8
; WaveLimiterHint : 0
; COMPUTE_PGM_RSRC2:SCRATCH_EN: 0
; COMPUTE_PGM_RSRC2:USER_SGPR: 2
; COMPUTE_PGM_RSRC2:TRAP_HANDLER: 0
; COMPUTE_PGM_RSRC2:TGID_X_EN: 1
; COMPUTE_PGM_RSRC2:TGID_Y_EN: 0
; COMPUTE_PGM_RSRC2:TGID_Z_EN: 0
; COMPUTE_PGM_RSRC2:TIDIG_COMP_CNT: 0
; COMPUTE_PGM_RSRC3_GFX90A:ACCUM_OFFSET: 0
; COMPUTE_PGM_RSRC3_GFX90A:TG_SPLIT: 0
	.section	.text._ZN7rocprim17ROCPRIM_400000_NS6detail17trampoline_kernelINS0_14default_configENS1_25transform_config_selectorIN3c104HalfELb1EEEZNS1_14transform_implILb1ES3_S7_PS6_S9_NS0_8identityIS6_EEEE10hipError_tT2_T3_mT4_P12ihipStream_tbEUlT_E_NS1_11comp_targetILNS1_3genE3ELNS1_11target_archE908ELNS1_3gpuE7ELNS1_3repE0EEENS1_30default_config_static_selectorELNS0_4arch9wavefront6targetE1EEEvT1_,"axG",@progbits,_ZN7rocprim17ROCPRIM_400000_NS6detail17trampoline_kernelINS0_14default_configENS1_25transform_config_selectorIN3c104HalfELb1EEEZNS1_14transform_implILb1ES3_S7_PS6_S9_NS0_8identityIS6_EEEE10hipError_tT2_T3_mT4_P12ihipStream_tbEUlT_E_NS1_11comp_targetILNS1_3genE3ELNS1_11target_archE908ELNS1_3gpuE7ELNS1_3repE0EEENS1_30default_config_static_selectorELNS0_4arch9wavefront6targetE1EEEvT1_,comdat
	.protected	_ZN7rocprim17ROCPRIM_400000_NS6detail17trampoline_kernelINS0_14default_configENS1_25transform_config_selectorIN3c104HalfELb1EEEZNS1_14transform_implILb1ES3_S7_PS6_S9_NS0_8identityIS6_EEEE10hipError_tT2_T3_mT4_P12ihipStream_tbEUlT_E_NS1_11comp_targetILNS1_3genE3ELNS1_11target_archE908ELNS1_3gpuE7ELNS1_3repE0EEENS1_30default_config_static_selectorELNS0_4arch9wavefront6targetE1EEEvT1_ ; -- Begin function _ZN7rocprim17ROCPRIM_400000_NS6detail17trampoline_kernelINS0_14default_configENS1_25transform_config_selectorIN3c104HalfELb1EEEZNS1_14transform_implILb1ES3_S7_PS6_S9_NS0_8identityIS6_EEEE10hipError_tT2_T3_mT4_P12ihipStream_tbEUlT_E_NS1_11comp_targetILNS1_3genE3ELNS1_11target_archE908ELNS1_3gpuE7ELNS1_3repE0EEENS1_30default_config_static_selectorELNS0_4arch9wavefront6targetE1EEEvT1_
	.globl	_ZN7rocprim17ROCPRIM_400000_NS6detail17trampoline_kernelINS0_14default_configENS1_25transform_config_selectorIN3c104HalfELb1EEEZNS1_14transform_implILb1ES3_S7_PS6_S9_NS0_8identityIS6_EEEE10hipError_tT2_T3_mT4_P12ihipStream_tbEUlT_E_NS1_11comp_targetILNS1_3genE3ELNS1_11target_archE908ELNS1_3gpuE7ELNS1_3repE0EEENS1_30default_config_static_selectorELNS0_4arch9wavefront6targetE1EEEvT1_
	.p2align	8
	.type	_ZN7rocprim17ROCPRIM_400000_NS6detail17trampoline_kernelINS0_14default_configENS1_25transform_config_selectorIN3c104HalfELb1EEEZNS1_14transform_implILb1ES3_S7_PS6_S9_NS0_8identityIS6_EEEE10hipError_tT2_T3_mT4_P12ihipStream_tbEUlT_E_NS1_11comp_targetILNS1_3genE3ELNS1_11target_archE908ELNS1_3gpuE7ELNS1_3repE0EEENS1_30default_config_static_selectorELNS0_4arch9wavefront6targetE1EEEvT1_,@function
_ZN7rocprim17ROCPRIM_400000_NS6detail17trampoline_kernelINS0_14default_configENS1_25transform_config_selectorIN3c104HalfELb1EEEZNS1_14transform_implILb1ES3_S7_PS6_S9_NS0_8identityIS6_EEEE10hipError_tT2_T3_mT4_P12ihipStream_tbEUlT_E_NS1_11comp_targetILNS1_3genE3ELNS1_11target_archE908ELNS1_3gpuE7ELNS1_3repE0EEENS1_30default_config_static_selectorELNS0_4arch9wavefront6targetE1EEEvT1_: ; @_ZN7rocprim17ROCPRIM_400000_NS6detail17trampoline_kernelINS0_14default_configENS1_25transform_config_selectorIN3c104HalfELb1EEEZNS1_14transform_implILb1ES3_S7_PS6_S9_NS0_8identityIS6_EEEE10hipError_tT2_T3_mT4_P12ihipStream_tbEUlT_E_NS1_11comp_targetILNS1_3genE3ELNS1_11target_archE908ELNS1_3gpuE7ELNS1_3repE0EEENS1_30default_config_static_selectorELNS0_4arch9wavefront6targetE1EEEvT1_
; %bb.0:
	.section	.rodata,"a",@progbits
	.p2align	6, 0x0
	.amdhsa_kernel _ZN7rocprim17ROCPRIM_400000_NS6detail17trampoline_kernelINS0_14default_configENS1_25transform_config_selectorIN3c104HalfELb1EEEZNS1_14transform_implILb1ES3_S7_PS6_S9_NS0_8identityIS6_EEEE10hipError_tT2_T3_mT4_P12ihipStream_tbEUlT_E_NS1_11comp_targetILNS1_3genE3ELNS1_11target_archE908ELNS1_3gpuE7ELNS1_3repE0EEENS1_30default_config_static_selectorELNS0_4arch9wavefront6targetE1EEEvT1_
		.amdhsa_group_segment_fixed_size 0
		.amdhsa_private_segment_fixed_size 0
		.amdhsa_kernarg_size 40
		.amdhsa_user_sgpr_count 2
		.amdhsa_user_sgpr_dispatch_ptr 0
		.amdhsa_user_sgpr_queue_ptr 0
		.amdhsa_user_sgpr_kernarg_segment_ptr 1
		.amdhsa_user_sgpr_dispatch_id 0
		.amdhsa_user_sgpr_kernarg_preload_length 0
		.amdhsa_user_sgpr_kernarg_preload_offset 0
		.amdhsa_user_sgpr_private_segment_size 0
		.amdhsa_uses_dynamic_stack 0
		.amdhsa_enable_private_segment 0
		.amdhsa_system_sgpr_workgroup_id_x 1
		.amdhsa_system_sgpr_workgroup_id_y 0
		.amdhsa_system_sgpr_workgroup_id_z 0
		.amdhsa_system_sgpr_workgroup_info 0
		.amdhsa_system_vgpr_workitem_id 0
		.amdhsa_next_free_vgpr 1
		.amdhsa_next_free_sgpr 0
		.amdhsa_accum_offset 4
		.amdhsa_reserve_vcc 0
		.amdhsa_float_round_mode_32 0
		.amdhsa_float_round_mode_16_64 0
		.amdhsa_float_denorm_mode_32 3
		.amdhsa_float_denorm_mode_16_64 3
		.amdhsa_dx10_clamp 1
		.amdhsa_ieee_mode 1
		.amdhsa_fp16_overflow 0
		.amdhsa_tg_split 0
		.amdhsa_exception_fp_ieee_invalid_op 0
		.amdhsa_exception_fp_denorm_src 0
		.amdhsa_exception_fp_ieee_div_zero 0
		.amdhsa_exception_fp_ieee_overflow 0
		.amdhsa_exception_fp_ieee_underflow 0
		.amdhsa_exception_fp_ieee_inexact 0
		.amdhsa_exception_int_div_zero 0
	.end_amdhsa_kernel
	.section	.text._ZN7rocprim17ROCPRIM_400000_NS6detail17trampoline_kernelINS0_14default_configENS1_25transform_config_selectorIN3c104HalfELb1EEEZNS1_14transform_implILb1ES3_S7_PS6_S9_NS0_8identityIS6_EEEE10hipError_tT2_T3_mT4_P12ihipStream_tbEUlT_E_NS1_11comp_targetILNS1_3genE3ELNS1_11target_archE908ELNS1_3gpuE7ELNS1_3repE0EEENS1_30default_config_static_selectorELNS0_4arch9wavefront6targetE1EEEvT1_,"axG",@progbits,_ZN7rocprim17ROCPRIM_400000_NS6detail17trampoline_kernelINS0_14default_configENS1_25transform_config_selectorIN3c104HalfELb1EEEZNS1_14transform_implILb1ES3_S7_PS6_S9_NS0_8identityIS6_EEEE10hipError_tT2_T3_mT4_P12ihipStream_tbEUlT_E_NS1_11comp_targetILNS1_3genE3ELNS1_11target_archE908ELNS1_3gpuE7ELNS1_3repE0EEENS1_30default_config_static_selectorELNS0_4arch9wavefront6targetE1EEEvT1_,comdat
.Lfunc_end373:
	.size	_ZN7rocprim17ROCPRIM_400000_NS6detail17trampoline_kernelINS0_14default_configENS1_25transform_config_selectorIN3c104HalfELb1EEEZNS1_14transform_implILb1ES3_S7_PS6_S9_NS0_8identityIS6_EEEE10hipError_tT2_T3_mT4_P12ihipStream_tbEUlT_E_NS1_11comp_targetILNS1_3genE3ELNS1_11target_archE908ELNS1_3gpuE7ELNS1_3repE0EEENS1_30default_config_static_selectorELNS0_4arch9wavefront6targetE1EEEvT1_, .Lfunc_end373-_ZN7rocprim17ROCPRIM_400000_NS6detail17trampoline_kernelINS0_14default_configENS1_25transform_config_selectorIN3c104HalfELb1EEEZNS1_14transform_implILb1ES3_S7_PS6_S9_NS0_8identityIS6_EEEE10hipError_tT2_T3_mT4_P12ihipStream_tbEUlT_E_NS1_11comp_targetILNS1_3genE3ELNS1_11target_archE908ELNS1_3gpuE7ELNS1_3repE0EEENS1_30default_config_static_selectorELNS0_4arch9wavefront6targetE1EEEvT1_
                                        ; -- End function
	.section	.AMDGPU.csdata,"",@progbits
; Kernel info:
; codeLenInByte = 0
; NumSgprs: 6
; NumVgprs: 0
; NumAgprs: 0
; TotalNumVgprs: 0
; ScratchSize: 0
; MemoryBound: 0
; FloatMode: 240
; IeeeMode: 1
; LDSByteSize: 0 bytes/workgroup (compile time only)
; SGPRBlocks: 0
; VGPRBlocks: 0
; NumSGPRsForWavesPerEU: 6
; NumVGPRsForWavesPerEU: 1
; AccumOffset: 4
; Occupancy: 8
; WaveLimiterHint : 0
; COMPUTE_PGM_RSRC2:SCRATCH_EN: 0
; COMPUTE_PGM_RSRC2:USER_SGPR: 2
; COMPUTE_PGM_RSRC2:TRAP_HANDLER: 0
; COMPUTE_PGM_RSRC2:TGID_X_EN: 1
; COMPUTE_PGM_RSRC2:TGID_Y_EN: 0
; COMPUTE_PGM_RSRC2:TGID_Z_EN: 0
; COMPUTE_PGM_RSRC2:TIDIG_COMP_CNT: 0
; COMPUTE_PGM_RSRC3_GFX90A:ACCUM_OFFSET: 0
; COMPUTE_PGM_RSRC3_GFX90A:TG_SPLIT: 0
	.section	.text._ZN7rocprim17ROCPRIM_400000_NS6detail17trampoline_kernelINS0_14default_configENS1_25transform_config_selectorIN3c104HalfELb1EEEZNS1_14transform_implILb1ES3_S7_PS6_S9_NS0_8identityIS6_EEEE10hipError_tT2_T3_mT4_P12ihipStream_tbEUlT_E_NS1_11comp_targetILNS1_3genE2ELNS1_11target_archE906ELNS1_3gpuE6ELNS1_3repE0EEENS1_30default_config_static_selectorELNS0_4arch9wavefront6targetE1EEEvT1_,"axG",@progbits,_ZN7rocprim17ROCPRIM_400000_NS6detail17trampoline_kernelINS0_14default_configENS1_25transform_config_selectorIN3c104HalfELb1EEEZNS1_14transform_implILb1ES3_S7_PS6_S9_NS0_8identityIS6_EEEE10hipError_tT2_T3_mT4_P12ihipStream_tbEUlT_E_NS1_11comp_targetILNS1_3genE2ELNS1_11target_archE906ELNS1_3gpuE6ELNS1_3repE0EEENS1_30default_config_static_selectorELNS0_4arch9wavefront6targetE1EEEvT1_,comdat
	.protected	_ZN7rocprim17ROCPRIM_400000_NS6detail17trampoline_kernelINS0_14default_configENS1_25transform_config_selectorIN3c104HalfELb1EEEZNS1_14transform_implILb1ES3_S7_PS6_S9_NS0_8identityIS6_EEEE10hipError_tT2_T3_mT4_P12ihipStream_tbEUlT_E_NS1_11comp_targetILNS1_3genE2ELNS1_11target_archE906ELNS1_3gpuE6ELNS1_3repE0EEENS1_30default_config_static_selectorELNS0_4arch9wavefront6targetE1EEEvT1_ ; -- Begin function _ZN7rocprim17ROCPRIM_400000_NS6detail17trampoline_kernelINS0_14default_configENS1_25transform_config_selectorIN3c104HalfELb1EEEZNS1_14transform_implILb1ES3_S7_PS6_S9_NS0_8identityIS6_EEEE10hipError_tT2_T3_mT4_P12ihipStream_tbEUlT_E_NS1_11comp_targetILNS1_3genE2ELNS1_11target_archE906ELNS1_3gpuE6ELNS1_3repE0EEENS1_30default_config_static_selectorELNS0_4arch9wavefront6targetE1EEEvT1_
	.globl	_ZN7rocprim17ROCPRIM_400000_NS6detail17trampoline_kernelINS0_14default_configENS1_25transform_config_selectorIN3c104HalfELb1EEEZNS1_14transform_implILb1ES3_S7_PS6_S9_NS0_8identityIS6_EEEE10hipError_tT2_T3_mT4_P12ihipStream_tbEUlT_E_NS1_11comp_targetILNS1_3genE2ELNS1_11target_archE906ELNS1_3gpuE6ELNS1_3repE0EEENS1_30default_config_static_selectorELNS0_4arch9wavefront6targetE1EEEvT1_
	.p2align	8
	.type	_ZN7rocprim17ROCPRIM_400000_NS6detail17trampoline_kernelINS0_14default_configENS1_25transform_config_selectorIN3c104HalfELb1EEEZNS1_14transform_implILb1ES3_S7_PS6_S9_NS0_8identityIS6_EEEE10hipError_tT2_T3_mT4_P12ihipStream_tbEUlT_E_NS1_11comp_targetILNS1_3genE2ELNS1_11target_archE906ELNS1_3gpuE6ELNS1_3repE0EEENS1_30default_config_static_selectorELNS0_4arch9wavefront6targetE1EEEvT1_,@function
_ZN7rocprim17ROCPRIM_400000_NS6detail17trampoline_kernelINS0_14default_configENS1_25transform_config_selectorIN3c104HalfELb1EEEZNS1_14transform_implILb1ES3_S7_PS6_S9_NS0_8identityIS6_EEEE10hipError_tT2_T3_mT4_P12ihipStream_tbEUlT_E_NS1_11comp_targetILNS1_3genE2ELNS1_11target_archE906ELNS1_3gpuE6ELNS1_3repE0EEENS1_30default_config_static_selectorELNS0_4arch9wavefront6targetE1EEEvT1_: ; @_ZN7rocprim17ROCPRIM_400000_NS6detail17trampoline_kernelINS0_14default_configENS1_25transform_config_selectorIN3c104HalfELb1EEEZNS1_14transform_implILb1ES3_S7_PS6_S9_NS0_8identityIS6_EEEE10hipError_tT2_T3_mT4_P12ihipStream_tbEUlT_E_NS1_11comp_targetILNS1_3genE2ELNS1_11target_archE906ELNS1_3gpuE6ELNS1_3repE0EEENS1_30default_config_static_selectorELNS0_4arch9wavefront6targetE1EEEvT1_
; %bb.0:
	.section	.rodata,"a",@progbits
	.p2align	6, 0x0
	.amdhsa_kernel _ZN7rocprim17ROCPRIM_400000_NS6detail17trampoline_kernelINS0_14default_configENS1_25transform_config_selectorIN3c104HalfELb1EEEZNS1_14transform_implILb1ES3_S7_PS6_S9_NS0_8identityIS6_EEEE10hipError_tT2_T3_mT4_P12ihipStream_tbEUlT_E_NS1_11comp_targetILNS1_3genE2ELNS1_11target_archE906ELNS1_3gpuE6ELNS1_3repE0EEENS1_30default_config_static_selectorELNS0_4arch9wavefront6targetE1EEEvT1_
		.amdhsa_group_segment_fixed_size 0
		.amdhsa_private_segment_fixed_size 0
		.amdhsa_kernarg_size 40
		.amdhsa_user_sgpr_count 2
		.amdhsa_user_sgpr_dispatch_ptr 0
		.amdhsa_user_sgpr_queue_ptr 0
		.amdhsa_user_sgpr_kernarg_segment_ptr 1
		.amdhsa_user_sgpr_dispatch_id 0
		.amdhsa_user_sgpr_kernarg_preload_length 0
		.amdhsa_user_sgpr_kernarg_preload_offset 0
		.amdhsa_user_sgpr_private_segment_size 0
		.amdhsa_uses_dynamic_stack 0
		.amdhsa_enable_private_segment 0
		.amdhsa_system_sgpr_workgroup_id_x 1
		.amdhsa_system_sgpr_workgroup_id_y 0
		.amdhsa_system_sgpr_workgroup_id_z 0
		.amdhsa_system_sgpr_workgroup_info 0
		.amdhsa_system_vgpr_workitem_id 0
		.amdhsa_next_free_vgpr 1
		.amdhsa_next_free_sgpr 0
		.amdhsa_accum_offset 4
		.amdhsa_reserve_vcc 0
		.amdhsa_float_round_mode_32 0
		.amdhsa_float_round_mode_16_64 0
		.amdhsa_float_denorm_mode_32 3
		.amdhsa_float_denorm_mode_16_64 3
		.amdhsa_dx10_clamp 1
		.amdhsa_ieee_mode 1
		.amdhsa_fp16_overflow 0
		.amdhsa_tg_split 0
		.amdhsa_exception_fp_ieee_invalid_op 0
		.amdhsa_exception_fp_denorm_src 0
		.amdhsa_exception_fp_ieee_div_zero 0
		.amdhsa_exception_fp_ieee_overflow 0
		.amdhsa_exception_fp_ieee_underflow 0
		.amdhsa_exception_fp_ieee_inexact 0
		.amdhsa_exception_int_div_zero 0
	.end_amdhsa_kernel
	.section	.text._ZN7rocprim17ROCPRIM_400000_NS6detail17trampoline_kernelINS0_14default_configENS1_25transform_config_selectorIN3c104HalfELb1EEEZNS1_14transform_implILb1ES3_S7_PS6_S9_NS0_8identityIS6_EEEE10hipError_tT2_T3_mT4_P12ihipStream_tbEUlT_E_NS1_11comp_targetILNS1_3genE2ELNS1_11target_archE906ELNS1_3gpuE6ELNS1_3repE0EEENS1_30default_config_static_selectorELNS0_4arch9wavefront6targetE1EEEvT1_,"axG",@progbits,_ZN7rocprim17ROCPRIM_400000_NS6detail17trampoline_kernelINS0_14default_configENS1_25transform_config_selectorIN3c104HalfELb1EEEZNS1_14transform_implILb1ES3_S7_PS6_S9_NS0_8identityIS6_EEEE10hipError_tT2_T3_mT4_P12ihipStream_tbEUlT_E_NS1_11comp_targetILNS1_3genE2ELNS1_11target_archE906ELNS1_3gpuE6ELNS1_3repE0EEENS1_30default_config_static_selectorELNS0_4arch9wavefront6targetE1EEEvT1_,comdat
.Lfunc_end374:
	.size	_ZN7rocprim17ROCPRIM_400000_NS6detail17trampoline_kernelINS0_14default_configENS1_25transform_config_selectorIN3c104HalfELb1EEEZNS1_14transform_implILb1ES3_S7_PS6_S9_NS0_8identityIS6_EEEE10hipError_tT2_T3_mT4_P12ihipStream_tbEUlT_E_NS1_11comp_targetILNS1_3genE2ELNS1_11target_archE906ELNS1_3gpuE6ELNS1_3repE0EEENS1_30default_config_static_selectorELNS0_4arch9wavefront6targetE1EEEvT1_, .Lfunc_end374-_ZN7rocprim17ROCPRIM_400000_NS6detail17trampoline_kernelINS0_14default_configENS1_25transform_config_selectorIN3c104HalfELb1EEEZNS1_14transform_implILb1ES3_S7_PS6_S9_NS0_8identityIS6_EEEE10hipError_tT2_T3_mT4_P12ihipStream_tbEUlT_E_NS1_11comp_targetILNS1_3genE2ELNS1_11target_archE906ELNS1_3gpuE6ELNS1_3repE0EEENS1_30default_config_static_selectorELNS0_4arch9wavefront6targetE1EEEvT1_
                                        ; -- End function
	.section	.AMDGPU.csdata,"",@progbits
; Kernel info:
; codeLenInByte = 0
; NumSgprs: 6
; NumVgprs: 0
; NumAgprs: 0
; TotalNumVgprs: 0
; ScratchSize: 0
; MemoryBound: 0
; FloatMode: 240
; IeeeMode: 1
; LDSByteSize: 0 bytes/workgroup (compile time only)
; SGPRBlocks: 0
; VGPRBlocks: 0
; NumSGPRsForWavesPerEU: 6
; NumVGPRsForWavesPerEU: 1
; AccumOffset: 4
; Occupancy: 8
; WaveLimiterHint : 0
; COMPUTE_PGM_RSRC2:SCRATCH_EN: 0
; COMPUTE_PGM_RSRC2:USER_SGPR: 2
; COMPUTE_PGM_RSRC2:TRAP_HANDLER: 0
; COMPUTE_PGM_RSRC2:TGID_X_EN: 1
; COMPUTE_PGM_RSRC2:TGID_Y_EN: 0
; COMPUTE_PGM_RSRC2:TGID_Z_EN: 0
; COMPUTE_PGM_RSRC2:TIDIG_COMP_CNT: 0
; COMPUTE_PGM_RSRC3_GFX90A:ACCUM_OFFSET: 0
; COMPUTE_PGM_RSRC3_GFX90A:TG_SPLIT: 0
	.section	.text._ZN7rocprim17ROCPRIM_400000_NS6detail17trampoline_kernelINS0_14default_configENS1_25transform_config_selectorIN3c104HalfELb1EEEZNS1_14transform_implILb1ES3_S7_PS6_S9_NS0_8identityIS6_EEEE10hipError_tT2_T3_mT4_P12ihipStream_tbEUlT_E_NS1_11comp_targetILNS1_3genE9ELNS1_11target_archE1100ELNS1_3gpuE3ELNS1_3repE0EEENS1_30default_config_static_selectorELNS0_4arch9wavefront6targetE1EEEvT1_,"axG",@progbits,_ZN7rocprim17ROCPRIM_400000_NS6detail17trampoline_kernelINS0_14default_configENS1_25transform_config_selectorIN3c104HalfELb1EEEZNS1_14transform_implILb1ES3_S7_PS6_S9_NS0_8identityIS6_EEEE10hipError_tT2_T3_mT4_P12ihipStream_tbEUlT_E_NS1_11comp_targetILNS1_3genE9ELNS1_11target_archE1100ELNS1_3gpuE3ELNS1_3repE0EEENS1_30default_config_static_selectorELNS0_4arch9wavefront6targetE1EEEvT1_,comdat
	.protected	_ZN7rocprim17ROCPRIM_400000_NS6detail17trampoline_kernelINS0_14default_configENS1_25transform_config_selectorIN3c104HalfELb1EEEZNS1_14transform_implILb1ES3_S7_PS6_S9_NS0_8identityIS6_EEEE10hipError_tT2_T3_mT4_P12ihipStream_tbEUlT_E_NS1_11comp_targetILNS1_3genE9ELNS1_11target_archE1100ELNS1_3gpuE3ELNS1_3repE0EEENS1_30default_config_static_selectorELNS0_4arch9wavefront6targetE1EEEvT1_ ; -- Begin function _ZN7rocprim17ROCPRIM_400000_NS6detail17trampoline_kernelINS0_14default_configENS1_25transform_config_selectorIN3c104HalfELb1EEEZNS1_14transform_implILb1ES3_S7_PS6_S9_NS0_8identityIS6_EEEE10hipError_tT2_T3_mT4_P12ihipStream_tbEUlT_E_NS1_11comp_targetILNS1_3genE9ELNS1_11target_archE1100ELNS1_3gpuE3ELNS1_3repE0EEENS1_30default_config_static_selectorELNS0_4arch9wavefront6targetE1EEEvT1_
	.globl	_ZN7rocprim17ROCPRIM_400000_NS6detail17trampoline_kernelINS0_14default_configENS1_25transform_config_selectorIN3c104HalfELb1EEEZNS1_14transform_implILb1ES3_S7_PS6_S9_NS0_8identityIS6_EEEE10hipError_tT2_T3_mT4_P12ihipStream_tbEUlT_E_NS1_11comp_targetILNS1_3genE9ELNS1_11target_archE1100ELNS1_3gpuE3ELNS1_3repE0EEENS1_30default_config_static_selectorELNS0_4arch9wavefront6targetE1EEEvT1_
	.p2align	8
	.type	_ZN7rocprim17ROCPRIM_400000_NS6detail17trampoline_kernelINS0_14default_configENS1_25transform_config_selectorIN3c104HalfELb1EEEZNS1_14transform_implILb1ES3_S7_PS6_S9_NS0_8identityIS6_EEEE10hipError_tT2_T3_mT4_P12ihipStream_tbEUlT_E_NS1_11comp_targetILNS1_3genE9ELNS1_11target_archE1100ELNS1_3gpuE3ELNS1_3repE0EEENS1_30default_config_static_selectorELNS0_4arch9wavefront6targetE1EEEvT1_,@function
_ZN7rocprim17ROCPRIM_400000_NS6detail17trampoline_kernelINS0_14default_configENS1_25transform_config_selectorIN3c104HalfELb1EEEZNS1_14transform_implILb1ES3_S7_PS6_S9_NS0_8identityIS6_EEEE10hipError_tT2_T3_mT4_P12ihipStream_tbEUlT_E_NS1_11comp_targetILNS1_3genE9ELNS1_11target_archE1100ELNS1_3gpuE3ELNS1_3repE0EEENS1_30default_config_static_selectorELNS0_4arch9wavefront6targetE1EEEvT1_: ; @_ZN7rocprim17ROCPRIM_400000_NS6detail17trampoline_kernelINS0_14default_configENS1_25transform_config_selectorIN3c104HalfELb1EEEZNS1_14transform_implILb1ES3_S7_PS6_S9_NS0_8identityIS6_EEEE10hipError_tT2_T3_mT4_P12ihipStream_tbEUlT_E_NS1_11comp_targetILNS1_3genE9ELNS1_11target_archE1100ELNS1_3gpuE3ELNS1_3repE0EEENS1_30default_config_static_selectorELNS0_4arch9wavefront6targetE1EEEvT1_
; %bb.0:
	.section	.rodata,"a",@progbits
	.p2align	6, 0x0
	.amdhsa_kernel _ZN7rocprim17ROCPRIM_400000_NS6detail17trampoline_kernelINS0_14default_configENS1_25transform_config_selectorIN3c104HalfELb1EEEZNS1_14transform_implILb1ES3_S7_PS6_S9_NS0_8identityIS6_EEEE10hipError_tT2_T3_mT4_P12ihipStream_tbEUlT_E_NS1_11comp_targetILNS1_3genE9ELNS1_11target_archE1100ELNS1_3gpuE3ELNS1_3repE0EEENS1_30default_config_static_selectorELNS0_4arch9wavefront6targetE1EEEvT1_
		.amdhsa_group_segment_fixed_size 0
		.amdhsa_private_segment_fixed_size 0
		.amdhsa_kernarg_size 40
		.amdhsa_user_sgpr_count 2
		.amdhsa_user_sgpr_dispatch_ptr 0
		.amdhsa_user_sgpr_queue_ptr 0
		.amdhsa_user_sgpr_kernarg_segment_ptr 1
		.amdhsa_user_sgpr_dispatch_id 0
		.amdhsa_user_sgpr_kernarg_preload_length 0
		.amdhsa_user_sgpr_kernarg_preload_offset 0
		.amdhsa_user_sgpr_private_segment_size 0
		.amdhsa_uses_dynamic_stack 0
		.amdhsa_enable_private_segment 0
		.amdhsa_system_sgpr_workgroup_id_x 1
		.amdhsa_system_sgpr_workgroup_id_y 0
		.amdhsa_system_sgpr_workgroup_id_z 0
		.amdhsa_system_sgpr_workgroup_info 0
		.amdhsa_system_vgpr_workitem_id 0
		.amdhsa_next_free_vgpr 1
		.amdhsa_next_free_sgpr 0
		.amdhsa_accum_offset 4
		.amdhsa_reserve_vcc 0
		.amdhsa_float_round_mode_32 0
		.amdhsa_float_round_mode_16_64 0
		.amdhsa_float_denorm_mode_32 3
		.amdhsa_float_denorm_mode_16_64 3
		.amdhsa_dx10_clamp 1
		.amdhsa_ieee_mode 1
		.amdhsa_fp16_overflow 0
		.amdhsa_tg_split 0
		.amdhsa_exception_fp_ieee_invalid_op 0
		.amdhsa_exception_fp_denorm_src 0
		.amdhsa_exception_fp_ieee_div_zero 0
		.amdhsa_exception_fp_ieee_overflow 0
		.amdhsa_exception_fp_ieee_underflow 0
		.amdhsa_exception_fp_ieee_inexact 0
		.amdhsa_exception_int_div_zero 0
	.end_amdhsa_kernel
	.section	.text._ZN7rocprim17ROCPRIM_400000_NS6detail17trampoline_kernelINS0_14default_configENS1_25transform_config_selectorIN3c104HalfELb1EEEZNS1_14transform_implILb1ES3_S7_PS6_S9_NS0_8identityIS6_EEEE10hipError_tT2_T3_mT4_P12ihipStream_tbEUlT_E_NS1_11comp_targetILNS1_3genE9ELNS1_11target_archE1100ELNS1_3gpuE3ELNS1_3repE0EEENS1_30default_config_static_selectorELNS0_4arch9wavefront6targetE1EEEvT1_,"axG",@progbits,_ZN7rocprim17ROCPRIM_400000_NS6detail17trampoline_kernelINS0_14default_configENS1_25transform_config_selectorIN3c104HalfELb1EEEZNS1_14transform_implILb1ES3_S7_PS6_S9_NS0_8identityIS6_EEEE10hipError_tT2_T3_mT4_P12ihipStream_tbEUlT_E_NS1_11comp_targetILNS1_3genE9ELNS1_11target_archE1100ELNS1_3gpuE3ELNS1_3repE0EEENS1_30default_config_static_selectorELNS0_4arch9wavefront6targetE1EEEvT1_,comdat
.Lfunc_end375:
	.size	_ZN7rocprim17ROCPRIM_400000_NS6detail17trampoline_kernelINS0_14default_configENS1_25transform_config_selectorIN3c104HalfELb1EEEZNS1_14transform_implILb1ES3_S7_PS6_S9_NS0_8identityIS6_EEEE10hipError_tT2_T3_mT4_P12ihipStream_tbEUlT_E_NS1_11comp_targetILNS1_3genE9ELNS1_11target_archE1100ELNS1_3gpuE3ELNS1_3repE0EEENS1_30default_config_static_selectorELNS0_4arch9wavefront6targetE1EEEvT1_, .Lfunc_end375-_ZN7rocprim17ROCPRIM_400000_NS6detail17trampoline_kernelINS0_14default_configENS1_25transform_config_selectorIN3c104HalfELb1EEEZNS1_14transform_implILb1ES3_S7_PS6_S9_NS0_8identityIS6_EEEE10hipError_tT2_T3_mT4_P12ihipStream_tbEUlT_E_NS1_11comp_targetILNS1_3genE9ELNS1_11target_archE1100ELNS1_3gpuE3ELNS1_3repE0EEENS1_30default_config_static_selectorELNS0_4arch9wavefront6targetE1EEEvT1_
                                        ; -- End function
	.section	.AMDGPU.csdata,"",@progbits
; Kernel info:
; codeLenInByte = 0
; NumSgprs: 6
; NumVgprs: 0
; NumAgprs: 0
; TotalNumVgprs: 0
; ScratchSize: 0
; MemoryBound: 0
; FloatMode: 240
; IeeeMode: 1
; LDSByteSize: 0 bytes/workgroup (compile time only)
; SGPRBlocks: 0
; VGPRBlocks: 0
; NumSGPRsForWavesPerEU: 6
; NumVGPRsForWavesPerEU: 1
; AccumOffset: 4
; Occupancy: 8
; WaveLimiterHint : 0
; COMPUTE_PGM_RSRC2:SCRATCH_EN: 0
; COMPUTE_PGM_RSRC2:USER_SGPR: 2
; COMPUTE_PGM_RSRC2:TRAP_HANDLER: 0
; COMPUTE_PGM_RSRC2:TGID_X_EN: 1
; COMPUTE_PGM_RSRC2:TGID_Y_EN: 0
; COMPUTE_PGM_RSRC2:TGID_Z_EN: 0
; COMPUTE_PGM_RSRC2:TIDIG_COMP_CNT: 0
; COMPUTE_PGM_RSRC3_GFX90A:ACCUM_OFFSET: 0
; COMPUTE_PGM_RSRC3_GFX90A:TG_SPLIT: 0
	.section	.text._ZN7rocprim17ROCPRIM_400000_NS6detail17trampoline_kernelINS0_14default_configENS1_25transform_config_selectorIN3c104HalfELb1EEEZNS1_14transform_implILb1ES3_S7_PS6_S9_NS0_8identityIS6_EEEE10hipError_tT2_T3_mT4_P12ihipStream_tbEUlT_E_NS1_11comp_targetILNS1_3genE8ELNS1_11target_archE1030ELNS1_3gpuE2ELNS1_3repE0EEENS1_30default_config_static_selectorELNS0_4arch9wavefront6targetE1EEEvT1_,"axG",@progbits,_ZN7rocprim17ROCPRIM_400000_NS6detail17trampoline_kernelINS0_14default_configENS1_25transform_config_selectorIN3c104HalfELb1EEEZNS1_14transform_implILb1ES3_S7_PS6_S9_NS0_8identityIS6_EEEE10hipError_tT2_T3_mT4_P12ihipStream_tbEUlT_E_NS1_11comp_targetILNS1_3genE8ELNS1_11target_archE1030ELNS1_3gpuE2ELNS1_3repE0EEENS1_30default_config_static_selectorELNS0_4arch9wavefront6targetE1EEEvT1_,comdat
	.protected	_ZN7rocprim17ROCPRIM_400000_NS6detail17trampoline_kernelINS0_14default_configENS1_25transform_config_selectorIN3c104HalfELb1EEEZNS1_14transform_implILb1ES3_S7_PS6_S9_NS0_8identityIS6_EEEE10hipError_tT2_T3_mT4_P12ihipStream_tbEUlT_E_NS1_11comp_targetILNS1_3genE8ELNS1_11target_archE1030ELNS1_3gpuE2ELNS1_3repE0EEENS1_30default_config_static_selectorELNS0_4arch9wavefront6targetE1EEEvT1_ ; -- Begin function _ZN7rocprim17ROCPRIM_400000_NS6detail17trampoline_kernelINS0_14default_configENS1_25transform_config_selectorIN3c104HalfELb1EEEZNS1_14transform_implILb1ES3_S7_PS6_S9_NS0_8identityIS6_EEEE10hipError_tT2_T3_mT4_P12ihipStream_tbEUlT_E_NS1_11comp_targetILNS1_3genE8ELNS1_11target_archE1030ELNS1_3gpuE2ELNS1_3repE0EEENS1_30default_config_static_selectorELNS0_4arch9wavefront6targetE1EEEvT1_
	.globl	_ZN7rocprim17ROCPRIM_400000_NS6detail17trampoline_kernelINS0_14default_configENS1_25transform_config_selectorIN3c104HalfELb1EEEZNS1_14transform_implILb1ES3_S7_PS6_S9_NS0_8identityIS6_EEEE10hipError_tT2_T3_mT4_P12ihipStream_tbEUlT_E_NS1_11comp_targetILNS1_3genE8ELNS1_11target_archE1030ELNS1_3gpuE2ELNS1_3repE0EEENS1_30default_config_static_selectorELNS0_4arch9wavefront6targetE1EEEvT1_
	.p2align	8
	.type	_ZN7rocprim17ROCPRIM_400000_NS6detail17trampoline_kernelINS0_14default_configENS1_25transform_config_selectorIN3c104HalfELb1EEEZNS1_14transform_implILb1ES3_S7_PS6_S9_NS0_8identityIS6_EEEE10hipError_tT2_T3_mT4_P12ihipStream_tbEUlT_E_NS1_11comp_targetILNS1_3genE8ELNS1_11target_archE1030ELNS1_3gpuE2ELNS1_3repE0EEENS1_30default_config_static_selectorELNS0_4arch9wavefront6targetE1EEEvT1_,@function
_ZN7rocprim17ROCPRIM_400000_NS6detail17trampoline_kernelINS0_14default_configENS1_25transform_config_selectorIN3c104HalfELb1EEEZNS1_14transform_implILb1ES3_S7_PS6_S9_NS0_8identityIS6_EEEE10hipError_tT2_T3_mT4_P12ihipStream_tbEUlT_E_NS1_11comp_targetILNS1_3genE8ELNS1_11target_archE1030ELNS1_3gpuE2ELNS1_3repE0EEENS1_30default_config_static_selectorELNS0_4arch9wavefront6targetE1EEEvT1_: ; @_ZN7rocprim17ROCPRIM_400000_NS6detail17trampoline_kernelINS0_14default_configENS1_25transform_config_selectorIN3c104HalfELb1EEEZNS1_14transform_implILb1ES3_S7_PS6_S9_NS0_8identityIS6_EEEE10hipError_tT2_T3_mT4_P12ihipStream_tbEUlT_E_NS1_11comp_targetILNS1_3genE8ELNS1_11target_archE1030ELNS1_3gpuE2ELNS1_3repE0EEENS1_30default_config_static_selectorELNS0_4arch9wavefront6targetE1EEEvT1_
; %bb.0:
	.section	.rodata,"a",@progbits
	.p2align	6, 0x0
	.amdhsa_kernel _ZN7rocprim17ROCPRIM_400000_NS6detail17trampoline_kernelINS0_14default_configENS1_25transform_config_selectorIN3c104HalfELb1EEEZNS1_14transform_implILb1ES3_S7_PS6_S9_NS0_8identityIS6_EEEE10hipError_tT2_T3_mT4_P12ihipStream_tbEUlT_E_NS1_11comp_targetILNS1_3genE8ELNS1_11target_archE1030ELNS1_3gpuE2ELNS1_3repE0EEENS1_30default_config_static_selectorELNS0_4arch9wavefront6targetE1EEEvT1_
		.amdhsa_group_segment_fixed_size 0
		.amdhsa_private_segment_fixed_size 0
		.amdhsa_kernarg_size 40
		.amdhsa_user_sgpr_count 2
		.amdhsa_user_sgpr_dispatch_ptr 0
		.amdhsa_user_sgpr_queue_ptr 0
		.amdhsa_user_sgpr_kernarg_segment_ptr 1
		.amdhsa_user_sgpr_dispatch_id 0
		.amdhsa_user_sgpr_kernarg_preload_length 0
		.amdhsa_user_sgpr_kernarg_preload_offset 0
		.amdhsa_user_sgpr_private_segment_size 0
		.amdhsa_uses_dynamic_stack 0
		.amdhsa_enable_private_segment 0
		.amdhsa_system_sgpr_workgroup_id_x 1
		.amdhsa_system_sgpr_workgroup_id_y 0
		.amdhsa_system_sgpr_workgroup_id_z 0
		.amdhsa_system_sgpr_workgroup_info 0
		.amdhsa_system_vgpr_workitem_id 0
		.amdhsa_next_free_vgpr 1
		.amdhsa_next_free_sgpr 0
		.amdhsa_accum_offset 4
		.amdhsa_reserve_vcc 0
		.amdhsa_float_round_mode_32 0
		.amdhsa_float_round_mode_16_64 0
		.amdhsa_float_denorm_mode_32 3
		.amdhsa_float_denorm_mode_16_64 3
		.amdhsa_dx10_clamp 1
		.amdhsa_ieee_mode 1
		.amdhsa_fp16_overflow 0
		.amdhsa_tg_split 0
		.amdhsa_exception_fp_ieee_invalid_op 0
		.amdhsa_exception_fp_denorm_src 0
		.amdhsa_exception_fp_ieee_div_zero 0
		.amdhsa_exception_fp_ieee_overflow 0
		.amdhsa_exception_fp_ieee_underflow 0
		.amdhsa_exception_fp_ieee_inexact 0
		.amdhsa_exception_int_div_zero 0
	.end_amdhsa_kernel
	.section	.text._ZN7rocprim17ROCPRIM_400000_NS6detail17trampoline_kernelINS0_14default_configENS1_25transform_config_selectorIN3c104HalfELb1EEEZNS1_14transform_implILb1ES3_S7_PS6_S9_NS0_8identityIS6_EEEE10hipError_tT2_T3_mT4_P12ihipStream_tbEUlT_E_NS1_11comp_targetILNS1_3genE8ELNS1_11target_archE1030ELNS1_3gpuE2ELNS1_3repE0EEENS1_30default_config_static_selectorELNS0_4arch9wavefront6targetE1EEEvT1_,"axG",@progbits,_ZN7rocprim17ROCPRIM_400000_NS6detail17trampoline_kernelINS0_14default_configENS1_25transform_config_selectorIN3c104HalfELb1EEEZNS1_14transform_implILb1ES3_S7_PS6_S9_NS0_8identityIS6_EEEE10hipError_tT2_T3_mT4_P12ihipStream_tbEUlT_E_NS1_11comp_targetILNS1_3genE8ELNS1_11target_archE1030ELNS1_3gpuE2ELNS1_3repE0EEENS1_30default_config_static_selectorELNS0_4arch9wavefront6targetE1EEEvT1_,comdat
.Lfunc_end376:
	.size	_ZN7rocprim17ROCPRIM_400000_NS6detail17trampoline_kernelINS0_14default_configENS1_25transform_config_selectorIN3c104HalfELb1EEEZNS1_14transform_implILb1ES3_S7_PS6_S9_NS0_8identityIS6_EEEE10hipError_tT2_T3_mT4_P12ihipStream_tbEUlT_E_NS1_11comp_targetILNS1_3genE8ELNS1_11target_archE1030ELNS1_3gpuE2ELNS1_3repE0EEENS1_30default_config_static_selectorELNS0_4arch9wavefront6targetE1EEEvT1_, .Lfunc_end376-_ZN7rocprim17ROCPRIM_400000_NS6detail17trampoline_kernelINS0_14default_configENS1_25transform_config_selectorIN3c104HalfELb1EEEZNS1_14transform_implILb1ES3_S7_PS6_S9_NS0_8identityIS6_EEEE10hipError_tT2_T3_mT4_P12ihipStream_tbEUlT_E_NS1_11comp_targetILNS1_3genE8ELNS1_11target_archE1030ELNS1_3gpuE2ELNS1_3repE0EEENS1_30default_config_static_selectorELNS0_4arch9wavefront6targetE1EEEvT1_
                                        ; -- End function
	.section	.AMDGPU.csdata,"",@progbits
; Kernel info:
; codeLenInByte = 0
; NumSgprs: 6
; NumVgprs: 0
; NumAgprs: 0
; TotalNumVgprs: 0
; ScratchSize: 0
; MemoryBound: 0
; FloatMode: 240
; IeeeMode: 1
; LDSByteSize: 0 bytes/workgroup (compile time only)
; SGPRBlocks: 0
; VGPRBlocks: 0
; NumSGPRsForWavesPerEU: 6
; NumVGPRsForWavesPerEU: 1
; AccumOffset: 4
; Occupancy: 8
; WaveLimiterHint : 0
; COMPUTE_PGM_RSRC2:SCRATCH_EN: 0
; COMPUTE_PGM_RSRC2:USER_SGPR: 2
; COMPUTE_PGM_RSRC2:TRAP_HANDLER: 0
; COMPUTE_PGM_RSRC2:TGID_X_EN: 1
; COMPUTE_PGM_RSRC2:TGID_Y_EN: 0
; COMPUTE_PGM_RSRC2:TGID_Z_EN: 0
; COMPUTE_PGM_RSRC2:TIDIG_COMP_CNT: 0
; COMPUTE_PGM_RSRC3_GFX90A:ACCUM_OFFSET: 0
; COMPUTE_PGM_RSRC3_GFX90A:TG_SPLIT: 0
	.section	.text._ZN7rocprim17ROCPRIM_400000_NS6detail17trampoline_kernelINS0_14default_configENS1_20scan_config_selectorIN3c104HalfEEEZZNS1_9scan_implILNS1_25lookback_scan_determinismE0ELb0ELb0ES3_PKS6_PS6_S6_ZZZN2at6native31launch_logcumsumexp_cuda_kernelERKNSD_10TensorBaseESH_lENKUlvE_clEvENKUlvE3_clEvEUlS6_S6_E_S6_EEDaPvRmT3_T4_T5_mT6_P12ihipStream_tbENKUlT_T0_E_clISt17integral_constantIbLb0EESY_EEDaST_SU_EUlST_E0_NS1_11comp_targetILNS1_3genE0ELNS1_11target_archE4294967295ELNS1_3gpuE0ELNS1_3repE0EEENS1_30default_config_static_selectorELNS0_4arch9wavefront6targetE1EEEvT1_,"axG",@progbits,_ZN7rocprim17ROCPRIM_400000_NS6detail17trampoline_kernelINS0_14default_configENS1_20scan_config_selectorIN3c104HalfEEEZZNS1_9scan_implILNS1_25lookback_scan_determinismE0ELb0ELb0ES3_PKS6_PS6_S6_ZZZN2at6native31launch_logcumsumexp_cuda_kernelERKNSD_10TensorBaseESH_lENKUlvE_clEvENKUlvE3_clEvEUlS6_S6_E_S6_EEDaPvRmT3_T4_T5_mT6_P12ihipStream_tbENKUlT_T0_E_clISt17integral_constantIbLb0EESY_EEDaST_SU_EUlST_E0_NS1_11comp_targetILNS1_3genE0ELNS1_11target_archE4294967295ELNS1_3gpuE0ELNS1_3repE0EEENS1_30default_config_static_selectorELNS0_4arch9wavefront6targetE1EEEvT1_,comdat
	.globl	_ZN7rocprim17ROCPRIM_400000_NS6detail17trampoline_kernelINS0_14default_configENS1_20scan_config_selectorIN3c104HalfEEEZZNS1_9scan_implILNS1_25lookback_scan_determinismE0ELb0ELb0ES3_PKS6_PS6_S6_ZZZN2at6native31launch_logcumsumexp_cuda_kernelERKNSD_10TensorBaseESH_lENKUlvE_clEvENKUlvE3_clEvEUlS6_S6_E_S6_EEDaPvRmT3_T4_T5_mT6_P12ihipStream_tbENKUlT_T0_E_clISt17integral_constantIbLb0EESY_EEDaST_SU_EUlST_E0_NS1_11comp_targetILNS1_3genE0ELNS1_11target_archE4294967295ELNS1_3gpuE0ELNS1_3repE0EEENS1_30default_config_static_selectorELNS0_4arch9wavefront6targetE1EEEvT1_ ; -- Begin function _ZN7rocprim17ROCPRIM_400000_NS6detail17trampoline_kernelINS0_14default_configENS1_20scan_config_selectorIN3c104HalfEEEZZNS1_9scan_implILNS1_25lookback_scan_determinismE0ELb0ELb0ES3_PKS6_PS6_S6_ZZZN2at6native31launch_logcumsumexp_cuda_kernelERKNSD_10TensorBaseESH_lENKUlvE_clEvENKUlvE3_clEvEUlS6_S6_E_S6_EEDaPvRmT3_T4_T5_mT6_P12ihipStream_tbENKUlT_T0_E_clISt17integral_constantIbLb0EESY_EEDaST_SU_EUlST_E0_NS1_11comp_targetILNS1_3genE0ELNS1_11target_archE4294967295ELNS1_3gpuE0ELNS1_3repE0EEENS1_30default_config_static_selectorELNS0_4arch9wavefront6targetE1EEEvT1_
	.p2align	8
	.type	_ZN7rocprim17ROCPRIM_400000_NS6detail17trampoline_kernelINS0_14default_configENS1_20scan_config_selectorIN3c104HalfEEEZZNS1_9scan_implILNS1_25lookback_scan_determinismE0ELb0ELb0ES3_PKS6_PS6_S6_ZZZN2at6native31launch_logcumsumexp_cuda_kernelERKNSD_10TensorBaseESH_lENKUlvE_clEvENKUlvE3_clEvEUlS6_S6_E_S6_EEDaPvRmT3_T4_T5_mT6_P12ihipStream_tbENKUlT_T0_E_clISt17integral_constantIbLb0EESY_EEDaST_SU_EUlST_E0_NS1_11comp_targetILNS1_3genE0ELNS1_11target_archE4294967295ELNS1_3gpuE0ELNS1_3repE0EEENS1_30default_config_static_selectorELNS0_4arch9wavefront6targetE1EEEvT1_,@function
_ZN7rocprim17ROCPRIM_400000_NS6detail17trampoline_kernelINS0_14default_configENS1_20scan_config_selectorIN3c104HalfEEEZZNS1_9scan_implILNS1_25lookback_scan_determinismE0ELb0ELb0ES3_PKS6_PS6_S6_ZZZN2at6native31launch_logcumsumexp_cuda_kernelERKNSD_10TensorBaseESH_lENKUlvE_clEvENKUlvE3_clEvEUlS6_S6_E_S6_EEDaPvRmT3_T4_T5_mT6_P12ihipStream_tbENKUlT_T0_E_clISt17integral_constantIbLb0EESY_EEDaST_SU_EUlST_E0_NS1_11comp_targetILNS1_3genE0ELNS1_11target_archE4294967295ELNS1_3gpuE0ELNS1_3repE0EEENS1_30default_config_static_selectorELNS0_4arch9wavefront6targetE1EEEvT1_: ; @_ZN7rocprim17ROCPRIM_400000_NS6detail17trampoline_kernelINS0_14default_configENS1_20scan_config_selectorIN3c104HalfEEEZZNS1_9scan_implILNS1_25lookback_scan_determinismE0ELb0ELb0ES3_PKS6_PS6_S6_ZZZN2at6native31launch_logcumsumexp_cuda_kernelERKNSD_10TensorBaseESH_lENKUlvE_clEvENKUlvE3_clEvEUlS6_S6_E_S6_EEDaPvRmT3_T4_T5_mT6_P12ihipStream_tbENKUlT_T0_E_clISt17integral_constantIbLb0EESY_EEDaST_SU_EUlST_E0_NS1_11comp_targetILNS1_3genE0ELNS1_11target_archE4294967295ELNS1_3gpuE0ELNS1_3repE0EEENS1_30default_config_static_selectorELNS0_4arch9wavefront6targetE1EEEvT1_
; %bb.0:
	.section	.rodata,"a",@progbits
	.p2align	6, 0x0
	.amdhsa_kernel _ZN7rocprim17ROCPRIM_400000_NS6detail17trampoline_kernelINS0_14default_configENS1_20scan_config_selectorIN3c104HalfEEEZZNS1_9scan_implILNS1_25lookback_scan_determinismE0ELb0ELb0ES3_PKS6_PS6_S6_ZZZN2at6native31launch_logcumsumexp_cuda_kernelERKNSD_10TensorBaseESH_lENKUlvE_clEvENKUlvE3_clEvEUlS6_S6_E_S6_EEDaPvRmT3_T4_T5_mT6_P12ihipStream_tbENKUlT_T0_E_clISt17integral_constantIbLb0EESY_EEDaST_SU_EUlST_E0_NS1_11comp_targetILNS1_3genE0ELNS1_11target_archE4294967295ELNS1_3gpuE0ELNS1_3repE0EEENS1_30default_config_static_selectorELNS0_4arch9wavefront6targetE1EEEvT1_
		.amdhsa_group_segment_fixed_size 0
		.amdhsa_private_segment_fixed_size 0
		.amdhsa_kernarg_size 32
		.amdhsa_user_sgpr_count 2
		.amdhsa_user_sgpr_dispatch_ptr 0
		.amdhsa_user_sgpr_queue_ptr 0
		.amdhsa_user_sgpr_kernarg_segment_ptr 1
		.amdhsa_user_sgpr_dispatch_id 0
		.amdhsa_user_sgpr_kernarg_preload_length 0
		.amdhsa_user_sgpr_kernarg_preload_offset 0
		.amdhsa_user_sgpr_private_segment_size 0
		.amdhsa_uses_dynamic_stack 0
		.amdhsa_enable_private_segment 0
		.amdhsa_system_sgpr_workgroup_id_x 1
		.amdhsa_system_sgpr_workgroup_id_y 0
		.amdhsa_system_sgpr_workgroup_id_z 0
		.amdhsa_system_sgpr_workgroup_info 0
		.amdhsa_system_vgpr_workitem_id 0
		.amdhsa_next_free_vgpr 1
		.amdhsa_next_free_sgpr 0
		.amdhsa_accum_offset 4
		.amdhsa_reserve_vcc 0
		.amdhsa_float_round_mode_32 0
		.amdhsa_float_round_mode_16_64 0
		.amdhsa_float_denorm_mode_32 3
		.amdhsa_float_denorm_mode_16_64 3
		.amdhsa_dx10_clamp 1
		.amdhsa_ieee_mode 1
		.amdhsa_fp16_overflow 0
		.amdhsa_tg_split 0
		.amdhsa_exception_fp_ieee_invalid_op 0
		.amdhsa_exception_fp_denorm_src 0
		.amdhsa_exception_fp_ieee_div_zero 0
		.amdhsa_exception_fp_ieee_overflow 0
		.amdhsa_exception_fp_ieee_underflow 0
		.amdhsa_exception_fp_ieee_inexact 0
		.amdhsa_exception_int_div_zero 0
	.end_amdhsa_kernel
	.section	.text._ZN7rocprim17ROCPRIM_400000_NS6detail17trampoline_kernelINS0_14default_configENS1_20scan_config_selectorIN3c104HalfEEEZZNS1_9scan_implILNS1_25lookback_scan_determinismE0ELb0ELb0ES3_PKS6_PS6_S6_ZZZN2at6native31launch_logcumsumexp_cuda_kernelERKNSD_10TensorBaseESH_lENKUlvE_clEvENKUlvE3_clEvEUlS6_S6_E_S6_EEDaPvRmT3_T4_T5_mT6_P12ihipStream_tbENKUlT_T0_E_clISt17integral_constantIbLb0EESY_EEDaST_SU_EUlST_E0_NS1_11comp_targetILNS1_3genE0ELNS1_11target_archE4294967295ELNS1_3gpuE0ELNS1_3repE0EEENS1_30default_config_static_selectorELNS0_4arch9wavefront6targetE1EEEvT1_,"axG",@progbits,_ZN7rocprim17ROCPRIM_400000_NS6detail17trampoline_kernelINS0_14default_configENS1_20scan_config_selectorIN3c104HalfEEEZZNS1_9scan_implILNS1_25lookback_scan_determinismE0ELb0ELb0ES3_PKS6_PS6_S6_ZZZN2at6native31launch_logcumsumexp_cuda_kernelERKNSD_10TensorBaseESH_lENKUlvE_clEvENKUlvE3_clEvEUlS6_S6_E_S6_EEDaPvRmT3_T4_T5_mT6_P12ihipStream_tbENKUlT_T0_E_clISt17integral_constantIbLb0EESY_EEDaST_SU_EUlST_E0_NS1_11comp_targetILNS1_3genE0ELNS1_11target_archE4294967295ELNS1_3gpuE0ELNS1_3repE0EEENS1_30default_config_static_selectorELNS0_4arch9wavefront6targetE1EEEvT1_,comdat
.Lfunc_end377:
	.size	_ZN7rocprim17ROCPRIM_400000_NS6detail17trampoline_kernelINS0_14default_configENS1_20scan_config_selectorIN3c104HalfEEEZZNS1_9scan_implILNS1_25lookback_scan_determinismE0ELb0ELb0ES3_PKS6_PS6_S6_ZZZN2at6native31launch_logcumsumexp_cuda_kernelERKNSD_10TensorBaseESH_lENKUlvE_clEvENKUlvE3_clEvEUlS6_S6_E_S6_EEDaPvRmT3_T4_T5_mT6_P12ihipStream_tbENKUlT_T0_E_clISt17integral_constantIbLb0EESY_EEDaST_SU_EUlST_E0_NS1_11comp_targetILNS1_3genE0ELNS1_11target_archE4294967295ELNS1_3gpuE0ELNS1_3repE0EEENS1_30default_config_static_selectorELNS0_4arch9wavefront6targetE1EEEvT1_, .Lfunc_end377-_ZN7rocprim17ROCPRIM_400000_NS6detail17trampoline_kernelINS0_14default_configENS1_20scan_config_selectorIN3c104HalfEEEZZNS1_9scan_implILNS1_25lookback_scan_determinismE0ELb0ELb0ES3_PKS6_PS6_S6_ZZZN2at6native31launch_logcumsumexp_cuda_kernelERKNSD_10TensorBaseESH_lENKUlvE_clEvENKUlvE3_clEvEUlS6_S6_E_S6_EEDaPvRmT3_T4_T5_mT6_P12ihipStream_tbENKUlT_T0_E_clISt17integral_constantIbLb0EESY_EEDaST_SU_EUlST_E0_NS1_11comp_targetILNS1_3genE0ELNS1_11target_archE4294967295ELNS1_3gpuE0ELNS1_3repE0EEENS1_30default_config_static_selectorELNS0_4arch9wavefront6targetE1EEEvT1_
                                        ; -- End function
	.section	.AMDGPU.csdata,"",@progbits
; Kernel info:
; codeLenInByte = 0
; NumSgprs: 6
; NumVgprs: 0
; NumAgprs: 0
; TotalNumVgprs: 0
; ScratchSize: 0
; MemoryBound: 0
; FloatMode: 240
; IeeeMode: 1
; LDSByteSize: 0 bytes/workgroup (compile time only)
; SGPRBlocks: 0
; VGPRBlocks: 0
; NumSGPRsForWavesPerEU: 6
; NumVGPRsForWavesPerEU: 1
; AccumOffset: 4
; Occupancy: 8
; WaveLimiterHint : 0
; COMPUTE_PGM_RSRC2:SCRATCH_EN: 0
; COMPUTE_PGM_RSRC2:USER_SGPR: 2
; COMPUTE_PGM_RSRC2:TRAP_HANDLER: 0
; COMPUTE_PGM_RSRC2:TGID_X_EN: 1
; COMPUTE_PGM_RSRC2:TGID_Y_EN: 0
; COMPUTE_PGM_RSRC2:TGID_Z_EN: 0
; COMPUTE_PGM_RSRC2:TIDIG_COMP_CNT: 0
; COMPUTE_PGM_RSRC3_GFX90A:ACCUM_OFFSET: 0
; COMPUTE_PGM_RSRC3_GFX90A:TG_SPLIT: 0
	.section	.text._ZN7rocprim17ROCPRIM_400000_NS6detail17trampoline_kernelINS0_14default_configENS1_20scan_config_selectorIN3c104HalfEEEZZNS1_9scan_implILNS1_25lookback_scan_determinismE0ELb0ELb0ES3_PKS6_PS6_S6_ZZZN2at6native31launch_logcumsumexp_cuda_kernelERKNSD_10TensorBaseESH_lENKUlvE_clEvENKUlvE3_clEvEUlS6_S6_E_S6_EEDaPvRmT3_T4_T5_mT6_P12ihipStream_tbENKUlT_T0_E_clISt17integral_constantIbLb0EESY_EEDaST_SU_EUlST_E0_NS1_11comp_targetILNS1_3genE5ELNS1_11target_archE942ELNS1_3gpuE9ELNS1_3repE0EEENS1_30default_config_static_selectorELNS0_4arch9wavefront6targetE1EEEvT1_,"axG",@progbits,_ZN7rocprim17ROCPRIM_400000_NS6detail17trampoline_kernelINS0_14default_configENS1_20scan_config_selectorIN3c104HalfEEEZZNS1_9scan_implILNS1_25lookback_scan_determinismE0ELb0ELb0ES3_PKS6_PS6_S6_ZZZN2at6native31launch_logcumsumexp_cuda_kernelERKNSD_10TensorBaseESH_lENKUlvE_clEvENKUlvE3_clEvEUlS6_S6_E_S6_EEDaPvRmT3_T4_T5_mT6_P12ihipStream_tbENKUlT_T0_E_clISt17integral_constantIbLb0EESY_EEDaST_SU_EUlST_E0_NS1_11comp_targetILNS1_3genE5ELNS1_11target_archE942ELNS1_3gpuE9ELNS1_3repE0EEENS1_30default_config_static_selectorELNS0_4arch9wavefront6targetE1EEEvT1_,comdat
	.globl	_ZN7rocprim17ROCPRIM_400000_NS6detail17trampoline_kernelINS0_14default_configENS1_20scan_config_selectorIN3c104HalfEEEZZNS1_9scan_implILNS1_25lookback_scan_determinismE0ELb0ELb0ES3_PKS6_PS6_S6_ZZZN2at6native31launch_logcumsumexp_cuda_kernelERKNSD_10TensorBaseESH_lENKUlvE_clEvENKUlvE3_clEvEUlS6_S6_E_S6_EEDaPvRmT3_T4_T5_mT6_P12ihipStream_tbENKUlT_T0_E_clISt17integral_constantIbLb0EESY_EEDaST_SU_EUlST_E0_NS1_11comp_targetILNS1_3genE5ELNS1_11target_archE942ELNS1_3gpuE9ELNS1_3repE0EEENS1_30default_config_static_selectorELNS0_4arch9wavefront6targetE1EEEvT1_ ; -- Begin function _ZN7rocprim17ROCPRIM_400000_NS6detail17trampoline_kernelINS0_14default_configENS1_20scan_config_selectorIN3c104HalfEEEZZNS1_9scan_implILNS1_25lookback_scan_determinismE0ELb0ELb0ES3_PKS6_PS6_S6_ZZZN2at6native31launch_logcumsumexp_cuda_kernelERKNSD_10TensorBaseESH_lENKUlvE_clEvENKUlvE3_clEvEUlS6_S6_E_S6_EEDaPvRmT3_T4_T5_mT6_P12ihipStream_tbENKUlT_T0_E_clISt17integral_constantIbLb0EESY_EEDaST_SU_EUlST_E0_NS1_11comp_targetILNS1_3genE5ELNS1_11target_archE942ELNS1_3gpuE9ELNS1_3repE0EEENS1_30default_config_static_selectorELNS0_4arch9wavefront6targetE1EEEvT1_
	.p2align	8
	.type	_ZN7rocprim17ROCPRIM_400000_NS6detail17trampoline_kernelINS0_14default_configENS1_20scan_config_selectorIN3c104HalfEEEZZNS1_9scan_implILNS1_25lookback_scan_determinismE0ELb0ELb0ES3_PKS6_PS6_S6_ZZZN2at6native31launch_logcumsumexp_cuda_kernelERKNSD_10TensorBaseESH_lENKUlvE_clEvENKUlvE3_clEvEUlS6_S6_E_S6_EEDaPvRmT3_T4_T5_mT6_P12ihipStream_tbENKUlT_T0_E_clISt17integral_constantIbLb0EESY_EEDaST_SU_EUlST_E0_NS1_11comp_targetILNS1_3genE5ELNS1_11target_archE942ELNS1_3gpuE9ELNS1_3repE0EEENS1_30default_config_static_selectorELNS0_4arch9wavefront6targetE1EEEvT1_,@function
_ZN7rocprim17ROCPRIM_400000_NS6detail17trampoline_kernelINS0_14default_configENS1_20scan_config_selectorIN3c104HalfEEEZZNS1_9scan_implILNS1_25lookback_scan_determinismE0ELb0ELb0ES3_PKS6_PS6_S6_ZZZN2at6native31launch_logcumsumexp_cuda_kernelERKNSD_10TensorBaseESH_lENKUlvE_clEvENKUlvE3_clEvEUlS6_S6_E_S6_EEDaPvRmT3_T4_T5_mT6_P12ihipStream_tbENKUlT_T0_E_clISt17integral_constantIbLb0EESY_EEDaST_SU_EUlST_E0_NS1_11comp_targetILNS1_3genE5ELNS1_11target_archE942ELNS1_3gpuE9ELNS1_3repE0EEENS1_30default_config_static_selectorELNS0_4arch9wavefront6targetE1EEEvT1_: ; @_ZN7rocprim17ROCPRIM_400000_NS6detail17trampoline_kernelINS0_14default_configENS1_20scan_config_selectorIN3c104HalfEEEZZNS1_9scan_implILNS1_25lookback_scan_determinismE0ELb0ELb0ES3_PKS6_PS6_S6_ZZZN2at6native31launch_logcumsumexp_cuda_kernelERKNSD_10TensorBaseESH_lENKUlvE_clEvENKUlvE3_clEvEUlS6_S6_E_S6_EEDaPvRmT3_T4_T5_mT6_P12ihipStream_tbENKUlT_T0_E_clISt17integral_constantIbLb0EESY_EEDaST_SU_EUlST_E0_NS1_11comp_targetILNS1_3genE5ELNS1_11target_archE942ELNS1_3gpuE9ELNS1_3repE0EEENS1_30default_config_static_selectorELNS0_4arch9wavefront6targetE1EEEvT1_
; %bb.0:
	s_load_dwordx4 s[48:51], s[0:1], 0x0
	v_mov_b32_e32 v1, 0
	v_lshlrev_b32_e32 v14, 1, v0
	s_waitcnt lgkmcnt(0)
	global_load_ushort v1, v1, s[48:49]
	v_cmp_gt_u32_e64 s[4:5], s50, v0
	s_waitcnt vmcnt(0)
	v_mov_b32_e32 v2, v1
	s_mov_b64 s[2:3], exec
                                        ; implicit-def: $vgpr53 : SGPR spill to VGPR lane
	v_writelane_b32 v53, s4, 0
	s_nop 1
	v_writelane_b32 v53, s5, 1
	s_and_b64 s[4:5], s[2:3], s[4:5]
	s_mov_b64 exec, s[4:5]
	s_cbranch_execz .LBB378_2
; %bb.1:
	global_load_ushort v2, v14, s[48:49]
.LBB378_2:
	s_or_b64 exec, exec, s[2:3]
	v_or_b32_e32 v3, 0x100, v0
	v_cmp_gt_u32_e64 s[4:5], s50, v3
	v_mov_b32_e32 v3, v1
	s_mov_b64 s[2:3], exec
	v_writelane_b32 v53, s4, 2
	s_nop 1
	v_writelane_b32 v53, s5, 3
	s_and_b64 s[4:5], s[2:3], s[4:5]
	s_mov_b64 exec, s[4:5]
	s_cbranch_execz .LBB378_4
; %bb.3:
	global_load_ushort v3, v14, s[48:49] offset:512
.LBB378_4:
	s_or_b64 exec, exec, s[2:3]
	v_or_b32_e32 v4, 0x200, v0
	v_cmp_gt_u32_e64 s[2:3], s50, v4
	v_mov_b32_e32 v4, v1
	s_nop 0
	v_writelane_b32 v53, s2, 4
	s_nop 1
	v_writelane_b32 v53, s3, 5
	s_and_saveexec_b64 s[4:5], s[2:3]
	s_cbranch_execz .LBB378_6
; %bb.5:
	global_load_ushort v4, v14, s[48:49] offset:1024
.LBB378_6:
	s_or_b64 exec, exec, s[4:5]
	v_or_b32_e32 v5, 0x300, v0
	v_cmp_gt_u32_e64 s[4:5], s50, v5
	v_mov_b32_e32 v5, v1
	s_and_saveexec_b64 s[6:7], s[4:5]
	s_cbranch_execz .LBB378_8
; %bb.7:
	global_load_ushort v5, v14, s[48:49] offset:1536
.LBB378_8:
	s_or_b64 exec, exec, s[6:7]
	v_or_b32_e32 v6, 0x400, v0
	v_cmp_gt_u32_e64 s[6:7], s50, v6
	v_mov_b32_e32 v6, v1
	;; [unrolled: 9-line block ×6, first 2 shown]
	s_and_saveexec_b64 s[16:17], s[14:15]
	s_cbranch_execz .LBB378_18
; %bb.17:
	v_lshlrev_b32_e32 v10, 1, v11
	global_load_ushort v10, v10, s[48:49]
.LBB378_18:
	s_or_b64 exec, exec, s[16:17]
	v_or_b32_e32 v12, 0x900, v0
	v_cmp_gt_u32_e64 s[16:17], s50, v12
	v_mov_b32_e32 v11, v1
	s_and_saveexec_b64 s[18:19], s[16:17]
	s_cbranch_execz .LBB378_20
; %bb.19:
	v_lshlrev_b32_e32 v11, 1, v12
	global_load_ushort v11, v11, s[48:49]
.LBB378_20:
	s_or_b64 exec, exec, s[18:19]
	v_or_b32_e32 v13, 0xa00, v0
	v_cmp_gt_u32_e64 s[18:19], s50, v13
	v_mov_b32_e32 v12, v1
	;; [unrolled: 10-line block ×14, first 2 shown]
	s_and_saveexec_b64 s[46:47], s[44:45]
	s_cbranch_execz .LBB378_46
; %bb.45:
	v_lshlrev_b32_e32 v25, 1, v26
	global_load_ushort v25, v25, s[48:49]
.LBB378_46:
	s_or_b64 exec, exec, s[46:47]
	v_or_b32_e32 v26, 0x1700, v0
	v_cmp_gt_u32_e64 s[46:47], s50, v26
	s_and_saveexec_b64 s[50:51], s[46:47]
	s_cbranch_execz .LBB378_48
; %bb.47:
	v_lshlrev_b32_e32 v1, 1, v26
	global_load_ushort v1, v1, s[48:49]
.LBB378_48:
	s_or_b64 exec, exec, s[50:51]
	s_waitcnt vmcnt(0)
	ds_write_b16 v14, v2
	ds_write_b16 v14, v3 offset:512
	ds_write_b16 v14, v4 offset:1024
	;; [unrolled: 1-line block ×23, first 2 shown]
	v_mad_u32_u24 v1, v0, 46, v14
	s_waitcnt lgkmcnt(0)
	s_barrier
	ds_read_b128 v[2:5], v1
	ds_read_b128 v[10:13], v1 offset:16
	ds_read_b128 v[6:9], v1 offset:32
	s_movk_i32 s33, 0x1f8
	s_waitcnt lgkmcnt(0)
	v_cvt_f32_f16_e32 v1, v2
	v_cvt_f32_f16_sdwa v15, v2 dst_sel:DWORD dst_unused:UNUSED_PAD src0_sel:WORD_1
	v_cmp_u_f16_e64 s[94:95], v2, v2
	v_cmp_u_f16_sdwa s[48:49], v2, v2 src0_sel:WORD_1 src1_sel:WORD_1
	v_mov_b32_e32 v32, v1
	v_min_f32_e32 v28, v1, v15
	v_cndmask_b32_e64 v16, v28, v1, s[94:95]
	v_max_f32_e32 v29, v1, v15
	v_cndmask_b32_e64 v17, v16, v15, s[48:49]
	v_cndmask_b32_e64 v16, v29, v1, s[94:95]
	;; [unrolled: 1-line block ×3, first 2 shown]
	v_cmp_neq_f32_e64 s[50:51], v17, v16
	v_cmp_class_f32_e64 s[52:53], v17, s33
	s_or_b64 s[50:51], s[50:51], s[52:53]
	v_mov_b32_e32 v30, v2
	v_mov_b32_e32 v31, v2
	s_barrier
	s_and_saveexec_b64 s[52:53], s[50:51]
	s_cbranch_execz .LBB378_50
; %bb.49:
	v_sub_f32_e32 v17, v17, v16
	s_mov_b32 s2, 0x3fb8aa3b
	v_mul_f32_e32 v18, 0x3fb8aa3b, v17
	v_fma_f32 v19, v17, s2, -v18
	v_rndne_f32_e32 v20, v18
	v_fmamk_f32 v19, v17, 0x32a5705f, v19
	v_sub_f32_e32 v18, v18, v20
	v_add_f32_e32 v18, v18, v19
	v_exp_f32_e32 v18, v18
	v_cvt_i32_f32_e32 v19, v20
	s_mov_b32 s2, 0xc2ce8ed0
	v_cmp_ngt_f32_e64 s[50:51], s2, v17
	s_mov_b32 s2, 0x42b17218
	v_ldexp_f32 v18, v18, v19
	v_cndmask_b32_e64 v18, 0, v18, s[50:51]
	v_mov_b32_e32 v19, 0x7f800000
	v_cmp_nlt_f32_e64 s[50:51], s2, v17
	s_mov_b32 s2, 0x3f2aaaab
	s_mov_b32 s3, 0x7f800000
	v_cndmask_b32_e64 v36, v19, v18, s[50:51]
	v_add_f32_e32 v17, 1.0, v36
	v_add_f32_e32 v18, -1.0, v17
	v_sub_f32_e32 v19, v18, v17
	v_add_f32_e32 v19, 1.0, v19
	v_sub_f32_e32 v18, v36, v18
	v_add_f32_e32 v20, v18, v19
	v_frexp_mant_f32_e32 v21, v17
	v_cvt_f64_f32_e32 v[18:19], v17
	v_frexp_exp_i32_f64_e32 v18, v[18:19]
	v_cmp_gt_f32_e64 s[50:51], s2, v21
	s_mov_b32 s2, 0x3f317218
	s_nop 0
	v_subbrev_co_u32_e64 v26, s[50:51], 0, v18, s[50:51]
	v_sub_u32_e32 v18, 0, v26
	v_ldexp_f32 v17, v17, v18
	v_ldexp_f32 v18, v20, v18
	v_add_f32_e32 v20, -1.0, v17
	v_add_f32_e32 v19, 1.0, v20
	v_sub_f32_e32 v19, v17, v19
	v_add_f32_e32 v21, v18, v19
	v_add_f32_e32 v19, 1.0, v17
	v_add_f32_e32 v22, -1.0, v19
	v_sub_f32_e32 v17, v17, v22
	v_add_f32_e32 v17, v18, v17
	v_add_f32_e32 v27, v19, v17
	v_rcp_f32_e32 v30, v27
	v_sub_f32_e32 v18, v19, v27
	v_add_f32_e32 v19, v20, v21
	v_add_f32_e32 v17, v17, v18
	v_mul_f32_e32 v32, v19, v30
	v_sub_f32_e32 v18, v20, v19
	v_mul_f32_e32 v20, v27, v32
	v_fma_f32 v22, v32, v27, -v20
	v_fmac_f32_e32 v22, v32, v17
	v_add_f32_e32 v31, v21, v18
	v_add_f32_e32 v18, v20, v22
	v_sub_f32_e32 v21, v19, v18
	v_pk_add_f32 v[24:25], v[18:19], v[20:21] neg_lo:[0,1] neg_hi:[0,1]
	v_mov_b32_e32 v23, v18
	v_pk_add_f32 v[18:19], v[24:25], v[22:23] neg_lo:[0,1] neg_hi:[0,1]
	v_cmp_eq_f32_e64 s[50:51], s3, v36
	v_add_f32_e32 v19, v31, v19
	v_add_f32_e32 v18, v18, v19
	;; [unrolled: 1-line block ×3, first 2 shown]
	v_mul_f32_e32 v31, v30, v19
	v_mul_f32_e32 v20, v27, v31
	v_fma_f32 v22, v31, v27, -v20
	v_fmac_f32_e32 v22, v31, v17
	v_sub_f32_e32 v17, v21, v19
	v_add_f32_e32 v17, v18, v17
	v_add_f32_e32 v18, v20, v22
	v_sub_f32_e32 v21, v19, v18
	v_pk_add_f32 v[24:25], v[18:19], v[20:21] neg_lo:[0,1] neg_hi:[0,1]
	v_mov_b32_e32 v23, v18
	v_pk_add_f32 v[18:19], v[24:25], v[22:23] neg_lo:[0,1] neg_hi:[0,1]
	v_cvt_f32_i32_e32 v20, v26
	v_add_f32_e32 v17, v17, v19
	v_add_f32_e32 v17, v18, v17
	;; [unrolled: 1-line block ×4, first 2 shown]
	v_sub_f32_e32 v19, v18, v32
	v_mul_f32_e32 v17, v30, v17
	v_sub_f32_e32 v19, v31, v19
	v_add_f32_e32 v17, v19, v17
	v_add_f32_e32 v21, v18, v17
	v_mul_f32_e32 v22, v21, v21
	v_mov_b32_e32 v19, 0x3ecc95a3
	v_fmac_f32_e32 v19, 0x3e9b6dac, v22
	v_sub_f32_e32 v18, v21, v18
	v_fmaak_f32 v19, v22, v19, 0x3f2aaada
	v_sub_f32_e32 v17, v17, v18
	v_ldexp_f32 v23, v21, 1
	v_mul_f32_e32 v21, v21, v22
	v_mov_b32_e32 v18, 0x3f317218
	v_pk_mul_f32 v[18:19], v[20:21], v[18:19]
	v_ldexp_f32 v17, v17, 1
	v_fma_f32 v21, v20, s2, -v18
	v_fmamk_f32 v22, v20, 0xb102e308, v21
	v_pk_add_f32 v[20:21], v[18:19], v[22:23]
	v_mov_b32_e32 v24, v18
	v_sub_f32_e32 v23, v21, v23
	v_sub_f32_e32 v23, v19, v23
	v_add_f32_e32 v25, v17, v23
	v_pk_add_f32 v[18:19], v[20:21], v[18:19] neg_lo:[0,1] neg_hi:[0,1]
	v_pk_add_f32 v[26:27], v[20:21], v[24:25]
	v_mov_b32_e32 v23, v20
	v_mov_b32_e32 v19, v27
	v_pk_add_f32 v[30:31], v[22:23], v[18:19] neg_lo:[0,1] neg_hi:[0,1]
	v_pk_add_f32 v[18:19], v[22:23], v[18:19]
	v_mov_b32_e32 v24, v25
	v_mov_b32_e32 v22, v19
	v_pk_add_f32 v[32:33], v[22:23], v[20:21] neg_lo:[0,1] neg_hi:[0,1]
	v_mov_b32_e32 v18, v27
	v_mov_b32_e32 v17, v32
	v_pk_add_f32 v[34:35], v[26:27], v[16:17] neg_lo:[0,1] neg_hi:[0,1]
	v_mov_b32_e32 v26, v21
	v_mov_b32_e32 v27, v32
	;; [unrolled: 1-line block ×3, first 2 shown]
	v_pk_add_f32 v[18:19], v[18:19], v[26:27] neg_lo:[0,1] neg_hi:[0,1]
	v_mov_b32_e32 v25, v20
	v_pk_add_f32 v[18:19], v[24:25], v[18:19] neg_lo:[0,1] neg_hi:[0,1]
	v_mov_b32_e32 v34, v30
	v_pk_add_f32 v[20:21], v[34:35], v[18:19]
	s_mov_b32 s2, 0x33800000
	v_mov_b32_e32 v24, v21
	v_pk_add_f32 v[24:25], v[20:21], v[24:25]
	v_cmp_lt_f32_e64 s[54:55], |v36|, s2
	v_pk_add_f32 v[22:23], v[22:23], v[24:25]
	v_mov_b32_e32 v19, v24
	v_mov_b32_e32 v21, v22
	v_pk_add_f32 v[26:27], v[20:21], v[30:31] neg_lo:[0,1] neg_hi:[0,1]
	s_or_b64 s[50:51], s[50:51], s[54:55]
	v_sub_f32_e32 v17, v20, v26
	v_pk_add_f32 v[18:19], v[18:19], v[26:27] neg_lo:[0,1] neg_hi:[0,1]
	v_sub_f32_e32 v17, v30, v17
	v_add_f32_e32 v17, v18, v17
	v_add_f32_e32 v17, v17, v19
	;; [unrolled: 1-line block ×3, first 2 shown]
	v_cndmask_b32_e64 v17, v17, v36, s[50:51]
	v_add_f32_e32 v16, v16, v17
	v_cvt_f16_f32_e32 v30, v16
	v_cvt_f32_f16_e32 v32, v30
	v_mov_b32_e32 v31, v30
.LBB378_50:
	s_or_b64 exec, exec, s[52:53]
	v_cvt_f32_f16_e32 v16, v3
	v_max_f32_e32 v17, v32, v32
	v_cmp_u_f16_e64 s[52:53], v30, v30
	v_cmp_u_f16_e64 s[50:51], v3, v3
	v_min_f32_e32 v18, v17, v16
	v_max_f32_e32 v17, v17, v16
	v_cndmask_b32_e64 v18, v18, v32, s[52:53]
	v_cndmask_b32_e64 v17, v17, v32, s[52:53]
	v_cndmask_b32_e64 v18, v18, v16, s[50:51]
	v_cndmask_b32_e64 v17, v17, v16, s[50:51]
	v_cmp_neq_f32_e64 s[52:53], v18, v17
	v_cmp_class_f32_e64 s[54:55], v18, s33
	s_or_b64 s[52:53], s[52:53], s[54:55]
	s_and_saveexec_b64 s[54:55], s[52:53]
	s_cbranch_execz .LBB378_52
; %bb.51:
	v_sub_f32_e32 v18, v18, v17
	s_mov_b32 s2, 0x3fb8aa3b
	v_mul_f32_e32 v19, 0x3fb8aa3b, v18
	v_fma_f32 v20, v18, s2, -v19
	v_rndne_f32_e32 v21, v19
	v_fmamk_f32 v20, v18, 0x32a5705f, v20
	v_sub_f32_e32 v19, v19, v21
	v_add_f32_e32 v19, v19, v20
	v_exp_f32_e32 v19, v19
	v_cvt_i32_f32_e32 v20, v21
	s_mov_b32 s2, 0xc2ce8ed0
	v_cmp_ngt_f32_e64 s[52:53], s2, v18
	s_mov_b32 s2, 0x42b17218
	v_ldexp_f32 v19, v19, v20
	v_cndmask_b32_e64 v19, 0, v19, s[52:53]
	v_mov_b32_e32 v20, 0x7f800000
	v_cmp_nlt_f32_e64 s[52:53], s2, v18
	s_mov_b32 s2, 0x3f2aaaab
	s_mov_b32 s3, 0x7f800000
	v_cndmask_b32_e64 v36, v20, v19, s[52:53]
	v_add_f32_e32 v20, 1.0, v36
	v_add_f32_e32 v18, -1.0, v20
	v_sub_f32_e32 v19, v18, v20
	v_add_f32_e32 v19, 1.0, v19
	v_sub_f32_e32 v18, v36, v18
	v_add_f32_e32 v21, v18, v19
	v_frexp_mant_f32_e32 v22, v20
	v_cvt_f64_f32_e32 v[18:19], v20
	v_frexp_exp_i32_f64_e32 v18, v[18:19]
	v_cmp_gt_f32_e64 s[52:53], s2, v22
	s_mov_b32 s2, 0x3f317218
	s_nop 0
	v_subbrev_co_u32_e64 v26, s[52:53], 0, v18, s[52:53]
	v_sub_u32_e32 v18, 0, v26
	v_ldexp_f32 v19, v20, v18
	v_add_f32_e32 v20, -1.0, v19
	v_add_f32_e32 v22, 1.0, v19
	v_ldexp_f32 v18, v21, v18
	v_add_f32_e32 v21, 1.0, v20
	v_add_f32_e32 v23, -1.0, v22
	v_sub_f32_e32 v21, v19, v21
	v_sub_f32_e32 v19, v19, v23
	v_add_f32_e32 v21, v18, v21
	v_add_f32_e32 v18, v18, v19
	;; [unrolled: 1-line block ×3, first 2 shown]
	v_rcp_f32_e32 v31, v27
	v_sub_f32_e32 v19, v22, v27
	v_add_f32_e32 v30, v18, v19
	v_add_f32_e32 v19, v20, v21
	v_mul_f32_e32 v33, v19, v31
	v_sub_f32_e32 v18, v20, v19
	v_mul_f32_e32 v20, v27, v33
	v_fma_f32 v22, v33, v27, -v20
	v_fmac_f32_e32 v22, v33, v30
	v_add_f32_e32 v32, v21, v18
	v_add_f32_e32 v18, v20, v22
	v_sub_f32_e32 v21, v19, v18
	v_pk_add_f32 v[24:25], v[18:19], v[20:21] neg_lo:[0,1] neg_hi:[0,1]
	v_mov_b32_e32 v23, v18
	v_pk_add_f32 v[18:19], v[24:25], v[22:23] neg_lo:[0,1] neg_hi:[0,1]
	v_cmp_eq_f32_e64 s[52:53], s3, v36
	v_add_f32_e32 v19, v32, v19
	v_add_f32_e32 v18, v18, v19
	;; [unrolled: 1-line block ×3, first 2 shown]
	v_mul_f32_e32 v32, v31, v19
	v_mul_f32_e32 v20, v27, v32
	v_fma_f32 v22, v32, v27, -v20
	v_fmac_f32_e32 v22, v32, v30
	v_sub_f32_e32 v21, v21, v19
	v_add_f32_e32 v27, v18, v21
	v_add_f32_e32 v18, v20, v22
	v_sub_f32_e32 v21, v19, v18
	v_pk_add_f32 v[24:25], v[18:19], v[20:21] neg_lo:[0,1] neg_hi:[0,1]
	v_mov_b32_e32 v23, v18
	v_pk_add_f32 v[18:19], v[24:25], v[22:23] neg_lo:[0,1] neg_hi:[0,1]
	v_cvt_f32_i32_e32 v20, v26
	v_add_f32_e32 v19, v27, v19
	v_add_f32_e32 v18, v18, v19
	;; [unrolled: 1-line block ×4, first 2 shown]
	v_sub_f32_e32 v19, v21, v33
	v_mul_f32_e32 v18, v31, v18
	v_sub_f32_e32 v19, v32, v19
	v_add_f32_e32 v18, v19, v18
	v_add_f32_e32 v22, v21, v18
	v_mul_f32_e32 v24, v22, v22
	v_mov_b32_e32 v19, 0x3ecc95a3
	v_sub_f32_e32 v21, v22, v21
	v_fmac_f32_e32 v19, 0x3e9b6dac, v24
	v_sub_f32_e32 v18, v18, v21
	v_fmaak_f32 v19, v24, v19, 0x3f2aaada
	v_ldexp_f32 v25, v18, 1
	v_mul_f32_e32 v21, v22, v24
	v_mov_b32_e32 v18, 0x3f317218
	v_pk_mul_f32 v[18:19], v[20:21], v[18:19]
	v_ldexp_f32 v23, v22, 1
	v_fma_f32 v21, v20, s2, -v18
	v_fmamk_f32 v22, v20, 0xb102e308, v21
	v_pk_add_f32 v[20:21], v[18:19], v[22:23]
	v_mov_b32_e32 v24, v18
	v_sub_f32_e32 v23, v21, v23
	v_sub_f32_e32 v23, v19, v23
	v_add_f32_e32 v25, v25, v23
	v_pk_add_f32 v[18:19], v[20:21], v[18:19] neg_lo:[0,1] neg_hi:[0,1]
	v_pk_add_f32 v[26:27], v[20:21], v[24:25]
	v_mov_b32_e32 v23, v20
	v_mov_b32_e32 v19, v27
	v_pk_add_f32 v[30:31], v[22:23], v[18:19] neg_lo:[0,1] neg_hi:[0,1]
	v_pk_add_f32 v[18:19], v[22:23], v[18:19]
	v_mov_b32_e32 v24, v25
	v_mov_b32_e32 v22, v19
	v_pk_add_f32 v[32:33], v[22:23], v[20:21] neg_lo:[0,1] neg_hi:[0,1]
	v_mov_b32_e32 v18, v27
	v_mov_b32_e32 v23, v32
	v_pk_add_f32 v[34:35], v[26:27], v[22:23] neg_lo:[0,1] neg_hi:[0,1]
	v_mov_b32_e32 v26, v21
	v_mov_b32_e32 v27, v32
	;; [unrolled: 1-line block ×3, first 2 shown]
	v_pk_add_f32 v[18:19], v[18:19], v[26:27] neg_lo:[0,1] neg_hi:[0,1]
	v_mov_b32_e32 v25, v20
	v_pk_add_f32 v[18:19], v[24:25], v[18:19] neg_lo:[0,1] neg_hi:[0,1]
	v_mov_b32_e32 v34, v30
	v_pk_add_f32 v[20:21], v[34:35], v[18:19]
	s_mov_b32 s2, 0x33800000
	v_mov_b32_e32 v24, v21
	v_pk_add_f32 v[24:25], v[20:21], v[24:25]
	v_cmp_lt_f32_e64 s[56:57], |v36|, s2
	v_pk_add_f32 v[22:23], v[22:23], v[24:25]
	v_mov_b32_e32 v19, v24
	v_mov_b32_e32 v21, v22
	v_pk_add_f32 v[26:27], v[20:21], v[30:31] neg_lo:[0,1] neg_hi:[0,1]
	s_or_b64 s[52:53], s[52:53], s[56:57]
	v_sub_f32_e32 v20, v20, v26
	v_pk_add_f32 v[18:19], v[18:19], v[26:27] neg_lo:[0,1] neg_hi:[0,1]
	v_sub_f32_e32 v20, v30, v20
	v_add_f32_e32 v18, v18, v20
	v_add_f32_e32 v18, v18, v19
	;; [unrolled: 1-line block ×3, first 2 shown]
	v_cndmask_b32_e64 v18, v18, v36, s[52:53]
	v_add_f32_e32 v17, v17, v18
	v_cvt_f16_f32_e32 v30, v17
	v_cvt_f32_f16_e32 v32, v30
	v_mov_b32_e32 v31, v30
.LBB378_52:
	s_or_b64 exec, exec, s[54:55]
	v_cvt_f32_f16_sdwa v17, v3 dst_sel:DWORD dst_unused:UNUSED_PAD src0_sel:WORD_1
	v_max_f32_e32 v19, v32, v32
	v_cmp_u_f16_e64 s[54:55], v30, v30
	v_cmp_u_f16_sdwa s[52:53], v3, v3 src0_sel:WORD_1 src1_sel:WORD_1
	v_min_f32_e32 v18, v19, v17
	v_max_f32_e32 v3, v19, v17
	v_cndmask_b32_e64 v18, v18, v32, s[54:55]
	v_cndmask_b32_e64 v3, v3, v32, s[54:55]
	;; [unrolled: 1-line block ×4, first 2 shown]
	v_cmp_neq_f32_e64 s[54:55], v18, v3
	v_cmp_class_f32_e64 s[56:57], v18, s33
	s_or_b64 s[54:55], s[54:55], s[56:57]
	s_and_saveexec_b64 s[56:57], s[54:55]
	s_cbranch_execz .LBB378_54
; %bb.53:
	v_sub_f32_e32 v18, v18, v3
	s_mov_b32 s2, 0x3fb8aa3b
	v_mul_f32_e32 v19, 0x3fb8aa3b, v18
	v_fma_f32 v20, v18, s2, -v19
	v_rndne_f32_e32 v21, v19
	v_fmamk_f32 v20, v18, 0x32a5705f, v20
	v_sub_f32_e32 v19, v19, v21
	v_add_f32_e32 v19, v19, v20
	v_exp_f32_e32 v19, v19
	v_cvt_i32_f32_e32 v20, v21
	s_mov_b32 s2, 0xc2ce8ed0
	v_cmp_ngt_f32_e64 s[54:55], s2, v18
	s_mov_b32 s2, 0x42b17218
	v_ldexp_f32 v19, v19, v20
	v_cndmask_b32_e64 v19, 0, v19, s[54:55]
	v_mov_b32_e32 v20, 0x7f800000
	v_cmp_nlt_f32_e64 s[54:55], s2, v18
	s_mov_b32 s2, 0x3f2aaaab
	s_mov_b32 s3, 0x7f800000
	v_cndmask_b32_e64 v36, v20, v19, s[54:55]
	v_add_f32_e32 v20, 1.0, v36
	v_add_f32_e32 v18, -1.0, v20
	v_sub_f32_e32 v19, v18, v20
	v_add_f32_e32 v19, 1.0, v19
	v_sub_f32_e32 v18, v36, v18
	v_add_f32_e32 v21, v18, v19
	v_frexp_mant_f32_e32 v22, v20
	v_cvt_f64_f32_e32 v[18:19], v20
	v_frexp_exp_i32_f64_e32 v18, v[18:19]
	v_cmp_gt_f32_e64 s[54:55], s2, v22
	s_mov_b32 s2, 0x3f317218
	s_nop 0
	v_subbrev_co_u32_e64 v26, s[54:55], 0, v18, s[54:55]
	v_sub_u32_e32 v18, 0, v26
	v_ldexp_f32 v19, v20, v18
	v_add_f32_e32 v20, -1.0, v19
	v_add_f32_e32 v22, 1.0, v19
	v_ldexp_f32 v18, v21, v18
	v_add_f32_e32 v21, 1.0, v20
	v_add_f32_e32 v23, -1.0, v22
	v_sub_f32_e32 v21, v19, v21
	v_sub_f32_e32 v19, v19, v23
	v_add_f32_e32 v21, v18, v21
	v_add_f32_e32 v18, v18, v19
	;; [unrolled: 1-line block ×3, first 2 shown]
	v_rcp_f32_e32 v31, v27
	v_sub_f32_e32 v19, v22, v27
	v_add_f32_e32 v30, v18, v19
	v_add_f32_e32 v19, v20, v21
	v_mul_f32_e32 v33, v19, v31
	v_sub_f32_e32 v18, v20, v19
	v_mul_f32_e32 v20, v27, v33
	v_fma_f32 v22, v33, v27, -v20
	v_fmac_f32_e32 v22, v33, v30
	v_add_f32_e32 v32, v21, v18
	v_add_f32_e32 v18, v20, v22
	v_sub_f32_e32 v21, v19, v18
	v_pk_add_f32 v[24:25], v[18:19], v[20:21] neg_lo:[0,1] neg_hi:[0,1]
	v_mov_b32_e32 v23, v18
	v_pk_add_f32 v[18:19], v[24:25], v[22:23] neg_lo:[0,1] neg_hi:[0,1]
	v_cmp_eq_f32_e64 s[54:55], s3, v36
	v_add_f32_e32 v19, v32, v19
	v_add_f32_e32 v18, v18, v19
	;; [unrolled: 1-line block ×3, first 2 shown]
	v_mul_f32_e32 v32, v31, v19
	v_mul_f32_e32 v20, v27, v32
	v_fma_f32 v22, v32, v27, -v20
	v_fmac_f32_e32 v22, v32, v30
	v_sub_f32_e32 v21, v21, v19
	v_add_f32_e32 v27, v18, v21
	v_add_f32_e32 v18, v20, v22
	v_sub_f32_e32 v21, v19, v18
	v_pk_add_f32 v[24:25], v[18:19], v[20:21] neg_lo:[0,1] neg_hi:[0,1]
	v_mov_b32_e32 v23, v18
	v_pk_add_f32 v[18:19], v[24:25], v[22:23] neg_lo:[0,1] neg_hi:[0,1]
	v_cvt_f32_i32_e32 v20, v26
	v_add_f32_e32 v19, v27, v19
	v_add_f32_e32 v18, v18, v19
	;; [unrolled: 1-line block ×4, first 2 shown]
	v_sub_f32_e32 v19, v21, v33
	v_mul_f32_e32 v18, v31, v18
	v_sub_f32_e32 v19, v32, v19
	v_add_f32_e32 v18, v19, v18
	v_add_f32_e32 v22, v21, v18
	v_mul_f32_e32 v24, v22, v22
	v_mov_b32_e32 v19, 0x3ecc95a3
	v_sub_f32_e32 v21, v22, v21
	v_fmac_f32_e32 v19, 0x3e9b6dac, v24
	v_sub_f32_e32 v18, v18, v21
	v_fmaak_f32 v19, v24, v19, 0x3f2aaada
	v_ldexp_f32 v25, v18, 1
	v_mul_f32_e32 v21, v22, v24
	v_mov_b32_e32 v18, 0x3f317218
	v_pk_mul_f32 v[18:19], v[20:21], v[18:19]
	v_ldexp_f32 v23, v22, 1
	v_fma_f32 v21, v20, s2, -v18
	v_fmamk_f32 v22, v20, 0xb102e308, v21
	v_pk_add_f32 v[20:21], v[18:19], v[22:23]
	v_mov_b32_e32 v24, v18
	v_sub_f32_e32 v23, v21, v23
	v_sub_f32_e32 v23, v19, v23
	v_add_f32_e32 v25, v25, v23
	v_pk_add_f32 v[18:19], v[20:21], v[18:19] neg_lo:[0,1] neg_hi:[0,1]
	v_pk_add_f32 v[26:27], v[20:21], v[24:25]
	v_mov_b32_e32 v23, v20
	v_mov_b32_e32 v19, v27
	v_pk_add_f32 v[30:31], v[22:23], v[18:19] neg_lo:[0,1] neg_hi:[0,1]
	v_pk_add_f32 v[18:19], v[22:23], v[18:19]
	v_mov_b32_e32 v24, v25
	v_mov_b32_e32 v22, v19
	v_pk_add_f32 v[32:33], v[22:23], v[20:21] neg_lo:[0,1] neg_hi:[0,1]
	v_mov_b32_e32 v18, v27
	v_mov_b32_e32 v23, v32
	v_pk_add_f32 v[34:35], v[26:27], v[22:23] neg_lo:[0,1] neg_hi:[0,1]
	v_mov_b32_e32 v26, v21
	v_mov_b32_e32 v27, v32
	;; [unrolled: 1-line block ×3, first 2 shown]
	v_pk_add_f32 v[18:19], v[18:19], v[26:27] neg_lo:[0,1] neg_hi:[0,1]
	v_mov_b32_e32 v25, v20
	v_pk_add_f32 v[18:19], v[24:25], v[18:19] neg_lo:[0,1] neg_hi:[0,1]
	v_mov_b32_e32 v34, v30
	v_pk_add_f32 v[20:21], v[34:35], v[18:19]
	s_mov_b32 s2, 0x33800000
	v_mov_b32_e32 v24, v21
	v_pk_add_f32 v[24:25], v[20:21], v[24:25]
	v_cmp_lt_f32_e64 s[58:59], |v36|, s2
	v_pk_add_f32 v[22:23], v[22:23], v[24:25]
	v_mov_b32_e32 v19, v24
	v_mov_b32_e32 v21, v22
	v_pk_add_f32 v[26:27], v[20:21], v[30:31] neg_lo:[0,1] neg_hi:[0,1]
	s_or_b64 s[54:55], s[54:55], s[58:59]
	v_sub_f32_e32 v20, v20, v26
	v_pk_add_f32 v[18:19], v[18:19], v[26:27] neg_lo:[0,1] neg_hi:[0,1]
	v_sub_f32_e32 v20, v30, v20
	v_add_f32_e32 v18, v18, v20
	v_add_f32_e32 v18, v18, v19
	;; [unrolled: 1-line block ×3, first 2 shown]
	v_cndmask_b32_e64 v18, v18, v36, s[54:55]
	v_add_f32_e32 v3, v3, v18
	v_cvt_f16_f32_e32 v30, v3
	v_cvt_f32_f16_e32 v32, v30
	v_mov_b32_e32 v31, v30
.LBB378_54:
	s_or_b64 exec, exec, s[56:57]
	v_cvt_f32_f16_e32 v3, v4
	v_max_f32_e32 v18, v32, v32
	v_cmp_u_f16_e64 s[56:57], v30, v30
	v_cmp_u_f16_e64 s[54:55], v4, v4
	v_min_f32_e32 v19, v18, v3
	v_max_f32_e32 v18, v18, v3
	v_cndmask_b32_e64 v19, v19, v32, s[56:57]
	v_cndmask_b32_e64 v18, v18, v32, s[56:57]
	;; [unrolled: 1-line block ×4, first 2 shown]
	v_cmp_neq_f32_e64 s[56:57], v19, v18
	v_cmp_class_f32_e64 s[58:59], v19, s33
	s_or_b64 s[56:57], s[56:57], s[58:59]
	s_and_saveexec_b64 s[58:59], s[56:57]
	s_cbranch_execz .LBB378_56
; %bb.55:
	v_sub_f32_e32 v19, v19, v18
	s_mov_b32 s2, 0x3fb8aa3b
	v_mul_f32_e32 v20, 0x3fb8aa3b, v19
	v_fma_f32 v21, v19, s2, -v20
	v_rndne_f32_e32 v22, v20
	v_fmamk_f32 v21, v19, 0x32a5705f, v21
	v_sub_f32_e32 v20, v20, v22
	v_add_f32_e32 v20, v20, v21
	v_exp_f32_e32 v20, v20
	v_cvt_i32_f32_e32 v21, v22
	s_mov_b32 s2, 0xc2ce8ed0
	v_cmp_ngt_f32_e64 s[56:57], s2, v19
	s_mov_b32 s2, 0x42b17218
	v_ldexp_f32 v20, v20, v21
	v_cndmask_b32_e64 v20, 0, v20, s[56:57]
	v_mov_b32_e32 v21, 0x7f800000
	v_cmp_nlt_f32_e64 s[56:57], s2, v19
	s_mov_b32 s2, 0x3f2aaaab
	s_mov_b32 s3, 0x7f800000
	v_cndmask_b32_e64 v38, v21, v20, s[56:57]
	v_add_f32_e32 v19, 1.0, v38
	v_add_f32_e32 v20, -1.0, v19
	v_sub_f32_e32 v21, v20, v19
	v_add_f32_e32 v21, 1.0, v21
	v_sub_f32_e32 v20, v38, v20
	v_add_f32_e32 v22, v20, v21
	v_frexp_mant_f32_e32 v23, v19
	v_cvt_f64_f32_e32 v[20:21], v19
	v_frexp_exp_i32_f64_e32 v20, v[20:21]
	v_cmp_gt_f32_e64 s[56:57], s2, v23
	s_mov_b32 s2, 0x3f317218
	s_nop 0
	v_subbrev_co_u32_e64 v30, s[56:57], 0, v20, s[56:57]
	v_sub_u32_e32 v20, 0, v30
	v_ldexp_f32 v19, v19, v20
	v_ldexp_f32 v20, v22, v20
	v_add_f32_e32 v22, -1.0, v19
	v_add_f32_e32 v21, 1.0, v22
	v_sub_f32_e32 v21, v19, v21
	v_add_f32_e32 v23, v20, v21
	v_add_f32_e32 v21, 1.0, v19
	v_add_f32_e32 v24, -1.0, v21
	v_sub_f32_e32 v19, v19, v24
	v_add_f32_e32 v19, v20, v19
	v_add_f32_e32 v31, v21, v19
	v_rcp_f32_e32 v32, v31
	v_sub_f32_e32 v20, v21, v31
	v_add_f32_e32 v21, v22, v23
	v_add_f32_e32 v19, v19, v20
	v_mul_f32_e32 v34, v21, v32
	v_sub_f32_e32 v20, v22, v21
	v_mul_f32_e32 v22, v31, v34
	v_fma_f32 v24, v34, v31, -v22
	v_fmac_f32_e32 v24, v34, v19
	v_add_f32_e32 v33, v23, v20
	v_add_f32_e32 v20, v22, v24
	v_sub_f32_e32 v23, v21, v20
	v_pk_add_f32 v[26:27], v[20:21], v[22:23] neg_lo:[0,1] neg_hi:[0,1]
	v_mov_b32_e32 v25, v20
	v_pk_add_f32 v[20:21], v[26:27], v[24:25] neg_lo:[0,1] neg_hi:[0,1]
	v_cmp_eq_f32_e64 s[56:57], s3, v38
	v_add_f32_e32 v21, v33, v21
	v_add_f32_e32 v20, v20, v21
	;; [unrolled: 1-line block ×3, first 2 shown]
	v_mul_f32_e32 v33, v32, v21
	v_mul_f32_e32 v22, v31, v33
	v_fma_f32 v24, v33, v31, -v22
	v_fmac_f32_e32 v24, v33, v19
	v_sub_f32_e32 v19, v23, v21
	v_add_f32_e32 v19, v20, v19
	v_add_f32_e32 v20, v22, v24
	v_sub_f32_e32 v23, v21, v20
	v_pk_add_f32 v[26:27], v[20:21], v[22:23] neg_lo:[0,1] neg_hi:[0,1]
	v_mov_b32_e32 v25, v20
	v_pk_add_f32 v[20:21], v[26:27], v[24:25] neg_lo:[0,1] neg_hi:[0,1]
	v_cvt_f32_i32_e32 v22, v30
	v_add_f32_e32 v19, v19, v21
	v_add_f32_e32 v19, v20, v19
	;; [unrolled: 1-line block ×4, first 2 shown]
	v_sub_f32_e32 v21, v20, v34
	v_mul_f32_e32 v19, v32, v19
	v_sub_f32_e32 v21, v33, v21
	v_add_f32_e32 v19, v21, v19
	v_add_f32_e32 v23, v20, v19
	v_mul_f32_e32 v24, v23, v23
	v_mov_b32_e32 v21, 0x3ecc95a3
	v_fmac_f32_e32 v21, 0x3e9b6dac, v24
	v_sub_f32_e32 v20, v23, v20
	v_fmaak_f32 v21, v24, v21, 0x3f2aaada
	v_sub_f32_e32 v19, v19, v20
	v_ldexp_f32 v25, v23, 1
	v_mul_f32_e32 v23, v23, v24
	v_mov_b32_e32 v20, 0x3f317218
	v_pk_mul_f32 v[20:21], v[22:23], v[20:21]
	v_ldexp_f32 v19, v19, 1
	v_fma_f32 v23, v22, s2, -v20
	v_fmamk_f32 v24, v22, 0xb102e308, v23
	v_pk_add_f32 v[22:23], v[20:21], v[24:25]
	v_mov_b32_e32 v26, v20
	v_sub_f32_e32 v25, v23, v25
	v_sub_f32_e32 v25, v21, v25
	v_add_f32_e32 v27, v19, v25
	v_pk_add_f32 v[20:21], v[22:23], v[20:21] neg_lo:[0,1] neg_hi:[0,1]
	v_pk_add_f32 v[30:31], v[22:23], v[26:27]
	v_mov_b32_e32 v25, v22
	v_mov_b32_e32 v21, v31
	v_pk_add_f32 v[32:33], v[24:25], v[20:21] neg_lo:[0,1] neg_hi:[0,1]
	v_pk_add_f32 v[20:21], v[24:25], v[20:21]
	v_mov_b32_e32 v26, v27
	v_mov_b32_e32 v24, v21
	v_pk_add_f32 v[34:35], v[24:25], v[22:23] neg_lo:[0,1] neg_hi:[0,1]
	v_mov_b32_e32 v20, v31
	v_mov_b32_e32 v19, v34
	v_pk_add_f32 v[36:37], v[30:31], v[18:19] neg_lo:[0,1] neg_hi:[0,1]
	v_mov_b32_e32 v30, v23
	v_mov_b32_e32 v31, v34
	;; [unrolled: 1-line block ×3, first 2 shown]
	v_pk_add_f32 v[20:21], v[20:21], v[30:31] neg_lo:[0,1] neg_hi:[0,1]
	v_mov_b32_e32 v27, v22
	v_pk_add_f32 v[20:21], v[26:27], v[20:21] neg_lo:[0,1] neg_hi:[0,1]
	v_mov_b32_e32 v36, v32
	v_pk_add_f32 v[22:23], v[36:37], v[20:21]
	s_mov_b32 s2, 0x33800000
	v_mov_b32_e32 v26, v23
	v_pk_add_f32 v[26:27], v[22:23], v[26:27]
	v_cmp_lt_f32_e64 s[60:61], |v38|, s2
	v_pk_add_f32 v[24:25], v[24:25], v[26:27]
	v_mov_b32_e32 v21, v26
	v_mov_b32_e32 v23, v24
	v_pk_add_f32 v[30:31], v[22:23], v[32:33] neg_lo:[0,1] neg_hi:[0,1]
	s_or_b64 s[56:57], s[56:57], s[60:61]
	v_sub_f32_e32 v19, v22, v30
	v_pk_add_f32 v[20:21], v[20:21], v[30:31] neg_lo:[0,1] neg_hi:[0,1]
	v_sub_f32_e32 v19, v32, v19
	v_add_f32_e32 v19, v20, v19
	v_add_f32_e32 v19, v19, v21
	;; [unrolled: 1-line block ×3, first 2 shown]
	v_cndmask_b32_e64 v19, v19, v38, s[56:57]
	v_add_f32_e32 v18, v18, v19
	v_cvt_f16_f32_e32 v30, v18
	v_cvt_f32_f16_e32 v32, v30
	v_mov_b32_e32 v31, v30
.LBB378_56:
	s_or_b64 exec, exec, s[58:59]
	v_cvt_f32_f16_sdwa v18, v4 dst_sel:DWORD dst_unused:UNUSED_PAD src0_sel:WORD_1
	v_max_f32_e32 v20, v32, v32
	v_cmp_u_f16_e64 s[58:59], v30, v30
	v_cmp_u_f16_sdwa s[56:57], v4, v4 src0_sel:WORD_1 src1_sel:WORD_1
	v_min_f32_e32 v19, v20, v18
	v_max_f32_e32 v4, v20, v18
	v_cndmask_b32_e64 v19, v19, v32, s[58:59]
	v_cndmask_b32_e64 v4, v4, v32, s[58:59]
	;; [unrolled: 1-line block ×4, first 2 shown]
	v_cmp_neq_f32_e64 s[58:59], v19, v4
	v_cmp_class_f32_e64 s[60:61], v19, s33
	s_or_b64 s[58:59], s[58:59], s[60:61]
	s_and_saveexec_b64 s[60:61], s[58:59]
	s_cbranch_execz .LBB378_58
; %bb.57:
	v_sub_f32_e32 v19, v19, v4
	s_mov_b32 s2, 0x3fb8aa3b
	v_mul_f32_e32 v20, 0x3fb8aa3b, v19
	v_fma_f32 v21, v19, s2, -v20
	v_rndne_f32_e32 v22, v20
	v_fmamk_f32 v21, v19, 0x32a5705f, v21
	v_sub_f32_e32 v20, v20, v22
	v_add_f32_e32 v20, v20, v21
	v_exp_f32_e32 v20, v20
	v_cvt_i32_f32_e32 v21, v22
	s_mov_b32 s2, 0xc2ce8ed0
	v_cmp_ngt_f32_e64 s[58:59], s2, v19
	s_mov_b32 s2, 0x42b17218
	v_ldexp_f32 v20, v20, v21
	v_cndmask_b32_e64 v20, 0, v20, s[58:59]
	v_mov_b32_e32 v21, 0x7f800000
	v_cmp_nlt_f32_e64 s[58:59], s2, v19
	s_mov_b32 s2, 0x3f2aaaab
	s_mov_b32 s3, 0x7f800000
	v_cndmask_b32_e64 v38, v21, v20, s[58:59]
	v_add_f32_e32 v19, 1.0, v38
	v_add_f32_e32 v20, -1.0, v19
	v_sub_f32_e32 v21, v20, v19
	v_add_f32_e32 v21, 1.0, v21
	v_sub_f32_e32 v20, v38, v20
	v_add_f32_e32 v22, v20, v21
	v_frexp_mant_f32_e32 v23, v19
	v_cvt_f64_f32_e32 v[20:21], v19
	v_frexp_exp_i32_f64_e32 v20, v[20:21]
	v_cmp_gt_f32_e64 s[58:59], s2, v23
	s_mov_b32 s2, 0x3f317218
	s_nop 0
	v_subbrev_co_u32_e64 v30, s[58:59], 0, v20, s[58:59]
	v_sub_u32_e32 v20, 0, v30
	v_ldexp_f32 v19, v19, v20
	v_ldexp_f32 v20, v22, v20
	v_add_f32_e32 v22, -1.0, v19
	v_add_f32_e32 v21, 1.0, v22
	v_sub_f32_e32 v21, v19, v21
	v_add_f32_e32 v23, v20, v21
	v_add_f32_e32 v21, 1.0, v19
	v_add_f32_e32 v24, -1.0, v21
	v_sub_f32_e32 v19, v19, v24
	v_add_f32_e32 v19, v20, v19
	v_add_f32_e32 v31, v21, v19
	v_rcp_f32_e32 v32, v31
	v_sub_f32_e32 v20, v21, v31
	v_add_f32_e32 v21, v22, v23
	v_add_f32_e32 v19, v19, v20
	v_mul_f32_e32 v34, v21, v32
	v_sub_f32_e32 v20, v22, v21
	v_mul_f32_e32 v22, v31, v34
	v_fma_f32 v24, v34, v31, -v22
	v_fmac_f32_e32 v24, v34, v19
	v_add_f32_e32 v33, v23, v20
	v_add_f32_e32 v20, v22, v24
	v_sub_f32_e32 v23, v21, v20
	v_pk_add_f32 v[26:27], v[20:21], v[22:23] neg_lo:[0,1] neg_hi:[0,1]
	v_mov_b32_e32 v25, v20
	v_pk_add_f32 v[20:21], v[26:27], v[24:25] neg_lo:[0,1] neg_hi:[0,1]
	v_cmp_eq_f32_e64 s[58:59], s3, v38
	v_add_f32_e32 v21, v33, v21
	v_add_f32_e32 v20, v20, v21
	;; [unrolled: 1-line block ×3, first 2 shown]
	v_mul_f32_e32 v33, v32, v21
	v_mul_f32_e32 v22, v31, v33
	v_fma_f32 v24, v33, v31, -v22
	v_fmac_f32_e32 v24, v33, v19
	v_sub_f32_e32 v19, v23, v21
	v_add_f32_e32 v19, v20, v19
	v_add_f32_e32 v20, v22, v24
	v_sub_f32_e32 v23, v21, v20
	v_pk_add_f32 v[26:27], v[20:21], v[22:23] neg_lo:[0,1] neg_hi:[0,1]
	v_mov_b32_e32 v25, v20
	v_pk_add_f32 v[20:21], v[26:27], v[24:25] neg_lo:[0,1] neg_hi:[0,1]
	v_cvt_f32_i32_e32 v22, v30
	v_add_f32_e32 v19, v19, v21
	v_add_f32_e32 v19, v20, v19
	;; [unrolled: 1-line block ×4, first 2 shown]
	v_sub_f32_e32 v21, v20, v34
	v_mul_f32_e32 v19, v32, v19
	v_sub_f32_e32 v21, v33, v21
	v_add_f32_e32 v19, v21, v19
	v_add_f32_e32 v23, v20, v19
	v_mul_f32_e32 v24, v23, v23
	v_mov_b32_e32 v21, 0x3ecc95a3
	v_fmac_f32_e32 v21, 0x3e9b6dac, v24
	v_sub_f32_e32 v20, v23, v20
	v_fmaak_f32 v21, v24, v21, 0x3f2aaada
	v_sub_f32_e32 v19, v19, v20
	v_ldexp_f32 v25, v23, 1
	v_mul_f32_e32 v23, v23, v24
	v_mov_b32_e32 v20, 0x3f317218
	v_pk_mul_f32 v[20:21], v[22:23], v[20:21]
	v_ldexp_f32 v19, v19, 1
	v_fma_f32 v23, v22, s2, -v20
	v_fmamk_f32 v24, v22, 0xb102e308, v23
	v_pk_add_f32 v[22:23], v[20:21], v[24:25]
	v_mov_b32_e32 v26, v20
	v_sub_f32_e32 v25, v23, v25
	v_sub_f32_e32 v25, v21, v25
	v_add_f32_e32 v27, v19, v25
	v_pk_add_f32 v[20:21], v[22:23], v[20:21] neg_lo:[0,1] neg_hi:[0,1]
	v_pk_add_f32 v[30:31], v[22:23], v[26:27]
	v_mov_b32_e32 v25, v22
	v_mov_b32_e32 v21, v31
	v_pk_add_f32 v[32:33], v[24:25], v[20:21] neg_lo:[0,1] neg_hi:[0,1]
	v_pk_add_f32 v[20:21], v[24:25], v[20:21]
	v_mov_b32_e32 v26, v27
	v_mov_b32_e32 v24, v21
	v_pk_add_f32 v[34:35], v[24:25], v[22:23] neg_lo:[0,1] neg_hi:[0,1]
	v_mov_b32_e32 v20, v31
	v_mov_b32_e32 v19, v34
	v_pk_add_f32 v[36:37], v[30:31], v[18:19] neg_lo:[0,1] neg_hi:[0,1]
	v_mov_b32_e32 v30, v23
	v_mov_b32_e32 v31, v34
	;; [unrolled: 1-line block ×3, first 2 shown]
	v_pk_add_f32 v[20:21], v[20:21], v[30:31] neg_lo:[0,1] neg_hi:[0,1]
	v_mov_b32_e32 v27, v22
	v_pk_add_f32 v[20:21], v[26:27], v[20:21] neg_lo:[0,1] neg_hi:[0,1]
	v_mov_b32_e32 v36, v32
	v_pk_add_f32 v[22:23], v[36:37], v[20:21]
	s_mov_b32 s2, 0x33800000
	v_mov_b32_e32 v26, v23
	v_pk_add_f32 v[26:27], v[22:23], v[26:27]
	v_cmp_lt_f32_e64 s[62:63], |v38|, s2
	v_pk_add_f32 v[24:25], v[24:25], v[26:27]
	v_mov_b32_e32 v21, v26
	v_mov_b32_e32 v23, v24
	v_pk_add_f32 v[30:31], v[22:23], v[32:33] neg_lo:[0,1] neg_hi:[0,1]
	s_or_b64 s[58:59], s[58:59], s[62:63]
	v_sub_f32_e32 v19, v22, v30
	v_pk_add_f32 v[20:21], v[20:21], v[30:31] neg_lo:[0,1] neg_hi:[0,1]
	v_sub_f32_e32 v19, v32, v19
	v_add_f32_e32 v19, v20, v19
	v_add_f32_e32 v19, v19, v21
	;; [unrolled: 1-line block ×3, first 2 shown]
	v_cndmask_b32_e64 v19, v19, v38, s[58:59]
	v_add_f32_e32 v4, v4, v19
	v_cvt_f16_f32_e32 v30, v4
	v_cvt_f32_f16_e32 v32, v30
	v_mov_b32_e32 v31, v30
.LBB378_58:
	s_or_b64 exec, exec, s[60:61]
	v_cvt_f32_f16_e32 v4, v5
	v_max_f32_e32 v19, v32, v32
	v_cmp_u_f16_e64 s[60:61], v30, v30
	v_cmp_u_f16_e64 s[58:59], v5, v5
	v_min_f32_e32 v20, v19, v4
	v_max_f32_e32 v19, v19, v4
	v_cndmask_b32_e64 v20, v20, v32, s[60:61]
	v_cndmask_b32_e64 v19, v19, v32, s[60:61]
	;; [unrolled: 1-line block ×4, first 2 shown]
	v_cmp_neq_f32_e64 s[60:61], v20, v19
	v_cmp_class_f32_e64 s[62:63], v20, s33
	s_or_b64 s[60:61], s[60:61], s[62:63]
	s_and_saveexec_b64 s[62:63], s[60:61]
	s_cbranch_execz .LBB378_60
; %bb.59:
	v_sub_f32_e32 v20, v20, v19
	s_mov_b32 s2, 0x3fb8aa3b
	v_mul_f32_e32 v21, 0x3fb8aa3b, v20
	v_fma_f32 v22, v20, s2, -v21
	v_rndne_f32_e32 v23, v21
	v_fmamk_f32 v22, v20, 0x32a5705f, v22
	v_sub_f32_e32 v21, v21, v23
	v_add_f32_e32 v21, v21, v22
	v_exp_f32_e32 v21, v21
	v_cvt_i32_f32_e32 v22, v23
	s_mov_b32 s2, 0xc2ce8ed0
	v_cmp_ngt_f32_e64 s[60:61], s2, v20
	s_mov_b32 s2, 0x42b17218
	v_ldexp_f32 v21, v21, v22
	v_cndmask_b32_e64 v21, 0, v21, s[60:61]
	v_mov_b32_e32 v22, 0x7f800000
	v_cmp_nlt_f32_e64 s[60:61], s2, v20
	s_mov_b32 s2, 0x3f2aaaab
	s_mov_b32 s3, 0x7f800000
	v_cndmask_b32_e64 v38, v22, v21, s[60:61]
	v_add_f32_e32 v22, 1.0, v38
	v_add_f32_e32 v20, -1.0, v22
	v_sub_f32_e32 v21, v20, v22
	v_add_f32_e32 v21, 1.0, v21
	v_sub_f32_e32 v20, v38, v20
	v_add_f32_e32 v23, v20, v21
	v_frexp_mant_f32_e32 v24, v22
	v_cvt_f64_f32_e32 v[20:21], v22
	v_frexp_exp_i32_f64_e32 v20, v[20:21]
	v_cmp_gt_f32_e64 s[60:61], s2, v24
	s_mov_b32 s2, 0x3f317218
	s_nop 0
	v_subbrev_co_u32_e64 v30, s[60:61], 0, v20, s[60:61]
	v_sub_u32_e32 v20, 0, v30
	v_ldexp_f32 v21, v22, v20
	v_add_f32_e32 v22, -1.0, v21
	v_add_f32_e32 v24, 1.0, v21
	v_ldexp_f32 v20, v23, v20
	v_add_f32_e32 v23, 1.0, v22
	v_add_f32_e32 v25, -1.0, v24
	v_sub_f32_e32 v23, v21, v23
	v_sub_f32_e32 v21, v21, v25
	v_add_f32_e32 v23, v20, v23
	v_add_f32_e32 v20, v20, v21
	;; [unrolled: 1-line block ×3, first 2 shown]
	v_rcp_f32_e32 v33, v31
	v_sub_f32_e32 v21, v24, v31
	v_add_f32_e32 v32, v20, v21
	v_add_f32_e32 v21, v22, v23
	v_mul_f32_e32 v35, v21, v33
	v_sub_f32_e32 v20, v22, v21
	v_mul_f32_e32 v22, v31, v35
	v_fma_f32 v24, v35, v31, -v22
	v_fmac_f32_e32 v24, v35, v32
	v_add_f32_e32 v34, v23, v20
	v_add_f32_e32 v20, v22, v24
	v_sub_f32_e32 v23, v21, v20
	v_pk_add_f32 v[26:27], v[20:21], v[22:23] neg_lo:[0,1] neg_hi:[0,1]
	v_mov_b32_e32 v25, v20
	v_pk_add_f32 v[20:21], v[26:27], v[24:25] neg_lo:[0,1] neg_hi:[0,1]
	v_cmp_eq_f32_e64 s[60:61], s3, v38
	v_add_f32_e32 v21, v34, v21
	v_add_f32_e32 v20, v20, v21
	;; [unrolled: 1-line block ×3, first 2 shown]
	v_mul_f32_e32 v34, v33, v21
	v_mul_f32_e32 v22, v31, v34
	v_fma_f32 v24, v34, v31, -v22
	v_fmac_f32_e32 v24, v34, v32
	v_sub_f32_e32 v23, v23, v21
	v_add_f32_e32 v31, v20, v23
	v_add_f32_e32 v20, v22, v24
	v_sub_f32_e32 v23, v21, v20
	v_pk_add_f32 v[26:27], v[20:21], v[22:23] neg_lo:[0,1] neg_hi:[0,1]
	v_mov_b32_e32 v25, v20
	v_pk_add_f32 v[20:21], v[26:27], v[24:25] neg_lo:[0,1] neg_hi:[0,1]
	v_cvt_f32_i32_e32 v22, v30
	v_add_f32_e32 v21, v31, v21
	v_add_f32_e32 v20, v20, v21
	;; [unrolled: 1-line block ×4, first 2 shown]
	v_sub_f32_e32 v21, v23, v35
	v_mul_f32_e32 v20, v33, v20
	v_sub_f32_e32 v21, v34, v21
	v_add_f32_e32 v20, v21, v20
	v_add_f32_e32 v24, v23, v20
	v_mul_f32_e32 v26, v24, v24
	v_mov_b32_e32 v21, 0x3ecc95a3
	v_sub_f32_e32 v23, v24, v23
	v_fmac_f32_e32 v21, 0x3e9b6dac, v26
	v_sub_f32_e32 v20, v20, v23
	v_fmaak_f32 v21, v26, v21, 0x3f2aaada
	v_ldexp_f32 v27, v20, 1
	v_mul_f32_e32 v23, v24, v26
	v_mov_b32_e32 v20, 0x3f317218
	v_pk_mul_f32 v[20:21], v[22:23], v[20:21]
	v_ldexp_f32 v25, v24, 1
	v_fma_f32 v23, v22, s2, -v20
	v_fmamk_f32 v24, v22, 0xb102e308, v23
	v_pk_add_f32 v[22:23], v[20:21], v[24:25]
	v_mov_b32_e32 v26, v20
	v_sub_f32_e32 v25, v23, v25
	v_sub_f32_e32 v25, v21, v25
	v_add_f32_e32 v27, v27, v25
	v_pk_add_f32 v[20:21], v[22:23], v[20:21] neg_lo:[0,1] neg_hi:[0,1]
	v_pk_add_f32 v[30:31], v[22:23], v[26:27]
	v_mov_b32_e32 v25, v22
	v_mov_b32_e32 v21, v31
	v_pk_add_f32 v[32:33], v[24:25], v[20:21] neg_lo:[0,1] neg_hi:[0,1]
	v_pk_add_f32 v[20:21], v[24:25], v[20:21]
	v_mov_b32_e32 v26, v27
	v_mov_b32_e32 v24, v21
	v_pk_add_f32 v[34:35], v[24:25], v[22:23] neg_lo:[0,1] neg_hi:[0,1]
	v_mov_b32_e32 v20, v31
	v_mov_b32_e32 v25, v34
	v_pk_add_f32 v[36:37], v[30:31], v[24:25] neg_lo:[0,1] neg_hi:[0,1]
	v_mov_b32_e32 v30, v23
	v_mov_b32_e32 v31, v34
	;; [unrolled: 1-line block ×3, first 2 shown]
	v_pk_add_f32 v[20:21], v[20:21], v[30:31] neg_lo:[0,1] neg_hi:[0,1]
	v_mov_b32_e32 v27, v22
	v_pk_add_f32 v[20:21], v[26:27], v[20:21] neg_lo:[0,1] neg_hi:[0,1]
	v_mov_b32_e32 v36, v32
	v_pk_add_f32 v[22:23], v[36:37], v[20:21]
	s_mov_b32 s2, 0x33800000
	v_mov_b32_e32 v26, v23
	v_pk_add_f32 v[26:27], v[22:23], v[26:27]
	v_cmp_lt_f32_e64 s[64:65], |v38|, s2
	v_pk_add_f32 v[24:25], v[24:25], v[26:27]
	v_mov_b32_e32 v21, v26
	v_mov_b32_e32 v23, v24
	v_pk_add_f32 v[30:31], v[22:23], v[32:33] neg_lo:[0,1] neg_hi:[0,1]
	s_or_b64 s[60:61], s[60:61], s[64:65]
	v_sub_f32_e32 v22, v22, v30
	v_pk_add_f32 v[20:21], v[20:21], v[30:31] neg_lo:[0,1] neg_hi:[0,1]
	v_sub_f32_e32 v22, v32, v22
	v_add_f32_e32 v20, v20, v22
	v_add_f32_e32 v20, v20, v21
	;; [unrolled: 1-line block ×3, first 2 shown]
	v_cndmask_b32_e64 v20, v20, v38, s[60:61]
	v_add_f32_e32 v19, v19, v20
	v_cvt_f16_f32_e32 v30, v19
	v_cvt_f32_f16_e32 v32, v30
	v_mov_b32_e32 v31, v30
.LBB378_60:
	s_or_b64 exec, exec, s[62:63]
	v_cvt_f32_f16_sdwa v19, v5 dst_sel:DWORD dst_unused:UNUSED_PAD src0_sel:WORD_1
	v_max_f32_e32 v21, v32, v32
	v_cmp_u_f16_e64 s[62:63], v30, v30
	v_cmp_u_f16_sdwa s[60:61], v5, v5 src0_sel:WORD_1 src1_sel:WORD_1
	v_min_f32_e32 v20, v21, v19
	v_max_f32_e32 v5, v21, v19
	v_cndmask_b32_e64 v20, v20, v32, s[62:63]
	v_cndmask_b32_e64 v5, v5, v32, s[62:63]
	;; [unrolled: 1-line block ×4, first 2 shown]
	v_cmp_neq_f32_e64 s[62:63], v20, v5
	v_cmp_class_f32_e64 s[64:65], v20, s33
	s_or_b64 s[62:63], s[62:63], s[64:65]
	s_and_saveexec_b64 s[64:65], s[62:63]
	s_cbranch_execz .LBB378_62
; %bb.61:
	v_sub_f32_e32 v20, v20, v5
	s_mov_b32 s2, 0x3fb8aa3b
	v_mul_f32_e32 v21, 0x3fb8aa3b, v20
	v_fma_f32 v22, v20, s2, -v21
	v_rndne_f32_e32 v23, v21
	v_fmamk_f32 v22, v20, 0x32a5705f, v22
	v_sub_f32_e32 v21, v21, v23
	v_add_f32_e32 v21, v21, v22
	v_exp_f32_e32 v21, v21
	v_cvt_i32_f32_e32 v22, v23
	s_mov_b32 s2, 0xc2ce8ed0
	v_cmp_ngt_f32_e64 s[62:63], s2, v20
	s_mov_b32 s2, 0x42b17218
	v_ldexp_f32 v21, v21, v22
	v_cndmask_b32_e64 v21, 0, v21, s[62:63]
	v_mov_b32_e32 v22, 0x7f800000
	v_cmp_nlt_f32_e64 s[62:63], s2, v20
	s_mov_b32 s2, 0x3f2aaaab
	s_mov_b32 s3, 0x7f800000
	v_cndmask_b32_e64 v38, v22, v21, s[62:63]
	v_add_f32_e32 v22, 1.0, v38
	v_add_f32_e32 v20, -1.0, v22
	v_sub_f32_e32 v21, v20, v22
	v_add_f32_e32 v21, 1.0, v21
	v_sub_f32_e32 v20, v38, v20
	v_add_f32_e32 v23, v20, v21
	v_frexp_mant_f32_e32 v24, v22
	v_cvt_f64_f32_e32 v[20:21], v22
	v_frexp_exp_i32_f64_e32 v20, v[20:21]
	v_cmp_gt_f32_e64 s[62:63], s2, v24
	s_mov_b32 s2, 0x3f317218
	s_nop 0
	v_subbrev_co_u32_e64 v30, s[62:63], 0, v20, s[62:63]
	v_sub_u32_e32 v20, 0, v30
	v_ldexp_f32 v21, v22, v20
	v_add_f32_e32 v22, -1.0, v21
	v_add_f32_e32 v24, 1.0, v21
	v_ldexp_f32 v20, v23, v20
	v_add_f32_e32 v23, 1.0, v22
	v_add_f32_e32 v25, -1.0, v24
	v_sub_f32_e32 v23, v21, v23
	v_sub_f32_e32 v21, v21, v25
	v_add_f32_e32 v23, v20, v23
	v_add_f32_e32 v20, v20, v21
	;; [unrolled: 1-line block ×3, first 2 shown]
	v_rcp_f32_e32 v33, v31
	v_sub_f32_e32 v21, v24, v31
	v_add_f32_e32 v32, v20, v21
	v_add_f32_e32 v21, v22, v23
	v_mul_f32_e32 v35, v21, v33
	v_sub_f32_e32 v20, v22, v21
	v_mul_f32_e32 v22, v31, v35
	v_fma_f32 v24, v35, v31, -v22
	v_fmac_f32_e32 v24, v35, v32
	v_add_f32_e32 v34, v23, v20
	v_add_f32_e32 v20, v22, v24
	v_sub_f32_e32 v23, v21, v20
	v_pk_add_f32 v[26:27], v[20:21], v[22:23] neg_lo:[0,1] neg_hi:[0,1]
	v_mov_b32_e32 v25, v20
	v_pk_add_f32 v[20:21], v[26:27], v[24:25] neg_lo:[0,1] neg_hi:[0,1]
	v_cmp_eq_f32_e64 s[62:63], s3, v38
	v_add_f32_e32 v21, v34, v21
	v_add_f32_e32 v20, v20, v21
	;; [unrolled: 1-line block ×3, first 2 shown]
	v_mul_f32_e32 v34, v33, v21
	v_mul_f32_e32 v22, v31, v34
	v_fma_f32 v24, v34, v31, -v22
	v_fmac_f32_e32 v24, v34, v32
	v_sub_f32_e32 v23, v23, v21
	v_add_f32_e32 v31, v20, v23
	v_add_f32_e32 v20, v22, v24
	v_sub_f32_e32 v23, v21, v20
	v_pk_add_f32 v[26:27], v[20:21], v[22:23] neg_lo:[0,1] neg_hi:[0,1]
	v_mov_b32_e32 v25, v20
	v_pk_add_f32 v[20:21], v[26:27], v[24:25] neg_lo:[0,1] neg_hi:[0,1]
	v_cvt_f32_i32_e32 v22, v30
	v_add_f32_e32 v21, v31, v21
	v_add_f32_e32 v20, v20, v21
	;; [unrolled: 1-line block ×4, first 2 shown]
	v_sub_f32_e32 v21, v23, v35
	v_mul_f32_e32 v20, v33, v20
	v_sub_f32_e32 v21, v34, v21
	v_add_f32_e32 v20, v21, v20
	v_add_f32_e32 v24, v23, v20
	v_mul_f32_e32 v26, v24, v24
	v_mov_b32_e32 v21, 0x3ecc95a3
	v_sub_f32_e32 v23, v24, v23
	v_fmac_f32_e32 v21, 0x3e9b6dac, v26
	v_sub_f32_e32 v20, v20, v23
	v_fmaak_f32 v21, v26, v21, 0x3f2aaada
	v_ldexp_f32 v27, v20, 1
	v_mul_f32_e32 v23, v24, v26
	v_mov_b32_e32 v20, 0x3f317218
	v_pk_mul_f32 v[20:21], v[22:23], v[20:21]
	v_ldexp_f32 v25, v24, 1
	v_fma_f32 v23, v22, s2, -v20
	v_fmamk_f32 v24, v22, 0xb102e308, v23
	v_pk_add_f32 v[22:23], v[20:21], v[24:25]
	v_mov_b32_e32 v26, v20
	v_sub_f32_e32 v25, v23, v25
	v_sub_f32_e32 v25, v21, v25
	v_add_f32_e32 v27, v27, v25
	v_pk_add_f32 v[20:21], v[22:23], v[20:21] neg_lo:[0,1] neg_hi:[0,1]
	v_pk_add_f32 v[30:31], v[22:23], v[26:27]
	v_mov_b32_e32 v25, v22
	v_mov_b32_e32 v21, v31
	v_pk_add_f32 v[32:33], v[24:25], v[20:21] neg_lo:[0,1] neg_hi:[0,1]
	v_pk_add_f32 v[20:21], v[24:25], v[20:21]
	v_mov_b32_e32 v26, v27
	v_mov_b32_e32 v24, v21
	v_pk_add_f32 v[34:35], v[24:25], v[22:23] neg_lo:[0,1] neg_hi:[0,1]
	v_mov_b32_e32 v20, v31
	v_mov_b32_e32 v25, v34
	v_pk_add_f32 v[36:37], v[30:31], v[24:25] neg_lo:[0,1] neg_hi:[0,1]
	v_mov_b32_e32 v30, v23
	v_mov_b32_e32 v31, v34
	;; [unrolled: 1-line block ×3, first 2 shown]
	v_pk_add_f32 v[20:21], v[20:21], v[30:31] neg_lo:[0,1] neg_hi:[0,1]
	v_mov_b32_e32 v27, v22
	v_pk_add_f32 v[20:21], v[26:27], v[20:21] neg_lo:[0,1] neg_hi:[0,1]
	v_mov_b32_e32 v36, v32
	v_pk_add_f32 v[22:23], v[36:37], v[20:21]
	s_mov_b32 s2, 0x33800000
	v_mov_b32_e32 v26, v23
	v_pk_add_f32 v[26:27], v[22:23], v[26:27]
	v_cmp_lt_f32_e64 s[66:67], |v38|, s2
	v_pk_add_f32 v[24:25], v[24:25], v[26:27]
	v_mov_b32_e32 v21, v26
	v_mov_b32_e32 v23, v24
	v_pk_add_f32 v[30:31], v[22:23], v[32:33] neg_lo:[0,1] neg_hi:[0,1]
	s_or_b64 s[62:63], s[62:63], s[66:67]
	v_sub_f32_e32 v22, v22, v30
	v_pk_add_f32 v[20:21], v[20:21], v[30:31] neg_lo:[0,1] neg_hi:[0,1]
	v_sub_f32_e32 v22, v32, v22
	v_add_f32_e32 v20, v20, v22
	v_add_f32_e32 v20, v20, v21
	;; [unrolled: 1-line block ×3, first 2 shown]
	v_cndmask_b32_e64 v20, v20, v38, s[62:63]
	v_add_f32_e32 v5, v5, v20
	v_cvt_f16_f32_e32 v30, v5
	v_cvt_f32_f16_e32 v32, v30
	v_mov_b32_e32 v31, v30
.LBB378_62:
	s_or_b64 exec, exec, s[64:65]
	v_cvt_f32_f16_e32 v5, v10
	v_max_f32_e32 v20, v32, v32
	v_cmp_u_f16_e64 s[64:65], v30, v30
	v_cmp_u_f16_e64 s[62:63], v10, v10
	v_min_f32_e32 v21, v20, v5
	v_max_f32_e32 v20, v20, v5
	v_cndmask_b32_e64 v21, v21, v32, s[64:65]
	v_cndmask_b32_e64 v20, v20, v32, s[64:65]
	;; [unrolled: 1-line block ×4, first 2 shown]
	v_cmp_neq_f32_e64 s[64:65], v21, v20
	v_cmp_class_f32_e64 s[66:67], v21, s33
	s_or_b64 s[64:65], s[64:65], s[66:67]
	s_and_saveexec_b64 s[66:67], s[64:65]
	s_cbranch_execz .LBB378_64
; %bb.63:
	v_sub_f32_e32 v21, v21, v20
	s_mov_b32 s2, 0x3fb8aa3b
	v_mul_f32_e32 v22, 0x3fb8aa3b, v21
	v_fma_f32 v23, v21, s2, -v22
	v_rndne_f32_e32 v24, v22
	v_fmamk_f32 v23, v21, 0x32a5705f, v23
	v_sub_f32_e32 v22, v22, v24
	v_add_f32_e32 v22, v22, v23
	v_exp_f32_e32 v22, v22
	v_cvt_i32_f32_e32 v23, v24
	s_mov_b32 s2, 0xc2ce8ed0
	v_cmp_ngt_f32_e64 s[64:65], s2, v21
	s_mov_b32 s2, 0x42b17218
	v_ldexp_f32 v22, v22, v23
	v_cndmask_b32_e64 v22, 0, v22, s[64:65]
	v_mov_b32_e32 v23, 0x7f800000
	v_cmp_nlt_f32_e64 s[64:65], s2, v21
	s_mov_b32 s2, 0x3f2aaaab
	s_mov_b32 s3, 0x7f800000
	v_cndmask_b32_e64 v40, v23, v22, s[64:65]
	v_add_f32_e32 v21, 1.0, v40
	v_add_f32_e32 v22, -1.0, v21
	v_sub_f32_e32 v23, v22, v21
	v_add_f32_e32 v23, 1.0, v23
	v_sub_f32_e32 v22, v40, v22
	v_add_f32_e32 v24, v22, v23
	v_frexp_mant_f32_e32 v25, v21
	v_cvt_f64_f32_e32 v[22:23], v21
	v_frexp_exp_i32_f64_e32 v22, v[22:23]
	v_cmp_gt_f32_e64 s[64:65], s2, v25
	s_mov_b32 s2, 0x3f317218
	s_nop 0
	v_subbrev_co_u32_e64 v32, s[64:65], 0, v22, s[64:65]
	v_sub_u32_e32 v22, 0, v32
	v_ldexp_f32 v21, v21, v22
	v_ldexp_f32 v22, v24, v22
	v_add_f32_e32 v24, -1.0, v21
	v_add_f32_e32 v23, 1.0, v24
	v_sub_f32_e32 v23, v21, v23
	v_add_f32_e32 v25, v22, v23
	v_add_f32_e32 v23, 1.0, v21
	v_add_f32_e32 v26, -1.0, v23
	v_sub_f32_e32 v21, v21, v26
	v_add_f32_e32 v21, v22, v21
	v_add_f32_e32 v33, v23, v21
	v_rcp_f32_e32 v34, v33
	v_sub_f32_e32 v22, v23, v33
	v_add_f32_e32 v23, v24, v25
	v_add_f32_e32 v21, v21, v22
	v_mul_f32_e32 v36, v23, v34
	v_sub_f32_e32 v22, v24, v23
	v_mul_f32_e32 v24, v33, v36
	v_fma_f32 v26, v36, v33, -v24
	v_fmac_f32_e32 v26, v36, v21
	v_add_f32_e32 v35, v25, v22
	v_add_f32_e32 v22, v24, v26
	v_sub_f32_e32 v25, v23, v22
	v_pk_add_f32 v[30:31], v[22:23], v[24:25] neg_lo:[0,1] neg_hi:[0,1]
	v_mov_b32_e32 v27, v22
	v_pk_add_f32 v[22:23], v[30:31], v[26:27] neg_lo:[0,1] neg_hi:[0,1]
	v_cmp_eq_f32_e64 s[64:65], s3, v40
	v_add_f32_e32 v23, v35, v23
	v_add_f32_e32 v22, v22, v23
	;; [unrolled: 1-line block ×3, first 2 shown]
	v_mul_f32_e32 v35, v34, v23
	v_mul_f32_e32 v24, v33, v35
	v_fma_f32 v26, v35, v33, -v24
	v_fmac_f32_e32 v26, v35, v21
	v_sub_f32_e32 v21, v25, v23
	v_add_f32_e32 v21, v22, v21
	v_add_f32_e32 v22, v24, v26
	v_sub_f32_e32 v25, v23, v22
	v_pk_add_f32 v[30:31], v[22:23], v[24:25] neg_lo:[0,1] neg_hi:[0,1]
	v_mov_b32_e32 v27, v22
	v_pk_add_f32 v[22:23], v[30:31], v[26:27] neg_lo:[0,1] neg_hi:[0,1]
	v_cvt_f32_i32_e32 v24, v32
	v_add_f32_e32 v21, v21, v23
	v_add_f32_e32 v21, v22, v21
	;; [unrolled: 1-line block ×4, first 2 shown]
	v_sub_f32_e32 v23, v22, v36
	v_mul_f32_e32 v21, v34, v21
	v_sub_f32_e32 v23, v35, v23
	v_add_f32_e32 v21, v23, v21
	v_add_f32_e32 v25, v22, v21
	v_mul_f32_e32 v26, v25, v25
	v_mov_b32_e32 v23, 0x3ecc95a3
	v_fmac_f32_e32 v23, 0x3e9b6dac, v26
	v_sub_f32_e32 v22, v25, v22
	v_fmaak_f32 v23, v26, v23, 0x3f2aaada
	v_sub_f32_e32 v21, v21, v22
	v_ldexp_f32 v27, v25, 1
	v_mul_f32_e32 v25, v25, v26
	v_mov_b32_e32 v22, 0x3f317218
	v_pk_mul_f32 v[22:23], v[24:25], v[22:23]
	v_ldexp_f32 v21, v21, 1
	v_fma_f32 v25, v24, s2, -v22
	v_fmamk_f32 v26, v24, 0xb102e308, v25
	v_pk_add_f32 v[24:25], v[22:23], v[26:27]
	v_mov_b32_e32 v30, v22
	v_sub_f32_e32 v27, v25, v27
	v_sub_f32_e32 v27, v23, v27
	v_add_f32_e32 v31, v21, v27
	v_pk_add_f32 v[22:23], v[24:25], v[22:23] neg_lo:[0,1] neg_hi:[0,1]
	v_pk_add_f32 v[32:33], v[24:25], v[30:31]
	v_mov_b32_e32 v27, v24
	v_mov_b32_e32 v23, v33
	v_pk_add_f32 v[34:35], v[26:27], v[22:23] neg_lo:[0,1] neg_hi:[0,1]
	v_pk_add_f32 v[22:23], v[26:27], v[22:23]
	v_mov_b32_e32 v30, v31
	v_mov_b32_e32 v26, v23
	v_pk_add_f32 v[36:37], v[26:27], v[24:25] neg_lo:[0,1] neg_hi:[0,1]
	v_mov_b32_e32 v22, v33
	v_mov_b32_e32 v21, v36
	v_pk_add_f32 v[38:39], v[32:33], v[20:21] neg_lo:[0,1] neg_hi:[0,1]
	v_mov_b32_e32 v32, v25
	v_mov_b32_e32 v33, v36
	;; [unrolled: 1-line block ×3, first 2 shown]
	v_pk_add_f32 v[22:23], v[22:23], v[32:33] neg_lo:[0,1] neg_hi:[0,1]
	v_mov_b32_e32 v31, v24
	v_pk_add_f32 v[22:23], v[30:31], v[22:23] neg_lo:[0,1] neg_hi:[0,1]
	v_mov_b32_e32 v38, v34
	v_pk_add_f32 v[24:25], v[38:39], v[22:23]
	s_mov_b32 s2, 0x33800000
	v_mov_b32_e32 v30, v25
	v_pk_add_f32 v[30:31], v[24:25], v[30:31]
	v_cmp_lt_f32_e64 s[68:69], |v40|, s2
	v_pk_add_f32 v[26:27], v[26:27], v[30:31]
	v_mov_b32_e32 v23, v30
	v_mov_b32_e32 v25, v26
	v_pk_add_f32 v[32:33], v[24:25], v[34:35] neg_lo:[0,1] neg_hi:[0,1]
	s_or_b64 s[64:65], s[64:65], s[68:69]
	v_sub_f32_e32 v21, v24, v32
	v_pk_add_f32 v[22:23], v[22:23], v[32:33] neg_lo:[0,1] neg_hi:[0,1]
	v_sub_f32_e32 v21, v34, v21
	v_add_f32_e32 v21, v22, v21
	v_add_f32_e32 v21, v21, v23
	;; [unrolled: 1-line block ×3, first 2 shown]
	v_cndmask_b32_e64 v21, v21, v40, s[64:65]
	v_add_f32_e32 v20, v20, v21
	v_cvt_f16_f32_e32 v30, v20
	v_cvt_f32_f16_e32 v32, v30
	v_mov_b32_e32 v31, v30
.LBB378_64:
	s_or_b64 exec, exec, s[66:67]
	v_cvt_f32_f16_sdwa v20, v10 dst_sel:DWORD dst_unused:UNUSED_PAD src0_sel:WORD_1
	v_max_f32_e32 v22, v32, v32
	v_cmp_u_f16_e64 s[66:67], v30, v30
	v_cmp_u_f16_sdwa s[64:65], v10, v10 src0_sel:WORD_1 src1_sel:WORD_1
	v_min_f32_e32 v21, v22, v20
	v_max_f32_e32 v10, v22, v20
	v_cndmask_b32_e64 v21, v21, v32, s[66:67]
	v_cndmask_b32_e64 v10, v10, v32, s[66:67]
	;; [unrolled: 1-line block ×4, first 2 shown]
	v_cmp_neq_f32_e64 s[66:67], v21, v10
	v_cmp_class_f32_e64 s[68:69], v21, s33
	s_or_b64 s[66:67], s[66:67], s[68:69]
	s_and_saveexec_b64 s[68:69], s[66:67]
	s_cbranch_execz .LBB378_66
; %bb.65:
	v_sub_f32_e32 v21, v21, v10
	s_mov_b32 s2, 0x3fb8aa3b
	v_mul_f32_e32 v22, 0x3fb8aa3b, v21
	v_fma_f32 v23, v21, s2, -v22
	v_rndne_f32_e32 v24, v22
	v_fmamk_f32 v23, v21, 0x32a5705f, v23
	v_sub_f32_e32 v22, v22, v24
	v_add_f32_e32 v22, v22, v23
	v_exp_f32_e32 v22, v22
	v_cvt_i32_f32_e32 v23, v24
	s_mov_b32 s2, 0xc2ce8ed0
	v_cmp_ngt_f32_e64 s[66:67], s2, v21
	s_mov_b32 s2, 0x42b17218
	v_ldexp_f32 v22, v22, v23
	v_cndmask_b32_e64 v22, 0, v22, s[66:67]
	v_mov_b32_e32 v23, 0x7f800000
	v_cmp_nlt_f32_e64 s[66:67], s2, v21
	s_mov_b32 s2, 0x3f2aaaab
	s_mov_b32 s3, 0x7f800000
	v_cndmask_b32_e64 v40, v23, v22, s[66:67]
	v_add_f32_e32 v21, 1.0, v40
	v_add_f32_e32 v22, -1.0, v21
	v_sub_f32_e32 v23, v22, v21
	v_add_f32_e32 v23, 1.0, v23
	v_sub_f32_e32 v22, v40, v22
	v_add_f32_e32 v24, v22, v23
	v_frexp_mant_f32_e32 v25, v21
	v_cvt_f64_f32_e32 v[22:23], v21
	v_frexp_exp_i32_f64_e32 v22, v[22:23]
	v_cmp_gt_f32_e64 s[66:67], s2, v25
	s_mov_b32 s2, 0x3f317218
	s_nop 0
	v_subbrev_co_u32_e64 v32, s[66:67], 0, v22, s[66:67]
	v_sub_u32_e32 v22, 0, v32
	v_ldexp_f32 v21, v21, v22
	v_ldexp_f32 v22, v24, v22
	v_add_f32_e32 v24, -1.0, v21
	v_add_f32_e32 v23, 1.0, v24
	v_sub_f32_e32 v23, v21, v23
	v_add_f32_e32 v25, v22, v23
	v_add_f32_e32 v23, 1.0, v21
	v_add_f32_e32 v26, -1.0, v23
	v_sub_f32_e32 v21, v21, v26
	v_add_f32_e32 v21, v22, v21
	v_add_f32_e32 v33, v23, v21
	v_rcp_f32_e32 v34, v33
	v_sub_f32_e32 v22, v23, v33
	v_add_f32_e32 v23, v24, v25
	v_add_f32_e32 v21, v21, v22
	v_mul_f32_e32 v36, v23, v34
	v_sub_f32_e32 v22, v24, v23
	v_mul_f32_e32 v24, v33, v36
	v_fma_f32 v26, v36, v33, -v24
	v_fmac_f32_e32 v26, v36, v21
	v_add_f32_e32 v35, v25, v22
	v_add_f32_e32 v22, v24, v26
	v_sub_f32_e32 v25, v23, v22
	v_pk_add_f32 v[30:31], v[22:23], v[24:25] neg_lo:[0,1] neg_hi:[0,1]
	v_mov_b32_e32 v27, v22
	v_pk_add_f32 v[22:23], v[30:31], v[26:27] neg_lo:[0,1] neg_hi:[0,1]
	v_cmp_eq_f32_e64 s[66:67], s3, v40
	v_add_f32_e32 v23, v35, v23
	v_add_f32_e32 v22, v22, v23
	;; [unrolled: 1-line block ×3, first 2 shown]
	v_mul_f32_e32 v35, v34, v23
	v_mul_f32_e32 v24, v33, v35
	v_fma_f32 v26, v35, v33, -v24
	v_fmac_f32_e32 v26, v35, v21
	v_sub_f32_e32 v21, v25, v23
	v_add_f32_e32 v21, v22, v21
	v_add_f32_e32 v22, v24, v26
	v_sub_f32_e32 v25, v23, v22
	v_pk_add_f32 v[30:31], v[22:23], v[24:25] neg_lo:[0,1] neg_hi:[0,1]
	v_mov_b32_e32 v27, v22
	v_pk_add_f32 v[22:23], v[30:31], v[26:27] neg_lo:[0,1] neg_hi:[0,1]
	v_cvt_f32_i32_e32 v24, v32
	v_add_f32_e32 v21, v21, v23
	v_add_f32_e32 v21, v22, v21
	;; [unrolled: 1-line block ×4, first 2 shown]
	v_sub_f32_e32 v23, v22, v36
	v_mul_f32_e32 v21, v34, v21
	v_sub_f32_e32 v23, v35, v23
	v_add_f32_e32 v21, v23, v21
	v_add_f32_e32 v25, v22, v21
	v_mul_f32_e32 v26, v25, v25
	v_mov_b32_e32 v23, 0x3ecc95a3
	v_fmac_f32_e32 v23, 0x3e9b6dac, v26
	v_sub_f32_e32 v22, v25, v22
	v_fmaak_f32 v23, v26, v23, 0x3f2aaada
	v_sub_f32_e32 v21, v21, v22
	v_ldexp_f32 v27, v25, 1
	v_mul_f32_e32 v25, v25, v26
	v_mov_b32_e32 v22, 0x3f317218
	v_pk_mul_f32 v[22:23], v[24:25], v[22:23]
	v_ldexp_f32 v21, v21, 1
	v_fma_f32 v25, v24, s2, -v22
	v_fmamk_f32 v26, v24, 0xb102e308, v25
	v_pk_add_f32 v[24:25], v[22:23], v[26:27]
	v_mov_b32_e32 v30, v22
	v_sub_f32_e32 v27, v25, v27
	v_sub_f32_e32 v27, v23, v27
	v_add_f32_e32 v31, v21, v27
	v_pk_add_f32 v[22:23], v[24:25], v[22:23] neg_lo:[0,1] neg_hi:[0,1]
	v_pk_add_f32 v[32:33], v[24:25], v[30:31]
	v_mov_b32_e32 v27, v24
	v_mov_b32_e32 v23, v33
	v_pk_add_f32 v[34:35], v[26:27], v[22:23] neg_lo:[0,1] neg_hi:[0,1]
	v_pk_add_f32 v[22:23], v[26:27], v[22:23]
	v_mov_b32_e32 v30, v31
	v_mov_b32_e32 v26, v23
	v_pk_add_f32 v[36:37], v[26:27], v[24:25] neg_lo:[0,1] neg_hi:[0,1]
	v_mov_b32_e32 v22, v33
	v_mov_b32_e32 v21, v36
	v_pk_add_f32 v[38:39], v[32:33], v[20:21] neg_lo:[0,1] neg_hi:[0,1]
	v_mov_b32_e32 v32, v25
	v_mov_b32_e32 v33, v36
	;; [unrolled: 1-line block ×3, first 2 shown]
	v_pk_add_f32 v[22:23], v[22:23], v[32:33] neg_lo:[0,1] neg_hi:[0,1]
	v_mov_b32_e32 v31, v24
	v_pk_add_f32 v[22:23], v[30:31], v[22:23] neg_lo:[0,1] neg_hi:[0,1]
	v_mov_b32_e32 v38, v34
	v_pk_add_f32 v[24:25], v[38:39], v[22:23]
	s_mov_b32 s2, 0x33800000
	v_mov_b32_e32 v30, v25
	v_pk_add_f32 v[30:31], v[24:25], v[30:31]
	v_cmp_lt_f32_e64 s[70:71], |v40|, s2
	v_pk_add_f32 v[26:27], v[26:27], v[30:31]
	v_mov_b32_e32 v23, v30
	v_mov_b32_e32 v25, v26
	v_pk_add_f32 v[32:33], v[24:25], v[34:35] neg_lo:[0,1] neg_hi:[0,1]
	s_or_b64 s[66:67], s[66:67], s[70:71]
	v_sub_f32_e32 v21, v24, v32
	v_pk_add_f32 v[22:23], v[22:23], v[32:33] neg_lo:[0,1] neg_hi:[0,1]
	v_sub_f32_e32 v21, v34, v21
	v_add_f32_e32 v21, v22, v21
	v_add_f32_e32 v21, v21, v23
	;; [unrolled: 1-line block ×3, first 2 shown]
	v_cndmask_b32_e64 v21, v21, v40, s[66:67]
	v_add_f32_e32 v10, v10, v21
	v_cvt_f16_f32_e32 v30, v10
	v_cvt_f32_f16_e32 v32, v30
	v_mov_b32_e32 v31, v30
.LBB378_66:
	s_or_b64 exec, exec, s[68:69]
	v_cvt_f32_f16_e32 v10, v11
	v_max_f32_e32 v21, v32, v32
	v_cmp_u_f16_e64 s[68:69], v30, v30
	v_cmp_u_f16_e64 s[66:67], v11, v11
	v_min_f32_e32 v22, v21, v10
	v_max_f32_e32 v21, v21, v10
	v_cndmask_b32_e64 v22, v22, v32, s[68:69]
	v_cndmask_b32_e64 v21, v21, v32, s[68:69]
	;; [unrolled: 1-line block ×4, first 2 shown]
	v_cmp_neq_f32_e64 s[68:69], v22, v21
	v_cmp_class_f32_e64 s[70:71], v22, s33
	s_or_b64 s[68:69], s[68:69], s[70:71]
	s_and_saveexec_b64 s[70:71], s[68:69]
	s_cbranch_execz .LBB378_68
; %bb.67:
	v_sub_f32_e32 v22, v22, v21
	s_mov_b32 s2, 0x3fb8aa3b
	v_mul_f32_e32 v23, 0x3fb8aa3b, v22
	v_fma_f32 v24, v22, s2, -v23
	v_rndne_f32_e32 v25, v23
	v_fmamk_f32 v24, v22, 0x32a5705f, v24
	v_sub_f32_e32 v23, v23, v25
	v_add_f32_e32 v23, v23, v24
	v_exp_f32_e32 v23, v23
	v_cvt_i32_f32_e32 v24, v25
	s_mov_b32 s2, 0xc2ce8ed0
	v_cmp_ngt_f32_e64 s[68:69], s2, v22
	s_mov_b32 s2, 0x42b17218
	v_ldexp_f32 v23, v23, v24
	v_cndmask_b32_e64 v23, 0, v23, s[68:69]
	v_mov_b32_e32 v24, 0x7f800000
	v_cmp_nlt_f32_e64 s[68:69], s2, v22
	s_mov_b32 s2, 0x3f2aaaab
	s_mov_b32 s3, 0x7f800000
	v_cndmask_b32_e64 v40, v24, v23, s[68:69]
	v_add_f32_e32 v24, 1.0, v40
	v_add_f32_e32 v22, -1.0, v24
	v_sub_f32_e32 v23, v22, v24
	v_add_f32_e32 v23, 1.0, v23
	v_sub_f32_e32 v22, v40, v22
	v_add_f32_e32 v25, v22, v23
	v_frexp_mant_f32_e32 v26, v24
	v_cvt_f64_f32_e32 v[22:23], v24
	v_frexp_exp_i32_f64_e32 v22, v[22:23]
	v_cmp_gt_f32_e64 s[68:69], s2, v26
	s_mov_b32 s2, 0x3f317218
	s_nop 0
	v_subbrev_co_u32_e64 v32, s[68:69], 0, v22, s[68:69]
	v_sub_u32_e32 v22, 0, v32
	v_ldexp_f32 v23, v24, v22
	v_add_f32_e32 v24, -1.0, v23
	v_add_f32_e32 v26, 1.0, v23
	v_ldexp_f32 v22, v25, v22
	v_add_f32_e32 v25, 1.0, v24
	v_add_f32_e32 v27, -1.0, v26
	v_sub_f32_e32 v25, v23, v25
	v_sub_f32_e32 v23, v23, v27
	v_add_f32_e32 v25, v22, v25
	v_add_f32_e32 v22, v22, v23
	;; [unrolled: 1-line block ×3, first 2 shown]
	v_rcp_f32_e32 v35, v33
	v_sub_f32_e32 v23, v26, v33
	v_add_f32_e32 v34, v22, v23
	v_add_f32_e32 v23, v24, v25
	v_mul_f32_e32 v37, v23, v35
	v_sub_f32_e32 v22, v24, v23
	v_mul_f32_e32 v24, v33, v37
	v_fma_f32 v26, v37, v33, -v24
	v_fmac_f32_e32 v26, v37, v34
	v_add_f32_e32 v36, v25, v22
	v_add_f32_e32 v22, v24, v26
	v_sub_f32_e32 v25, v23, v22
	v_pk_add_f32 v[30:31], v[22:23], v[24:25] neg_lo:[0,1] neg_hi:[0,1]
	v_mov_b32_e32 v27, v22
	v_pk_add_f32 v[22:23], v[30:31], v[26:27] neg_lo:[0,1] neg_hi:[0,1]
	v_cmp_eq_f32_e64 s[68:69], s3, v40
	v_add_f32_e32 v23, v36, v23
	v_add_f32_e32 v22, v22, v23
	;; [unrolled: 1-line block ×3, first 2 shown]
	v_mul_f32_e32 v36, v35, v23
	v_mul_f32_e32 v24, v33, v36
	v_fma_f32 v26, v36, v33, -v24
	v_fmac_f32_e32 v26, v36, v34
	v_sub_f32_e32 v25, v25, v23
	v_add_f32_e32 v33, v22, v25
	v_add_f32_e32 v22, v24, v26
	v_sub_f32_e32 v25, v23, v22
	v_pk_add_f32 v[30:31], v[22:23], v[24:25] neg_lo:[0,1] neg_hi:[0,1]
	v_mov_b32_e32 v27, v22
	v_pk_add_f32 v[22:23], v[30:31], v[26:27] neg_lo:[0,1] neg_hi:[0,1]
	v_cvt_f32_i32_e32 v24, v32
	v_add_f32_e32 v23, v33, v23
	v_add_f32_e32 v22, v22, v23
	;; [unrolled: 1-line block ×4, first 2 shown]
	v_sub_f32_e32 v23, v25, v37
	v_mul_f32_e32 v22, v35, v22
	v_sub_f32_e32 v23, v36, v23
	v_add_f32_e32 v22, v23, v22
	v_add_f32_e32 v26, v25, v22
	v_mul_f32_e32 v30, v26, v26
	v_mov_b32_e32 v23, 0x3ecc95a3
	v_sub_f32_e32 v25, v26, v25
	v_fmac_f32_e32 v23, 0x3e9b6dac, v30
	v_sub_f32_e32 v22, v22, v25
	v_fmaak_f32 v23, v30, v23, 0x3f2aaada
	v_ldexp_f32 v31, v22, 1
	v_mul_f32_e32 v25, v26, v30
	v_mov_b32_e32 v22, 0x3f317218
	v_pk_mul_f32 v[22:23], v[24:25], v[22:23]
	v_ldexp_f32 v27, v26, 1
	v_fma_f32 v25, v24, s2, -v22
	v_fmamk_f32 v26, v24, 0xb102e308, v25
	v_pk_add_f32 v[24:25], v[22:23], v[26:27]
	v_mov_b32_e32 v30, v22
	v_sub_f32_e32 v27, v25, v27
	v_sub_f32_e32 v27, v23, v27
	v_add_f32_e32 v31, v31, v27
	v_pk_add_f32 v[22:23], v[24:25], v[22:23] neg_lo:[0,1] neg_hi:[0,1]
	v_pk_add_f32 v[32:33], v[24:25], v[30:31]
	v_mov_b32_e32 v27, v24
	v_mov_b32_e32 v23, v33
	v_pk_add_f32 v[34:35], v[26:27], v[22:23] neg_lo:[0,1] neg_hi:[0,1]
	v_pk_add_f32 v[22:23], v[26:27], v[22:23]
	v_mov_b32_e32 v30, v31
	v_mov_b32_e32 v26, v23
	v_pk_add_f32 v[36:37], v[26:27], v[24:25] neg_lo:[0,1] neg_hi:[0,1]
	v_mov_b32_e32 v22, v33
	v_mov_b32_e32 v27, v36
	v_pk_add_f32 v[38:39], v[32:33], v[26:27] neg_lo:[0,1] neg_hi:[0,1]
	v_mov_b32_e32 v32, v25
	v_mov_b32_e32 v33, v36
	;; [unrolled: 1-line block ×3, first 2 shown]
	v_pk_add_f32 v[22:23], v[22:23], v[32:33] neg_lo:[0,1] neg_hi:[0,1]
	v_mov_b32_e32 v31, v24
	v_pk_add_f32 v[22:23], v[30:31], v[22:23] neg_lo:[0,1] neg_hi:[0,1]
	v_mov_b32_e32 v38, v34
	v_pk_add_f32 v[24:25], v[38:39], v[22:23]
	s_mov_b32 s2, 0x33800000
	v_mov_b32_e32 v30, v25
	v_pk_add_f32 v[30:31], v[24:25], v[30:31]
	v_cmp_lt_f32_e64 s[72:73], |v40|, s2
	v_pk_add_f32 v[26:27], v[26:27], v[30:31]
	v_mov_b32_e32 v23, v30
	v_mov_b32_e32 v25, v26
	v_pk_add_f32 v[32:33], v[24:25], v[34:35] neg_lo:[0,1] neg_hi:[0,1]
	s_or_b64 s[68:69], s[68:69], s[72:73]
	v_sub_f32_e32 v24, v24, v32
	v_pk_add_f32 v[22:23], v[22:23], v[32:33] neg_lo:[0,1] neg_hi:[0,1]
	v_sub_f32_e32 v24, v34, v24
	v_add_f32_e32 v22, v22, v24
	v_add_f32_e32 v22, v22, v23
	;; [unrolled: 1-line block ×3, first 2 shown]
	v_cndmask_b32_e64 v22, v22, v40, s[68:69]
	v_add_f32_e32 v21, v21, v22
	v_cvt_f16_f32_e32 v30, v21
	v_cvt_f32_f16_e32 v32, v30
	v_mov_b32_e32 v31, v30
.LBB378_68:
	s_or_b64 exec, exec, s[70:71]
	v_cvt_f32_f16_sdwa v21, v11 dst_sel:DWORD dst_unused:UNUSED_PAD src0_sel:WORD_1
	v_max_f32_e32 v23, v32, v32
	v_cmp_u_f16_e64 s[70:71], v30, v30
	v_cmp_u_f16_sdwa s[68:69], v11, v11 src0_sel:WORD_1 src1_sel:WORD_1
	v_min_f32_e32 v22, v23, v21
	v_max_f32_e32 v11, v23, v21
	v_cndmask_b32_e64 v22, v22, v32, s[70:71]
	v_cndmask_b32_e64 v11, v11, v32, s[70:71]
	;; [unrolled: 1-line block ×4, first 2 shown]
	v_cmp_neq_f32_e64 s[70:71], v22, v11
	v_cmp_class_f32_e64 s[72:73], v22, s33
	s_or_b64 s[70:71], s[70:71], s[72:73]
	s_and_saveexec_b64 s[72:73], s[70:71]
	s_cbranch_execz .LBB378_70
; %bb.69:
	v_sub_f32_e32 v22, v22, v11
	s_mov_b32 s2, 0x3fb8aa3b
	v_mul_f32_e32 v23, 0x3fb8aa3b, v22
	v_fma_f32 v24, v22, s2, -v23
	v_rndne_f32_e32 v25, v23
	v_fmamk_f32 v24, v22, 0x32a5705f, v24
	v_sub_f32_e32 v23, v23, v25
	v_add_f32_e32 v23, v23, v24
	v_exp_f32_e32 v23, v23
	v_cvt_i32_f32_e32 v24, v25
	s_mov_b32 s2, 0xc2ce8ed0
	v_cmp_ngt_f32_e64 s[70:71], s2, v22
	s_mov_b32 s2, 0x42b17218
	v_ldexp_f32 v23, v23, v24
	v_cndmask_b32_e64 v23, 0, v23, s[70:71]
	v_mov_b32_e32 v24, 0x7f800000
	v_cmp_nlt_f32_e64 s[70:71], s2, v22
	s_mov_b32 s2, 0x3f2aaaab
	s_mov_b32 s3, 0x7f800000
	v_cndmask_b32_e64 v40, v24, v23, s[70:71]
	v_add_f32_e32 v24, 1.0, v40
	v_add_f32_e32 v22, -1.0, v24
	v_sub_f32_e32 v23, v22, v24
	v_add_f32_e32 v23, 1.0, v23
	v_sub_f32_e32 v22, v40, v22
	v_add_f32_e32 v25, v22, v23
	v_frexp_mant_f32_e32 v26, v24
	v_cvt_f64_f32_e32 v[22:23], v24
	v_frexp_exp_i32_f64_e32 v22, v[22:23]
	v_cmp_gt_f32_e64 s[70:71], s2, v26
	s_mov_b32 s2, 0x3f317218
	s_nop 0
	v_subbrev_co_u32_e64 v32, s[70:71], 0, v22, s[70:71]
	v_sub_u32_e32 v22, 0, v32
	v_ldexp_f32 v23, v24, v22
	v_add_f32_e32 v24, -1.0, v23
	v_add_f32_e32 v26, 1.0, v23
	v_ldexp_f32 v22, v25, v22
	v_add_f32_e32 v25, 1.0, v24
	v_add_f32_e32 v27, -1.0, v26
	v_sub_f32_e32 v25, v23, v25
	v_sub_f32_e32 v23, v23, v27
	v_add_f32_e32 v25, v22, v25
	v_add_f32_e32 v22, v22, v23
	;; [unrolled: 1-line block ×3, first 2 shown]
	v_rcp_f32_e32 v35, v33
	v_sub_f32_e32 v23, v26, v33
	v_add_f32_e32 v34, v22, v23
	v_add_f32_e32 v23, v24, v25
	v_mul_f32_e32 v37, v23, v35
	v_sub_f32_e32 v22, v24, v23
	v_mul_f32_e32 v24, v33, v37
	v_fma_f32 v26, v37, v33, -v24
	v_fmac_f32_e32 v26, v37, v34
	v_add_f32_e32 v36, v25, v22
	v_add_f32_e32 v22, v24, v26
	v_sub_f32_e32 v25, v23, v22
	v_pk_add_f32 v[30:31], v[22:23], v[24:25] neg_lo:[0,1] neg_hi:[0,1]
	v_mov_b32_e32 v27, v22
	v_pk_add_f32 v[22:23], v[30:31], v[26:27] neg_lo:[0,1] neg_hi:[0,1]
	v_cmp_eq_f32_e64 s[70:71], s3, v40
	v_add_f32_e32 v23, v36, v23
	v_add_f32_e32 v22, v22, v23
	;; [unrolled: 1-line block ×3, first 2 shown]
	v_mul_f32_e32 v36, v35, v23
	v_mul_f32_e32 v24, v33, v36
	v_fma_f32 v26, v36, v33, -v24
	v_fmac_f32_e32 v26, v36, v34
	v_sub_f32_e32 v25, v25, v23
	v_add_f32_e32 v33, v22, v25
	v_add_f32_e32 v22, v24, v26
	v_sub_f32_e32 v25, v23, v22
	v_pk_add_f32 v[30:31], v[22:23], v[24:25] neg_lo:[0,1] neg_hi:[0,1]
	v_mov_b32_e32 v27, v22
	v_pk_add_f32 v[22:23], v[30:31], v[26:27] neg_lo:[0,1] neg_hi:[0,1]
	v_cvt_f32_i32_e32 v24, v32
	v_add_f32_e32 v23, v33, v23
	v_add_f32_e32 v22, v22, v23
	;; [unrolled: 1-line block ×4, first 2 shown]
	v_sub_f32_e32 v23, v25, v37
	v_mul_f32_e32 v22, v35, v22
	v_sub_f32_e32 v23, v36, v23
	v_add_f32_e32 v22, v23, v22
	v_add_f32_e32 v26, v25, v22
	v_mul_f32_e32 v30, v26, v26
	v_mov_b32_e32 v23, 0x3ecc95a3
	v_sub_f32_e32 v25, v26, v25
	v_fmac_f32_e32 v23, 0x3e9b6dac, v30
	v_sub_f32_e32 v22, v22, v25
	v_fmaak_f32 v23, v30, v23, 0x3f2aaada
	v_ldexp_f32 v31, v22, 1
	v_mul_f32_e32 v25, v26, v30
	v_mov_b32_e32 v22, 0x3f317218
	v_pk_mul_f32 v[22:23], v[24:25], v[22:23]
	v_ldexp_f32 v27, v26, 1
	v_fma_f32 v25, v24, s2, -v22
	v_fmamk_f32 v26, v24, 0xb102e308, v25
	v_pk_add_f32 v[24:25], v[22:23], v[26:27]
	v_mov_b32_e32 v30, v22
	v_sub_f32_e32 v27, v25, v27
	v_sub_f32_e32 v27, v23, v27
	v_add_f32_e32 v31, v31, v27
	v_pk_add_f32 v[22:23], v[24:25], v[22:23] neg_lo:[0,1] neg_hi:[0,1]
	v_pk_add_f32 v[32:33], v[24:25], v[30:31]
	v_mov_b32_e32 v27, v24
	v_mov_b32_e32 v23, v33
	v_pk_add_f32 v[34:35], v[26:27], v[22:23] neg_lo:[0,1] neg_hi:[0,1]
	v_pk_add_f32 v[22:23], v[26:27], v[22:23]
	v_mov_b32_e32 v30, v31
	v_mov_b32_e32 v26, v23
	v_pk_add_f32 v[36:37], v[26:27], v[24:25] neg_lo:[0,1] neg_hi:[0,1]
	v_mov_b32_e32 v22, v33
	v_mov_b32_e32 v27, v36
	v_pk_add_f32 v[38:39], v[32:33], v[26:27] neg_lo:[0,1] neg_hi:[0,1]
	v_mov_b32_e32 v32, v25
	v_mov_b32_e32 v33, v36
	;; [unrolled: 1-line block ×3, first 2 shown]
	v_pk_add_f32 v[22:23], v[22:23], v[32:33] neg_lo:[0,1] neg_hi:[0,1]
	v_mov_b32_e32 v31, v24
	v_pk_add_f32 v[22:23], v[30:31], v[22:23] neg_lo:[0,1] neg_hi:[0,1]
	v_mov_b32_e32 v38, v34
	v_pk_add_f32 v[24:25], v[38:39], v[22:23]
	s_mov_b32 s2, 0x33800000
	v_mov_b32_e32 v30, v25
	v_pk_add_f32 v[30:31], v[24:25], v[30:31]
	v_cmp_lt_f32_e64 s[74:75], |v40|, s2
	v_pk_add_f32 v[26:27], v[26:27], v[30:31]
	v_mov_b32_e32 v23, v30
	v_mov_b32_e32 v25, v26
	v_pk_add_f32 v[32:33], v[24:25], v[34:35] neg_lo:[0,1] neg_hi:[0,1]
	s_or_b64 s[70:71], s[70:71], s[74:75]
	v_sub_f32_e32 v24, v24, v32
	v_pk_add_f32 v[22:23], v[22:23], v[32:33] neg_lo:[0,1] neg_hi:[0,1]
	v_sub_f32_e32 v24, v34, v24
	v_add_f32_e32 v22, v22, v24
	v_add_f32_e32 v22, v22, v23
	;; [unrolled: 1-line block ×3, first 2 shown]
	v_cndmask_b32_e64 v22, v22, v40, s[70:71]
	v_add_f32_e32 v11, v11, v22
	v_cvt_f16_f32_e32 v30, v11
	v_cvt_f32_f16_e32 v32, v30
	v_mov_b32_e32 v31, v30
.LBB378_70:
	s_or_b64 exec, exec, s[72:73]
	v_cvt_f32_f16_e32 v11, v12
	v_max_f32_e32 v22, v32, v32
	v_cmp_u_f16_e64 s[72:73], v30, v30
	v_cmp_u_f16_e64 s[70:71], v12, v12
	v_min_f32_e32 v23, v22, v11
	v_max_f32_e32 v22, v22, v11
	v_cndmask_b32_e64 v23, v23, v32, s[72:73]
	v_cndmask_b32_e64 v22, v22, v32, s[72:73]
	;; [unrolled: 1-line block ×4, first 2 shown]
	v_cmp_neq_f32_e64 s[72:73], v23, v22
	v_cmp_class_f32_e64 s[74:75], v23, s33
	s_or_b64 s[72:73], s[72:73], s[74:75]
	s_and_saveexec_b64 s[74:75], s[72:73]
	s_cbranch_execz .LBB378_72
; %bb.71:
	v_sub_f32_e32 v23, v23, v22
	s_mov_b32 s2, 0x3fb8aa3b
	v_mul_f32_e32 v24, 0x3fb8aa3b, v23
	v_fma_f32 v25, v23, s2, -v24
	v_rndne_f32_e32 v26, v24
	v_fmamk_f32 v25, v23, 0x32a5705f, v25
	v_sub_f32_e32 v24, v24, v26
	v_add_f32_e32 v24, v24, v25
	v_exp_f32_e32 v24, v24
	v_cvt_i32_f32_e32 v25, v26
	s_mov_b32 s2, 0xc2ce8ed0
	v_cmp_ngt_f32_e64 s[72:73], s2, v23
	s_mov_b32 s2, 0x42b17218
	v_ldexp_f32 v24, v24, v25
	v_cndmask_b32_e64 v24, 0, v24, s[72:73]
	v_mov_b32_e32 v25, 0x7f800000
	v_cmp_nlt_f32_e64 s[72:73], s2, v23
	s_mov_b32 s2, 0x3f2aaaab
	s_mov_b32 s3, 0x7f800000
	v_cndmask_b32_e64 v42, v25, v24, s[72:73]
	v_add_f32_e32 v23, 1.0, v42
	v_add_f32_e32 v24, -1.0, v23
	v_sub_f32_e32 v25, v24, v23
	v_add_f32_e32 v25, 1.0, v25
	v_sub_f32_e32 v24, v42, v24
	v_add_f32_e32 v26, v24, v25
	v_frexp_mant_f32_e32 v27, v23
	v_cvt_f64_f32_e32 v[24:25], v23
	v_frexp_exp_i32_f64_e32 v24, v[24:25]
	v_cmp_gt_f32_e64 s[72:73], s2, v27
	s_mov_b32 s2, 0x3f317218
	s_nop 0
	v_subbrev_co_u32_e64 v34, s[72:73], 0, v24, s[72:73]
	v_sub_u32_e32 v24, 0, v34
	v_ldexp_f32 v23, v23, v24
	v_ldexp_f32 v24, v26, v24
	v_add_f32_e32 v26, -1.0, v23
	v_add_f32_e32 v25, 1.0, v26
	v_sub_f32_e32 v25, v23, v25
	v_add_f32_e32 v27, v24, v25
	v_add_f32_e32 v25, 1.0, v23
	v_add_f32_e32 v30, -1.0, v25
	v_sub_f32_e32 v23, v23, v30
	v_add_f32_e32 v23, v24, v23
	v_add_f32_e32 v35, v25, v23
	v_rcp_f32_e32 v36, v35
	v_sub_f32_e32 v24, v25, v35
	v_add_f32_e32 v25, v26, v27
	v_add_f32_e32 v23, v23, v24
	v_mul_f32_e32 v38, v25, v36
	v_sub_f32_e32 v24, v26, v25
	v_mul_f32_e32 v26, v35, v38
	v_fma_f32 v30, v38, v35, -v26
	v_fmac_f32_e32 v30, v38, v23
	v_add_f32_e32 v37, v27, v24
	v_add_f32_e32 v24, v26, v30
	v_sub_f32_e32 v27, v25, v24
	v_pk_add_f32 v[32:33], v[24:25], v[26:27] neg_lo:[0,1] neg_hi:[0,1]
	v_mov_b32_e32 v31, v24
	v_pk_add_f32 v[24:25], v[32:33], v[30:31] neg_lo:[0,1] neg_hi:[0,1]
	v_cmp_eq_f32_e64 s[72:73], s3, v42
	v_add_f32_e32 v25, v37, v25
	v_add_f32_e32 v24, v24, v25
	;; [unrolled: 1-line block ×3, first 2 shown]
	v_mul_f32_e32 v37, v36, v25
	v_mul_f32_e32 v26, v35, v37
	v_fma_f32 v30, v37, v35, -v26
	v_fmac_f32_e32 v30, v37, v23
	v_sub_f32_e32 v23, v27, v25
	v_add_f32_e32 v23, v24, v23
	v_add_f32_e32 v24, v26, v30
	v_sub_f32_e32 v27, v25, v24
	v_pk_add_f32 v[32:33], v[24:25], v[26:27] neg_lo:[0,1] neg_hi:[0,1]
	v_mov_b32_e32 v31, v24
	v_pk_add_f32 v[24:25], v[32:33], v[30:31] neg_lo:[0,1] neg_hi:[0,1]
	v_cvt_f32_i32_e32 v26, v34
	v_add_f32_e32 v23, v23, v25
	v_add_f32_e32 v23, v24, v23
	;; [unrolled: 1-line block ×4, first 2 shown]
	v_sub_f32_e32 v25, v24, v38
	v_mul_f32_e32 v23, v36, v23
	v_sub_f32_e32 v25, v37, v25
	v_add_f32_e32 v23, v25, v23
	v_add_f32_e32 v27, v24, v23
	v_mul_f32_e32 v30, v27, v27
	v_mov_b32_e32 v25, 0x3ecc95a3
	v_fmac_f32_e32 v25, 0x3e9b6dac, v30
	v_sub_f32_e32 v24, v27, v24
	v_fmaak_f32 v25, v30, v25, 0x3f2aaada
	v_sub_f32_e32 v23, v23, v24
	v_ldexp_f32 v31, v27, 1
	v_mul_f32_e32 v27, v27, v30
	v_mov_b32_e32 v24, 0x3f317218
	v_pk_mul_f32 v[24:25], v[26:27], v[24:25]
	v_ldexp_f32 v23, v23, 1
	v_fma_f32 v27, v26, s2, -v24
	v_fmamk_f32 v30, v26, 0xb102e308, v27
	v_pk_add_f32 v[26:27], v[24:25], v[30:31]
	v_mov_b32_e32 v32, v24
	v_sub_f32_e32 v31, v27, v31
	v_sub_f32_e32 v31, v25, v31
	v_add_f32_e32 v33, v23, v31
	v_pk_add_f32 v[24:25], v[26:27], v[24:25] neg_lo:[0,1] neg_hi:[0,1]
	v_pk_add_f32 v[34:35], v[26:27], v[32:33]
	v_mov_b32_e32 v31, v26
	v_mov_b32_e32 v25, v35
	v_pk_add_f32 v[36:37], v[30:31], v[24:25] neg_lo:[0,1] neg_hi:[0,1]
	v_pk_add_f32 v[24:25], v[30:31], v[24:25]
	v_mov_b32_e32 v32, v33
	v_mov_b32_e32 v30, v25
	v_pk_add_f32 v[38:39], v[30:31], v[26:27] neg_lo:[0,1] neg_hi:[0,1]
	v_mov_b32_e32 v24, v35
	v_mov_b32_e32 v23, v38
	v_pk_add_f32 v[40:41], v[34:35], v[22:23] neg_lo:[0,1] neg_hi:[0,1]
	v_mov_b32_e32 v34, v27
	v_mov_b32_e32 v35, v38
	;; [unrolled: 1-line block ×3, first 2 shown]
	v_pk_add_f32 v[24:25], v[24:25], v[34:35] neg_lo:[0,1] neg_hi:[0,1]
	v_mov_b32_e32 v33, v26
	v_pk_add_f32 v[24:25], v[32:33], v[24:25] neg_lo:[0,1] neg_hi:[0,1]
	v_mov_b32_e32 v40, v36
	v_pk_add_f32 v[26:27], v[40:41], v[24:25]
	s_mov_b32 s2, 0x33800000
	v_mov_b32_e32 v32, v27
	v_pk_add_f32 v[32:33], v[26:27], v[32:33]
	v_cmp_lt_f32_e64 s[76:77], |v42|, s2
	v_pk_add_f32 v[30:31], v[30:31], v[32:33]
	v_mov_b32_e32 v25, v32
	v_mov_b32_e32 v27, v30
	v_pk_add_f32 v[34:35], v[26:27], v[36:37] neg_lo:[0,1] neg_hi:[0,1]
	s_or_b64 s[72:73], s[72:73], s[76:77]
	v_sub_f32_e32 v23, v26, v34
	v_pk_add_f32 v[24:25], v[24:25], v[34:35] neg_lo:[0,1] neg_hi:[0,1]
	v_sub_f32_e32 v23, v36, v23
	v_add_f32_e32 v23, v24, v23
	v_add_f32_e32 v23, v23, v25
	;; [unrolled: 1-line block ×3, first 2 shown]
	v_cndmask_b32_e64 v23, v23, v42, s[72:73]
	v_add_f32_e32 v22, v22, v23
	v_cvt_f16_f32_e32 v30, v22
	v_cvt_f32_f16_e32 v32, v30
	v_mov_b32_e32 v31, v30
.LBB378_72:
	s_or_b64 exec, exec, s[74:75]
	v_cvt_f32_f16_sdwa v22, v12 dst_sel:DWORD dst_unused:UNUSED_PAD src0_sel:WORD_1
	v_max_f32_e32 v24, v32, v32
	v_cmp_u_f16_e64 s[74:75], v30, v30
	v_cmp_u_f16_sdwa s[72:73], v12, v12 src0_sel:WORD_1 src1_sel:WORD_1
	v_min_f32_e32 v23, v24, v22
	v_max_f32_e32 v12, v24, v22
	v_cndmask_b32_e64 v23, v23, v32, s[74:75]
	v_cndmask_b32_e64 v12, v12, v32, s[74:75]
	;; [unrolled: 1-line block ×4, first 2 shown]
	v_cmp_neq_f32_e64 s[74:75], v23, v12
	v_cmp_class_f32_e64 s[76:77], v23, s33
	s_or_b64 s[74:75], s[74:75], s[76:77]
	s_and_saveexec_b64 s[76:77], s[74:75]
	s_cbranch_execz .LBB378_74
; %bb.73:
	v_sub_f32_e32 v23, v23, v12
	s_mov_b32 s2, 0x3fb8aa3b
	v_mul_f32_e32 v24, 0x3fb8aa3b, v23
	v_fma_f32 v25, v23, s2, -v24
	v_rndne_f32_e32 v26, v24
	v_fmamk_f32 v25, v23, 0x32a5705f, v25
	v_sub_f32_e32 v24, v24, v26
	v_add_f32_e32 v24, v24, v25
	v_exp_f32_e32 v24, v24
	v_cvt_i32_f32_e32 v25, v26
	s_mov_b32 s2, 0xc2ce8ed0
	v_cmp_ngt_f32_e64 s[74:75], s2, v23
	s_mov_b32 s2, 0x42b17218
	v_ldexp_f32 v24, v24, v25
	v_cndmask_b32_e64 v24, 0, v24, s[74:75]
	v_mov_b32_e32 v25, 0x7f800000
	v_cmp_nlt_f32_e64 s[74:75], s2, v23
	s_mov_b32 s2, 0x3f2aaaab
	s_mov_b32 s3, 0x7f800000
	v_cndmask_b32_e64 v42, v25, v24, s[74:75]
	v_add_f32_e32 v23, 1.0, v42
	v_add_f32_e32 v24, -1.0, v23
	v_sub_f32_e32 v25, v24, v23
	v_add_f32_e32 v25, 1.0, v25
	v_sub_f32_e32 v24, v42, v24
	v_add_f32_e32 v26, v24, v25
	v_frexp_mant_f32_e32 v27, v23
	v_cvt_f64_f32_e32 v[24:25], v23
	v_frexp_exp_i32_f64_e32 v24, v[24:25]
	v_cmp_gt_f32_e64 s[74:75], s2, v27
	s_mov_b32 s2, 0x3f317218
	s_nop 0
	v_subbrev_co_u32_e64 v34, s[74:75], 0, v24, s[74:75]
	v_sub_u32_e32 v24, 0, v34
	v_ldexp_f32 v23, v23, v24
	v_ldexp_f32 v24, v26, v24
	v_add_f32_e32 v26, -1.0, v23
	v_add_f32_e32 v25, 1.0, v26
	v_sub_f32_e32 v25, v23, v25
	v_add_f32_e32 v27, v24, v25
	v_add_f32_e32 v25, 1.0, v23
	v_add_f32_e32 v30, -1.0, v25
	v_sub_f32_e32 v23, v23, v30
	v_add_f32_e32 v23, v24, v23
	v_add_f32_e32 v35, v25, v23
	v_rcp_f32_e32 v36, v35
	v_sub_f32_e32 v24, v25, v35
	v_add_f32_e32 v25, v26, v27
	v_add_f32_e32 v23, v23, v24
	v_mul_f32_e32 v38, v25, v36
	v_sub_f32_e32 v24, v26, v25
	v_mul_f32_e32 v26, v35, v38
	v_fma_f32 v30, v38, v35, -v26
	v_fmac_f32_e32 v30, v38, v23
	v_add_f32_e32 v37, v27, v24
	v_add_f32_e32 v24, v26, v30
	v_sub_f32_e32 v27, v25, v24
	v_pk_add_f32 v[32:33], v[24:25], v[26:27] neg_lo:[0,1] neg_hi:[0,1]
	v_mov_b32_e32 v31, v24
	v_pk_add_f32 v[24:25], v[32:33], v[30:31] neg_lo:[0,1] neg_hi:[0,1]
	v_cmp_eq_f32_e64 s[74:75], s3, v42
	v_add_f32_e32 v25, v37, v25
	v_add_f32_e32 v24, v24, v25
	;; [unrolled: 1-line block ×3, first 2 shown]
	v_mul_f32_e32 v37, v36, v25
	v_mul_f32_e32 v26, v35, v37
	v_fma_f32 v30, v37, v35, -v26
	v_fmac_f32_e32 v30, v37, v23
	v_sub_f32_e32 v23, v27, v25
	v_add_f32_e32 v23, v24, v23
	v_add_f32_e32 v24, v26, v30
	v_sub_f32_e32 v27, v25, v24
	v_pk_add_f32 v[32:33], v[24:25], v[26:27] neg_lo:[0,1] neg_hi:[0,1]
	v_mov_b32_e32 v31, v24
	v_pk_add_f32 v[24:25], v[32:33], v[30:31] neg_lo:[0,1] neg_hi:[0,1]
	v_cvt_f32_i32_e32 v26, v34
	v_add_f32_e32 v23, v23, v25
	v_add_f32_e32 v23, v24, v23
	;; [unrolled: 1-line block ×4, first 2 shown]
	v_sub_f32_e32 v25, v24, v38
	v_mul_f32_e32 v23, v36, v23
	v_sub_f32_e32 v25, v37, v25
	v_add_f32_e32 v23, v25, v23
	v_add_f32_e32 v27, v24, v23
	v_mul_f32_e32 v30, v27, v27
	v_mov_b32_e32 v25, 0x3ecc95a3
	v_fmac_f32_e32 v25, 0x3e9b6dac, v30
	v_sub_f32_e32 v24, v27, v24
	v_fmaak_f32 v25, v30, v25, 0x3f2aaada
	v_sub_f32_e32 v23, v23, v24
	v_ldexp_f32 v31, v27, 1
	v_mul_f32_e32 v27, v27, v30
	v_mov_b32_e32 v24, 0x3f317218
	v_pk_mul_f32 v[24:25], v[26:27], v[24:25]
	v_ldexp_f32 v23, v23, 1
	v_fma_f32 v27, v26, s2, -v24
	v_fmamk_f32 v30, v26, 0xb102e308, v27
	v_pk_add_f32 v[26:27], v[24:25], v[30:31]
	v_mov_b32_e32 v32, v24
	v_sub_f32_e32 v31, v27, v31
	v_sub_f32_e32 v31, v25, v31
	v_add_f32_e32 v33, v23, v31
	v_pk_add_f32 v[24:25], v[26:27], v[24:25] neg_lo:[0,1] neg_hi:[0,1]
	v_pk_add_f32 v[34:35], v[26:27], v[32:33]
	v_mov_b32_e32 v31, v26
	v_mov_b32_e32 v25, v35
	v_pk_add_f32 v[36:37], v[30:31], v[24:25] neg_lo:[0,1] neg_hi:[0,1]
	v_pk_add_f32 v[24:25], v[30:31], v[24:25]
	v_mov_b32_e32 v32, v33
	v_mov_b32_e32 v30, v25
	v_pk_add_f32 v[38:39], v[30:31], v[26:27] neg_lo:[0,1] neg_hi:[0,1]
	v_mov_b32_e32 v24, v35
	v_mov_b32_e32 v23, v38
	v_pk_add_f32 v[40:41], v[34:35], v[22:23] neg_lo:[0,1] neg_hi:[0,1]
	v_mov_b32_e32 v34, v27
	v_mov_b32_e32 v35, v38
	;; [unrolled: 1-line block ×3, first 2 shown]
	v_pk_add_f32 v[24:25], v[24:25], v[34:35] neg_lo:[0,1] neg_hi:[0,1]
	v_mov_b32_e32 v33, v26
	v_pk_add_f32 v[24:25], v[32:33], v[24:25] neg_lo:[0,1] neg_hi:[0,1]
	v_mov_b32_e32 v40, v36
	v_pk_add_f32 v[26:27], v[40:41], v[24:25]
	s_mov_b32 s2, 0x33800000
	v_mov_b32_e32 v32, v27
	v_pk_add_f32 v[32:33], v[26:27], v[32:33]
	v_cmp_lt_f32_e64 s[78:79], |v42|, s2
	v_pk_add_f32 v[30:31], v[30:31], v[32:33]
	v_mov_b32_e32 v25, v32
	v_mov_b32_e32 v27, v30
	v_pk_add_f32 v[34:35], v[26:27], v[36:37] neg_lo:[0,1] neg_hi:[0,1]
	s_or_b64 s[74:75], s[74:75], s[78:79]
	v_sub_f32_e32 v23, v26, v34
	v_pk_add_f32 v[24:25], v[24:25], v[34:35] neg_lo:[0,1] neg_hi:[0,1]
	v_sub_f32_e32 v23, v36, v23
	v_add_f32_e32 v23, v24, v23
	v_add_f32_e32 v23, v23, v25
	;; [unrolled: 1-line block ×3, first 2 shown]
	v_cndmask_b32_e64 v23, v23, v42, s[74:75]
	v_add_f32_e32 v12, v12, v23
	v_cvt_f16_f32_e32 v30, v12
	v_cvt_f32_f16_e32 v32, v30
	v_mov_b32_e32 v31, v30
.LBB378_74:
	s_or_b64 exec, exec, s[76:77]
	v_cvt_f32_f16_e32 v12, v13
	v_max_f32_e32 v23, v32, v32
	v_cmp_u_f16_e64 s[76:77], v30, v30
	v_cmp_u_f16_e64 s[74:75], v13, v13
	v_min_f32_e32 v24, v23, v12
	v_max_f32_e32 v23, v23, v12
	v_cndmask_b32_e64 v24, v24, v32, s[76:77]
	v_cndmask_b32_e64 v23, v23, v32, s[76:77]
	;; [unrolled: 1-line block ×4, first 2 shown]
	v_cmp_neq_f32_e64 s[76:77], v24, v23
	v_cmp_class_f32_e64 s[78:79], v24, s33
	s_or_b64 s[76:77], s[76:77], s[78:79]
	s_and_saveexec_b64 s[78:79], s[76:77]
	s_cbranch_execz .LBB378_76
; %bb.75:
	v_sub_f32_e32 v24, v24, v23
	s_mov_b32 s2, 0x3fb8aa3b
	v_mul_f32_e32 v25, 0x3fb8aa3b, v24
	v_fma_f32 v26, v24, s2, -v25
	v_rndne_f32_e32 v27, v25
	v_fmamk_f32 v26, v24, 0x32a5705f, v26
	v_sub_f32_e32 v25, v25, v27
	v_add_f32_e32 v25, v25, v26
	v_exp_f32_e32 v25, v25
	v_cvt_i32_f32_e32 v26, v27
	s_mov_b32 s2, 0xc2ce8ed0
	v_cmp_ngt_f32_e64 s[76:77], s2, v24
	s_mov_b32 s2, 0x42b17218
	v_ldexp_f32 v25, v25, v26
	v_cndmask_b32_e64 v25, 0, v25, s[76:77]
	v_mov_b32_e32 v26, 0x7f800000
	v_cmp_nlt_f32_e64 s[76:77], s2, v24
	s_mov_b32 s2, 0x3f2aaaab
	s_mov_b32 s3, 0x7f800000
	v_cndmask_b32_e64 v42, v26, v25, s[76:77]
	v_add_f32_e32 v26, 1.0, v42
	v_add_f32_e32 v24, -1.0, v26
	v_sub_f32_e32 v25, v24, v26
	v_add_f32_e32 v25, 1.0, v25
	v_sub_f32_e32 v24, v42, v24
	v_add_f32_e32 v27, v24, v25
	v_frexp_mant_f32_e32 v30, v26
	v_cvt_f64_f32_e32 v[24:25], v26
	v_frexp_exp_i32_f64_e32 v24, v[24:25]
	v_cmp_gt_f32_e64 s[76:77], s2, v30
	s_mov_b32 s2, 0x3f317218
	s_nop 0
	v_subbrev_co_u32_e64 v34, s[76:77], 0, v24, s[76:77]
	v_sub_u32_e32 v24, 0, v34
	v_ldexp_f32 v25, v26, v24
	v_add_f32_e32 v26, -1.0, v25
	v_add_f32_e32 v30, 1.0, v25
	v_ldexp_f32 v24, v27, v24
	v_add_f32_e32 v27, 1.0, v26
	v_add_f32_e32 v31, -1.0, v30
	v_sub_f32_e32 v27, v25, v27
	v_sub_f32_e32 v25, v25, v31
	v_add_f32_e32 v27, v24, v27
	v_add_f32_e32 v24, v24, v25
	v_add_f32_e32 v35, v30, v24
	v_rcp_f32_e32 v37, v35
	v_sub_f32_e32 v25, v30, v35
	v_add_f32_e32 v36, v24, v25
	v_add_f32_e32 v25, v26, v27
	v_mul_f32_e32 v39, v25, v37
	v_sub_f32_e32 v24, v26, v25
	v_mul_f32_e32 v26, v35, v39
	v_fma_f32 v30, v39, v35, -v26
	v_fmac_f32_e32 v30, v39, v36
	v_add_f32_e32 v38, v27, v24
	v_add_f32_e32 v24, v26, v30
	v_sub_f32_e32 v27, v25, v24
	v_pk_add_f32 v[32:33], v[24:25], v[26:27] neg_lo:[0,1] neg_hi:[0,1]
	v_mov_b32_e32 v31, v24
	v_pk_add_f32 v[24:25], v[32:33], v[30:31] neg_lo:[0,1] neg_hi:[0,1]
	v_cmp_eq_f32_e64 s[76:77], s3, v42
	v_add_f32_e32 v25, v38, v25
	v_add_f32_e32 v24, v24, v25
	;; [unrolled: 1-line block ×3, first 2 shown]
	v_mul_f32_e32 v38, v37, v25
	v_mul_f32_e32 v26, v35, v38
	v_fma_f32 v30, v38, v35, -v26
	v_fmac_f32_e32 v30, v38, v36
	v_sub_f32_e32 v27, v27, v25
	v_add_f32_e32 v35, v24, v27
	v_add_f32_e32 v24, v26, v30
	v_sub_f32_e32 v27, v25, v24
	v_pk_add_f32 v[32:33], v[24:25], v[26:27] neg_lo:[0,1] neg_hi:[0,1]
	v_mov_b32_e32 v31, v24
	v_pk_add_f32 v[24:25], v[32:33], v[30:31] neg_lo:[0,1] neg_hi:[0,1]
	v_cvt_f32_i32_e32 v26, v34
	v_add_f32_e32 v25, v35, v25
	v_add_f32_e32 v24, v24, v25
	;; [unrolled: 1-line block ×4, first 2 shown]
	v_sub_f32_e32 v25, v27, v39
	v_mul_f32_e32 v24, v37, v24
	v_sub_f32_e32 v25, v38, v25
	v_add_f32_e32 v24, v25, v24
	v_add_f32_e32 v30, v27, v24
	v_mul_f32_e32 v32, v30, v30
	v_mov_b32_e32 v25, 0x3ecc95a3
	v_sub_f32_e32 v27, v30, v27
	v_fmac_f32_e32 v25, 0x3e9b6dac, v32
	v_sub_f32_e32 v24, v24, v27
	v_fmaak_f32 v25, v32, v25, 0x3f2aaada
	v_ldexp_f32 v33, v24, 1
	v_mul_f32_e32 v27, v30, v32
	v_mov_b32_e32 v24, 0x3f317218
	v_pk_mul_f32 v[24:25], v[26:27], v[24:25]
	v_ldexp_f32 v31, v30, 1
	v_fma_f32 v27, v26, s2, -v24
	v_fmamk_f32 v30, v26, 0xb102e308, v27
	v_pk_add_f32 v[26:27], v[24:25], v[30:31]
	v_mov_b32_e32 v32, v24
	v_sub_f32_e32 v31, v27, v31
	v_sub_f32_e32 v31, v25, v31
	v_add_f32_e32 v33, v33, v31
	v_pk_add_f32 v[24:25], v[26:27], v[24:25] neg_lo:[0,1] neg_hi:[0,1]
	v_pk_add_f32 v[34:35], v[26:27], v[32:33]
	v_mov_b32_e32 v31, v26
	v_mov_b32_e32 v25, v35
	v_pk_add_f32 v[36:37], v[30:31], v[24:25] neg_lo:[0,1] neg_hi:[0,1]
	v_pk_add_f32 v[24:25], v[30:31], v[24:25]
	v_mov_b32_e32 v32, v33
	v_mov_b32_e32 v30, v25
	v_pk_add_f32 v[38:39], v[30:31], v[26:27] neg_lo:[0,1] neg_hi:[0,1]
	v_mov_b32_e32 v24, v35
	v_mov_b32_e32 v31, v38
	v_pk_add_f32 v[40:41], v[34:35], v[30:31] neg_lo:[0,1] neg_hi:[0,1]
	v_mov_b32_e32 v34, v27
	v_mov_b32_e32 v35, v38
	;; [unrolled: 1-line block ×3, first 2 shown]
	v_pk_add_f32 v[24:25], v[24:25], v[34:35] neg_lo:[0,1] neg_hi:[0,1]
	v_mov_b32_e32 v33, v26
	v_pk_add_f32 v[24:25], v[32:33], v[24:25] neg_lo:[0,1] neg_hi:[0,1]
	v_mov_b32_e32 v40, v36
	v_pk_add_f32 v[26:27], v[40:41], v[24:25]
	s_mov_b32 s2, 0x33800000
	v_mov_b32_e32 v32, v27
	v_pk_add_f32 v[32:33], v[26:27], v[32:33]
	v_cmp_lt_f32_e64 s[80:81], |v42|, s2
	v_pk_add_f32 v[30:31], v[30:31], v[32:33]
	v_mov_b32_e32 v25, v32
	v_mov_b32_e32 v27, v30
	v_pk_add_f32 v[34:35], v[26:27], v[36:37] neg_lo:[0,1] neg_hi:[0,1]
	s_or_b64 s[76:77], s[76:77], s[80:81]
	v_sub_f32_e32 v26, v26, v34
	v_pk_add_f32 v[24:25], v[24:25], v[34:35] neg_lo:[0,1] neg_hi:[0,1]
	v_sub_f32_e32 v26, v36, v26
	v_add_f32_e32 v24, v24, v26
	v_add_f32_e32 v24, v24, v25
	;; [unrolled: 1-line block ×3, first 2 shown]
	v_cndmask_b32_e64 v24, v24, v42, s[76:77]
	v_add_f32_e32 v23, v23, v24
	v_cvt_f16_f32_e32 v30, v23
	v_cvt_f32_f16_e32 v32, v30
	v_mov_b32_e32 v31, v30
.LBB378_76:
	s_or_b64 exec, exec, s[78:79]
	v_cvt_f32_f16_sdwa v23, v13 dst_sel:DWORD dst_unused:UNUSED_PAD src0_sel:WORD_1
	v_max_f32_e32 v25, v32, v32
	v_cmp_u_f16_e64 s[78:79], v30, v30
	v_cmp_u_f16_sdwa s[76:77], v13, v13 src0_sel:WORD_1 src1_sel:WORD_1
	v_min_f32_e32 v24, v25, v23
	v_max_f32_e32 v13, v25, v23
	v_cndmask_b32_e64 v24, v24, v32, s[78:79]
	v_cndmask_b32_e64 v13, v13, v32, s[78:79]
	;; [unrolled: 1-line block ×4, first 2 shown]
	v_cmp_neq_f32_e64 s[78:79], v24, v13
	v_cmp_class_f32_e64 s[80:81], v24, s33
	s_or_b64 s[78:79], s[78:79], s[80:81]
	s_and_saveexec_b64 s[80:81], s[78:79]
	s_cbranch_execz .LBB378_78
; %bb.77:
	v_sub_f32_e32 v24, v24, v13
	s_mov_b32 s2, 0x3fb8aa3b
	v_mul_f32_e32 v25, 0x3fb8aa3b, v24
	v_fma_f32 v26, v24, s2, -v25
	v_rndne_f32_e32 v27, v25
	v_fmamk_f32 v26, v24, 0x32a5705f, v26
	v_sub_f32_e32 v25, v25, v27
	v_add_f32_e32 v25, v25, v26
	v_exp_f32_e32 v25, v25
	v_cvt_i32_f32_e32 v26, v27
	s_mov_b32 s2, 0xc2ce8ed0
	v_cmp_ngt_f32_e64 s[78:79], s2, v24
	s_mov_b32 s2, 0x42b17218
	v_ldexp_f32 v25, v25, v26
	v_cndmask_b32_e64 v25, 0, v25, s[78:79]
	v_mov_b32_e32 v26, 0x7f800000
	v_cmp_nlt_f32_e64 s[78:79], s2, v24
	s_mov_b32 s2, 0x3f2aaaab
	s_mov_b32 s3, 0x7f800000
	v_cndmask_b32_e64 v42, v26, v25, s[78:79]
	v_add_f32_e32 v26, 1.0, v42
	v_add_f32_e32 v24, -1.0, v26
	v_sub_f32_e32 v25, v24, v26
	v_add_f32_e32 v25, 1.0, v25
	v_sub_f32_e32 v24, v42, v24
	v_add_f32_e32 v27, v24, v25
	v_frexp_mant_f32_e32 v30, v26
	v_cvt_f64_f32_e32 v[24:25], v26
	v_frexp_exp_i32_f64_e32 v24, v[24:25]
	v_cmp_gt_f32_e64 s[78:79], s2, v30
	s_mov_b32 s2, 0x3f317218
	s_nop 0
	v_subbrev_co_u32_e64 v34, s[78:79], 0, v24, s[78:79]
	v_sub_u32_e32 v24, 0, v34
	v_ldexp_f32 v25, v26, v24
	v_add_f32_e32 v26, -1.0, v25
	v_add_f32_e32 v30, 1.0, v25
	v_ldexp_f32 v24, v27, v24
	v_add_f32_e32 v27, 1.0, v26
	v_add_f32_e32 v31, -1.0, v30
	v_sub_f32_e32 v27, v25, v27
	v_sub_f32_e32 v25, v25, v31
	v_add_f32_e32 v27, v24, v27
	v_add_f32_e32 v24, v24, v25
	;; [unrolled: 1-line block ×3, first 2 shown]
	v_rcp_f32_e32 v37, v35
	v_sub_f32_e32 v25, v30, v35
	v_add_f32_e32 v36, v24, v25
	v_add_f32_e32 v25, v26, v27
	v_mul_f32_e32 v39, v25, v37
	v_sub_f32_e32 v24, v26, v25
	v_mul_f32_e32 v26, v35, v39
	v_fma_f32 v30, v39, v35, -v26
	v_fmac_f32_e32 v30, v39, v36
	v_add_f32_e32 v38, v27, v24
	v_add_f32_e32 v24, v26, v30
	v_sub_f32_e32 v27, v25, v24
	v_pk_add_f32 v[32:33], v[24:25], v[26:27] neg_lo:[0,1] neg_hi:[0,1]
	v_mov_b32_e32 v31, v24
	v_pk_add_f32 v[24:25], v[32:33], v[30:31] neg_lo:[0,1] neg_hi:[0,1]
	v_cmp_eq_f32_e64 s[78:79], s3, v42
	v_add_f32_e32 v25, v38, v25
	v_add_f32_e32 v24, v24, v25
	;; [unrolled: 1-line block ×3, first 2 shown]
	v_mul_f32_e32 v38, v37, v25
	v_mul_f32_e32 v26, v35, v38
	v_fma_f32 v30, v38, v35, -v26
	v_fmac_f32_e32 v30, v38, v36
	v_sub_f32_e32 v27, v27, v25
	v_add_f32_e32 v35, v24, v27
	v_add_f32_e32 v24, v26, v30
	v_sub_f32_e32 v27, v25, v24
	v_pk_add_f32 v[32:33], v[24:25], v[26:27] neg_lo:[0,1] neg_hi:[0,1]
	v_mov_b32_e32 v31, v24
	v_pk_add_f32 v[24:25], v[32:33], v[30:31] neg_lo:[0,1] neg_hi:[0,1]
	v_cvt_f32_i32_e32 v26, v34
	v_add_f32_e32 v25, v35, v25
	v_add_f32_e32 v24, v24, v25
	;; [unrolled: 1-line block ×4, first 2 shown]
	v_sub_f32_e32 v25, v27, v39
	v_mul_f32_e32 v24, v37, v24
	v_sub_f32_e32 v25, v38, v25
	v_add_f32_e32 v24, v25, v24
	v_add_f32_e32 v30, v27, v24
	v_mul_f32_e32 v32, v30, v30
	v_mov_b32_e32 v25, 0x3ecc95a3
	v_sub_f32_e32 v27, v30, v27
	v_fmac_f32_e32 v25, 0x3e9b6dac, v32
	v_sub_f32_e32 v24, v24, v27
	v_fmaak_f32 v25, v32, v25, 0x3f2aaada
	v_ldexp_f32 v33, v24, 1
	v_mul_f32_e32 v27, v30, v32
	v_mov_b32_e32 v24, 0x3f317218
	v_pk_mul_f32 v[24:25], v[26:27], v[24:25]
	v_ldexp_f32 v31, v30, 1
	v_fma_f32 v27, v26, s2, -v24
	v_fmamk_f32 v30, v26, 0xb102e308, v27
	v_pk_add_f32 v[26:27], v[24:25], v[30:31]
	v_mov_b32_e32 v32, v24
	v_sub_f32_e32 v31, v27, v31
	v_sub_f32_e32 v31, v25, v31
	v_add_f32_e32 v33, v33, v31
	v_pk_add_f32 v[24:25], v[26:27], v[24:25] neg_lo:[0,1] neg_hi:[0,1]
	v_pk_add_f32 v[34:35], v[26:27], v[32:33]
	v_mov_b32_e32 v31, v26
	v_mov_b32_e32 v25, v35
	v_pk_add_f32 v[36:37], v[30:31], v[24:25] neg_lo:[0,1] neg_hi:[0,1]
	v_pk_add_f32 v[24:25], v[30:31], v[24:25]
	v_mov_b32_e32 v32, v33
	v_mov_b32_e32 v30, v25
	v_pk_add_f32 v[38:39], v[30:31], v[26:27] neg_lo:[0,1] neg_hi:[0,1]
	v_mov_b32_e32 v24, v35
	v_mov_b32_e32 v31, v38
	v_pk_add_f32 v[40:41], v[34:35], v[30:31] neg_lo:[0,1] neg_hi:[0,1]
	v_mov_b32_e32 v34, v27
	v_mov_b32_e32 v35, v38
	v_mov_b32_e32 v37, v25
	v_pk_add_f32 v[24:25], v[24:25], v[34:35] neg_lo:[0,1] neg_hi:[0,1]
	v_mov_b32_e32 v33, v26
	v_pk_add_f32 v[24:25], v[32:33], v[24:25] neg_lo:[0,1] neg_hi:[0,1]
	v_mov_b32_e32 v40, v36
	v_pk_add_f32 v[26:27], v[40:41], v[24:25]
	s_mov_b32 s2, 0x33800000
	v_mov_b32_e32 v32, v27
	v_pk_add_f32 v[32:33], v[26:27], v[32:33]
	v_cmp_lt_f32_e64 s[82:83], |v42|, s2
	v_pk_add_f32 v[30:31], v[30:31], v[32:33]
	v_mov_b32_e32 v25, v32
	v_mov_b32_e32 v27, v30
	v_pk_add_f32 v[34:35], v[26:27], v[36:37] neg_lo:[0,1] neg_hi:[0,1]
	s_or_b64 s[78:79], s[78:79], s[82:83]
	v_sub_f32_e32 v26, v26, v34
	v_pk_add_f32 v[24:25], v[24:25], v[34:35] neg_lo:[0,1] neg_hi:[0,1]
	v_sub_f32_e32 v26, v36, v26
	v_add_f32_e32 v24, v24, v26
	v_add_f32_e32 v24, v24, v25
	;; [unrolled: 1-line block ×3, first 2 shown]
	v_cndmask_b32_e64 v24, v24, v42, s[78:79]
	v_add_f32_e32 v13, v13, v24
	v_cvt_f16_f32_e32 v30, v13
	v_cvt_f32_f16_e32 v32, v30
	v_mov_b32_e32 v31, v30
.LBB378_78:
	s_or_b64 exec, exec, s[80:81]
	v_cvt_f32_f16_e32 v13, v6
	v_max_f32_e32 v24, v32, v32
	v_cmp_u_f16_e64 s[80:81], v30, v30
	v_cmp_u_f16_e64 s[78:79], v6, v6
	v_min_f32_e32 v25, v24, v13
	v_max_f32_e32 v24, v24, v13
	v_cndmask_b32_e64 v25, v25, v32, s[80:81]
	v_cndmask_b32_e64 v24, v24, v32, s[80:81]
	;; [unrolled: 1-line block ×4, first 2 shown]
	v_cmp_neq_f32_e64 s[80:81], v25, v24
	v_cmp_class_f32_e64 s[82:83], v25, s33
	s_or_b64 s[80:81], s[80:81], s[82:83]
	s_and_saveexec_b64 s[82:83], s[80:81]
	s_cbranch_execz .LBB378_80
; %bb.79:
	v_sub_f32_e32 v25, v25, v24
	s_mov_b32 s2, 0x3fb8aa3b
	v_mul_f32_e32 v26, 0x3fb8aa3b, v25
	v_fma_f32 v27, v25, s2, -v26
	v_rndne_f32_e32 v30, v26
	v_fmamk_f32 v27, v25, 0x32a5705f, v27
	v_sub_f32_e32 v26, v26, v30
	v_add_f32_e32 v26, v26, v27
	v_exp_f32_e32 v26, v26
	v_cvt_i32_f32_e32 v27, v30
	s_mov_b32 s2, 0xc2ce8ed0
	v_cmp_ngt_f32_e64 s[80:81], s2, v25
	s_mov_b32 s2, 0x42b17218
	v_ldexp_f32 v26, v26, v27
	v_cndmask_b32_e64 v26, 0, v26, s[80:81]
	v_mov_b32_e32 v27, 0x7f800000
	v_cmp_nlt_f32_e64 s[80:81], s2, v25
	s_mov_b32 s2, 0x3f2aaaab
	s_mov_b32 s3, 0x7f800000
	v_cndmask_b32_e64 v44, v27, v26, s[80:81]
	v_add_f32_e32 v25, 1.0, v44
	v_add_f32_e32 v26, -1.0, v25
	v_sub_f32_e32 v27, v26, v25
	v_add_f32_e32 v27, 1.0, v27
	v_sub_f32_e32 v26, v44, v26
	v_add_f32_e32 v30, v26, v27
	v_frexp_mant_f32_e32 v31, v25
	v_cvt_f64_f32_e32 v[26:27], v25
	v_frexp_exp_i32_f64_e32 v26, v[26:27]
	v_cmp_gt_f32_e64 s[80:81], s2, v31
	s_mov_b32 s2, 0x3f317218
	s_nop 0
	v_subbrev_co_u32_e64 v36, s[80:81], 0, v26, s[80:81]
	v_sub_u32_e32 v26, 0, v36
	v_ldexp_f32 v25, v25, v26
	v_ldexp_f32 v26, v30, v26
	v_add_f32_e32 v30, -1.0, v25
	v_add_f32_e32 v27, 1.0, v30
	v_sub_f32_e32 v27, v25, v27
	v_add_f32_e32 v31, v26, v27
	v_add_f32_e32 v27, 1.0, v25
	v_add_f32_e32 v32, -1.0, v27
	v_sub_f32_e32 v25, v25, v32
	v_add_f32_e32 v25, v26, v25
	v_add_f32_e32 v37, v27, v25
	v_rcp_f32_e32 v38, v37
	v_sub_f32_e32 v26, v27, v37
	v_add_f32_e32 v27, v30, v31
	v_add_f32_e32 v25, v25, v26
	v_mul_f32_e32 v40, v27, v38
	v_sub_f32_e32 v26, v30, v27
	v_mul_f32_e32 v30, v37, v40
	v_fma_f32 v32, v40, v37, -v30
	v_fmac_f32_e32 v32, v40, v25
	v_add_f32_e32 v39, v31, v26
	v_add_f32_e32 v26, v30, v32
	v_sub_f32_e32 v31, v27, v26
	v_pk_add_f32 v[34:35], v[26:27], v[30:31] neg_lo:[0,1] neg_hi:[0,1]
	v_mov_b32_e32 v33, v26
	v_pk_add_f32 v[26:27], v[34:35], v[32:33] neg_lo:[0,1] neg_hi:[0,1]
	v_cmp_eq_f32_e64 s[80:81], s3, v44
	v_add_f32_e32 v27, v39, v27
	v_add_f32_e32 v26, v26, v27
	;; [unrolled: 1-line block ×3, first 2 shown]
	v_mul_f32_e32 v39, v38, v27
	v_mul_f32_e32 v30, v37, v39
	v_fma_f32 v32, v39, v37, -v30
	v_fmac_f32_e32 v32, v39, v25
	v_sub_f32_e32 v25, v31, v27
	v_add_f32_e32 v25, v26, v25
	v_add_f32_e32 v26, v30, v32
	v_sub_f32_e32 v31, v27, v26
	v_pk_add_f32 v[34:35], v[26:27], v[30:31] neg_lo:[0,1] neg_hi:[0,1]
	v_mov_b32_e32 v33, v26
	v_pk_add_f32 v[26:27], v[34:35], v[32:33] neg_lo:[0,1] neg_hi:[0,1]
	v_cvt_f32_i32_e32 v30, v36
	v_add_f32_e32 v25, v25, v27
	v_add_f32_e32 v25, v26, v25
	;; [unrolled: 1-line block ×4, first 2 shown]
	v_sub_f32_e32 v27, v26, v40
	v_mul_f32_e32 v25, v38, v25
	v_sub_f32_e32 v27, v39, v27
	v_add_f32_e32 v25, v27, v25
	v_add_f32_e32 v31, v26, v25
	v_mul_f32_e32 v32, v31, v31
	v_mov_b32_e32 v27, 0x3ecc95a3
	v_fmac_f32_e32 v27, 0x3e9b6dac, v32
	v_sub_f32_e32 v26, v31, v26
	v_fmaak_f32 v27, v32, v27, 0x3f2aaada
	v_sub_f32_e32 v25, v25, v26
	v_ldexp_f32 v33, v31, 1
	v_mul_f32_e32 v31, v31, v32
	v_mov_b32_e32 v26, 0x3f317218
	v_pk_mul_f32 v[26:27], v[30:31], v[26:27]
	v_ldexp_f32 v25, v25, 1
	v_fma_f32 v31, v30, s2, -v26
	v_fmamk_f32 v32, v30, 0xb102e308, v31
	v_pk_add_f32 v[30:31], v[26:27], v[32:33]
	v_mov_b32_e32 v34, v26
	v_sub_f32_e32 v33, v31, v33
	v_sub_f32_e32 v33, v27, v33
	v_add_f32_e32 v35, v25, v33
	v_pk_add_f32 v[26:27], v[30:31], v[26:27] neg_lo:[0,1] neg_hi:[0,1]
	v_pk_add_f32 v[36:37], v[30:31], v[34:35]
	v_mov_b32_e32 v33, v30
	v_mov_b32_e32 v27, v37
	v_pk_add_f32 v[38:39], v[32:33], v[26:27] neg_lo:[0,1] neg_hi:[0,1]
	v_pk_add_f32 v[26:27], v[32:33], v[26:27]
	v_mov_b32_e32 v34, v35
	v_mov_b32_e32 v32, v27
	v_pk_add_f32 v[40:41], v[32:33], v[30:31] neg_lo:[0,1] neg_hi:[0,1]
	v_mov_b32_e32 v26, v37
	v_mov_b32_e32 v25, v40
	v_pk_add_f32 v[42:43], v[36:37], v[24:25] neg_lo:[0,1] neg_hi:[0,1]
	v_mov_b32_e32 v36, v31
	v_mov_b32_e32 v37, v40
	;; [unrolled: 1-line block ×3, first 2 shown]
	v_pk_add_f32 v[26:27], v[26:27], v[36:37] neg_lo:[0,1] neg_hi:[0,1]
	v_mov_b32_e32 v35, v30
	v_pk_add_f32 v[26:27], v[34:35], v[26:27] neg_lo:[0,1] neg_hi:[0,1]
	v_mov_b32_e32 v42, v38
	v_pk_add_f32 v[30:31], v[42:43], v[26:27]
	s_mov_b32 s2, 0x33800000
	v_mov_b32_e32 v34, v31
	v_pk_add_f32 v[34:35], v[30:31], v[34:35]
	v_cmp_lt_f32_e64 s[84:85], |v44|, s2
	v_pk_add_f32 v[32:33], v[32:33], v[34:35]
	v_mov_b32_e32 v27, v34
	v_mov_b32_e32 v31, v32
	v_pk_add_f32 v[36:37], v[30:31], v[38:39] neg_lo:[0,1] neg_hi:[0,1]
	s_or_b64 s[80:81], s[80:81], s[84:85]
	v_sub_f32_e32 v25, v30, v36
	v_pk_add_f32 v[26:27], v[26:27], v[36:37] neg_lo:[0,1] neg_hi:[0,1]
	v_sub_f32_e32 v25, v38, v25
	v_add_f32_e32 v25, v26, v25
	v_add_f32_e32 v25, v25, v27
	;; [unrolled: 1-line block ×3, first 2 shown]
	v_cndmask_b32_e64 v25, v25, v44, s[80:81]
	v_add_f32_e32 v24, v24, v25
	v_cvt_f16_f32_e32 v30, v24
	v_cvt_f32_f16_e32 v32, v30
	v_mov_b32_e32 v31, v30
.LBB378_80:
	s_or_b64 exec, exec, s[82:83]
	v_cvt_f32_f16_sdwa v24, v6 dst_sel:DWORD dst_unused:UNUSED_PAD src0_sel:WORD_1
	v_max_f32_e32 v26, v32, v32
	v_cmp_u_f16_e64 s[82:83], v30, v30
	v_cmp_u_f16_sdwa s[80:81], v6, v6 src0_sel:WORD_1 src1_sel:WORD_1
	v_min_f32_e32 v25, v26, v24
	v_max_f32_e32 v6, v26, v24
	v_cndmask_b32_e64 v25, v25, v32, s[82:83]
	v_cndmask_b32_e64 v6, v6, v32, s[82:83]
	;; [unrolled: 1-line block ×4, first 2 shown]
	v_cmp_neq_f32_e64 s[82:83], v25, v6
	v_cmp_class_f32_e64 s[84:85], v25, s33
	s_or_b64 s[82:83], s[82:83], s[84:85]
	s_and_saveexec_b64 s[84:85], s[82:83]
	s_cbranch_execz .LBB378_82
; %bb.81:
	v_sub_f32_e32 v25, v25, v6
	s_mov_b32 s2, 0x3fb8aa3b
	v_mul_f32_e32 v26, 0x3fb8aa3b, v25
	v_fma_f32 v27, v25, s2, -v26
	v_rndne_f32_e32 v30, v26
	v_fmamk_f32 v27, v25, 0x32a5705f, v27
	v_sub_f32_e32 v26, v26, v30
	v_add_f32_e32 v26, v26, v27
	v_exp_f32_e32 v26, v26
	v_cvt_i32_f32_e32 v27, v30
	s_mov_b32 s2, 0xc2ce8ed0
	v_cmp_ngt_f32_e64 s[82:83], s2, v25
	s_mov_b32 s2, 0x42b17218
	v_ldexp_f32 v26, v26, v27
	v_cndmask_b32_e64 v26, 0, v26, s[82:83]
	v_mov_b32_e32 v27, 0x7f800000
	v_cmp_nlt_f32_e64 s[82:83], s2, v25
	s_mov_b32 s2, 0x3f2aaaab
	s_mov_b32 s3, 0x7f800000
	v_cndmask_b32_e64 v44, v27, v26, s[82:83]
	v_add_f32_e32 v25, 1.0, v44
	v_add_f32_e32 v26, -1.0, v25
	v_sub_f32_e32 v27, v26, v25
	v_add_f32_e32 v27, 1.0, v27
	v_sub_f32_e32 v26, v44, v26
	v_add_f32_e32 v30, v26, v27
	v_frexp_mant_f32_e32 v31, v25
	v_cvt_f64_f32_e32 v[26:27], v25
	v_frexp_exp_i32_f64_e32 v26, v[26:27]
	v_cmp_gt_f32_e64 s[82:83], s2, v31
	s_mov_b32 s2, 0x3f317218
	s_nop 0
	v_subbrev_co_u32_e64 v36, s[82:83], 0, v26, s[82:83]
	v_sub_u32_e32 v26, 0, v36
	v_ldexp_f32 v25, v25, v26
	v_ldexp_f32 v26, v30, v26
	v_add_f32_e32 v30, -1.0, v25
	v_add_f32_e32 v27, 1.0, v30
	v_sub_f32_e32 v27, v25, v27
	v_add_f32_e32 v31, v26, v27
	v_add_f32_e32 v27, 1.0, v25
	v_add_f32_e32 v32, -1.0, v27
	v_sub_f32_e32 v25, v25, v32
	v_add_f32_e32 v25, v26, v25
	v_add_f32_e32 v37, v27, v25
	v_rcp_f32_e32 v38, v37
	v_sub_f32_e32 v26, v27, v37
	v_add_f32_e32 v27, v30, v31
	v_add_f32_e32 v25, v25, v26
	v_mul_f32_e32 v40, v27, v38
	v_sub_f32_e32 v26, v30, v27
	v_mul_f32_e32 v30, v37, v40
	v_fma_f32 v32, v40, v37, -v30
	v_fmac_f32_e32 v32, v40, v25
	v_add_f32_e32 v39, v31, v26
	v_add_f32_e32 v26, v30, v32
	v_sub_f32_e32 v31, v27, v26
	v_pk_add_f32 v[34:35], v[26:27], v[30:31] neg_lo:[0,1] neg_hi:[0,1]
	v_mov_b32_e32 v33, v26
	v_pk_add_f32 v[26:27], v[34:35], v[32:33] neg_lo:[0,1] neg_hi:[0,1]
	v_cmp_eq_f32_e64 s[82:83], s3, v44
	v_add_f32_e32 v27, v39, v27
	v_add_f32_e32 v26, v26, v27
	;; [unrolled: 1-line block ×3, first 2 shown]
	v_mul_f32_e32 v39, v38, v27
	v_mul_f32_e32 v30, v37, v39
	v_fma_f32 v32, v39, v37, -v30
	v_fmac_f32_e32 v32, v39, v25
	v_sub_f32_e32 v25, v31, v27
	v_add_f32_e32 v25, v26, v25
	v_add_f32_e32 v26, v30, v32
	v_sub_f32_e32 v31, v27, v26
	v_pk_add_f32 v[34:35], v[26:27], v[30:31] neg_lo:[0,1] neg_hi:[0,1]
	v_mov_b32_e32 v33, v26
	v_pk_add_f32 v[26:27], v[34:35], v[32:33] neg_lo:[0,1] neg_hi:[0,1]
	v_cvt_f32_i32_e32 v30, v36
	v_add_f32_e32 v25, v25, v27
	v_add_f32_e32 v25, v26, v25
	v_add_f32_e32 v26, v40, v39
	v_add_f32_e32 v25, v31, v25
	v_sub_f32_e32 v27, v26, v40
	v_mul_f32_e32 v25, v38, v25
	v_sub_f32_e32 v27, v39, v27
	v_add_f32_e32 v25, v27, v25
	v_add_f32_e32 v31, v26, v25
	v_mul_f32_e32 v32, v31, v31
	v_mov_b32_e32 v27, 0x3ecc95a3
	v_fmac_f32_e32 v27, 0x3e9b6dac, v32
	v_sub_f32_e32 v26, v31, v26
	v_fmaak_f32 v27, v32, v27, 0x3f2aaada
	v_sub_f32_e32 v25, v25, v26
	v_ldexp_f32 v33, v31, 1
	v_mul_f32_e32 v31, v31, v32
	v_mov_b32_e32 v26, 0x3f317218
	v_pk_mul_f32 v[26:27], v[30:31], v[26:27]
	v_ldexp_f32 v25, v25, 1
	v_fma_f32 v31, v30, s2, -v26
	v_fmamk_f32 v32, v30, 0xb102e308, v31
	v_pk_add_f32 v[30:31], v[26:27], v[32:33]
	v_mov_b32_e32 v34, v26
	v_sub_f32_e32 v33, v31, v33
	v_sub_f32_e32 v33, v27, v33
	v_add_f32_e32 v35, v25, v33
	v_pk_add_f32 v[26:27], v[30:31], v[26:27] neg_lo:[0,1] neg_hi:[0,1]
	v_pk_add_f32 v[36:37], v[30:31], v[34:35]
	v_mov_b32_e32 v33, v30
	v_mov_b32_e32 v27, v37
	v_pk_add_f32 v[38:39], v[32:33], v[26:27] neg_lo:[0,1] neg_hi:[0,1]
	v_pk_add_f32 v[26:27], v[32:33], v[26:27]
	v_mov_b32_e32 v34, v35
	v_mov_b32_e32 v32, v27
	v_pk_add_f32 v[40:41], v[32:33], v[30:31] neg_lo:[0,1] neg_hi:[0,1]
	v_mov_b32_e32 v26, v37
	v_mov_b32_e32 v25, v40
	v_pk_add_f32 v[42:43], v[36:37], v[24:25] neg_lo:[0,1] neg_hi:[0,1]
	v_mov_b32_e32 v36, v31
	v_mov_b32_e32 v37, v40
	;; [unrolled: 1-line block ×3, first 2 shown]
	v_pk_add_f32 v[26:27], v[26:27], v[36:37] neg_lo:[0,1] neg_hi:[0,1]
	v_mov_b32_e32 v35, v30
	v_pk_add_f32 v[26:27], v[34:35], v[26:27] neg_lo:[0,1] neg_hi:[0,1]
	v_mov_b32_e32 v42, v38
	v_pk_add_f32 v[30:31], v[42:43], v[26:27]
	s_mov_b32 s2, 0x33800000
	v_mov_b32_e32 v34, v31
	v_pk_add_f32 v[34:35], v[30:31], v[34:35]
	v_cmp_lt_f32_e64 s[86:87], |v44|, s2
	v_pk_add_f32 v[32:33], v[32:33], v[34:35]
	v_mov_b32_e32 v27, v34
	v_mov_b32_e32 v31, v32
	v_pk_add_f32 v[36:37], v[30:31], v[38:39] neg_lo:[0,1] neg_hi:[0,1]
	s_or_b64 s[82:83], s[82:83], s[86:87]
	v_sub_f32_e32 v25, v30, v36
	v_pk_add_f32 v[26:27], v[26:27], v[36:37] neg_lo:[0,1] neg_hi:[0,1]
	v_sub_f32_e32 v25, v38, v25
	v_add_f32_e32 v25, v26, v25
	v_add_f32_e32 v25, v25, v27
	;; [unrolled: 1-line block ×3, first 2 shown]
	v_cndmask_b32_e64 v25, v25, v44, s[82:83]
	v_add_f32_e32 v6, v6, v25
	v_cvt_f16_f32_e32 v30, v6
	v_cvt_f32_f16_e32 v32, v30
	v_mov_b32_e32 v31, v30
.LBB378_82:
	s_or_b64 exec, exec, s[84:85]
	v_cvt_f32_f16_e32 v6, v7
	v_max_f32_e32 v25, v32, v32
	v_cmp_u_f16_e64 s[84:85], v30, v30
	v_cmp_u_f16_e64 s[82:83], v7, v7
	v_min_f32_e32 v26, v25, v6
	v_max_f32_e32 v25, v25, v6
	v_cndmask_b32_e64 v26, v26, v32, s[84:85]
	v_cndmask_b32_e64 v25, v25, v32, s[84:85]
	v_cndmask_b32_e64 v26, v26, v6, s[82:83]
	v_cndmask_b32_e64 v25, v25, v6, s[82:83]
	v_cmp_neq_f32_e64 s[84:85], v26, v25
	v_cmp_class_f32_e64 s[86:87], v26, s33
	s_or_b64 s[84:85], s[84:85], s[86:87]
	s_and_saveexec_b64 s[86:87], s[84:85]
	s_cbranch_execz .LBB378_84
; %bb.83:
	v_sub_f32_e32 v26, v26, v25
	s_mov_b32 s2, 0x3fb8aa3b
	v_mul_f32_e32 v27, 0x3fb8aa3b, v26
	v_fma_f32 v30, v26, s2, -v27
	v_rndne_f32_e32 v31, v27
	v_fmamk_f32 v30, v26, 0x32a5705f, v30
	v_sub_f32_e32 v27, v27, v31
	v_add_f32_e32 v27, v27, v30
	v_exp_f32_e32 v27, v27
	v_cvt_i32_f32_e32 v30, v31
	s_mov_b32 s2, 0xc2ce8ed0
	v_cmp_ngt_f32_e64 s[84:85], s2, v26
	s_mov_b32 s2, 0x42b17218
	v_ldexp_f32 v27, v27, v30
	v_cndmask_b32_e64 v27, 0, v27, s[84:85]
	v_mov_b32_e32 v30, 0x7f800000
	v_cmp_nlt_f32_e64 s[84:85], s2, v26
	s_mov_b32 s2, 0x3f2aaaab
	s_mov_b32 s3, 0x7f800000
	v_cndmask_b32_e64 v44, v30, v27, s[84:85]
	v_add_f32_e32 v30, 1.0, v44
	v_add_f32_e32 v26, -1.0, v30
	v_sub_f32_e32 v27, v26, v30
	v_add_f32_e32 v27, 1.0, v27
	v_sub_f32_e32 v26, v44, v26
	v_add_f32_e32 v31, v26, v27
	v_frexp_mant_f32_e32 v32, v30
	v_cvt_f64_f32_e32 v[26:27], v30
	v_frexp_exp_i32_f64_e32 v26, v[26:27]
	v_cmp_gt_f32_e64 s[84:85], s2, v32
	s_mov_b32 s2, 0x3f317218
	s_nop 0
	v_subbrev_co_u32_e64 v36, s[84:85], 0, v26, s[84:85]
	v_sub_u32_e32 v26, 0, v36
	v_ldexp_f32 v27, v30, v26
	v_add_f32_e32 v30, -1.0, v27
	v_add_f32_e32 v32, 1.0, v27
	v_ldexp_f32 v26, v31, v26
	v_add_f32_e32 v31, 1.0, v30
	v_add_f32_e32 v33, -1.0, v32
	v_sub_f32_e32 v31, v27, v31
	v_sub_f32_e32 v27, v27, v33
	v_add_f32_e32 v31, v26, v31
	v_add_f32_e32 v26, v26, v27
	v_add_f32_e32 v37, v32, v26
	v_rcp_f32_e32 v39, v37
	v_sub_f32_e32 v27, v32, v37
	v_add_f32_e32 v38, v26, v27
	v_add_f32_e32 v27, v30, v31
	v_mul_f32_e32 v41, v27, v39
	v_sub_f32_e32 v26, v30, v27
	v_mul_f32_e32 v30, v37, v41
	v_fma_f32 v32, v41, v37, -v30
	v_fmac_f32_e32 v32, v41, v38
	v_add_f32_e32 v40, v31, v26
	v_add_f32_e32 v26, v30, v32
	v_sub_f32_e32 v31, v27, v26
	v_pk_add_f32 v[34:35], v[26:27], v[30:31] neg_lo:[0,1] neg_hi:[0,1]
	v_mov_b32_e32 v33, v26
	v_pk_add_f32 v[26:27], v[34:35], v[32:33] neg_lo:[0,1] neg_hi:[0,1]
	v_cmp_eq_f32_e64 s[84:85], s3, v44
	v_add_f32_e32 v27, v40, v27
	v_add_f32_e32 v26, v26, v27
	v_add_f32_e32 v27, v31, v26
	v_mul_f32_e32 v40, v39, v27
	v_mul_f32_e32 v30, v37, v40
	v_fma_f32 v32, v40, v37, -v30
	v_fmac_f32_e32 v32, v40, v38
	v_sub_f32_e32 v31, v31, v27
	v_add_f32_e32 v37, v26, v31
	v_add_f32_e32 v26, v30, v32
	v_sub_f32_e32 v31, v27, v26
	v_pk_add_f32 v[34:35], v[26:27], v[30:31] neg_lo:[0,1] neg_hi:[0,1]
	v_mov_b32_e32 v33, v26
	v_pk_add_f32 v[26:27], v[34:35], v[32:33] neg_lo:[0,1] neg_hi:[0,1]
	v_cvt_f32_i32_e32 v30, v36
	v_add_f32_e32 v27, v37, v27
	v_add_f32_e32 v26, v26, v27
	;; [unrolled: 1-line block ×4, first 2 shown]
	v_sub_f32_e32 v27, v31, v41
	v_mul_f32_e32 v26, v39, v26
	v_sub_f32_e32 v27, v40, v27
	v_add_f32_e32 v26, v27, v26
	v_add_f32_e32 v32, v31, v26
	v_mul_f32_e32 v34, v32, v32
	v_mov_b32_e32 v27, 0x3ecc95a3
	v_sub_f32_e32 v31, v32, v31
	v_fmac_f32_e32 v27, 0x3e9b6dac, v34
	v_sub_f32_e32 v26, v26, v31
	v_fmaak_f32 v27, v34, v27, 0x3f2aaada
	v_ldexp_f32 v35, v26, 1
	v_mul_f32_e32 v31, v32, v34
	v_mov_b32_e32 v26, 0x3f317218
	v_pk_mul_f32 v[26:27], v[30:31], v[26:27]
	v_ldexp_f32 v33, v32, 1
	v_fma_f32 v31, v30, s2, -v26
	v_fmamk_f32 v32, v30, 0xb102e308, v31
	v_pk_add_f32 v[30:31], v[26:27], v[32:33]
	v_mov_b32_e32 v34, v26
	v_sub_f32_e32 v33, v31, v33
	v_sub_f32_e32 v33, v27, v33
	v_add_f32_e32 v35, v35, v33
	v_pk_add_f32 v[26:27], v[30:31], v[26:27] neg_lo:[0,1] neg_hi:[0,1]
	v_pk_add_f32 v[36:37], v[30:31], v[34:35]
	v_mov_b32_e32 v33, v30
	v_mov_b32_e32 v27, v37
	v_pk_add_f32 v[38:39], v[32:33], v[26:27] neg_lo:[0,1] neg_hi:[0,1]
	v_pk_add_f32 v[26:27], v[32:33], v[26:27]
	v_mov_b32_e32 v34, v35
	v_mov_b32_e32 v32, v27
	v_pk_add_f32 v[40:41], v[32:33], v[30:31] neg_lo:[0,1] neg_hi:[0,1]
	v_mov_b32_e32 v26, v37
	v_mov_b32_e32 v33, v40
	v_pk_add_f32 v[42:43], v[36:37], v[32:33] neg_lo:[0,1] neg_hi:[0,1]
	v_mov_b32_e32 v36, v31
	v_mov_b32_e32 v37, v40
	;; [unrolled: 1-line block ×3, first 2 shown]
	v_pk_add_f32 v[26:27], v[26:27], v[36:37] neg_lo:[0,1] neg_hi:[0,1]
	v_mov_b32_e32 v35, v30
	v_pk_add_f32 v[26:27], v[34:35], v[26:27] neg_lo:[0,1] neg_hi:[0,1]
	v_mov_b32_e32 v42, v38
	v_pk_add_f32 v[30:31], v[42:43], v[26:27]
	s_mov_b32 s2, 0x33800000
	v_mov_b32_e32 v34, v31
	v_pk_add_f32 v[34:35], v[30:31], v[34:35]
	v_cmp_lt_f32_e64 s[88:89], |v44|, s2
	v_pk_add_f32 v[32:33], v[32:33], v[34:35]
	v_mov_b32_e32 v27, v34
	v_mov_b32_e32 v31, v32
	v_pk_add_f32 v[36:37], v[30:31], v[38:39] neg_lo:[0,1] neg_hi:[0,1]
	s_or_b64 s[84:85], s[84:85], s[88:89]
	v_sub_f32_e32 v30, v30, v36
	v_pk_add_f32 v[26:27], v[26:27], v[36:37] neg_lo:[0,1] neg_hi:[0,1]
	v_sub_f32_e32 v30, v38, v30
	v_add_f32_e32 v26, v26, v30
	v_add_f32_e32 v26, v26, v27
	;; [unrolled: 1-line block ×3, first 2 shown]
	v_cndmask_b32_e64 v26, v26, v44, s[84:85]
	v_add_f32_e32 v25, v25, v26
	v_cvt_f16_f32_e32 v30, v25
	v_cvt_f32_f16_e32 v32, v30
	v_mov_b32_e32 v31, v30
.LBB378_84:
	s_or_b64 exec, exec, s[86:87]
	v_cvt_f32_f16_sdwa v25, v7 dst_sel:DWORD dst_unused:UNUSED_PAD src0_sel:WORD_1
	v_max_f32_e32 v27, v32, v32
	v_cmp_u_f16_e64 s[86:87], v30, v30
	v_cmp_u_f16_sdwa s[84:85], v7, v7 src0_sel:WORD_1 src1_sel:WORD_1
	v_min_f32_e32 v26, v27, v25
	v_max_f32_e32 v7, v27, v25
	v_cndmask_b32_e64 v26, v26, v32, s[86:87]
	v_cndmask_b32_e64 v7, v7, v32, s[86:87]
	;; [unrolled: 1-line block ×4, first 2 shown]
	v_cmp_neq_f32_e64 s[86:87], v26, v7
	v_cmp_class_f32_e64 s[88:89], v26, s33
	s_or_b64 s[86:87], s[86:87], s[88:89]
	s_and_saveexec_b64 s[88:89], s[86:87]
	s_cbranch_execz .LBB378_86
; %bb.85:
	v_sub_f32_e32 v26, v26, v7
	s_mov_b32 s2, 0x3fb8aa3b
	v_mul_f32_e32 v27, 0x3fb8aa3b, v26
	v_fma_f32 v30, v26, s2, -v27
	v_rndne_f32_e32 v31, v27
	v_fmamk_f32 v30, v26, 0x32a5705f, v30
	v_sub_f32_e32 v27, v27, v31
	v_add_f32_e32 v27, v27, v30
	v_exp_f32_e32 v27, v27
	v_cvt_i32_f32_e32 v30, v31
	s_mov_b32 s2, 0xc2ce8ed0
	v_cmp_ngt_f32_e64 s[86:87], s2, v26
	s_mov_b32 s2, 0x42b17218
	v_ldexp_f32 v27, v27, v30
	v_cndmask_b32_e64 v27, 0, v27, s[86:87]
	v_mov_b32_e32 v30, 0x7f800000
	v_cmp_nlt_f32_e64 s[86:87], s2, v26
	s_mov_b32 s2, 0x3f2aaaab
	s_mov_b32 s3, 0x7f800000
	v_cndmask_b32_e64 v44, v30, v27, s[86:87]
	v_add_f32_e32 v30, 1.0, v44
	v_add_f32_e32 v26, -1.0, v30
	v_sub_f32_e32 v27, v26, v30
	v_add_f32_e32 v27, 1.0, v27
	v_sub_f32_e32 v26, v44, v26
	v_add_f32_e32 v31, v26, v27
	v_frexp_mant_f32_e32 v32, v30
	v_cvt_f64_f32_e32 v[26:27], v30
	v_frexp_exp_i32_f64_e32 v26, v[26:27]
	v_cmp_gt_f32_e64 s[86:87], s2, v32
	s_mov_b32 s2, 0x3f317218
	s_nop 0
	v_subbrev_co_u32_e64 v36, s[86:87], 0, v26, s[86:87]
	v_sub_u32_e32 v26, 0, v36
	v_ldexp_f32 v27, v30, v26
	v_add_f32_e32 v30, -1.0, v27
	v_add_f32_e32 v32, 1.0, v27
	v_ldexp_f32 v26, v31, v26
	v_add_f32_e32 v31, 1.0, v30
	v_add_f32_e32 v33, -1.0, v32
	v_sub_f32_e32 v31, v27, v31
	v_sub_f32_e32 v27, v27, v33
	v_add_f32_e32 v31, v26, v31
	v_add_f32_e32 v26, v26, v27
	;; [unrolled: 1-line block ×3, first 2 shown]
	v_rcp_f32_e32 v39, v37
	v_sub_f32_e32 v27, v32, v37
	v_add_f32_e32 v38, v26, v27
	v_add_f32_e32 v27, v30, v31
	v_mul_f32_e32 v41, v27, v39
	v_sub_f32_e32 v26, v30, v27
	v_mul_f32_e32 v30, v37, v41
	v_fma_f32 v32, v41, v37, -v30
	v_fmac_f32_e32 v32, v41, v38
	v_add_f32_e32 v40, v31, v26
	v_add_f32_e32 v26, v30, v32
	v_sub_f32_e32 v31, v27, v26
	v_pk_add_f32 v[34:35], v[26:27], v[30:31] neg_lo:[0,1] neg_hi:[0,1]
	v_mov_b32_e32 v33, v26
	v_pk_add_f32 v[26:27], v[34:35], v[32:33] neg_lo:[0,1] neg_hi:[0,1]
	v_cmp_eq_f32_e64 s[86:87], s3, v44
	v_add_f32_e32 v27, v40, v27
	v_add_f32_e32 v26, v26, v27
	;; [unrolled: 1-line block ×3, first 2 shown]
	v_mul_f32_e32 v40, v39, v27
	v_mul_f32_e32 v30, v37, v40
	v_fma_f32 v32, v40, v37, -v30
	v_fmac_f32_e32 v32, v40, v38
	v_sub_f32_e32 v31, v31, v27
	v_add_f32_e32 v37, v26, v31
	v_add_f32_e32 v26, v30, v32
	v_sub_f32_e32 v31, v27, v26
	v_pk_add_f32 v[34:35], v[26:27], v[30:31] neg_lo:[0,1] neg_hi:[0,1]
	v_mov_b32_e32 v33, v26
	v_pk_add_f32 v[26:27], v[34:35], v[32:33] neg_lo:[0,1] neg_hi:[0,1]
	v_cvt_f32_i32_e32 v30, v36
	v_add_f32_e32 v27, v37, v27
	v_add_f32_e32 v26, v26, v27
	;; [unrolled: 1-line block ×4, first 2 shown]
	v_sub_f32_e32 v27, v31, v41
	v_mul_f32_e32 v26, v39, v26
	v_sub_f32_e32 v27, v40, v27
	v_add_f32_e32 v26, v27, v26
	v_add_f32_e32 v32, v31, v26
	v_mul_f32_e32 v34, v32, v32
	v_mov_b32_e32 v27, 0x3ecc95a3
	v_sub_f32_e32 v31, v32, v31
	v_fmac_f32_e32 v27, 0x3e9b6dac, v34
	v_sub_f32_e32 v26, v26, v31
	v_fmaak_f32 v27, v34, v27, 0x3f2aaada
	v_ldexp_f32 v35, v26, 1
	v_mul_f32_e32 v31, v32, v34
	v_mov_b32_e32 v26, 0x3f317218
	v_pk_mul_f32 v[26:27], v[30:31], v[26:27]
	v_ldexp_f32 v33, v32, 1
	v_fma_f32 v31, v30, s2, -v26
	v_fmamk_f32 v32, v30, 0xb102e308, v31
	v_pk_add_f32 v[30:31], v[26:27], v[32:33]
	v_mov_b32_e32 v34, v26
	v_sub_f32_e32 v33, v31, v33
	v_sub_f32_e32 v33, v27, v33
	v_add_f32_e32 v35, v35, v33
	v_pk_add_f32 v[26:27], v[30:31], v[26:27] neg_lo:[0,1] neg_hi:[0,1]
	v_pk_add_f32 v[36:37], v[30:31], v[34:35]
	v_mov_b32_e32 v33, v30
	v_mov_b32_e32 v27, v37
	v_pk_add_f32 v[38:39], v[32:33], v[26:27] neg_lo:[0,1] neg_hi:[0,1]
	v_pk_add_f32 v[26:27], v[32:33], v[26:27]
	v_mov_b32_e32 v34, v35
	v_mov_b32_e32 v32, v27
	v_pk_add_f32 v[40:41], v[32:33], v[30:31] neg_lo:[0,1] neg_hi:[0,1]
	v_mov_b32_e32 v26, v37
	v_mov_b32_e32 v33, v40
	v_pk_add_f32 v[42:43], v[36:37], v[32:33] neg_lo:[0,1] neg_hi:[0,1]
	v_mov_b32_e32 v36, v31
	v_mov_b32_e32 v37, v40
	;; [unrolled: 1-line block ×3, first 2 shown]
	v_pk_add_f32 v[26:27], v[26:27], v[36:37] neg_lo:[0,1] neg_hi:[0,1]
	v_mov_b32_e32 v35, v30
	v_pk_add_f32 v[26:27], v[34:35], v[26:27] neg_lo:[0,1] neg_hi:[0,1]
	v_mov_b32_e32 v42, v38
	v_pk_add_f32 v[30:31], v[42:43], v[26:27]
	s_mov_b32 s2, 0x33800000
	v_mov_b32_e32 v34, v31
	v_pk_add_f32 v[34:35], v[30:31], v[34:35]
	v_cmp_lt_f32_e64 s[90:91], |v44|, s2
	v_pk_add_f32 v[32:33], v[32:33], v[34:35]
	v_mov_b32_e32 v27, v34
	v_mov_b32_e32 v31, v32
	v_pk_add_f32 v[36:37], v[30:31], v[38:39] neg_lo:[0,1] neg_hi:[0,1]
	s_or_b64 s[86:87], s[86:87], s[90:91]
	v_sub_f32_e32 v30, v30, v36
	v_pk_add_f32 v[26:27], v[26:27], v[36:37] neg_lo:[0,1] neg_hi:[0,1]
	v_sub_f32_e32 v30, v38, v30
	v_add_f32_e32 v26, v26, v30
	v_add_f32_e32 v26, v26, v27
	;; [unrolled: 1-line block ×3, first 2 shown]
	v_cndmask_b32_e64 v26, v26, v44, s[86:87]
	v_add_f32_e32 v7, v7, v26
	v_cvt_f16_f32_e32 v30, v7
	v_cvt_f32_f16_e32 v32, v30
	v_mov_b32_e32 v31, v30
.LBB378_86:
	s_or_b64 exec, exec, s[88:89]
	v_cvt_f32_f16_e32 v7, v8
	v_max_f32_e32 v26, v32, v32
	v_cmp_u_f16_e64 s[88:89], v30, v30
	v_cmp_u_f16_e64 s[86:87], v8, v8
	v_min_f32_e32 v27, v26, v7
	v_max_f32_e32 v26, v26, v7
	v_cndmask_b32_e64 v27, v27, v32, s[88:89]
	v_cndmask_b32_e64 v26, v26, v32, s[88:89]
	;; [unrolled: 1-line block ×4, first 2 shown]
	v_cmp_neq_f32_e64 s[88:89], v27, v26
	v_cmp_class_f32_e64 s[90:91], v27, s33
	s_or_b64 s[88:89], s[88:89], s[90:91]
	s_and_saveexec_b64 s[90:91], s[88:89]
	s_cbranch_execz .LBB378_88
; %bb.87:
	v_sub_f32_e32 v27, v27, v26
	s_mov_b32 s2, 0x3fb8aa3b
	v_mul_f32_e32 v30, 0x3fb8aa3b, v27
	v_fma_f32 v31, v27, s2, -v30
	v_rndne_f32_e32 v32, v30
	v_fmamk_f32 v31, v27, 0x32a5705f, v31
	v_sub_f32_e32 v30, v30, v32
	v_add_f32_e32 v30, v30, v31
	v_exp_f32_e32 v30, v30
	v_cvt_i32_f32_e32 v31, v32
	s_mov_b32 s2, 0xc2ce8ed0
	v_cmp_ngt_f32_e64 s[88:89], s2, v27
	s_mov_b32 s2, 0x42b17218
	v_ldexp_f32 v30, v30, v31
	v_cndmask_b32_e64 v30, 0, v30, s[88:89]
	v_mov_b32_e32 v31, 0x7f800000
	v_cmp_nlt_f32_e64 s[88:89], s2, v27
	s_mov_b32 s2, 0x3f2aaaab
	s_mov_b32 s3, 0x7f800000
	v_cndmask_b32_e64 v46, v31, v30, s[88:89]
	v_add_f32_e32 v27, 1.0, v46
	v_add_f32_e32 v30, -1.0, v27
	v_sub_f32_e32 v31, v30, v27
	v_add_f32_e32 v31, 1.0, v31
	v_sub_f32_e32 v30, v46, v30
	v_add_f32_e32 v32, v30, v31
	v_frexp_mant_f32_e32 v33, v27
	v_cvt_f64_f32_e32 v[30:31], v27
	v_frexp_exp_i32_f64_e32 v30, v[30:31]
	v_cmp_gt_f32_e64 s[88:89], s2, v33
	s_mov_b32 s2, 0x3f317218
	s_nop 0
	v_subbrev_co_u32_e64 v38, s[88:89], 0, v30, s[88:89]
	v_sub_u32_e32 v30, 0, v38
	v_ldexp_f32 v27, v27, v30
	v_ldexp_f32 v30, v32, v30
	v_add_f32_e32 v32, -1.0, v27
	v_add_f32_e32 v31, 1.0, v32
	v_sub_f32_e32 v31, v27, v31
	v_add_f32_e32 v33, v30, v31
	v_add_f32_e32 v31, 1.0, v27
	v_add_f32_e32 v34, -1.0, v31
	v_sub_f32_e32 v27, v27, v34
	v_add_f32_e32 v27, v30, v27
	v_add_f32_e32 v39, v31, v27
	v_rcp_f32_e32 v40, v39
	v_sub_f32_e32 v30, v31, v39
	v_add_f32_e32 v31, v32, v33
	v_add_f32_e32 v27, v27, v30
	v_mul_f32_e32 v42, v31, v40
	v_sub_f32_e32 v30, v32, v31
	v_mul_f32_e32 v32, v39, v42
	v_fma_f32 v34, v42, v39, -v32
	v_fmac_f32_e32 v34, v42, v27
	v_add_f32_e32 v41, v33, v30
	v_add_f32_e32 v30, v32, v34
	v_sub_f32_e32 v33, v31, v30
	v_pk_add_f32 v[36:37], v[30:31], v[32:33] neg_lo:[0,1] neg_hi:[0,1]
	v_mov_b32_e32 v35, v30
	v_pk_add_f32 v[30:31], v[36:37], v[34:35] neg_lo:[0,1] neg_hi:[0,1]
	v_cmp_eq_f32_e64 s[88:89], s3, v46
	v_add_f32_e32 v31, v41, v31
	v_add_f32_e32 v30, v30, v31
	v_add_f32_e32 v31, v33, v30
	v_mul_f32_e32 v41, v40, v31
	v_mul_f32_e32 v32, v39, v41
	v_fma_f32 v34, v41, v39, -v32
	v_fmac_f32_e32 v34, v41, v27
	v_sub_f32_e32 v27, v33, v31
	v_add_f32_e32 v27, v30, v27
	v_add_f32_e32 v30, v32, v34
	v_sub_f32_e32 v33, v31, v30
	v_pk_add_f32 v[36:37], v[30:31], v[32:33] neg_lo:[0,1] neg_hi:[0,1]
	v_mov_b32_e32 v35, v30
	v_pk_add_f32 v[30:31], v[36:37], v[34:35] neg_lo:[0,1] neg_hi:[0,1]
	v_cvt_f32_i32_e32 v32, v38
	v_add_f32_e32 v27, v27, v31
	v_add_f32_e32 v27, v30, v27
	;; [unrolled: 1-line block ×4, first 2 shown]
	v_sub_f32_e32 v31, v30, v42
	v_mul_f32_e32 v27, v40, v27
	v_sub_f32_e32 v31, v41, v31
	v_add_f32_e32 v27, v31, v27
	v_add_f32_e32 v33, v30, v27
	v_mul_f32_e32 v34, v33, v33
	v_mov_b32_e32 v31, 0x3ecc95a3
	v_fmac_f32_e32 v31, 0x3e9b6dac, v34
	v_sub_f32_e32 v30, v33, v30
	v_fmaak_f32 v31, v34, v31, 0x3f2aaada
	v_sub_f32_e32 v27, v27, v30
	v_ldexp_f32 v35, v33, 1
	v_mul_f32_e32 v33, v33, v34
	v_mov_b32_e32 v30, 0x3f317218
	v_pk_mul_f32 v[30:31], v[32:33], v[30:31]
	v_ldexp_f32 v27, v27, 1
	v_fma_f32 v33, v32, s2, -v30
	v_fmamk_f32 v34, v32, 0xb102e308, v33
	v_pk_add_f32 v[32:33], v[30:31], v[34:35]
	v_mov_b32_e32 v36, v30
	v_sub_f32_e32 v35, v33, v35
	v_sub_f32_e32 v35, v31, v35
	v_add_f32_e32 v37, v27, v35
	v_pk_add_f32 v[30:31], v[32:33], v[30:31] neg_lo:[0,1] neg_hi:[0,1]
	v_pk_add_f32 v[38:39], v[32:33], v[36:37]
	v_mov_b32_e32 v35, v32
	v_mov_b32_e32 v31, v39
	v_pk_add_f32 v[40:41], v[34:35], v[30:31] neg_lo:[0,1] neg_hi:[0,1]
	v_pk_add_f32 v[30:31], v[34:35], v[30:31]
	v_mov_b32_e32 v36, v37
	v_mov_b32_e32 v34, v31
	v_pk_add_f32 v[42:43], v[34:35], v[32:33] neg_lo:[0,1] neg_hi:[0,1]
	v_mov_b32_e32 v30, v39
	v_mov_b32_e32 v27, v42
	v_pk_add_f32 v[44:45], v[38:39], v[26:27] neg_lo:[0,1] neg_hi:[0,1]
	v_mov_b32_e32 v38, v33
	v_mov_b32_e32 v39, v42
	;; [unrolled: 1-line block ×3, first 2 shown]
	v_pk_add_f32 v[30:31], v[30:31], v[38:39] neg_lo:[0,1] neg_hi:[0,1]
	v_mov_b32_e32 v37, v32
	v_pk_add_f32 v[30:31], v[36:37], v[30:31] neg_lo:[0,1] neg_hi:[0,1]
	v_mov_b32_e32 v44, v40
	v_pk_add_f32 v[32:33], v[44:45], v[30:31]
	s_mov_b32 s2, 0x33800000
	v_mov_b32_e32 v36, v33
	v_pk_add_f32 v[36:37], v[32:33], v[36:37]
	v_cmp_lt_f32_e64 s[92:93], |v46|, s2
	v_pk_add_f32 v[34:35], v[34:35], v[36:37]
	v_mov_b32_e32 v31, v36
	v_mov_b32_e32 v33, v34
	v_pk_add_f32 v[38:39], v[32:33], v[40:41] neg_lo:[0,1] neg_hi:[0,1]
	s_or_b64 s[88:89], s[88:89], s[92:93]
	v_sub_f32_e32 v27, v32, v38
	v_pk_add_f32 v[30:31], v[30:31], v[38:39] neg_lo:[0,1] neg_hi:[0,1]
	v_sub_f32_e32 v27, v40, v27
	v_add_f32_e32 v27, v30, v27
	v_add_f32_e32 v27, v27, v31
	;; [unrolled: 1-line block ×3, first 2 shown]
	v_cndmask_b32_e64 v27, v27, v46, s[88:89]
	v_add_f32_e32 v26, v26, v27
	v_cvt_f16_f32_e32 v30, v26
	v_cvt_f32_f16_e32 v32, v30
	v_mov_b32_e32 v31, v30
.LBB378_88:
	s_or_b64 exec, exec, s[90:91]
	v_cvt_f32_f16_sdwa v26, v8 dst_sel:DWORD dst_unused:UNUSED_PAD src0_sel:WORD_1
	v_max_f32_e32 v33, v32, v32
	v_cmp_u_f16_e64 s[90:91], v30, v30
	v_cmp_u_f16_sdwa s[88:89], v8, v8 src0_sel:WORD_1 src1_sel:WORD_1
	v_min_f32_e32 v27, v33, v26
	v_max_f32_e32 v8, v33, v26
	v_cndmask_b32_e64 v27, v27, v32, s[90:91]
	v_cndmask_b32_e64 v8, v8, v32, s[90:91]
	;; [unrolled: 1-line block ×4, first 2 shown]
	v_cmp_neq_f32_e64 s[90:91], v27, v8
	v_cmp_class_f32_e64 s[92:93], v27, s33
	s_or_b64 s[90:91], s[90:91], s[92:93]
	s_and_saveexec_b64 s[92:93], s[90:91]
	s_cbranch_execz .LBB378_90
; %bb.89:
	v_sub_f32_e32 v27, v27, v8
	s_mov_b32 s2, 0x3fb8aa3b
	v_mul_f32_e32 v30, 0x3fb8aa3b, v27
	v_fma_f32 v31, v27, s2, -v30
	v_rndne_f32_e32 v32, v30
	v_fmamk_f32 v31, v27, 0x32a5705f, v31
	v_sub_f32_e32 v30, v30, v32
	v_add_f32_e32 v30, v30, v31
	v_exp_f32_e32 v30, v30
	v_cvt_i32_f32_e32 v31, v32
	s_mov_b32 s2, 0xc2ce8ed0
	v_cmp_ngt_f32_e64 s[90:91], s2, v27
	s_mov_b32 s2, 0x42b17218
	v_ldexp_f32 v30, v30, v31
	v_cndmask_b32_e64 v30, 0, v30, s[90:91]
	v_mov_b32_e32 v31, 0x7f800000
	v_cmp_nlt_f32_e64 s[90:91], s2, v27
	s_mov_b32 s2, 0x3f2aaaab
	s_mov_b32 s3, 0x7f800000
	v_cndmask_b32_e64 v46, v31, v30, s[90:91]
	v_add_f32_e32 v27, 1.0, v46
	v_add_f32_e32 v30, -1.0, v27
	v_sub_f32_e32 v31, v30, v27
	v_add_f32_e32 v31, 1.0, v31
	v_sub_f32_e32 v30, v46, v30
	v_add_f32_e32 v32, v30, v31
	v_frexp_mant_f32_e32 v33, v27
	v_cvt_f64_f32_e32 v[30:31], v27
	v_frexp_exp_i32_f64_e32 v30, v[30:31]
	v_cmp_gt_f32_e64 s[90:91], s2, v33
	s_mov_b32 s2, 0x3f317218
	s_nop 0
	v_subbrev_co_u32_e64 v38, s[90:91], 0, v30, s[90:91]
	v_sub_u32_e32 v30, 0, v38
	v_ldexp_f32 v27, v27, v30
	v_ldexp_f32 v30, v32, v30
	v_add_f32_e32 v32, -1.0, v27
	v_add_f32_e32 v31, 1.0, v32
	v_sub_f32_e32 v31, v27, v31
	v_add_f32_e32 v33, v30, v31
	v_add_f32_e32 v31, 1.0, v27
	v_add_f32_e32 v34, -1.0, v31
	v_sub_f32_e32 v27, v27, v34
	v_add_f32_e32 v27, v30, v27
	v_add_f32_e32 v39, v31, v27
	v_rcp_f32_e32 v40, v39
	v_sub_f32_e32 v30, v31, v39
	v_add_f32_e32 v31, v32, v33
	v_add_f32_e32 v27, v27, v30
	v_mul_f32_e32 v42, v31, v40
	v_sub_f32_e32 v30, v32, v31
	v_mul_f32_e32 v32, v39, v42
	v_fma_f32 v34, v42, v39, -v32
	v_fmac_f32_e32 v34, v42, v27
	v_add_f32_e32 v41, v33, v30
	v_add_f32_e32 v30, v32, v34
	v_sub_f32_e32 v33, v31, v30
	v_pk_add_f32 v[36:37], v[30:31], v[32:33] neg_lo:[0,1] neg_hi:[0,1]
	v_mov_b32_e32 v35, v30
	v_pk_add_f32 v[30:31], v[36:37], v[34:35] neg_lo:[0,1] neg_hi:[0,1]
	v_cmp_eq_f32_e64 s[90:91], s3, v46
	v_add_f32_e32 v31, v41, v31
	v_add_f32_e32 v30, v30, v31
	;; [unrolled: 1-line block ×3, first 2 shown]
	v_mul_f32_e32 v41, v40, v31
	v_mul_f32_e32 v32, v39, v41
	v_fma_f32 v34, v41, v39, -v32
	v_fmac_f32_e32 v34, v41, v27
	v_sub_f32_e32 v27, v33, v31
	v_add_f32_e32 v27, v30, v27
	v_add_f32_e32 v30, v32, v34
	v_sub_f32_e32 v33, v31, v30
	v_pk_add_f32 v[36:37], v[30:31], v[32:33] neg_lo:[0,1] neg_hi:[0,1]
	v_mov_b32_e32 v35, v30
	v_pk_add_f32 v[30:31], v[36:37], v[34:35] neg_lo:[0,1] neg_hi:[0,1]
	v_cvt_f32_i32_e32 v32, v38
	v_add_f32_e32 v27, v27, v31
	v_add_f32_e32 v27, v30, v27
	;; [unrolled: 1-line block ×4, first 2 shown]
	v_sub_f32_e32 v31, v30, v42
	v_mul_f32_e32 v27, v40, v27
	v_sub_f32_e32 v31, v41, v31
	v_add_f32_e32 v27, v31, v27
	v_add_f32_e32 v33, v30, v27
	v_mul_f32_e32 v34, v33, v33
	v_mov_b32_e32 v31, 0x3ecc95a3
	v_fmac_f32_e32 v31, 0x3e9b6dac, v34
	v_sub_f32_e32 v30, v33, v30
	v_fmaak_f32 v31, v34, v31, 0x3f2aaada
	v_sub_f32_e32 v27, v27, v30
	v_ldexp_f32 v35, v33, 1
	v_mul_f32_e32 v33, v33, v34
	v_mov_b32_e32 v30, 0x3f317218
	v_pk_mul_f32 v[30:31], v[32:33], v[30:31]
	v_ldexp_f32 v27, v27, 1
	v_fma_f32 v33, v32, s2, -v30
	v_fmamk_f32 v34, v32, 0xb102e308, v33
	v_pk_add_f32 v[32:33], v[30:31], v[34:35]
	v_mov_b32_e32 v36, v30
	v_sub_f32_e32 v35, v33, v35
	v_sub_f32_e32 v35, v31, v35
	v_add_f32_e32 v37, v27, v35
	v_pk_add_f32 v[30:31], v[32:33], v[30:31] neg_lo:[0,1] neg_hi:[0,1]
	v_pk_add_f32 v[38:39], v[32:33], v[36:37]
	v_mov_b32_e32 v35, v32
	v_mov_b32_e32 v31, v39
	v_pk_add_f32 v[40:41], v[34:35], v[30:31] neg_lo:[0,1] neg_hi:[0,1]
	v_pk_add_f32 v[30:31], v[34:35], v[30:31]
	v_mov_b32_e32 v36, v37
	v_mov_b32_e32 v34, v31
	v_pk_add_f32 v[42:43], v[34:35], v[32:33] neg_lo:[0,1] neg_hi:[0,1]
	v_mov_b32_e32 v30, v39
	v_mov_b32_e32 v27, v42
	v_pk_add_f32 v[44:45], v[38:39], v[26:27] neg_lo:[0,1] neg_hi:[0,1]
	v_mov_b32_e32 v38, v33
	v_mov_b32_e32 v39, v42
	;; [unrolled: 1-line block ×3, first 2 shown]
	v_pk_add_f32 v[30:31], v[30:31], v[38:39] neg_lo:[0,1] neg_hi:[0,1]
	v_mov_b32_e32 v37, v32
	v_pk_add_f32 v[30:31], v[36:37], v[30:31] neg_lo:[0,1] neg_hi:[0,1]
	v_mov_b32_e32 v44, v40
	v_pk_add_f32 v[32:33], v[44:45], v[30:31]
	s_mov_b32 s2, 0x33800000
	v_mov_b32_e32 v36, v33
	v_pk_add_f32 v[36:37], v[32:33], v[36:37]
	v_cmp_lt_f32_e64 s[96:97], |v46|, s2
	v_pk_add_f32 v[34:35], v[34:35], v[36:37]
	v_mov_b32_e32 v31, v36
	v_mov_b32_e32 v33, v34
	v_pk_add_f32 v[38:39], v[32:33], v[40:41] neg_lo:[0,1] neg_hi:[0,1]
	s_or_b64 s[90:91], s[90:91], s[96:97]
	v_sub_f32_e32 v27, v32, v38
	v_pk_add_f32 v[30:31], v[30:31], v[38:39] neg_lo:[0,1] neg_hi:[0,1]
	v_sub_f32_e32 v27, v40, v27
	v_add_f32_e32 v27, v30, v27
	v_add_f32_e32 v27, v27, v31
	;; [unrolled: 1-line block ×3, first 2 shown]
	v_cndmask_b32_e64 v27, v27, v46, s[90:91]
	v_add_f32_e32 v8, v8, v27
	v_cvt_f16_f32_e32 v30, v8
	v_cvt_f32_f16_e32 v32, v30
	v_mov_b32_e32 v31, v30
.LBB378_90:
	s_or_b64 exec, exec, s[92:93]
	v_cvt_f32_f16_e32 v8, v9
	v_max_f32_e32 v27, v32, v32
	v_cmp_u_f16_e64 s[92:93], v30, v30
	v_cmp_u_f16_e64 s[90:91], v9, v9
	v_min_f32_e32 v33, v27, v8
	v_max_f32_e32 v27, v27, v8
	v_cndmask_b32_e64 v33, v33, v32, s[92:93]
	v_cndmask_b32_e64 v27, v27, v32, s[92:93]
	;; [unrolled: 1-line block ×4, first 2 shown]
	v_cmp_neq_f32_e64 s[92:93], v33, v27
	v_cmp_class_f32_e64 s[96:97], v33, s33
	s_or_b64 s[92:93], s[92:93], s[96:97]
	s_and_saveexec_b64 s[96:97], s[92:93]
	s_cbranch_execz .LBB378_92
; %bb.91:
	v_sub_f32_e32 v30, v33, v27
	s_mov_b32 s2, 0x3fb8aa3b
	v_mul_f32_e32 v31, 0x3fb8aa3b, v30
	v_fma_f32 v32, v30, s2, -v31
	v_rndne_f32_e32 v33, v31
	v_fmamk_f32 v32, v30, 0x32a5705f, v32
	v_sub_f32_e32 v31, v31, v33
	v_add_f32_e32 v31, v31, v32
	v_exp_f32_e32 v31, v31
	v_cvt_i32_f32_e32 v32, v33
	s_mov_b32 s2, 0xc2ce8ed0
	v_cmp_ngt_f32_e64 s[92:93], s2, v30
	s_mov_b32 s2, 0x42b17218
	v_ldexp_f32 v31, v31, v32
	v_cndmask_b32_e64 v31, 0, v31, s[92:93]
	v_mov_b32_e32 v32, 0x7f800000
	v_cmp_nlt_f32_e64 s[92:93], s2, v30
	s_mov_b32 s2, 0x3f2aaaab
	s_mov_b32 s3, 0x7f800000
	v_cndmask_b32_e64 v46, v32, v31, s[92:93]
	v_add_f32_e32 v32, 1.0, v46
	v_add_f32_e32 v30, -1.0, v32
	v_sub_f32_e32 v31, v30, v32
	v_add_f32_e32 v31, 1.0, v31
	v_sub_f32_e32 v30, v46, v30
	v_add_f32_e32 v33, v30, v31
	v_frexp_mant_f32_e32 v34, v32
	v_cvt_f64_f32_e32 v[30:31], v32
	v_frexp_exp_i32_f64_e32 v30, v[30:31]
	v_cmp_gt_f32_e64 s[92:93], s2, v34
	s_mov_b32 s2, 0x3f317218
	s_nop 0
	v_subbrev_co_u32_e64 v38, s[92:93], 0, v30, s[92:93]
	v_sub_u32_e32 v30, 0, v38
	v_ldexp_f32 v31, v32, v30
	v_add_f32_e32 v32, -1.0, v31
	v_add_f32_e32 v34, 1.0, v31
	v_ldexp_f32 v30, v33, v30
	v_add_f32_e32 v33, 1.0, v32
	v_add_f32_e32 v35, -1.0, v34
	v_sub_f32_e32 v33, v31, v33
	v_sub_f32_e32 v31, v31, v35
	v_add_f32_e32 v33, v30, v33
	v_add_f32_e32 v30, v30, v31
	;; [unrolled: 1-line block ×3, first 2 shown]
	v_rcp_f32_e32 v41, v39
	v_sub_f32_e32 v31, v34, v39
	v_add_f32_e32 v40, v30, v31
	v_add_f32_e32 v31, v32, v33
	v_mul_f32_e32 v43, v31, v41
	v_sub_f32_e32 v30, v32, v31
	v_mul_f32_e32 v32, v39, v43
	v_fma_f32 v34, v43, v39, -v32
	v_fmac_f32_e32 v34, v43, v40
	v_add_f32_e32 v42, v33, v30
	v_add_f32_e32 v30, v32, v34
	v_sub_f32_e32 v33, v31, v30
	v_pk_add_f32 v[36:37], v[30:31], v[32:33] neg_lo:[0,1] neg_hi:[0,1]
	v_mov_b32_e32 v35, v30
	v_pk_add_f32 v[30:31], v[36:37], v[34:35] neg_lo:[0,1] neg_hi:[0,1]
	v_cmp_eq_f32_e64 s[92:93], s3, v46
	v_add_f32_e32 v31, v42, v31
	v_add_f32_e32 v30, v30, v31
	;; [unrolled: 1-line block ×3, first 2 shown]
	v_mul_f32_e32 v42, v41, v31
	v_mul_f32_e32 v32, v39, v42
	v_fma_f32 v34, v42, v39, -v32
	v_fmac_f32_e32 v34, v42, v40
	v_sub_f32_e32 v33, v33, v31
	v_add_f32_e32 v39, v30, v33
	v_add_f32_e32 v30, v32, v34
	v_sub_f32_e32 v33, v31, v30
	v_pk_add_f32 v[36:37], v[30:31], v[32:33] neg_lo:[0,1] neg_hi:[0,1]
	v_mov_b32_e32 v35, v30
	v_pk_add_f32 v[30:31], v[36:37], v[34:35] neg_lo:[0,1] neg_hi:[0,1]
	v_cvt_f32_i32_e32 v32, v38
	v_add_f32_e32 v31, v39, v31
	v_add_f32_e32 v30, v30, v31
	;; [unrolled: 1-line block ×4, first 2 shown]
	v_sub_f32_e32 v31, v33, v43
	v_mul_f32_e32 v30, v41, v30
	v_sub_f32_e32 v31, v42, v31
	v_add_f32_e32 v30, v31, v30
	v_add_f32_e32 v34, v33, v30
	v_mul_f32_e32 v36, v34, v34
	v_mov_b32_e32 v31, 0x3ecc95a3
	v_sub_f32_e32 v33, v34, v33
	v_fmac_f32_e32 v31, 0x3e9b6dac, v36
	v_sub_f32_e32 v30, v30, v33
	v_fmaak_f32 v31, v36, v31, 0x3f2aaada
	v_ldexp_f32 v37, v30, 1
	v_mul_f32_e32 v33, v34, v36
	v_mov_b32_e32 v30, 0x3f317218
	v_pk_mul_f32 v[30:31], v[32:33], v[30:31]
	v_ldexp_f32 v35, v34, 1
	v_fma_f32 v33, v32, s2, -v30
	v_fmamk_f32 v34, v32, 0xb102e308, v33
	v_pk_add_f32 v[32:33], v[30:31], v[34:35]
	v_mov_b32_e32 v36, v30
	v_sub_f32_e32 v35, v33, v35
	v_sub_f32_e32 v35, v31, v35
	v_add_f32_e32 v37, v37, v35
	v_pk_add_f32 v[30:31], v[32:33], v[30:31] neg_lo:[0,1] neg_hi:[0,1]
	v_pk_add_f32 v[38:39], v[32:33], v[36:37]
	v_mov_b32_e32 v35, v32
	v_mov_b32_e32 v31, v39
	v_pk_add_f32 v[40:41], v[34:35], v[30:31] neg_lo:[0,1] neg_hi:[0,1]
	v_pk_add_f32 v[30:31], v[34:35], v[30:31]
	v_mov_b32_e32 v36, v37
	v_mov_b32_e32 v34, v31
	v_pk_add_f32 v[42:43], v[34:35], v[32:33] neg_lo:[0,1] neg_hi:[0,1]
	v_mov_b32_e32 v30, v39
	v_mov_b32_e32 v35, v42
	v_pk_add_f32 v[44:45], v[38:39], v[34:35] neg_lo:[0,1] neg_hi:[0,1]
	v_mov_b32_e32 v38, v33
	v_mov_b32_e32 v39, v42
	;; [unrolled: 1-line block ×3, first 2 shown]
	v_pk_add_f32 v[30:31], v[30:31], v[38:39] neg_lo:[0,1] neg_hi:[0,1]
	v_mov_b32_e32 v37, v32
	v_pk_add_f32 v[30:31], v[36:37], v[30:31] neg_lo:[0,1] neg_hi:[0,1]
	v_mov_b32_e32 v44, v40
	v_pk_add_f32 v[32:33], v[44:45], v[30:31]
	s_mov_b32 s2, 0x33800000
	v_mov_b32_e32 v36, v33
	v_pk_add_f32 v[36:37], v[32:33], v[36:37]
	v_cmp_lt_f32_e64 s[98:99], |v46|, s2
	v_pk_add_f32 v[34:35], v[34:35], v[36:37]
	v_mov_b32_e32 v31, v36
	v_mov_b32_e32 v33, v34
	v_pk_add_f32 v[38:39], v[32:33], v[40:41] neg_lo:[0,1] neg_hi:[0,1]
	s_or_b64 s[92:93], s[92:93], s[98:99]
	v_sub_f32_e32 v32, v32, v38
	v_pk_add_f32 v[30:31], v[30:31], v[38:39] neg_lo:[0,1] neg_hi:[0,1]
	v_sub_f32_e32 v32, v40, v32
	v_add_f32_e32 v30, v30, v32
	v_add_f32_e32 v30, v30, v31
	;; [unrolled: 1-line block ×3, first 2 shown]
	v_cndmask_b32_e64 v30, v30, v46, s[92:93]
	v_add_f32_e32 v27, v27, v30
	v_cvt_f16_f32_e32 v30, v27
	v_cvt_f32_f16_e32 v32, v30
	v_mov_b32_e32 v31, v30
.LBB378_92:
	s_or_b64 exec, exec, s[96:97]
	v_cvt_f32_f16_sdwa v27, v9 dst_sel:DWORD dst_unused:UNUSED_PAD src0_sel:WORD_1
	v_max_f32_e32 v33, v32, v32
	v_cmp_u_f16_e64 s[98:99], v30, v30
	v_cmp_u_f16_sdwa s[92:93], v9, v9 src0_sel:WORD_1 src1_sel:WORD_1
	v_min_f32_e32 v9, v33, v27
	v_cndmask_b32_e64 v9, v9, v32, s[98:99]
	v_cndmask_b32_e64 v30, v9, v27, s[92:93]
	v_max_f32_e32 v9, v33, v27
	v_cndmask_b32_e64 v9, v9, v32, s[98:99]
	v_cndmask_b32_e64 v9, v9, v27, s[92:93]
	s_movk_i32 s2, 0x1f8
	v_cmp_neq_f32_e64 s[98:99], v30, v9
	v_cmp_class_f32_e64 s[96:97], v30, s2
	s_or_b64 s[98:99], s[98:99], s[96:97]
	s_and_saveexec_b64 s[96:97], s[98:99]
	s_cbranch_execz .LBB378_94
; %bb.93:
	v_sub_f32_e32 v30, v30, v9
	s_mov_b32 s2, 0x3fb8aa3b
	v_mul_f32_e32 v31, 0x3fb8aa3b, v30
	v_fma_f32 v32, v30, s2, -v31
	v_rndne_f32_e32 v33, v31
	v_fmamk_f32 v32, v30, 0x32a5705f, v32
	v_sub_f32_e32 v31, v31, v33
	v_add_f32_e32 v31, v31, v32
	v_exp_f32_e32 v31, v31
	v_cvt_i32_f32_e32 v32, v33
	s_mov_b32 s2, 0xc2ce8ed0
	v_cmp_ngt_f32_e64 s[98:99], s2, v30
	s_mov_b32 s2, 0x42b17218
	v_ldexp_f32 v31, v31, v32
	v_cndmask_b32_e64 v31, 0, v31, s[98:99]
	v_mov_b32_e32 v32, 0x7f800000
	v_cmp_nlt_f32_e64 s[98:99], s2, v30
	s_mov_b32 s2, 0x3f2aaaab
	s_mov_b32 s3, 0x7f800000
	v_cndmask_b32_e64 v46, v32, v31, s[98:99]
	v_add_f32_e32 v32, 1.0, v46
	v_add_f32_e32 v30, -1.0, v32
	v_sub_f32_e32 v31, v30, v32
	v_add_f32_e32 v31, 1.0, v31
	v_sub_f32_e32 v30, v46, v30
	v_add_f32_e32 v33, v30, v31
	v_frexp_mant_f32_e32 v34, v32
	v_cvt_f64_f32_e32 v[30:31], v32
	v_frexp_exp_i32_f64_e32 v30, v[30:31]
	v_cmp_gt_f32_e64 s[98:99], s2, v34
	s_mov_b32 s2, 0x3f317218
	s_nop 0
	v_subbrev_co_u32_e64 v38, s[98:99], 0, v30, s[98:99]
	v_sub_u32_e32 v30, 0, v38
	v_ldexp_f32 v31, v32, v30
	v_add_f32_e32 v32, -1.0, v31
	v_add_f32_e32 v34, 1.0, v31
	v_ldexp_f32 v30, v33, v30
	v_add_f32_e32 v33, 1.0, v32
	v_add_f32_e32 v35, -1.0, v34
	v_sub_f32_e32 v33, v31, v33
	v_sub_f32_e32 v31, v31, v35
	v_add_f32_e32 v33, v30, v33
	v_add_f32_e32 v30, v30, v31
	;; [unrolled: 1-line block ×3, first 2 shown]
	v_rcp_f32_e32 v41, v39
	v_sub_f32_e32 v31, v34, v39
	v_add_f32_e32 v40, v30, v31
	v_add_f32_e32 v31, v32, v33
	v_mul_f32_e32 v43, v31, v41
	v_sub_f32_e32 v30, v32, v31
	v_mul_f32_e32 v32, v39, v43
	v_fma_f32 v34, v43, v39, -v32
	v_fmac_f32_e32 v34, v43, v40
	v_add_f32_e32 v42, v33, v30
	v_add_f32_e32 v30, v32, v34
	v_sub_f32_e32 v33, v31, v30
	v_pk_add_f32 v[36:37], v[30:31], v[32:33] neg_lo:[0,1] neg_hi:[0,1]
	v_mov_b32_e32 v35, v30
	v_pk_add_f32 v[30:31], v[36:37], v[34:35] neg_lo:[0,1] neg_hi:[0,1]
	v_cmp_eq_f32_e64 s[98:99], s3, v46
	v_add_f32_e32 v31, v42, v31
	v_add_f32_e32 v30, v30, v31
	;; [unrolled: 1-line block ×3, first 2 shown]
	v_mul_f32_e32 v42, v41, v31
	v_mul_f32_e32 v32, v39, v42
	v_fma_f32 v34, v42, v39, -v32
	v_fmac_f32_e32 v34, v42, v40
	v_sub_f32_e32 v33, v33, v31
	v_add_f32_e32 v39, v30, v33
	v_add_f32_e32 v30, v32, v34
	v_sub_f32_e32 v33, v31, v30
	v_pk_add_f32 v[36:37], v[30:31], v[32:33] neg_lo:[0,1] neg_hi:[0,1]
	v_mov_b32_e32 v35, v30
	v_pk_add_f32 v[30:31], v[36:37], v[34:35] neg_lo:[0,1] neg_hi:[0,1]
	v_cvt_f32_i32_e32 v32, v38
	v_add_f32_e32 v31, v39, v31
	v_add_f32_e32 v30, v30, v31
	;; [unrolled: 1-line block ×4, first 2 shown]
	v_sub_f32_e32 v31, v33, v43
	v_mul_f32_e32 v30, v41, v30
	v_sub_f32_e32 v31, v42, v31
	v_add_f32_e32 v30, v31, v30
	v_add_f32_e32 v34, v33, v30
	v_mul_f32_e32 v36, v34, v34
	v_mov_b32_e32 v31, 0x3ecc95a3
	v_sub_f32_e32 v33, v34, v33
	v_fmac_f32_e32 v31, 0x3e9b6dac, v36
	v_sub_f32_e32 v30, v30, v33
	v_fmaak_f32 v31, v36, v31, 0x3f2aaada
	v_ldexp_f32 v37, v30, 1
	v_mul_f32_e32 v33, v34, v36
	v_mov_b32_e32 v30, 0x3f317218
	v_pk_mul_f32 v[30:31], v[32:33], v[30:31]
	v_ldexp_f32 v35, v34, 1
	v_fma_f32 v33, v32, s2, -v30
	v_fmamk_f32 v34, v32, 0xb102e308, v33
	v_pk_add_f32 v[32:33], v[30:31], v[34:35]
	v_mov_b32_e32 v36, v30
	v_sub_f32_e32 v35, v33, v35
	v_sub_f32_e32 v35, v31, v35
	v_add_f32_e32 v37, v37, v35
	v_pk_add_f32 v[30:31], v[32:33], v[30:31] neg_lo:[0,1] neg_hi:[0,1]
	v_pk_add_f32 v[38:39], v[32:33], v[36:37]
	v_mov_b32_e32 v35, v32
	v_mov_b32_e32 v31, v39
	v_pk_add_f32 v[40:41], v[34:35], v[30:31] neg_lo:[0,1] neg_hi:[0,1]
	v_pk_add_f32 v[30:31], v[34:35], v[30:31]
	v_mov_b32_e32 v36, v37
	v_mov_b32_e32 v34, v31
	v_pk_add_f32 v[42:43], v[34:35], v[32:33] neg_lo:[0,1] neg_hi:[0,1]
	v_mov_b32_e32 v30, v39
	v_mov_b32_e32 v35, v42
	v_pk_add_f32 v[44:45], v[38:39], v[34:35] neg_lo:[0,1] neg_hi:[0,1]
	v_mov_b32_e32 v38, v33
	v_mov_b32_e32 v39, v42
	;; [unrolled: 1-line block ×3, first 2 shown]
	v_pk_add_f32 v[30:31], v[30:31], v[38:39] neg_lo:[0,1] neg_hi:[0,1]
	v_mov_b32_e32 v37, v32
	v_pk_add_f32 v[30:31], v[36:37], v[30:31] neg_lo:[0,1] neg_hi:[0,1]
	v_mov_b32_e32 v44, v40
	v_pk_add_f32 v[32:33], v[44:45], v[30:31]
	s_mov_b32 s2, 0x33800000
	v_mov_b32_e32 v36, v33
	v_pk_add_f32 v[36:37], v[32:33], v[36:37]
	v_cmp_lt_f32_e64 vcc, |v46|, s2
	v_pk_add_f32 v[34:35], v[34:35], v[36:37]
	v_mov_b32_e32 v31, v36
	v_mov_b32_e32 v33, v34
	v_pk_add_f32 v[38:39], v[32:33], v[40:41] neg_lo:[0,1] neg_hi:[0,1]
	s_or_b64 s[98:99], s[98:99], vcc
	v_sub_f32_e32 v32, v32, v38
	v_pk_add_f32 v[30:31], v[30:31], v[38:39] neg_lo:[0,1] neg_hi:[0,1]
	v_sub_f32_e32 v32, v40, v32
	v_add_f32_e32 v30, v30, v32
	v_add_f32_e32 v30, v30, v31
	;; [unrolled: 1-line block ×3, first 2 shown]
	v_cndmask_b32_e64 v30, v30, v46, s[98:99]
	v_add_f32_e32 v9, v9, v30
	v_cvt_f16_f32_e32 v31, v9
.LBB378_94:
	s_or_b64 exec, exec, s[96:97]
	v_mbcnt_lo_u32_b32 v9, -1, 0
	v_mbcnt_hi_u32_b32 v30, -1, v9
	v_and_b32_e32 v32, 15, v30
	v_and_b32_e32 v33, 0xffff, v31
	v_cmp_ne_u32_e64 s[98:99], 0, v32
	s_nop 0
	v_mov_b32_dpp v34, v33 row_shr:1 row_mask:0xf bank_mask:0xf
	s_and_saveexec_b64 s[96:97], s[98:99]
	s_cbranch_execz .LBB378_98
; %bb.95:
	v_cvt_f32_f16_e32 v9, v34
	v_cvt_f32_f16_e32 v33, v31
	v_cmp_u_f16_e64 s[98:99], v34, v34
	v_cmp_u_f16_e32 vcc, v31, v31
	s_movk_i32 s2, 0x1f8
	v_min_f32_e32 v31, v9, v33
	v_max_f32_e32 v35, v9, v33
	v_cndmask_b32_e64 v31, v31, v9, s[98:99]
	v_cndmask_b32_e64 v9, v35, v9, s[98:99]
	v_cndmask_b32_e32 v31, v31, v33, vcc
	v_cndmask_b32_e32 v9, v9, v33, vcc
	v_cmp_neq_f32_e32 vcc, v31, v9
	v_cmp_class_f32_e64 s[98:99], v31, s2
	s_or_b64 vcc, vcc, s[98:99]
	s_and_saveexec_b64 s[98:99], vcc
	s_cbranch_execz .LBB378_97
; %bb.96:
	v_sub_f32_e32 v31, v31, v9
	s_mov_b32 s2, 0x3fb8aa3b
	v_mul_f32_e32 v33, 0x3fb8aa3b, v31
	v_fma_f32 v34, v31, s2, -v33
	v_rndne_f32_e32 v35, v33
	v_fmamk_f32 v34, v31, 0x32a5705f, v34
	v_sub_f32_e32 v33, v33, v35
	v_add_f32_e32 v33, v33, v34
	v_exp_f32_e32 v33, v33
	v_cvt_i32_f32_e32 v34, v35
	s_mov_b32 s2, 0xc2ce8ed0
	v_cmp_ngt_f32_e32 vcc, s2, v31
	s_mov_b32 s2, 0x42b17218
	v_ldexp_f32 v33, v33, v34
	v_cndmask_b32_e32 v33, 0, v33, vcc
	v_mov_b32_e32 v34, 0x7f800000
	v_cmp_nlt_f32_e32 vcc, s2, v31
	s_mov_b32 s2, 0x3f2aaaab
	s_mov_b32 s3, 0x7f800000
	v_cndmask_b32_e32 v33, v34, v33, vcc
	v_add_f32_e32 v31, 1.0, v33
	v_add_f32_e32 v34, -1.0, v31
	v_sub_f32_e32 v35, v34, v31
	v_add_f32_e32 v35, 1.0, v35
	v_sub_f32_e32 v34, v33, v34
	v_add_f32_e32 v36, v34, v35
	v_frexp_mant_f32_e32 v37, v31
	v_cvt_f64_f32_e32 v[34:35], v31
	v_frexp_exp_i32_f64_e32 v34, v[34:35]
	v_cmp_gt_f32_e32 vcc, s2, v37
	s_mov_b32 s2, 0x3f317218
	s_nop 0
	v_subbrev_co_u32_e32 v42, vcc, 0, v34, vcc
	v_sub_u32_e32 v34, 0, v42
	v_ldexp_f32 v31, v31, v34
	v_ldexp_f32 v34, v36, v34
	v_add_f32_e32 v36, -1.0, v31
	v_add_f32_e32 v35, 1.0, v36
	v_sub_f32_e32 v35, v31, v35
	v_add_f32_e32 v37, v34, v35
	v_add_f32_e32 v35, 1.0, v31
	v_add_f32_e32 v38, -1.0, v35
	v_sub_f32_e32 v31, v31, v38
	v_add_f32_e32 v31, v34, v31
	v_add_f32_e32 v43, v35, v31
	v_rcp_f32_e32 v44, v43
	v_sub_f32_e32 v34, v35, v43
	v_add_f32_e32 v35, v36, v37
	v_add_f32_e32 v31, v31, v34
	v_mul_f32_e32 v46, v35, v44
	v_sub_f32_e32 v34, v36, v35
	v_mul_f32_e32 v36, v43, v46
	v_fma_f32 v38, v46, v43, -v36
	v_fmac_f32_e32 v38, v46, v31
	v_add_f32_e32 v45, v37, v34
	v_add_f32_e32 v34, v36, v38
	v_sub_f32_e32 v37, v35, v34
	v_pk_add_f32 v[40:41], v[34:35], v[36:37] neg_lo:[0,1] neg_hi:[0,1]
	v_mov_b32_e32 v39, v34
	v_pk_add_f32 v[34:35], v[40:41], v[38:39] neg_lo:[0,1] neg_hi:[0,1]
	v_cmp_eq_f32_e32 vcc, s3, v33
	v_add_f32_e32 v35, v45, v35
	v_add_f32_e32 v34, v34, v35
	;; [unrolled: 1-line block ×3, first 2 shown]
	v_mul_f32_e32 v45, v44, v35
	v_mul_f32_e32 v36, v43, v45
	v_fma_f32 v38, v45, v43, -v36
	v_fmac_f32_e32 v38, v45, v31
	v_sub_f32_e32 v31, v37, v35
	v_add_f32_e32 v31, v34, v31
	v_add_f32_e32 v34, v36, v38
	v_sub_f32_e32 v37, v35, v34
	v_pk_add_f32 v[40:41], v[34:35], v[36:37] neg_lo:[0,1] neg_hi:[0,1]
	v_mov_b32_e32 v39, v34
	v_pk_add_f32 v[34:35], v[40:41], v[38:39] neg_lo:[0,1] neg_hi:[0,1]
	v_cvt_f32_i32_e32 v36, v42
	v_add_f32_e32 v31, v31, v35
	v_add_f32_e32 v31, v34, v31
	;; [unrolled: 1-line block ×4, first 2 shown]
	v_sub_f32_e32 v35, v34, v46
	v_mul_f32_e32 v31, v44, v31
	v_sub_f32_e32 v35, v45, v35
	v_add_f32_e32 v31, v35, v31
	v_add_f32_e32 v37, v34, v31
	v_mul_f32_e32 v38, v37, v37
	v_mov_b32_e32 v35, 0x3ecc95a3
	v_fmac_f32_e32 v35, 0x3e9b6dac, v38
	v_sub_f32_e32 v34, v37, v34
	v_fmaak_f32 v35, v38, v35, 0x3f2aaada
	v_sub_f32_e32 v31, v31, v34
	v_ldexp_f32 v39, v37, 1
	v_mul_f32_e32 v37, v37, v38
	v_mov_b32_e32 v34, 0x3f317218
	v_pk_mul_f32 v[34:35], v[36:37], v[34:35]
	v_ldexp_f32 v31, v31, 1
	v_fma_f32 v37, v36, s2, -v34
	v_fmamk_f32 v38, v36, 0xb102e308, v37
	v_pk_add_f32 v[36:37], v[34:35], v[38:39]
	v_mov_b32_e32 v40, v34
	v_sub_f32_e32 v39, v37, v39
	v_sub_f32_e32 v39, v35, v39
	v_add_f32_e32 v41, v31, v39
	v_pk_add_f32 v[34:35], v[36:37], v[34:35] neg_lo:[0,1] neg_hi:[0,1]
	v_pk_add_f32 v[42:43], v[36:37], v[40:41]
	v_mov_b32_e32 v39, v36
	v_mov_b32_e32 v35, v43
	v_pk_add_f32 v[44:45], v[38:39], v[34:35] neg_lo:[0,1] neg_hi:[0,1]
	v_pk_add_f32 v[34:35], v[38:39], v[34:35]
	v_mov_b32_e32 v40, v41
	v_mov_b32_e32 v38, v35
	v_pk_add_f32 v[46:47], v[38:39], v[36:37] neg_lo:[0,1] neg_hi:[0,1]
	v_mov_b32_e32 v34, v43
	v_mov_b32_e32 v31, v46
	v_pk_add_f32 v[48:49], v[42:43], v[30:31] neg_lo:[0,1] neg_hi:[0,1]
	v_mov_b32_e32 v42, v37
	v_mov_b32_e32 v43, v46
	;; [unrolled: 1-line block ×3, first 2 shown]
	v_pk_add_f32 v[34:35], v[34:35], v[42:43] neg_lo:[0,1] neg_hi:[0,1]
	v_mov_b32_e32 v41, v36
	v_pk_add_f32 v[34:35], v[40:41], v[34:35] neg_lo:[0,1] neg_hi:[0,1]
	v_mov_b32_e32 v48, v44
	v_pk_add_f32 v[36:37], v[48:49], v[34:35]
	s_mov_b32 s2, 0x33800000
	v_mov_b32_e32 v40, v37
	v_pk_add_f32 v[40:41], v[36:37], v[40:41]
	v_cmp_lt_f32_e64 s[2:3], |v33|, s2
	v_pk_add_f32 v[38:39], v[38:39], v[40:41]
	v_mov_b32_e32 v35, v40
	v_mov_b32_e32 v37, v38
	v_pk_add_f32 v[42:43], v[36:37], v[44:45] neg_lo:[0,1] neg_hi:[0,1]
	s_or_b64 vcc, vcc, s[2:3]
	v_sub_f32_e32 v31, v36, v42
	v_pk_add_f32 v[34:35], v[34:35], v[42:43] neg_lo:[0,1] neg_hi:[0,1]
	v_sub_f32_e32 v31, v44, v31
	v_add_f32_e32 v31, v34, v31
	v_add_f32_e32 v31, v31, v35
	;; [unrolled: 1-line block ×3, first 2 shown]
	v_cndmask_b32_e32 v31, v31, v33, vcc
	v_add_f32_e32 v9, v9, v31
	v_cvt_f16_f32_e32 v34, v9
.LBB378_97:
	s_or_b64 exec, exec, s[98:99]
	v_and_b32_e32 v33, 0xffff, v34
	v_mov_b32_e32 v31, v34
.LBB378_98:
	s_or_b64 exec, exec, s[96:97]
	s_load_dwordx2 s[0:1], s[0:1], 0x18
	v_mul_u32_u24_e32 v9, 46, v0
	v_mov_b32_dpp v34, v33 row_shr:2 row_mask:0xf bank_mask:0xf
	v_cmp_lt_u32_e32 vcc, 1, v32
	s_waitcnt lgkmcnt(0)
	v_writelane_b32 v53, s0, 6
	s_nop 1
	v_writelane_b32 v53, s1, 7
	s_and_saveexec_b64 s[96:97], vcc
	s_cbranch_execz .LBB378_102
; %bb.99:
	v_cvt_f32_f16_e32 v35, v34
	v_cvt_f32_f16_e32 v36, v31
	v_cmp_u_f16_e32 vcc, v34, v34
	v_cmp_u_f16_e64 s[0:1], v31, v31
	v_min_f32_e32 v31, v35, v36
	v_cndmask_b32_e32 v31, v31, v35, vcc
	v_cndmask_b32_e64 v33, v31, v36, s[0:1]
	v_max_f32_e32 v31, v35, v36
	v_cndmask_b32_e32 v31, v31, v35, vcc
	v_cndmask_b32_e64 v31, v31, v36, s[0:1]
	s_movk_i32 s0, 0x1f8
	v_cmp_neq_f32_e32 vcc, v33, v31
	v_cmp_class_f32_e64 s[0:1], v33, s0
	s_or_b64 s[2:3], vcc, s[0:1]
	s_and_saveexec_b64 s[0:1], s[2:3]
	s_cbranch_execz .LBB378_101
; %bb.100:
	v_sub_f32_e32 v33, v33, v31
	s_mov_b32 s2, 0x3fb8aa3b
	v_mul_f32_e32 v34, 0x3fb8aa3b, v33
	v_fma_f32 v35, v33, s2, -v34
	v_rndne_f32_e32 v36, v34
	v_fmamk_f32 v35, v33, 0x32a5705f, v35
	v_sub_f32_e32 v34, v34, v36
	v_add_f32_e32 v34, v34, v35
	v_exp_f32_e32 v34, v34
	v_cvt_i32_f32_e32 v35, v36
	s_mov_b32 s2, 0xc2ce8ed0
	v_cmp_ngt_f32_e32 vcc, s2, v33
	s_mov_b32 s2, 0x42b17218
	v_ldexp_f32 v34, v34, v35
	v_cndmask_b32_e32 v34, 0, v34, vcc
	v_mov_b32_e32 v35, 0x7f800000
	v_cmp_nlt_f32_e32 vcc, s2, v33
	s_mov_b32 s2, 0x3f2aaaab
	s_mov_b32 s3, 0x7f800000
	v_cndmask_b32_e32 v50, v35, v34, vcc
	v_add_f32_e32 v33, 1.0, v50
	v_add_f32_e32 v34, -1.0, v33
	v_sub_f32_e32 v35, v34, v33
	v_add_f32_e32 v35, 1.0, v35
	v_sub_f32_e32 v34, v50, v34
	v_add_f32_e32 v36, v34, v35
	v_frexp_mant_f32_e32 v37, v33
	v_cvt_f64_f32_e32 v[34:35], v33
	v_frexp_exp_i32_f64_e32 v34, v[34:35]
	v_cmp_gt_f32_e32 vcc, s2, v37
	s_mov_b32 s2, 0x3f317218
	s_nop 0
	v_subbrev_co_u32_e32 v42, vcc, 0, v34, vcc
	v_sub_u32_e32 v34, 0, v42
	v_ldexp_f32 v33, v33, v34
	v_ldexp_f32 v34, v36, v34
	v_add_f32_e32 v36, -1.0, v33
	v_add_f32_e32 v35, 1.0, v36
	v_sub_f32_e32 v35, v33, v35
	v_add_f32_e32 v37, v34, v35
	v_add_f32_e32 v35, 1.0, v33
	v_add_f32_e32 v38, -1.0, v35
	v_sub_f32_e32 v33, v33, v38
	v_add_f32_e32 v33, v34, v33
	v_add_f32_e32 v43, v35, v33
	v_rcp_f32_e32 v44, v43
	v_sub_f32_e32 v34, v35, v43
	v_add_f32_e32 v35, v36, v37
	v_add_f32_e32 v33, v33, v34
	v_mul_f32_e32 v46, v35, v44
	v_sub_f32_e32 v34, v36, v35
	v_mul_f32_e32 v36, v43, v46
	v_fma_f32 v38, v46, v43, -v36
	v_fmac_f32_e32 v38, v46, v33
	v_add_f32_e32 v45, v37, v34
	v_add_f32_e32 v34, v36, v38
	v_sub_f32_e32 v37, v35, v34
	v_pk_add_f32 v[40:41], v[34:35], v[36:37] neg_lo:[0,1] neg_hi:[0,1]
	v_mov_b32_e32 v39, v34
	v_pk_add_f32 v[34:35], v[40:41], v[38:39] neg_lo:[0,1] neg_hi:[0,1]
	v_cmp_eq_f32_e32 vcc, s3, v50
	v_add_f32_e32 v35, v45, v35
	v_add_f32_e32 v34, v34, v35
	;; [unrolled: 1-line block ×3, first 2 shown]
	v_mul_f32_e32 v45, v44, v35
	v_mul_f32_e32 v36, v43, v45
	v_fma_f32 v38, v45, v43, -v36
	v_fmac_f32_e32 v38, v45, v33
	v_sub_f32_e32 v33, v37, v35
	v_add_f32_e32 v33, v34, v33
	v_add_f32_e32 v34, v36, v38
	v_sub_f32_e32 v37, v35, v34
	v_pk_add_f32 v[40:41], v[34:35], v[36:37] neg_lo:[0,1] neg_hi:[0,1]
	v_mov_b32_e32 v39, v34
	v_pk_add_f32 v[34:35], v[40:41], v[38:39] neg_lo:[0,1] neg_hi:[0,1]
	v_cvt_f32_i32_e32 v36, v42
	v_add_f32_e32 v33, v33, v35
	v_add_f32_e32 v33, v34, v33
	;; [unrolled: 1-line block ×4, first 2 shown]
	v_sub_f32_e32 v35, v34, v46
	v_mul_f32_e32 v33, v44, v33
	v_sub_f32_e32 v35, v45, v35
	v_add_f32_e32 v33, v35, v33
	v_add_f32_e32 v37, v34, v33
	v_mul_f32_e32 v38, v37, v37
	v_mov_b32_e32 v35, 0x3ecc95a3
	v_fmac_f32_e32 v35, 0x3e9b6dac, v38
	v_sub_f32_e32 v34, v37, v34
	v_fmaak_f32 v35, v38, v35, 0x3f2aaada
	v_sub_f32_e32 v33, v33, v34
	v_ldexp_f32 v39, v37, 1
	v_mul_f32_e32 v37, v37, v38
	v_mov_b32_e32 v34, 0x3f317218
	v_pk_mul_f32 v[34:35], v[36:37], v[34:35]
	v_ldexp_f32 v33, v33, 1
	v_fma_f32 v37, v36, s2, -v34
	v_fmamk_f32 v38, v36, 0xb102e308, v37
	v_pk_add_f32 v[36:37], v[34:35], v[38:39]
	v_mov_b32_e32 v40, v34
	v_sub_f32_e32 v39, v37, v39
	v_sub_f32_e32 v39, v35, v39
	v_add_f32_e32 v41, v33, v39
	v_pk_add_f32 v[34:35], v[36:37], v[34:35] neg_lo:[0,1] neg_hi:[0,1]
	v_pk_add_f32 v[42:43], v[36:37], v[40:41]
	v_mov_b32_e32 v39, v36
	v_mov_b32_e32 v35, v43
	v_pk_add_f32 v[44:45], v[38:39], v[34:35] neg_lo:[0,1] neg_hi:[0,1]
	v_pk_add_f32 v[34:35], v[38:39], v[34:35]
	v_mov_b32_e32 v40, v41
	v_mov_b32_e32 v38, v35
	v_pk_add_f32 v[46:47], v[38:39], v[36:37] neg_lo:[0,1] neg_hi:[0,1]
	v_mov_b32_e32 v34, v43
	v_mov_b32_e32 v33, v46
	v_pk_add_f32 v[48:49], v[42:43], v[32:33] neg_lo:[0,1] neg_hi:[0,1]
	v_mov_b32_e32 v42, v37
	v_mov_b32_e32 v43, v46
	;; [unrolled: 1-line block ×3, first 2 shown]
	v_pk_add_f32 v[34:35], v[34:35], v[42:43] neg_lo:[0,1] neg_hi:[0,1]
	v_mov_b32_e32 v41, v36
	v_pk_add_f32 v[34:35], v[40:41], v[34:35] neg_lo:[0,1] neg_hi:[0,1]
	v_mov_b32_e32 v48, v44
	v_pk_add_f32 v[36:37], v[48:49], v[34:35]
	s_mov_b32 s2, 0x33800000
	v_mov_b32_e32 v40, v37
	v_pk_add_f32 v[40:41], v[36:37], v[40:41]
	v_cmp_lt_f32_e64 s[2:3], |v50|, s2
	v_pk_add_f32 v[38:39], v[38:39], v[40:41]
	v_mov_b32_e32 v35, v40
	v_mov_b32_e32 v37, v38
	v_pk_add_f32 v[42:43], v[36:37], v[44:45] neg_lo:[0,1] neg_hi:[0,1]
	s_or_b64 vcc, vcc, s[2:3]
	v_sub_f32_e32 v33, v36, v42
	v_pk_add_f32 v[34:35], v[34:35], v[42:43] neg_lo:[0,1] neg_hi:[0,1]
	v_sub_f32_e32 v33, v44, v33
	v_add_f32_e32 v33, v34, v33
	v_add_f32_e32 v33, v33, v35
	;; [unrolled: 1-line block ×3, first 2 shown]
	v_cndmask_b32_e32 v33, v33, v50, vcc
	v_add_f32_e32 v31, v31, v33
	v_cvt_f16_f32_e32 v34, v31
.LBB378_101:
	s_or_b64 exec, exec, s[0:1]
	v_and_b32_e32 v33, 0xffff, v34
	v_mov_b32_e32 v31, v34
.LBB378_102:
	s_or_b64 exec, exec, s[96:97]
	v_mov_b32_dpp v34, v33 row_shr:4 row_mask:0xf bank_mask:0xf
	v_cmp_lt_u32_e32 vcc, 3, v32
	s_and_saveexec_b64 s[96:97], vcc
	s_cbranch_execz .LBB378_106
; %bb.103:
	v_cvt_f32_f16_e32 v35, v34
	v_cvt_f32_f16_e32 v36, v31
	v_cmp_u_f16_e32 vcc, v34, v34
	v_cmp_u_f16_e64 s[0:1], v31, v31
	v_min_f32_e32 v31, v35, v36
	v_cndmask_b32_e32 v31, v31, v35, vcc
	v_cndmask_b32_e64 v33, v31, v36, s[0:1]
	v_max_f32_e32 v31, v35, v36
	v_cndmask_b32_e32 v31, v31, v35, vcc
	v_cndmask_b32_e64 v31, v31, v36, s[0:1]
	s_movk_i32 s0, 0x1f8
	v_cmp_neq_f32_e32 vcc, v33, v31
	v_cmp_class_f32_e64 s[0:1], v33, s0
	s_or_b64 s[2:3], vcc, s[0:1]
	s_and_saveexec_b64 s[0:1], s[2:3]
	s_cbranch_execz .LBB378_105
; %bb.104:
	v_sub_f32_e32 v33, v33, v31
	s_mov_b32 s2, 0x3fb8aa3b
	v_mul_f32_e32 v34, 0x3fb8aa3b, v33
	v_fma_f32 v35, v33, s2, -v34
	v_rndne_f32_e32 v36, v34
	v_fmamk_f32 v35, v33, 0x32a5705f, v35
	v_sub_f32_e32 v34, v34, v36
	v_add_f32_e32 v34, v34, v35
	v_exp_f32_e32 v34, v34
	v_cvt_i32_f32_e32 v35, v36
	s_mov_b32 s2, 0xc2ce8ed0
	v_cmp_ngt_f32_e32 vcc, s2, v33
	s_mov_b32 s2, 0x42b17218
	v_ldexp_f32 v34, v34, v35
	v_cndmask_b32_e32 v34, 0, v34, vcc
	v_mov_b32_e32 v35, 0x7f800000
	v_cmp_nlt_f32_e32 vcc, s2, v33
	s_mov_b32 s2, 0x3f2aaaab
	s_mov_b32 s3, 0x7f800000
	v_cndmask_b32_e32 v50, v35, v34, vcc
	v_add_f32_e32 v33, 1.0, v50
	v_add_f32_e32 v34, -1.0, v33
	v_sub_f32_e32 v35, v34, v33
	v_add_f32_e32 v35, 1.0, v35
	v_sub_f32_e32 v34, v50, v34
	v_add_f32_e32 v36, v34, v35
	v_frexp_mant_f32_e32 v37, v33
	v_cvt_f64_f32_e32 v[34:35], v33
	v_frexp_exp_i32_f64_e32 v34, v[34:35]
	v_cmp_gt_f32_e32 vcc, s2, v37
	s_mov_b32 s2, 0x3f317218
	s_nop 0
	v_subbrev_co_u32_e32 v42, vcc, 0, v34, vcc
	v_sub_u32_e32 v34, 0, v42
	v_ldexp_f32 v33, v33, v34
	v_ldexp_f32 v34, v36, v34
	v_add_f32_e32 v36, -1.0, v33
	v_add_f32_e32 v35, 1.0, v36
	v_sub_f32_e32 v35, v33, v35
	v_add_f32_e32 v37, v34, v35
	v_add_f32_e32 v35, 1.0, v33
	v_add_f32_e32 v38, -1.0, v35
	v_sub_f32_e32 v33, v33, v38
	v_add_f32_e32 v33, v34, v33
	v_add_f32_e32 v43, v35, v33
	v_rcp_f32_e32 v44, v43
	v_sub_f32_e32 v34, v35, v43
	v_add_f32_e32 v35, v36, v37
	v_add_f32_e32 v33, v33, v34
	v_mul_f32_e32 v46, v35, v44
	v_sub_f32_e32 v34, v36, v35
	v_mul_f32_e32 v36, v43, v46
	v_fma_f32 v38, v46, v43, -v36
	v_fmac_f32_e32 v38, v46, v33
	v_add_f32_e32 v45, v37, v34
	v_add_f32_e32 v34, v36, v38
	v_sub_f32_e32 v37, v35, v34
	v_pk_add_f32 v[40:41], v[34:35], v[36:37] neg_lo:[0,1] neg_hi:[0,1]
	v_mov_b32_e32 v39, v34
	v_pk_add_f32 v[34:35], v[40:41], v[38:39] neg_lo:[0,1] neg_hi:[0,1]
	v_cmp_eq_f32_e32 vcc, s3, v50
	v_add_f32_e32 v35, v45, v35
	v_add_f32_e32 v34, v34, v35
	;; [unrolled: 1-line block ×3, first 2 shown]
	v_mul_f32_e32 v45, v44, v35
	v_mul_f32_e32 v36, v43, v45
	v_fma_f32 v38, v45, v43, -v36
	v_fmac_f32_e32 v38, v45, v33
	v_sub_f32_e32 v33, v37, v35
	v_add_f32_e32 v33, v34, v33
	v_add_f32_e32 v34, v36, v38
	v_sub_f32_e32 v37, v35, v34
	v_pk_add_f32 v[40:41], v[34:35], v[36:37] neg_lo:[0,1] neg_hi:[0,1]
	v_mov_b32_e32 v39, v34
	v_pk_add_f32 v[34:35], v[40:41], v[38:39] neg_lo:[0,1] neg_hi:[0,1]
	v_cvt_f32_i32_e32 v36, v42
	v_add_f32_e32 v33, v33, v35
	v_add_f32_e32 v33, v34, v33
	;; [unrolled: 1-line block ×4, first 2 shown]
	v_sub_f32_e32 v35, v34, v46
	v_mul_f32_e32 v33, v44, v33
	v_sub_f32_e32 v35, v45, v35
	v_add_f32_e32 v33, v35, v33
	v_add_f32_e32 v37, v34, v33
	v_mul_f32_e32 v38, v37, v37
	v_mov_b32_e32 v35, 0x3ecc95a3
	v_fmac_f32_e32 v35, 0x3e9b6dac, v38
	v_sub_f32_e32 v34, v37, v34
	v_fmaak_f32 v35, v38, v35, 0x3f2aaada
	v_sub_f32_e32 v33, v33, v34
	v_ldexp_f32 v39, v37, 1
	v_mul_f32_e32 v37, v37, v38
	v_mov_b32_e32 v34, 0x3f317218
	v_pk_mul_f32 v[34:35], v[36:37], v[34:35]
	v_ldexp_f32 v33, v33, 1
	v_fma_f32 v37, v36, s2, -v34
	v_fmamk_f32 v38, v36, 0xb102e308, v37
	v_pk_add_f32 v[36:37], v[34:35], v[38:39]
	v_mov_b32_e32 v40, v34
	v_sub_f32_e32 v39, v37, v39
	v_sub_f32_e32 v39, v35, v39
	v_add_f32_e32 v41, v33, v39
	v_pk_add_f32 v[34:35], v[36:37], v[34:35] neg_lo:[0,1] neg_hi:[0,1]
	v_pk_add_f32 v[42:43], v[36:37], v[40:41]
	v_mov_b32_e32 v39, v36
	v_mov_b32_e32 v35, v43
	v_pk_add_f32 v[44:45], v[38:39], v[34:35] neg_lo:[0,1] neg_hi:[0,1]
	v_pk_add_f32 v[34:35], v[38:39], v[34:35]
	v_mov_b32_e32 v40, v41
	v_mov_b32_e32 v38, v35
	v_pk_add_f32 v[46:47], v[38:39], v[36:37] neg_lo:[0,1] neg_hi:[0,1]
	v_mov_b32_e32 v34, v43
	v_mov_b32_e32 v33, v46
	v_pk_add_f32 v[48:49], v[42:43], v[32:33] neg_lo:[0,1] neg_hi:[0,1]
	v_mov_b32_e32 v42, v37
	v_mov_b32_e32 v43, v46
	;; [unrolled: 1-line block ×3, first 2 shown]
	v_pk_add_f32 v[34:35], v[34:35], v[42:43] neg_lo:[0,1] neg_hi:[0,1]
	v_mov_b32_e32 v41, v36
	v_pk_add_f32 v[34:35], v[40:41], v[34:35] neg_lo:[0,1] neg_hi:[0,1]
	v_mov_b32_e32 v48, v44
	v_pk_add_f32 v[36:37], v[48:49], v[34:35]
	s_mov_b32 s2, 0x33800000
	v_mov_b32_e32 v40, v37
	v_pk_add_f32 v[40:41], v[36:37], v[40:41]
	v_cmp_lt_f32_e64 s[2:3], |v50|, s2
	v_pk_add_f32 v[38:39], v[38:39], v[40:41]
	v_mov_b32_e32 v35, v40
	v_mov_b32_e32 v37, v38
	v_pk_add_f32 v[42:43], v[36:37], v[44:45] neg_lo:[0,1] neg_hi:[0,1]
	s_or_b64 vcc, vcc, s[2:3]
	v_sub_f32_e32 v33, v36, v42
	v_pk_add_f32 v[34:35], v[34:35], v[42:43] neg_lo:[0,1] neg_hi:[0,1]
	v_sub_f32_e32 v33, v44, v33
	v_add_f32_e32 v33, v34, v33
	v_add_f32_e32 v33, v33, v35
	;; [unrolled: 1-line block ×3, first 2 shown]
	v_cndmask_b32_e32 v33, v33, v50, vcc
	v_add_f32_e32 v31, v31, v33
	v_cvt_f16_f32_e32 v34, v31
.LBB378_105:
	s_or_b64 exec, exec, s[0:1]
	v_and_b32_e32 v33, 0xffff, v34
	v_mov_b32_e32 v31, v34
.LBB378_106:
	s_or_b64 exec, exec, s[96:97]
	v_mov_b32_dpp v34, v33 row_shr:8 row_mask:0xf bank_mask:0xf
	v_cmp_lt_u32_e32 vcc, 7, v32
	s_and_saveexec_b64 s[96:97], vcc
	s_cbranch_execz .LBB378_110
; %bb.107:
	v_cvt_f32_f16_e32 v33, v34
	v_cvt_f32_f16_e32 v35, v31
	v_cmp_u_f16_e32 vcc, v34, v34
	v_cmp_u_f16_e64 s[0:1], v31, v31
	v_min_f32_e32 v31, v33, v35
	v_cndmask_b32_e32 v31, v31, v33, vcc
	v_cndmask_b32_e64 v32, v31, v35, s[0:1]
	v_max_f32_e32 v31, v33, v35
	v_cndmask_b32_e32 v31, v31, v33, vcc
	v_cndmask_b32_e64 v31, v31, v35, s[0:1]
	s_movk_i32 s0, 0x1f8
	v_cmp_neq_f32_e32 vcc, v32, v31
	v_cmp_class_f32_e64 s[0:1], v32, s0
	s_or_b64 s[2:3], vcc, s[0:1]
	s_and_saveexec_b64 s[0:1], s[2:3]
	s_cbranch_execz .LBB378_109
; %bb.108:
	v_sub_f32_e32 v32, v32, v31
	s_mov_b32 s2, 0x3fb8aa3b
	v_mul_f32_e32 v33, 0x3fb8aa3b, v32
	v_fma_f32 v34, v32, s2, -v33
	v_rndne_f32_e32 v35, v33
	v_fmamk_f32 v34, v32, 0x32a5705f, v34
	v_sub_f32_e32 v33, v33, v35
	v_add_f32_e32 v33, v33, v34
	v_exp_f32_e32 v33, v33
	v_cvt_i32_f32_e32 v34, v35
	s_mov_b32 s2, 0xc2ce8ed0
	v_cmp_ngt_f32_e32 vcc, s2, v32
	s_mov_b32 s2, 0x42b17218
	v_ldexp_f32 v33, v33, v34
	v_cndmask_b32_e32 v33, 0, v33, vcc
	v_mov_b32_e32 v34, 0x7f800000
	v_cmp_nlt_f32_e32 vcc, s2, v32
	s_mov_b32 s2, 0x3f2aaaab
	s_mov_b32 s3, 0x7f800000
	v_cndmask_b32_e32 v48, v34, v33, vcc
	v_add_f32_e32 v34, 1.0, v48
	v_add_f32_e32 v32, -1.0, v34
	v_sub_f32_e32 v33, v32, v34
	v_add_f32_e32 v33, 1.0, v33
	v_sub_f32_e32 v32, v48, v32
	v_add_f32_e32 v35, v32, v33
	v_frexp_mant_f32_e32 v36, v34
	v_cvt_f64_f32_e32 v[32:33], v34
	v_frexp_exp_i32_f64_e32 v32, v[32:33]
	v_cmp_gt_f32_e32 vcc, s2, v36
	s_mov_b32 s2, 0x3f317218
	s_nop 0
	v_subbrev_co_u32_e32 v40, vcc, 0, v32, vcc
	v_sub_u32_e32 v32, 0, v40
	v_ldexp_f32 v33, v34, v32
	v_add_f32_e32 v34, -1.0, v33
	v_add_f32_e32 v36, 1.0, v33
	v_ldexp_f32 v32, v35, v32
	v_add_f32_e32 v35, 1.0, v34
	v_add_f32_e32 v37, -1.0, v36
	v_sub_f32_e32 v35, v33, v35
	v_sub_f32_e32 v33, v33, v37
	v_add_f32_e32 v35, v32, v35
	v_add_f32_e32 v32, v32, v33
	;; [unrolled: 1-line block ×3, first 2 shown]
	v_rcp_f32_e32 v43, v41
	v_sub_f32_e32 v33, v36, v41
	v_add_f32_e32 v42, v32, v33
	v_add_f32_e32 v33, v34, v35
	v_mul_f32_e32 v45, v33, v43
	v_sub_f32_e32 v32, v34, v33
	v_mul_f32_e32 v34, v41, v45
	v_fma_f32 v36, v45, v41, -v34
	v_fmac_f32_e32 v36, v45, v42
	v_add_f32_e32 v44, v35, v32
	v_add_f32_e32 v32, v34, v36
	v_sub_f32_e32 v35, v33, v32
	v_pk_add_f32 v[38:39], v[32:33], v[34:35] neg_lo:[0,1] neg_hi:[0,1]
	v_mov_b32_e32 v37, v32
	v_pk_add_f32 v[32:33], v[38:39], v[36:37] neg_lo:[0,1] neg_hi:[0,1]
	v_cmp_eq_f32_e32 vcc, s3, v48
	v_add_f32_e32 v33, v44, v33
	v_add_f32_e32 v32, v32, v33
	;; [unrolled: 1-line block ×3, first 2 shown]
	v_mul_f32_e32 v44, v43, v33
	v_mul_f32_e32 v34, v41, v44
	v_fma_f32 v36, v44, v41, -v34
	v_fmac_f32_e32 v36, v44, v42
	v_sub_f32_e32 v35, v35, v33
	v_add_f32_e32 v41, v32, v35
	v_add_f32_e32 v32, v34, v36
	v_sub_f32_e32 v35, v33, v32
	v_pk_add_f32 v[38:39], v[32:33], v[34:35] neg_lo:[0,1] neg_hi:[0,1]
	v_mov_b32_e32 v37, v32
	v_pk_add_f32 v[32:33], v[38:39], v[36:37] neg_lo:[0,1] neg_hi:[0,1]
	v_cvt_f32_i32_e32 v34, v40
	v_add_f32_e32 v33, v41, v33
	v_add_f32_e32 v32, v32, v33
	;; [unrolled: 1-line block ×4, first 2 shown]
	v_sub_f32_e32 v33, v35, v45
	v_mul_f32_e32 v32, v43, v32
	v_sub_f32_e32 v33, v44, v33
	v_add_f32_e32 v32, v33, v32
	v_add_f32_e32 v36, v35, v32
	v_mul_f32_e32 v38, v36, v36
	v_mov_b32_e32 v33, 0x3ecc95a3
	v_sub_f32_e32 v35, v36, v35
	v_fmac_f32_e32 v33, 0x3e9b6dac, v38
	v_sub_f32_e32 v32, v32, v35
	v_fmaak_f32 v33, v38, v33, 0x3f2aaada
	v_ldexp_f32 v39, v32, 1
	v_mul_f32_e32 v35, v36, v38
	v_mov_b32_e32 v32, 0x3f317218
	v_pk_mul_f32 v[32:33], v[34:35], v[32:33]
	v_ldexp_f32 v37, v36, 1
	v_fma_f32 v35, v34, s2, -v32
	v_fmamk_f32 v36, v34, 0xb102e308, v35
	v_pk_add_f32 v[34:35], v[32:33], v[36:37]
	v_mov_b32_e32 v38, v32
	v_sub_f32_e32 v37, v35, v37
	v_sub_f32_e32 v37, v33, v37
	v_add_f32_e32 v39, v39, v37
	v_pk_add_f32 v[32:33], v[34:35], v[32:33] neg_lo:[0,1] neg_hi:[0,1]
	v_pk_add_f32 v[40:41], v[34:35], v[38:39]
	v_mov_b32_e32 v37, v34
	v_mov_b32_e32 v33, v41
	v_pk_add_f32 v[42:43], v[36:37], v[32:33] neg_lo:[0,1] neg_hi:[0,1]
	v_pk_add_f32 v[32:33], v[36:37], v[32:33]
	v_mov_b32_e32 v38, v39
	v_mov_b32_e32 v36, v33
	v_pk_add_f32 v[44:45], v[36:37], v[34:35] neg_lo:[0,1] neg_hi:[0,1]
	v_mov_b32_e32 v32, v41
	v_mov_b32_e32 v37, v44
	v_pk_add_f32 v[46:47], v[40:41], v[36:37] neg_lo:[0,1] neg_hi:[0,1]
	v_mov_b32_e32 v40, v35
	v_mov_b32_e32 v41, v44
	;; [unrolled: 1-line block ×3, first 2 shown]
	v_pk_add_f32 v[32:33], v[32:33], v[40:41] neg_lo:[0,1] neg_hi:[0,1]
	v_mov_b32_e32 v39, v34
	v_pk_add_f32 v[32:33], v[38:39], v[32:33] neg_lo:[0,1] neg_hi:[0,1]
	v_mov_b32_e32 v46, v42
	v_pk_add_f32 v[34:35], v[46:47], v[32:33]
	s_mov_b32 s2, 0x33800000
	v_mov_b32_e32 v38, v35
	v_pk_add_f32 v[38:39], v[34:35], v[38:39]
	v_cmp_lt_f32_e64 s[2:3], |v48|, s2
	v_pk_add_f32 v[36:37], v[36:37], v[38:39]
	v_mov_b32_e32 v33, v38
	v_mov_b32_e32 v35, v36
	v_pk_add_f32 v[40:41], v[34:35], v[42:43] neg_lo:[0,1] neg_hi:[0,1]
	s_or_b64 vcc, vcc, s[2:3]
	v_sub_f32_e32 v34, v34, v40
	v_pk_add_f32 v[32:33], v[32:33], v[40:41] neg_lo:[0,1] neg_hi:[0,1]
	v_sub_f32_e32 v34, v42, v34
	v_add_f32_e32 v32, v32, v34
	v_add_f32_e32 v32, v32, v33
	;; [unrolled: 1-line block ×3, first 2 shown]
	v_cndmask_b32_e32 v32, v32, v48, vcc
	v_add_f32_e32 v31, v31, v32
	v_cvt_f16_f32_e32 v34, v31
.LBB378_109:
	s_or_b64 exec, exec, s[0:1]
	v_and_b32_e32 v33, 0xffff, v34
	v_mov_b32_e32 v31, v34
.LBB378_110:
	s_or_b64 exec, exec, s[96:97]
	v_and_b32_e32 v34, 16, v30
	v_mov_b32_dpp v32, v33 row_bcast:15 row_mask:0xf bank_mask:0xf
	v_cmp_ne_u32_e32 vcc, 0, v34
	s_and_saveexec_b64 s[96:97], vcc
	s_cbranch_execz .LBB378_114
; %bb.111:
	v_cvt_f32_f16_e32 v34, v32
	v_cvt_f32_f16_e32 v35, v31
	v_cmp_u_f16_e32 vcc, v32, v32
	v_cmp_u_f16_e64 s[0:1], v31, v31
	v_min_f32_e32 v31, v34, v35
	v_cndmask_b32_e32 v31, v31, v34, vcc
	v_cndmask_b32_e64 v33, v31, v35, s[0:1]
	v_max_f32_e32 v31, v34, v35
	v_cndmask_b32_e32 v31, v31, v34, vcc
	v_cndmask_b32_e64 v31, v31, v35, s[0:1]
	s_movk_i32 s0, 0x1f8
	v_cmp_neq_f32_e32 vcc, v33, v31
	v_cmp_class_f32_e64 s[0:1], v33, s0
	s_or_b64 s[2:3], vcc, s[0:1]
	s_and_saveexec_b64 s[0:1], s[2:3]
	s_cbranch_execz .LBB378_113
; %bb.112:
	v_sub_f32_e32 v32, v33, v31
	s_mov_b32 s2, 0x3fb8aa3b
	v_mul_f32_e32 v33, 0x3fb8aa3b, v32
	v_fma_f32 v34, v32, s2, -v33
	v_rndne_f32_e32 v35, v33
	v_fmamk_f32 v34, v32, 0x32a5705f, v34
	v_sub_f32_e32 v33, v33, v35
	v_add_f32_e32 v33, v33, v34
	v_exp_f32_e32 v33, v33
	v_cvt_i32_f32_e32 v34, v35
	s_mov_b32 s2, 0xc2ce8ed0
	v_cmp_ngt_f32_e32 vcc, s2, v32
	s_mov_b32 s2, 0x42b17218
	v_ldexp_f32 v33, v33, v34
	v_cndmask_b32_e32 v33, 0, v33, vcc
	v_mov_b32_e32 v34, 0x7f800000
	v_cmp_nlt_f32_e32 vcc, s2, v32
	s_mov_b32 s2, 0x3f2aaaab
	s_mov_b32 s3, 0x7f800000
	v_cndmask_b32_e32 v48, v34, v33, vcc
	v_add_f32_e32 v34, 1.0, v48
	v_add_f32_e32 v32, -1.0, v34
	v_sub_f32_e32 v33, v32, v34
	v_add_f32_e32 v33, 1.0, v33
	v_sub_f32_e32 v32, v48, v32
	v_add_f32_e32 v35, v32, v33
	v_frexp_mant_f32_e32 v36, v34
	v_cvt_f64_f32_e32 v[32:33], v34
	v_frexp_exp_i32_f64_e32 v32, v[32:33]
	v_cmp_gt_f32_e32 vcc, s2, v36
	s_mov_b32 s2, 0x3f317218
	s_nop 0
	v_subbrev_co_u32_e32 v40, vcc, 0, v32, vcc
	v_sub_u32_e32 v32, 0, v40
	v_ldexp_f32 v33, v34, v32
	v_add_f32_e32 v34, -1.0, v33
	v_add_f32_e32 v36, 1.0, v33
	v_ldexp_f32 v32, v35, v32
	v_add_f32_e32 v35, 1.0, v34
	v_add_f32_e32 v37, -1.0, v36
	v_sub_f32_e32 v35, v33, v35
	v_sub_f32_e32 v33, v33, v37
	v_add_f32_e32 v35, v32, v35
	v_add_f32_e32 v32, v32, v33
	;; [unrolled: 1-line block ×3, first 2 shown]
	v_rcp_f32_e32 v43, v41
	v_sub_f32_e32 v33, v36, v41
	v_add_f32_e32 v42, v32, v33
	v_add_f32_e32 v33, v34, v35
	v_mul_f32_e32 v45, v33, v43
	v_sub_f32_e32 v32, v34, v33
	v_mul_f32_e32 v34, v41, v45
	v_fma_f32 v36, v45, v41, -v34
	v_fmac_f32_e32 v36, v45, v42
	v_add_f32_e32 v44, v35, v32
	v_add_f32_e32 v32, v34, v36
	v_sub_f32_e32 v35, v33, v32
	v_pk_add_f32 v[38:39], v[32:33], v[34:35] neg_lo:[0,1] neg_hi:[0,1]
	v_mov_b32_e32 v37, v32
	v_pk_add_f32 v[32:33], v[38:39], v[36:37] neg_lo:[0,1] neg_hi:[0,1]
	v_cmp_eq_f32_e32 vcc, s3, v48
	v_add_f32_e32 v33, v44, v33
	v_add_f32_e32 v32, v32, v33
	;; [unrolled: 1-line block ×3, first 2 shown]
	v_mul_f32_e32 v44, v43, v33
	v_mul_f32_e32 v34, v41, v44
	v_fma_f32 v36, v44, v41, -v34
	v_fmac_f32_e32 v36, v44, v42
	v_sub_f32_e32 v35, v35, v33
	v_add_f32_e32 v41, v32, v35
	v_add_f32_e32 v32, v34, v36
	v_sub_f32_e32 v35, v33, v32
	v_pk_add_f32 v[38:39], v[32:33], v[34:35] neg_lo:[0,1] neg_hi:[0,1]
	v_mov_b32_e32 v37, v32
	v_pk_add_f32 v[32:33], v[38:39], v[36:37] neg_lo:[0,1] neg_hi:[0,1]
	v_cvt_f32_i32_e32 v34, v40
	v_add_f32_e32 v33, v41, v33
	v_add_f32_e32 v32, v32, v33
	;; [unrolled: 1-line block ×4, first 2 shown]
	v_sub_f32_e32 v33, v35, v45
	v_mul_f32_e32 v32, v43, v32
	v_sub_f32_e32 v33, v44, v33
	v_add_f32_e32 v32, v33, v32
	v_add_f32_e32 v36, v35, v32
	v_mul_f32_e32 v38, v36, v36
	v_mov_b32_e32 v33, 0x3ecc95a3
	v_sub_f32_e32 v35, v36, v35
	v_fmac_f32_e32 v33, 0x3e9b6dac, v38
	v_sub_f32_e32 v32, v32, v35
	v_fmaak_f32 v33, v38, v33, 0x3f2aaada
	v_ldexp_f32 v39, v32, 1
	v_mul_f32_e32 v35, v36, v38
	v_mov_b32_e32 v32, 0x3f317218
	v_pk_mul_f32 v[32:33], v[34:35], v[32:33]
	v_ldexp_f32 v37, v36, 1
	v_fma_f32 v35, v34, s2, -v32
	v_fmamk_f32 v36, v34, 0xb102e308, v35
	v_pk_add_f32 v[34:35], v[32:33], v[36:37]
	v_mov_b32_e32 v38, v32
	v_sub_f32_e32 v37, v35, v37
	v_sub_f32_e32 v37, v33, v37
	v_add_f32_e32 v39, v39, v37
	v_pk_add_f32 v[32:33], v[34:35], v[32:33] neg_lo:[0,1] neg_hi:[0,1]
	v_pk_add_f32 v[40:41], v[34:35], v[38:39]
	v_mov_b32_e32 v37, v34
	v_mov_b32_e32 v33, v41
	v_pk_add_f32 v[42:43], v[36:37], v[32:33] neg_lo:[0,1] neg_hi:[0,1]
	v_pk_add_f32 v[32:33], v[36:37], v[32:33]
	v_mov_b32_e32 v38, v39
	v_mov_b32_e32 v36, v33
	v_pk_add_f32 v[44:45], v[36:37], v[34:35] neg_lo:[0,1] neg_hi:[0,1]
	v_mov_b32_e32 v32, v41
	v_mov_b32_e32 v37, v44
	v_pk_add_f32 v[46:47], v[40:41], v[36:37] neg_lo:[0,1] neg_hi:[0,1]
	v_mov_b32_e32 v40, v35
	v_mov_b32_e32 v41, v44
	;; [unrolled: 1-line block ×3, first 2 shown]
	v_pk_add_f32 v[32:33], v[32:33], v[40:41] neg_lo:[0,1] neg_hi:[0,1]
	v_mov_b32_e32 v39, v34
	v_pk_add_f32 v[32:33], v[38:39], v[32:33] neg_lo:[0,1] neg_hi:[0,1]
	v_mov_b32_e32 v46, v42
	v_pk_add_f32 v[34:35], v[46:47], v[32:33]
	s_mov_b32 s2, 0x33800000
	v_mov_b32_e32 v38, v35
	v_pk_add_f32 v[38:39], v[34:35], v[38:39]
	v_cmp_lt_f32_e64 s[2:3], |v48|, s2
	v_pk_add_f32 v[36:37], v[36:37], v[38:39]
	v_mov_b32_e32 v33, v38
	v_mov_b32_e32 v35, v36
	v_pk_add_f32 v[40:41], v[34:35], v[42:43] neg_lo:[0,1] neg_hi:[0,1]
	s_or_b64 vcc, vcc, s[2:3]
	v_sub_f32_e32 v34, v34, v40
	v_pk_add_f32 v[32:33], v[32:33], v[40:41] neg_lo:[0,1] neg_hi:[0,1]
	v_sub_f32_e32 v34, v42, v34
	v_add_f32_e32 v32, v32, v34
	v_add_f32_e32 v32, v32, v33
	;; [unrolled: 1-line block ×3, first 2 shown]
	v_cndmask_b32_e32 v32, v32, v48, vcc
	v_add_f32_e32 v31, v31, v32
	v_cvt_f16_f32_e32 v32, v31
.LBB378_113:
	s_or_b64 exec, exec, s[0:1]
	v_and_b32_e32 v33, 0xffff, v32
	v_mov_b32_e32 v31, v32
.LBB378_114:
	s_or_b64 exec, exec, s[96:97]
	v_mov_b32_dpp v32, v33 row_bcast:31 row_mask:0xf bank_mask:0xf
	v_cmp_lt_u32_e32 vcc, 31, v30
	s_and_saveexec_b64 s[96:97], vcc
	s_cbranch_execz .LBB378_118
; %bb.115:
	v_cvt_f32_f16_e32 v34, v32
	v_cvt_f32_f16_e32 v35, v31
	v_cmp_u_f16_e32 vcc, v32, v32
	v_cmp_u_f16_e64 s[0:1], v31, v31
	v_min_f32_e32 v31, v34, v35
	v_cndmask_b32_e32 v31, v31, v34, vcc
	v_cndmask_b32_e64 v33, v31, v35, s[0:1]
	v_max_f32_e32 v31, v34, v35
	v_cndmask_b32_e32 v31, v31, v34, vcc
	v_cndmask_b32_e64 v31, v31, v35, s[0:1]
	s_movk_i32 s0, 0x1f8
	v_cmp_neq_f32_e32 vcc, v33, v31
	v_cmp_class_f32_e64 s[0:1], v33, s0
	s_or_b64 s[2:3], vcc, s[0:1]
	s_and_saveexec_b64 s[0:1], s[2:3]
	s_cbranch_execz .LBB378_117
; %bb.116:
	v_sub_f32_e32 v32, v33, v31
	s_mov_b32 s2, 0x3fb8aa3b
	v_mul_f32_e32 v33, 0x3fb8aa3b, v32
	v_fma_f32 v34, v32, s2, -v33
	v_rndne_f32_e32 v35, v33
	v_fmamk_f32 v34, v32, 0x32a5705f, v34
	v_sub_f32_e32 v33, v33, v35
	v_add_f32_e32 v33, v33, v34
	v_exp_f32_e32 v33, v33
	v_cvt_i32_f32_e32 v34, v35
	s_mov_b32 s2, 0xc2ce8ed0
	v_cmp_ngt_f32_e32 vcc, s2, v32
	s_mov_b32 s2, 0x42b17218
	v_ldexp_f32 v33, v33, v34
	v_cndmask_b32_e32 v33, 0, v33, vcc
	v_mov_b32_e32 v34, 0x7f800000
	v_cmp_nlt_f32_e32 vcc, s2, v32
	s_mov_b32 s2, 0x3f2aaaab
	s_mov_b32 s3, 0x7f800000
	v_cndmask_b32_e32 v48, v34, v33, vcc
	v_add_f32_e32 v34, 1.0, v48
	v_add_f32_e32 v32, -1.0, v34
	v_sub_f32_e32 v33, v32, v34
	v_add_f32_e32 v33, 1.0, v33
	v_sub_f32_e32 v32, v48, v32
	v_add_f32_e32 v35, v32, v33
	v_frexp_mant_f32_e32 v36, v34
	v_cvt_f64_f32_e32 v[32:33], v34
	v_frexp_exp_i32_f64_e32 v32, v[32:33]
	v_cmp_gt_f32_e32 vcc, s2, v36
	s_mov_b32 s2, 0x3f317218
	s_nop 0
	v_subbrev_co_u32_e32 v40, vcc, 0, v32, vcc
	v_sub_u32_e32 v32, 0, v40
	v_ldexp_f32 v33, v34, v32
	v_add_f32_e32 v34, -1.0, v33
	v_add_f32_e32 v36, 1.0, v33
	v_ldexp_f32 v32, v35, v32
	v_add_f32_e32 v35, 1.0, v34
	v_add_f32_e32 v37, -1.0, v36
	v_sub_f32_e32 v35, v33, v35
	v_sub_f32_e32 v33, v33, v37
	v_add_f32_e32 v35, v32, v35
	v_add_f32_e32 v32, v32, v33
	;; [unrolled: 1-line block ×3, first 2 shown]
	v_rcp_f32_e32 v43, v41
	v_sub_f32_e32 v33, v36, v41
	v_add_f32_e32 v42, v32, v33
	v_add_f32_e32 v33, v34, v35
	v_mul_f32_e32 v45, v33, v43
	v_sub_f32_e32 v32, v34, v33
	v_mul_f32_e32 v34, v41, v45
	v_fma_f32 v36, v45, v41, -v34
	v_fmac_f32_e32 v36, v45, v42
	v_add_f32_e32 v44, v35, v32
	v_add_f32_e32 v32, v34, v36
	v_sub_f32_e32 v35, v33, v32
	v_pk_add_f32 v[38:39], v[32:33], v[34:35] neg_lo:[0,1] neg_hi:[0,1]
	v_mov_b32_e32 v37, v32
	v_pk_add_f32 v[32:33], v[38:39], v[36:37] neg_lo:[0,1] neg_hi:[0,1]
	v_cmp_eq_f32_e32 vcc, s3, v48
	v_add_f32_e32 v33, v44, v33
	v_add_f32_e32 v32, v32, v33
	;; [unrolled: 1-line block ×3, first 2 shown]
	v_mul_f32_e32 v44, v43, v33
	v_mul_f32_e32 v34, v41, v44
	v_fma_f32 v36, v44, v41, -v34
	v_fmac_f32_e32 v36, v44, v42
	v_sub_f32_e32 v35, v35, v33
	v_add_f32_e32 v41, v32, v35
	v_add_f32_e32 v32, v34, v36
	v_sub_f32_e32 v35, v33, v32
	v_pk_add_f32 v[38:39], v[32:33], v[34:35] neg_lo:[0,1] neg_hi:[0,1]
	v_mov_b32_e32 v37, v32
	v_pk_add_f32 v[32:33], v[38:39], v[36:37] neg_lo:[0,1] neg_hi:[0,1]
	v_cvt_f32_i32_e32 v34, v40
	v_add_f32_e32 v33, v41, v33
	v_add_f32_e32 v32, v32, v33
	;; [unrolled: 1-line block ×4, first 2 shown]
	v_sub_f32_e32 v33, v35, v45
	v_mul_f32_e32 v32, v43, v32
	v_sub_f32_e32 v33, v44, v33
	v_add_f32_e32 v32, v33, v32
	v_add_f32_e32 v36, v35, v32
	v_mul_f32_e32 v38, v36, v36
	v_mov_b32_e32 v33, 0x3ecc95a3
	v_sub_f32_e32 v35, v36, v35
	v_fmac_f32_e32 v33, 0x3e9b6dac, v38
	v_sub_f32_e32 v32, v32, v35
	v_fmaak_f32 v33, v38, v33, 0x3f2aaada
	v_ldexp_f32 v39, v32, 1
	v_mul_f32_e32 v35, v36, v38
	v_mov_b32_e32 v32, 0x3f317218
	v_pk_mul_f32 v[32:33], v[34:35], v[32:33]
	v_ldexp_f32 v37, v36, 1
	v_fma_f32 v35, v34, s2, -v32
	v_fmamk_f32 v36, v34, 0xb102e308, v35
	v_pk_add_f32 v[34:35], v[32:33], v[36:37]
	v_mov_b32_e32 v38, v32
	v_sub_f32_e32 v37, v35, v37
	v_sub_f32_e32 v37, v33, v37
	v_add_f32_e32 v39, v39, v37
	v_pk_add_f32 v[32:33], v[34:35], v[32:33] neg_lo:[0,1] neg_hi:[0,1]
	v_pk_add_f32 v[40:41], v[34:35], v[38:39]
	v_mov_b32_e32 v37, v34
	v_mov_b32_e32 v33, v41
	v_pk_add_f32 v[42:43], v[36:37], v[32:33] neg_lo:[0,1] neg_hi:[0,1]
	v_pk_add_f32 v[32:33], v[36:37], v[32:33]
	v_mov_b32_e32 v38, v39
	v_mov_b32_e32 v36, v33
	v_pk_add_f32 v[44:45], v[36:37], v[34:35] neg_lo:[0,1] neg_hi:[0,1]
	v_mov_b32_e32 v32, v41
	v_mov_b32_e32 v37, v44
	v_pk_add_f32 v[46:47], v[40:41], v[36:37] neg_lo:[0,1] neg_hi:[0,1]
	v_mov_b32_e32 v40, v35
	v_mov_b32_e32 v41, v44
	;; [unrolled: 1-line block ×3, first 2 shown]
	v_pk_add_f32 v[32:33], v[32:33], v[40:41] neg_lo:[0,1] neg_hi:[0,1]
	v_mov_b32_e32 v39, v34
	v_pk_add_f32 v[32:33], v[38:39], v[32:33] neg_lo:[0,1] neg_hi:[0,1]
	v_mov_b32_e32 v46, v42
	v_pk_add_f32 v[34:35], v[46:47], v[32:33]
	s_mov_b32 s2, 0x33800000
	v_mov_b32_e32 v38, v35
	v_pk_add_f32 v[38:39], v[34:35], v[38:39]
	v_cmp_lt_f32_e64 s[2:3], |v48|, s2
	v_pk_add_f32 v[36:37], v[36:37], v[38:39]
	v_mov_b32_e32 v33, v38
	v_mov_b32_e32 v35, v36
	v_pk_add_f32 v[40:41], v[34:35], v[42:43] neg_lo:[0,1] neg_hi:[0,1]
	s_or_b64 vcc, vcc, s[2:3]
	v_sub_f32_e32 v34, v34, v40
	v_pk_add_f32 v[32:33], v[32:33], v[40:41] neg_lo:[0,1] neg_hi:[0,1]
	v_sub_f32_e32 v34, v42, v34
	v_add_f32_e32 v32, v32, v34
	v_add_f32_e32 v32, v32, v33
	;; [unrolled: 1-line block ×3, first 2 shown]
	v_cndmask_b32_e32 v32, v32, v48, vcc
	v_add_f32_e32 v31, v31, v32
	v_cvt_f16_f32_e32 v32, v31
.LBB378_117:
	s_or_b64 exec, exec, s[0:1]
	v_mov_b32_e32 v31, v32
.LBB378_118:
	s_or_b64 exec, exec, s[96:97]
	v_or_b32_e32 v33, 63, v0
	v_lshrrev_b32_e32 v32, 6, v0
	v_cmp_eq_u32_e32 vcc, v33, v0
	s_and_saveexec_b64 s[0:1], vcc
	s_cbranch_execz .LBB378_120
; %bb.119:
	v_lshlrev_b32_e32 v33, 1, v32
	ds_write_b16 v33, v31
.LBB378_120:
	s_or_b64 exec, exec, s[0:1]
	v_cmp_gt_u32_e32 vcc, 4, v0
	s_waitcnt lgkmcnt(0)
	s_barrier
	s_and_saveexec_b64 s[98:99], vcc
	s_cbranch_execz .LBB378_130
; %bb.121:
	ds_read_u16 v34, v14
	v_and_b32_e32 v33, 3, v30
	v_cmp_ne_u32_e32 vcc, 0, v33
	s_waitcnt lgkmcnt(0)
	v_and_b32_e32 v36, 0xffff, v34
	s_nop 1
	v_mov_b32_dpp v35, v36 row_shr:1 row_mask:0xf bank_mask:0xf
	s_and_saveexec_b64 s[96:97], vcc
	s_cbranch_execz .LBB378_125
; %bb.122:
	v_cvt_f32_f16_e32 v37, v35
	v_cvt_f32_f16_e32 v38, v34
	v_cmp_u_f16_e32 vcc, v35, v35
	v_cmp_u_f16_e64 s[0:1], v34, v34
	v_min_f32_e32 v34, v37, v38
	v_cndmask_b32_e32 v34, v34, v37, vcc
	v_cndmask_b32_e64 v36, v34, v38, s[0:1]
	v_max_f32_e32 v34, v37, v38
	v_cndmask_b32_e32 v34, v34, v37, vcc
	v_cndmask_b32_e64 v34, v34, v38, s[0:1]
	s_movk_i32 s0, 0x1f8
	v_cmp_neq_f32_e32 vcc, v36, v34
	v_cmp_class_f32_e64 s[0:1], v36, s0
	s_or_b64 s[2:3], vcc, s[0:1]
	s_and_saveexec_b64 s[0:1], s[2:3]
	s_cbranch_execz .LBB378_124
; %bb.123:
	v_sub_f32_e32 v35, v36, v34
	s_mov_b32 s2, 0x3fb8aa3b
	v_mul_f32_e32 v36, 0x3fb8aa3b, v35
	v_fma_f32 v37, v35, s2, -v36
	v_rndne_f32_e32 v38, v36
	v_fmamk_f32 v37, v35, 0x32a5705f, v37
	v_sub_f32_e32 v36, v36, v38
	v_add_f32_e32 v36, v36, v37
	v_exp_f32_e32 v36, v36
	v_cvt_i32_f32_e32 v37, v38
	s_mov_b32 s2, 0xc2ce8ed0
	v_cmp_ngt_f32_e32 vcc, s2, v35
	s_mov_b32 s2, 0x42b17218
	v_ldexp_f32 v36, v36, v37
	v_cndmask_b32_e32 v36, 0, v36, vcc
	v_mov_b32_e32 v37, 0x7f800000
	v_cmp_nlt_f32_e32 vcc, s2, v35
	s_mov_b32 s2, 0x3f2aaaab
	s_mov_b32 s3, 0x7f800000
	v_cndmask_b32_e32 v52, v37, v36, vcc
	v_add_f32_e32 v35, 1.0, v52
	v_add_f32_e32 v36, -1.0, v35
	v_sub_f32_e32 v37, v36, v35
	v_add_f32_e32 v37, 1.0, v37
	v_sub_f32_e32 v36, v52, v36
	v_add_f32_e32 v38, v36, v37
	v_frexp_mant_f32_e32 v39, v35
	v_cvt_f64_f32_e32 v[36:37], v35
	v_frexp_exp_i32_f64_e32 v36, v[36:37]
	v_cmp_gt_f32_e32 vcc, s2, v39
	s_mov_b32 s2, 0x3f317218
	s_nop 0
	v_subbrev_co_u32_e32 v44, vcc, 0, v36, vcc
	v_sub_u32_e32 v36, 0, v44
	v_ldexp_f32 v35, v35, v36
	v_ldexp_f32 v36, v38, v36
	v_add_f32_e32 v38, -1.0, v35
	v_add_f32_e32 v37, 1.0, v38
	v_sub_f32_e32 v37, v35, v37
	v_add_f32_e32 v39, v36, v37
	v_add_f32_e32 v37, 1.0, v35
	v_add_f32_e32 v40, -1.0, v37
	v_sub_f32_e32 v35, v35, v40
	v_add_f32_e32 v35, v36, v35
	v_add_f32_e32 v45, v37, v35
	v_rcp_f32_e32 v46, v45
	v_sub_f32_e32 v36, v37, v45
	v_add_f32_e32 v37, v38, v39
	v_add_f32_e32 v35, v35, v36
	v_mul_f32_e32 v48, v37, v46
	v_sub_f32_e32 v36, v38, v37
	v_mul_f32_e32 v38, v45, v48
	v_fma_f32 v40, v48, v45, -v38
	v_fmac_f32_e32 v40, v48, v35
	v_add_f32_e32 v47, v39, v36
	v_add_f32_e32 v36, v38, v40
	v_sub_f32_e32 v39, v37, v36
	v_pk_add_f32 v[42:43], v[36:37], v[38:39] neg_lo:[0,1] neg_hi:[0,1]
	v_mov_b32_e32 v41, v36
	v_pk_add_f32 v[36:37], v[42:43], v[40:41] neg_lo:[0,1] neg_hi:[0,1]
	v_cmp_eq_f32_e32 vcc, s3, v52
	v_add_f32_e32 v37, v47, v37
	v_add_f32_e32 v36, v36, v37
	;; [unrolled: 1-line block ×3, first 2 shown]
	v_mul_f32_e32 v47, v46, v37
	v_mul_f32_e32 v38, v45, v47
	v_fma_f32 v40, v47, v45, -v38
	v_fmac_f32_e32 v40, v47, v35
	v_sub_f32_e32 v35, v39, v37
	v_add_f32_e32 v35, v36, v35
	v_add_f32_e32 v36, v38, v40
	v_sub_f32_e32 v39, v37, v36
	v_pk_add_f32 v[42:43], v[36:37], v[38:39] neg_lo:[0,1] neg_hi:[0,1]
	v_mov_b32_e32 v41, v36
	v_pk_add_f32 v[36:37], v[42:43], v[40:41] neg_lo:[0,1] neg_hi:[0,1]
	v_cvt_f32_i32_e32 v38, v44
	v_add_f32_e32 v35, v35, v37
	v_add_f32_e32 v35, v36, v35
	;; [unrolled: 1-line block ×4, first 2 shown]
	v_sub_f32_e32 v37, v36, v48
	v_mul_f32_e32 v35, v46, v35
	v_sub_f32_e32 v37, v47, v37
	v_add_f32_e32 v35, v37, v35
	v_add_f32_e32 v39, v36, v35
	v_mul_f32_e32 v40, v39, v39
	v_mov_b32_e32 v37, 0x3ecc95a3
	v_fmac_f32_e32 v37, 0x3e9b6dac, v40
	v_sub_f32_e32 v36, v39, v36
	v_fmaak_f32 v37, v40, v37, 0x3f2aaada
	v_sub_f32_e32 v35, v35, v36
	v_ldexp_f32 v41, v39, 1
	v_mul_f32_e32 v39, v39, v40
	v_mov_b32_e32 v36, 0x3f317218
	v_pk_mul_f32 v[36:37], v[38:39], v[36:37]
	v_ldexp_f32 v35, v35, 1
	v_fma_f32 v39, v38, s2, -v36
	v_fmamk_f32 v40, v38, 0xb102e308, v39
	v_pk_add_f32 v[38:39], v[36:37], v[40:41]
	v_mov_b32_e32 v42, v36
	v_sub_f32_e32 v41, v39, v41
	v_sub_f32_e32 v41, v37, v41
	v_add_f32_e32 v43, v35, v41
	v_pk_add_f32 v[36:37], v[38:39], v[36:37] neg_lo:[0,1] neg_hi:[0,1]
	v_pk_add_f32 v[44:45], v[38:39], v[42:43]
	v_mov_b32_e32 v41, v38
	v_mov_b32_e32 v37, v45
	v_pk_add_f32 v[46:47], v[40:41], v[36:37] neg_lo:[0,1] neg_hi:[0,1]
	v_pk_add_f32 v[36:37], v[40:41], v[36:37]
	v_mov_b32_e32 v42, v43
	v_mov_b32_e32 v40, v37
	v_pk_add_f32 v[48:49], v[40:41], v[38:39] neg_lo:[0,1] neg_hi:[0,1]
	v_mov_b32_e32 v36, v45
	v_mov_b32_e32 v35, v48
	v_pk_add_f32 v[50:51], v[44:45], v[34:35] neg_lo:[0,1] neg_hi:[0,1]
	v_mov_b32_e32 v44, v39
	v_mov_b32_e32 v45, v48
	;; [unrolled: 1-line block ×3, first 2 shown]
	v_pk_add_f32 v[36:37], v[36:37], v[44:45] neg_lo:[0,1] neg_hi:[0,1]
	v_mov_b32_e32 v43, v38
	v_pk_add_f32 v[36:37], v[42:43], v[36:37] neg_lo:[0,1] neg_hi:[0,1]
	v_mov_b32_e32 v50, v46
	v_pk_add_f32 v[38:39], v[50:51], v[36:37]
	s_mov_b32 s2, 0x33800000
	v_mov_b32_e32 v42, v39
	v_pk_add_f32 v[42:43], v[38:39], v[42:43]
	v_cmp_lt_f32_e64 s[2:3], |v52|, s2
	v_pk_add_f32 v[40:41], v[40:41], v[42:43]
	v_mov_b32_e32 v37, v42
	v_mov_b32_e32 v39, v40
	v_pk_add_f32 v[44:45], v[38:39], v[46:47] neg_lo:[0,1] neg_hi:[0,1]
	s_or_b64 vcc, vcc, s[2:3]
	v_sub_f32_e32 v35, v38, v44
	v_pk_add_f32 v[36:37], v[36:37], v[44:45] neg_lo:[0,1] neg_hi:[0,1]
	v_sub_f32_e32 v35, v46, v35
	v_add_f32_e32 v35, v36, v35
	v_add_f32_e32 v35, v35, v37
	;; [unrolled: 1-line block ×3, first 2 shown]
	v_cndmask_b32_e32 v35, v35, v52, vcc
	v_add_f32_e32 v34, v34, v35
	v_cvt_f16_f32_e32 v35, v34
.LBB378_124:
	s_or_b64 exec, exec, s[0:1]
	v_and_b32_e32 v36, 0xffff, v35
	v_mov_b32_e32 v34, v35
.LBB378_125:
	s_or_b64 exec, exec, s[96:97]
	v_mov_b32_dpp v35, v36 row_shr:2 row_mask:0xf bank_mask:0xf
	v_cmp_lt_u32_e32 vcc, 1, v33
	s_and_saveexec_b64 s[96:97], vcc
	s_cbranch_execz .LBB378_129
; %bb.126:
	v_cvt_f32_f16_e32 v33, v35
	v_cvt_f32_f16_e32 v36, v34
	v_cmp_u_f16_e32 vcc, v35, v35
	v_cmp_u_f16_e64 s[0:1], v34, v34
	v_min_f32_e32 v34, v33, v36
	v_max_f32_e32 v37, v33, v36
	v_cndmask_b32_e32 v34, v34, v33, vcc
	v_cndmask_b32_e32 v33, v37, v33, vcc
	v_cndmask_b32_e64 v34, v34, v36, s[0:1]
	v_cndmask_b32_e64 v33, v33, v36, s[0:1]
	s_movk_i32 s0, 0x1f8
	v_cmp_neq_f32_e32 vcc, v34, v33
	v_cmp_class_f32_e64 s[0:1], v34, s0
	s_or_b64 s[2:3], vcc, s[0:1]
	s_and_saveexec_b64 s[0:1], s[2:3]
	s_cbranch_execz .LBB378_128
; %bb.127:
	v_sub_f32_e32 v34, v34, v33
	s_mov_b32 s2, 0x3fb8aa3b
	v_mul_f32_e32 v35, 0x3fb8aa3b, v34
	v_fma_f32 v36, v34, s2, -v35
	v_rndne_f32_e32 v37, v35
	v_fmamk_f32 v36, v34, 0x32a5705f, v36
	v_sub_f32_e32 v35, v35, v37
	v_add_f32_e32 v35, v35, v36
	v_exp_f32_e32 v35, v35
	v_cvt_i32_f32_e32 v36, v37
	s_mov_b32 s2, 0xc2ce8ed0
	v_cmp_ngt_f32_e32 vcc, s2, v34
	s_mov_b32 s2, 0x42b17218
	v_ldexp_f32 v35, v35, v36
	v_cndmask_b32_e32 v35, 0, v35, vcc
	v_mov_b32_e32 v36, 0x7f800000
	v_cmp_nlt_f32_e32 vcc, s2, v34
	s_mov_b32 s2, 0x3f2aaaab
	s_mov_b32 s3, 0x7f800000
	v_cndmask_b32_e32 v50, v36, v35, vcc
	v_add_f32_e32 v36, 1.0, v50
	v_add_f32_e32 v34, -1.0, v36
	v_sub_f32_e32 v35, v34, v36
	v_add_f32_e32 v35, 1.0, v35
	v_sub_f32_e32 v34, v50, v34
	v_add_f32_e32 v37, v34, v35
	v_frexp_mant_f32_e32 v38, v36
	v_cvt_f64_f32_e32 v[34:35], v36
	v_frexp_exp_i32_f64_e32 v34, v[34:35]
	v_cmp_gt_f32_e32 vcc, s2, v38
	s_mov_b32 s2, 0x3f317218
	s_nop 0
	v_subbrev_co_u32_e32 v42, vcc, 0, v34, vcc
	v_sub_u32_e32 v34, 0, v42
	v_ldexp_f32 v35, v36, v34
	v_add_f32_e32 v36, -1.0, v35
	v_add_f32_e32 v38, 1.0, v35
	v_ldexp_f32 v34, v37, v34
	v_add_f32_e32 v37, 1.0, v36
	v_add_f32_e32 v39, -1.0, v38
	v_sub_f32_e32 v37, v35, v37
	v_sub_f32_e32 v35, v35, v39
	v_add_f32_e32 v37, v34, v37
	v_add_f32_e32 v34, v34, v35
	;; [unrolled: 1-line block ×3, first 2 shown]
	v_rcp_f32_e32 v45, v43
	v_sub_f32_e32 v35, v38, v43
	v_add_f32_e32 v44, v34, v35
	v_add_f32_e32 v35, v36, v37
	v_mul_f32_e32 v47, v35, v45
	v_sub_f32_e32 v34, v36, v35
	v_mul_f32_e32 v36, v43, v47
	v_fma_f32 v38, v47, v43, -v36
	v_fmac_f32_e32 v38, v47, v44
	v_add_f32_e32 v46, v37, v34
	v_add_f32_e32 v34, v36, v38
	v_sub_f32_e32 v37, v35, v34
	v_pk_add_f32 v[40:41], v[34:35], v[36:37] neg_lo:[0,1] neg_hi:[0,1]
	v_mov_b32_e32 v39, v34
	v_pk_add_f32 v[34:35], v[40:41], v[38:39] neg_lo:[0,1] neg_hi:[0,1]
	v_cmp_eq_f32_e32 vcc, s3, v50
	v_add_f32_e32 v35, v46, v35
	v_add_f32_e32 v34, v34, v35
	;; [unrolled: 1-line block ×3, first 2 shown]
	v_mul_f32_e32 v46, v45, v35
	v_mul_f32_e32 v36, v43, v46
	v_fma_f32 v38, v46, v43, -v36
	v_fmac_f32_e32 v38, v46, v44
	v_sub_f32_e32 v37, v37, v35
	v_add_f32_e32 v43, v34, v37
	v_add_f32_e32 v34, v36, v38
	v_sub_f32_e32 v37, v35, v34
	v_pk_add_f32 v[40:41], v[34:35], v[36:37] neg_lo:[0,1] neg_hi:[0,1]
	v_mov_b32_e32 v39, v34
	v_pk_add_f32 v[34:35], v[40:41], v[38:39] neg_lo:[0,1] neg_hi:[0,1]
	v_cvt_f32_i32_e32 v36, v42
	v_add_f32_e32 v35, v43, v35
	v_add_f32_e32 v34, v34, v35
	;; [unrolled: 1-line block ×4, first 2 shown]
	v_sub_f32_e32 v35, v37, v47
	v_mul_f32_e32 v34, v45, v34
	v_sub_f32_e32 v35, v46, v35
	v_add_f32_e32 v34, v35, v34
	v_add_f32_e32 v38, v37, v34
	v_mul_f32_e32 v40, v38, v38
	v_mov_b32_e32 v35, 0x3ecc95a3
	v_sub_f32_e32 v37, v38, v37
	v_fmac_f32_e32 v35, 0x3e9b6dac, v40
	v_sub_f32_e32 v34, v34, v37
	v_fmaak_f32 v35, v40, v35, 0x3f2aaada
	v_ldexp_f32 v41, v34, 1
	v_mul_f32_e32 v37, v38, v40
	v_mov_b32_e32 v34, 0x3f317218
	v_pk_mul_f32 v[34:35], v[36:37], v[34:35]
	v_ldexp_f32 v39, v38, 1
	v_fma_f32 v37, v36, s2, -v34
	v_fmamk_f32 v38, v36, 0xb102e308, v37
	v_pk_add_f32 v[36:37], v[34:35], v[38:39]
	v_mov_b32_e32 v40, v34
	v_sub_f32_e32 v39, v37, v39
	v_sub_f32_e32 v39, v35, v39
	v_add_f32_e32 v41, v41, v39
	v_pk_add_f32 v[34:35], v[36:37], v[34:35] neg_lo:[0,1] neg_hi:[0,1]
	v_pk_add_f32 v[42:43], v[36:37], v[40:41]
	v_mov_b32_e32 v39, v36
	v_mov_b32_e32 v35, v43
	v_pk_add_f32 v[44:45], v[38:39], v[34:35] neg_lo:[0,1] neg_hi:[0,1]
	v_pk_add_f32 v[34:35], v[38:39], v[34:35]
	v_mov_b32_e32 v40, v41
	v_mov_b32_e32 v38, v35
	v_pk_add_f32 v[46:47], v[38:39], v[36:37] neg_lo:[0,1] neg_hi:[0,1]
	v_mov_b32_e32 v34, v43
	v_mov_b32_e32 v39, v46
	v_pk_add_f32 v[48:49], v[42:43], v[38:39] neg_lo:[0,1] neg_hi:[0,1]
	v_mov_b32_e32 v42, v37
	v_mov_b32_e32 v43, v46
	;; [unrolled: 1-line block ×3, first 2 shown]
	v_pk_add_f32 v[34:35], v[34:35], v[42:43] neg_lo:[0,1] neg_hi:[0,1]
	v_mov_b32_e32 v41, v36
	v_pk_add_f32 v[34:35], v[40:41], v[34:35] neg_lo:[0,1] neg_hi:[0,1]
	v_mov_b32_e32 v48, v44
	v_pk_add_f32 v[36:37], v[48:49], v[34:35]
	s_mov_b32 s2, 0x33800000
	v_mov_b32_e32 v40, v37
	v_pk_add_f32 v[40:41], v[36:37], v[40:41]
	v_cmp_lt_f32_e64 s[2:3], |v50|, s2
	v_pk_add_f32 v[38:39], v[38:39], v[40:41]
	v_mov_b32_e32 v35, v40
	v_mov_b32_e32 v37, v38
	v_pk_add_f32 v[42:43], v[36:37], v[44:45] neg_lo:[0,1] neg_hi:[0,1]
	s_or_b64 vcc, vcc, s[2:3]
	v_sub_f32_e32 v36, v36, v42
	v_pk_add_f32 v[34:35], v[34:35], v[42:43] neg_lo:[0,1] neg_hi:[0,1]
	v_sub_f32_e32 v36, v44, v36
	v_add_f32_e32 v34, v34, v36
	v_add_f32_e32 v34, v34, v35
	v_add_f32_e32 v34, v38, v34
	v_cndmask_b32_e32 v34, v34, v50, vcc
	v_add_f32_e32 v33, v33, v34
	v_cvt_f16_f32_e32 v35, v33
.LBB378_128:
	s_or_b64 exec, exec, s[0:1]
	v_mov_b32_e32 v34, v35
.LBB378_129:
	s_or_b64 exec, exec, s[96:97]
	ds_write_b16 v14, v34
.LBB378_130:
	s_or_b64 exec, exec, s[98:99]
	v_cmp_lt_u32_e32 vcc, 63, v0
	s_waitcnt lgkmcnt(0)
	s_barrier
	s_waitcnt lgkmcnt(0)
                                        ; implicit-def: $vgpr33
	s_and_saveexec_b64 s[98:99], vcc
	s_cbranch_execz .LBB378_134
; %bb.131:
	v_lshl_add_u32 v32, v32, 1, -2
	ds_read_u16 v33, v32
	v_cvt_f32_f16_e32 v32, v31
	v_cmp_u_f16_e32 vcc, v31, v31
	s_movk_i32 s2, 0x1f8
	s_waitcnt lgkmcnt(0)
	v_cvt_f32_f16_e32 v34, v33
	v_cmp_u_f16_e64 s[0:1], v33, v33
	v_min_f32_e32 v31, v34, v32
	v_max_f32_e32 v35, v34, v32
	v_cndmask_b32_e64 v31, v31, v34, s[0:1]
	v_cndmask_b32_e64 v35, v35, v34, s[0:1]
	v_cndmask_b32_e32 v34, v31, v32, vcc
	v_cndmask_b32_e32 v32, v35, v32, vcc
	v_cmp_neq_f32_e32 vcc, v34, v32
	v_cmp_class_f32_e64 s[0:1], v34, s2
	s_or_b64 s[2:3], vcc, s[0:1]
	v_mov_b32_e32 v31, v33
	s_and_saveexec_b64 s[0:1], s[2:3]
	s_cbranch_execz .LBB378_133
; %bb.132:
	v_sub_f32_e32 v31, v34, v32
	s_mov_b32 s2, 0x3fb8aa3b
	v_mul_f32_e32 v34, 0x3fb8aa3b, v31
	v_fma_f32 v35, v31, s2, -v34
	v_rndne_f32_e32 v36, v34
	v_fmamk_f32 v35, v31, 0x32a5705f, v35
	v_sub_f32_e32 v34, v34, v36
	v_add_f32_e32 v34, v34, v35
	v_exp_f32_e32 v34, v34
	v_cvt_i32_f32_e32 v35, v36
	s_mov_b32 s2, 0xc2ce8ed0
	v_cmp_ngt_f32_e32 vcc, s2, v31
	s_mov_b32 s2, 0x42b17218
	v_ldexp_f32 v34, v34, v35
	v_cndmask_b32_e32 v34, 0, v34, vcc
	v_mov_b32_e32 v35, 0x7f800000
	v_cmp_nlt_f32_e32 vcc, s2, v31
	s_mov_b32 s2, 0x3f2aaaab
	s_mov_b32 s3, 0x7f800000
	v_cndmask_b32_e32 v50, v35, v34, vcc
	v_add_f32_e32 v31, 1.0, v50
	v_add_f32_e32 v34, -1.0, v31
	v_sub_f32_e32 v35, v34, v31
	v_add_f32_e32 v35, 1.0, v35
	v_sub_f32_e32 v34, v50, v34
	v_add_f32_e32 v36, v34, v35
	v_frexp_mant_f32_e32 v37, v31
	v_cvt_f64_f32_e32 v[34:35], v31
	v_frexp_exp_i32_f64_e32 v34, v[34:35]
	v_cmp_gt_f32_e32 vcc, s2, v37
	s_mov_b32 s2, 0x3f317218
	s_nop 0
	v_subbrev_co_u32_e32 v42, vcc, 0, v34, vcc
	v_sub_u32_e32 v34, 0, v42
	v_ldexp_f32 v31, v31, v34
	v_ldexp_f32 v34, v36, v34
	v_add_f32_e32 v36, -1.0, v31
	v_add_f32_e32 v35, 1.0, v36
	v_sub_f32_e32 v35, v31, v35
	v_add_f32_e32 v37, v34, v35
	v_add_f32_e32 v35, 1.0, v31
	v_add_f32_e32 v38, -1.0, v35
	v_sub_f32_e32 v31, v31, v38
	v_add_f32_e32 v31, v34, v31
	v_add_f32_e32 v43, v35, v31
	v_rcp_f32_e32 v44, v43
	v_sub_f32_e32 v34, v35, v43
	v_add_f32_e32 v35, v36, v37
	v_add_f32_e32 v31, v31, v34
	v_mul_f32_e32 v46, v35, v44
	v_sub_f32_e32 v34, v36, v35
	v_mul_f32_e32 v36, v43, v46
	v_fma_f32 v38, v46, v43, -v36
	v_fmac_f32_e32 v38, v46, v31
	v_add_f32_e32 v45, v37, v34
	v_add_f32_e32 v34, v36, v38
	v_sub_f32_e32 v37, v35, v34
	v_pk_add_f32 v[40:41], v[34:35], v[36:37] neg_lo:[0,1] neg_hi:[0,1]
	v_mov_b32_e32 v39, v34
	v_pk_add_f32 v[34:35], v[40:41], v[38:39] neg_lo:[0,1] neg_hi:[0,1]
	v_cmp_eq_f32_e32 vcc, s3, v50
	v_add_f32_e32 v35, v45, v35
	v_add_f32_e32 v34, v34, v35
	v_add_f32_e32 v35, v37, v34
	v_mul_f32_e32 v45, v44, v35
	v_mul_f32_e32 v36, v43, v45
	v_fma_f32 v38, v45, v43, -v36
	v_fmac_f32_e32 v38, v45, v31
	v_sub_f32_e32 v31, v37, v35
	v_add_f32_e32 v31, v34, v31
	v_add_f32_e32 v34, v36, v38
	v_sub_f32_e32 v37, v35, v34
	v_pk_add_f32 v[40:41], v[34:35], v[36:37] neg_lo:[0,1] neg_hi:[0,1]
	v_mov_b32_e32 v39, v34
	v_pk_add_f32 v[34:35], v[40:41], v[38:39] neg_lo:[0,1] neg_hi:[0,1]
	v_cvt_f32_i32_e32 v36, v42
	v_add_f32_e32 v31, v31, v35
	v_add_f32_e32 v31, v34, v31
	;; [unrolled: 1-line block ×4, first 2 shown]
	v_sub_f32_e32 v35, v34, v46
	v_mul_f32_e32 v31, v44, v31
	v_sub_f32_e32 v35, v45, v35
	v_add_f32_e32 v31, v35, v31
	v_add_f32_e32 v37, v34, v31
	v_mul_f32_e32 v38, v37, v37
	v_mov_b32_e32 v35, 0x3ecc95a3
	v_fmac_f32_e32 v35, 0x3e9b6dac, v38
	v_sub_f32_e32 v34, v37, v34
	v_fmaak_f32 v35, v38, v35, 0x3f2aaada
	v_sub_f32_e32 v31, v31, v34
	v_ldexp_f32 v39, v37, 1
	v_mul_f32_e32 v37, v37, v38
	v_mov_b32_e32 v34, 0x3f317218
	v_pk_mul_f32 v[34:35], v[36:37], v[34:35]
	v_ldexp_f32 v31, v31, 1
	v_fma_f32 v37, v36, s2, -v34
	v_fmamk_f32 v38, v36, 0xb102e308, v37
	v_pk_add_f32 v[36:37], v[34:35], v[38:39]
	v_mov_b32_e32 v40, v34
	v_sub_f32_e32 v39, v37, v39
	v_sub_f32_e32 v39, v35, v39
	v_add_f32_e32 v41, v31, v39
	v_pk_add_f32 v[34:35], v[36:37], v[34:35] neg_lo:[0,1] neg_hi:[0,1]
	v_pk_add_f32 v[42:43], v[36:37], v[40:41]
	v_mov_b32_e32 v39, v36
	v_mov_b32_e32 v35, v43
	v_pk_add_f32 v[44:45], v[38:39], v[34:35] neg_lo:[0,1] neg_hi:[0,1]
	v_pk_add_f32 v[34:35], v[38:39], v[34:35]
	v_mov_b32_e32 v40, v41
	v_mov_b32_e32 v38, v35
	v_pk_add_f32 v[46:47], v[38:39], v[36:37] neg_lo:[0,1] neg_hi:[0,1]
	v_mov_b32_e32 v34, v43
	v_mov_b32_e32 v31, v46
	v_pk_add_f32 v[48:49], v[42:43], v[30:31] neg_lo:[0,1] neg_hi:[0,1]
	v_mov_b32_e32 v42, v37
	v_mov_b32_e32 v43, v46
	;; [unrolled: 1-line block ×3, first 2 shown]
	v_pk_add_f32 v[34:35], v[34:35], v[42:43] neg_lo:[0,1] neg_hi:[0,1]
	v_mov_b32_e32 v41, v36
	v_pk_add_f32 v[34:35], v[40:41], v[34:35] neg_lo:[0,1] neg_hi:[0,1]
	v_mov_b32_e32 v48, v44
	v_pk_add_f32 v[36:37], v[48:49], v[34:35]
	s_mov_b32 s2, 0x33800000
	v_mov_b32_e32 v40, v37
	v_pk_add_f32 v[40:41], v[36:37], v[40:41]
	v_cmp_lt_f32_e64 s[2:3], |v50|, s2
	v_pk_add_f32 v[38:39], v[38:39], v[40:41]
	v_mov_b32_e32 v35, v40
	v_mov_b32_e32 v37, v38
	v_pk_add_f32 v[42:43], v[36:37], v[44:45] neg_lo:[0,1] neg_hi:[0,1]
	s_or_b64 vcc, vcc, s[2:3]
	v_sub_f32_e32 v31, v36, v42
	v_pk_add_f32 v[34:35], v[34:35], v[42:43] neg_lo:[0,1] neg_hi:[0,1]
	v_sub_f32_e32 v31, v44, v31
	v_add_f32_e32 v31, v34, v31
	v_add_f32_e32 v31, v31, v35
	;; [unrolled: 1-line block ×3, first 2 shown]
	v_cndmask_b32_e32 v31, v31, v50, vcc
	v_add_f32_e32 v31, v32, v31
	v_cvt_f16_f32_e32 v31, v31
.LBB378_133:
	s_or_b64 exec, exec, s[0:1]
.LBB378_134:
	s_or_b64 exec, exec, s[98:99]
	v_add_u32_e32 v32, -1, v30
	v_and_b32_e32 v34, 64, v30
	v_cmp_lt_i32_e32 vcc, v32, v34
	v_and_b32_e32 v31, 0xffff, v31
	s_nop 0
	v_cndmask_b32_e32 v32, v32, v30, vcc
	v_lshlrev_b32_e32 v32, 2, v32
	ds_bpermute_b32 v32, v32, v31
	v_cmp_ne_u32_e32 vcc, 0, v0
	v_mov_b32_e32 v31, v2
	s_and_saveexec_b64 s[0:1], vcc
	s_cbranch_execz .LBB378_138
; %bb.135:
	v_cmp_eq_u32_e32 vcc, 0, v30
	v_max_f32_e32 v0, v1, v1
	s_movk_i32 s2, 0x1f8
	s_waitcnt lgkmcnt(0)
	v_cndmask_b32_e32 v2, v32, v33, vcc
	v_cvt_f32_f16_e32 v30, v2
	v_cmp_u_f16_e32 vcc, v2, v2
	v_min_f32_e32 v28, v30, v0
	v_max_f32_e32 v0, v30, v0
	v_cndmask_b32_e32 v28, v28, v30, vcc
	v_cndmask_b32_e32 v0, v0, v30, vcc
	v_cndmask_b32_e64 v28, v28, v1, s[94:95]
	v_cndmask_b32_e64 v0, v0, v1, s[94:95]
	v_cmp_neq_f32_e32 vcc, v28, v0
	v_cmp_class_f32_e64 s[2:3], v28, s2
	s_or_b64 s[2:3], vcc, s[2:3]
	s_and_saveexec_b64 s[94:95], s[2:3]
	s_cbranch_execz .LBB378_137
; %bb.136:
	v_sub_f32_e32 v1, v28, v0
	s_mov_b32 s2, 0x3fb8aa3b
	v_mul_f32_e32 v2, 0x3fb8aa3b, v1
	v_fma_f32 v28, v1, s2, -v2
	v_rndne_f32_e32 v29, v2
	v_fmamk_f32 v28, v1, 0x32a5705f, v28
	v_sub_f32_e32 v2, v2, v29
	v_add_f32_e32 v2, v2, v28
	v_exp_f32_e32 v2, v2
	v_cvt_i32_f32_e32 v28, v29
	s_mov_b32 s2, 0xc2ce8ed0
	v_cmp_ngt_f32_e32 vcc, s2, v1
	s_mov_b32 s2, 0x42b17218
	v_ldexp_f32 v2, v2, v28
	v_cndmask_b32_e32 v2, 0, v2, vcc
	v_mov_b32_e32 v28, 0x7f800000
	v_cmp_nlt_f32_e32 vcc, s2, v1
	s_mov_b32 s2, 0x3f2aaaab
	s_mov_b32 s3, 0x7f800000
	v_cndmask_b32_e32 v42, v28, v2, vcc
	v_add_f32_e32 v1, 1.0, v42
	v_add_f32_e32 v2, -1.0, v1
	v_sub_f32_e32 v28, v2, v1
	v_add_f32_e32 v28, 1.0, v28
	v_sub_f32_e32 v2, v42, v2
	v_add_f32_e32 v2, v2, v28
	v_frexp_mant_f32_e32 v30, v1
	v_cvt_f64_f32_e32 v[28:29], v1
	v_frexp_exp_i32_f64_e32 v28, v[28:29]
	v_cmp_gt_f32_e32 vcc, s2, v30
	s_mov_b32 s2, 0x3f317218
	s_nop 0
	v_subbrev_co_u32_e32 v36, vcc, 0, v28, vcc
	v_sub_u32_e32 v28, 0, v36
	v_ldexp_f32 v1, v1, v28
	v_ldexp_f32 v2, v2, v28
	v_add_f32_e32 v28, -1.0, v1
	v_add_f32_e32 v29, 1.0, v28
	v_sub_f32_e32 v29, v1, v29
	v_add_f32_e32 v30, v2, v29
	v_add_f32_e32 v29, 1.0, v1
	v_add_f32_e32 v31, -1.0, v29
	v_sub_f32_e32 v1, v1, v31
	v_add_f32_e32 v1, v2, v1
	v_add_f32_e32 v2, v29, v1
	v_rcp_f32_e32 v37, v2
	v_sub_f32_e32 v29, v29, v2
	v_add_f32_e32 v1, v1, v29
	v_add_f32_e32 v29, v28, v30
	v_sub_f32_e32 v28, v28, v29
	v_mul_f32_e32 v39, v29, v37
	v_add_f32_e32 v38, v30, v28
	v_mul_f32_e32 v30, v2, v39
	v_fma_f32 v32, v39, v2, -v30
	v_fmac_f32_e32 v32, v39, v1
	v_add_f32_e32 v28, v30, v32
	v_sub_f32_e32 v31, v29, v28
	v_pk_add_f32 v[34:35], v[28:29], v[30:31] neg_lo:[0,1] neg_hi:[0,1]
	v_mov_b32_e32 v33, v28
	v_pk_add_f32 v[28:29], v[34:35], v[32:33] neg_lo:[0,1] neg_hi:[0,1]
	v_cmp_eq_f32_e32 vcc, s3, v42
	v_add_f32_e32 v29, v38, v29
	v_add_f32_e32 v28, v28, v29
	;; [unrolled: 1-line block ×3, first 2 shown]
	v_mul_f32_e32 v38, v37, v29
	v_mul_f32_e32 v30, v2, v38
	v_fma_f32 v32, v38, v2, -v30
	v_fmac_f32_e32 v32, v38, v1
	v_sub_f32_e32 v1, v31, v29
	v_add_f32_e32 v1, v28, v1
	v_add_f32_e32 v28, v30, v32
	v_sub_f32_e32 v31, v29, v28
	v_pk_add_f32 v[34:35], v[28:29], v[30:31] neg_lo:[0,1] neg_hi:[0,1]
	v_mov_b32_e32 v33, v28
	v_pk_add_f32 v[28:29], v[34:35], v[32:33] neg_lo:[0,1] neg_hi:[0,1]
	v_add_f32_e32 v2, v39, v38
	v_add_f32_e32 v1, v1, v29
	;; [unrolled: 1-line block ×4, first 2 shown]
	v_sub_f32_e32 v28, v2, v39
	v_mul_f32_e32 v1, v37, v1
	v_sub_f32_e32 v28, v38, v28
	v_add_f32_e32 v1, v28, v1
	v_add_f32_e32 v28, v2, v1
	v_cvt_f32_i32_e32 v30, v36
	v_mul_f32_e32 v31, v28, v28
	v_mov_b32_e32 v29, 0x3ecc95a3
	v_fmac_f32_e32 v29, 0x3e9b6dac, v31
	v_fmaak_f32 v29, v31, v29, 0x3f2aaada
	v_sub_f32_e32 v2, v28, v2
	v_ldexp_f32 v33, v28, 1
	v_mul_f32_e32 v31, v28, v31
	v_mov_b32_e32 v28, 0x3f317218
	v_pk_mul_f32 v[28:29], v[30:31], v[28:29]
	v_sub_f32_e32 v1, v1, v2
	v_fma_f32 v2, v30, s2, -v28
	v_fmamk_f32 v32, v30, 0xb102e308, v2
	v_pk_add_f32 v[30:31], v[28:29], v[32:33]
	v_ldexp_f32 v1, v1, 1
	v_sub_f32_e32 v2, v31, v33
	v_sub_f32_e32 v2, v29, v2
	v_add_f32_e32 v35, v1, v2
	v_mov_b32_e32 v34, v28
	v_pk_add_f32 v[28:29], v[30:31], v[28:29] neg_lo:[0,1] neg_hi:[0,1]
	v_pk_add_f32 v[36:37], v[30:31], v[34:35]
	v_mov_b32_e32 v33, v30
	v_mov_b32_e32 v29, v37
	v_pk_add_f32 v[38:39], v[32:33], v[28:29] neg_lo:[0,1] neg_hi:[0,1]
	v_pk_add_f32 v[28:29], v[32:33], v[28:29]
	s_mov_b32 s2, 0x33800000
	v_mov_b32_e32 v2, v29
	v_pk_add_f32 v[32:33], v[2:3], v[30:31] neg_lo:[0,1] neg_hi:[0,1]
	v_mov_b32_e32 v28, v37
	v_mov_b32_e32 v1, v32
	v_pk_add_f32 v[40:41], v[36:37], v[0:1] neg_lo:[0,1] neg_hi:[0,1]
	v_mov_b32_e32 v36, v31
	v_mov_b32_e32 v37, v32
	;; [unrolled: 1-line block ×3, first 2 shown]
	v_pk_add_f32 v[28:29], v[28:29], v[36:37] neg_lo:[0,1] neg_hi:[0,1]
	v_mov_b32_e32 v32, v35
	v_mov_b32_e32 v33, v30
	v_pk_add_f32 v[28:29], v[32:33], v[28:29] neg_lo:[0,1] neg_hi:[0,1]
	v_mov_b32_e32 v40, v38
	v_pk_add_f32 v[30:31], v[40:41], v[28:29]
	v_cmp_lt_f32_e64 s[2:3], |v42|, s2
	v_mov_b32_e32 v32, v31
	v_pk_add_f32 v[32:33], v[30:31], v[32:33]
	s_or_b64 vcc, vcc, s[2:3]
	v_pk_add_f32 v[34:35], v[2:3], v[32:33]
	v_mov_b32_e32 v29, v32
	v_mov_b32_e32 v31, v34
	v_pk_add_f32 v[36:37], v[30:31], v[38:39] neg_lo:[0,1] neg_hi:[0,1]
	s_nop 0
	v_sub_f32_e32 v1, v30, v36
	v_pk_add_f32 v[28:29], v[28:29], v[36:37] neg_lo:[0,1] neg_hi:[0,1]
	v_sub_f32_e32 v1, v38, v1
	v_add_f32_e32 v1, v28, v1
	v_add_f32_e32 v1, v1, v29
	;; [unrolled: 1-line block ×3, first 2 shown]
	v_cndmask_b32_e32 v1, v1, v42, vcc
	v_add_f32_e32 v0, v0, v1
	v_cvt_f16_f32_e32 v2, v0
	v_cvt_f32_f16_e32 v30, v2
.LBB378_137:
	s_or_b64 exec, exec, s[94:95]
	v_max_f32_e32 v0, v15, v15
	v_max_f32_e32 v1, v30, v30
	v_min_f32_e32 v28, v1, v0
	v_max_f32_e32 v29, v1, v0
	v_mov_b32_e32 v31, v2
	v_mov_b32_e32 v1, v30
	;;#ASMSTART
	;;#ASMEND
.LBB378_138:
	s_or_b64 exec, exec, s[0:1]
	v_cmp_u_f16_e32 vcc, v31, v31
	s_nop 1
	v_cndmask_b32_e32 v0, v28, v1, vcc
	v_cndmask_b32_e64 v28, v0, v15, s[48:49]
	v_cndmask_b32_e32 v0, v29, v1, vcc
	v_cndmask_b32_e64 v15, v0, v15, s[48:49]
	v_cmp_neq_f32_e32 vcc, v28, v15
	v_cmp_class_f32_e64 s[0:1], v28, s33
	s_or_b64 s[2:3], vcc, s[0:1]
	v_mov_b32_e32 v0, v2
	s_and_saveexec_b64 s[0:1], s[2:3]
	s_cbranch_execz .LBB378_140
; %bb.139:
	v_sub_f32_e32 v0, v28, v15
	s_mov_b32 s2, 0x3fb8aa3b
	v_mul_f32_e32 v1, 0x3fb8aa3b, v0
	v_fma_f32 v28, v0, s2, -v1
	v_rndne_f32_e32 v29, v1
	v_fmamk_f32 v28, v0, 0x32a5705f, v28
	v_sub_f32_e32 v1, v1, v29
	v_add_f32_e32 v1, v1, v28
	v_exp_f32_e32 v1, v1
	v_cvt_i32_f32_e32 v28, v29
	s_mov_b32 s2, 0xc2ce8ed0
	v_cmp_ngt_f32_e32 vcc, s2, v0
	s_mov_b32 s2, 0x42b17218
	v_ldexp_f32 v1, v1, v28
	v_cndmask_b32_e32 v1, 0, v1, vcc
	v_mov_b32_e32 v28, 0x7f800000
	v_cmp_nlt_f32_e32 vcc, s2, v0
	s_mov_b32 s2, 0x3f2aaaab
	s_mov_b32 s3, 0x7f800000
	v_cndmask_b32_e32 v42, v28, v1, vcc
	v_add_f32_e32 v28, 1.0, v42
	v_add_f32_e32 v0, -1.0, v28
	v_sub_f32_e32 v1, v0, v28
	v_add_f32_e32 v1, 1.0, v1
	v_sub_f32_e32 v0, v42, v0
	v_add_f32_e32 v29, v0, v1
	v_frexp_mant_f32_e32 v30, v28
	v_cvt_f64_f32_e32 v[0:1], v28
	v_frexp_exp_i32_f64_e32 v0, v[0:1]
	v_cmp_gt_f32_e32 vcc, s2, v30
	s_mov_b32 s2, 0x3f317218
	s_nop 0
	v_subbrev_co_u32_e32 v34, vcc, 0, v0, vcc
	v_sub_u32_e32 v0, 0, v34
	v_ldexp_f32 v1, v28, v0
	v_add_f32_e32 v28, -1.0, v1
	v_add_f32_e32 v30, 1.0, v1
	v_ldexp_f32 v0, v29, v0
	v_add_f32_e32 v29, 1.0, v28
	v_add_f32_e32 v31, -1.0, v30
	v_sub_f32_e32 v29, v1, v29
	v_sub_f32_e32 v1, v1, v31
	v_add_f32_e32 v29, v0, v29
	v_add_f32_e32 v0, v0, v1
	;; [unrolled: 1-line block ×3, first 2 shown]
	v_rcp_f32_e32 v37, v35
	v_sub_f32_e32 v1, v30, v35
	v_add_f32_e32 v36, v0, v1
	v_add_f32_e32 v1, v28, v29
	v_mul_f32_e32 v39, v1, v37
	v_sub_f32_e32 v0, v28, v1
	v_mul_f32_e32 v28, v35, v39
	v_fma_f32 v30, v39, v35, -v28
	v_fmac_f32_e32 v30, v39, v36
	v_add_f32_e32 v38, v29, v0
	v_add_f32_e32 v0, v28, v30
	v_sub_f32_e32 v29, v1, v0
	s_waitcnt lgkmcnt(0)
	v_pk_add_f32 v[32:33], v[0:1], v[28:29] neg_lo:[0,1] neg_hi:[0,1]
	v_mov_b32_e32 v31, v0
	v_pk_add_f32 v[0:1], v[32:33], v[30:31] neg_lo:[0,1] neg_hi:[0,1]
	v_cmp_eq_f32_e32 vcc, s3, v42
	v_add_f32_e32 v1, v38, v1
	v_add_f32_e32 v0, v0, v1
	;; [unrolled: 1-line block ×3, first 2 shown]
	v_mul_f32_e32 v38, v37, v1
	v_mul_f32_e32 v28, v35, v38
	v_fma_f32 v30, v38, v35, -v28
	v_fmac_f32_e32 v30, v38, v36
	v_sub_f32_e32 v29, v29, v1
	v_add_f32_e32 v35, v0, v29
	v_add_f32_e32 v0, v28, v30
	v_sub_f32_e32 v29, v1, v0
	v_pk_add_f32 v[32:33], v[0:1], v[28:29] neg_lo:[0,1] neg_hi:[0,1]
	v_mov_b32_e32 v31, v0
	v_pk_add_f32 v[0:1], v[32:33], v[30:31] neg_lo:[0,1] neg_hi:[0,1]
	v_cvt_f32_i32_e32 v28, v34
	v_add_f32_e32 v1, v35, v1
	v_add_f32_e32 v0, v0, v1
	;; [unrolled: 1-line block ×4, first 2 shown]
	v_sub_f32_e32 v1, v29, v39
	v_mul_f32_e32 v0, v37, v0
	v_sub_f32_e32 v1, v38, v1
	v_add_f32_e32 v0, v1, v0
	v_add_f32_e32 v30, v29, v0
	v_mul_f32_e32 v32, v30, v30
	v_mov_b32_e32 v1, 0x3ecc95a3
	v_sub_f32_e32 v29, v30, v29
	v_fmac_f32_e32 v1, 0x3e9b6dac, v32
	v_sub_f32_e32 v0, v0, v29
	v_fmaak_f32 v1, v32, v1, 0x3f2aaada
	v_ldexp_f32 v33, v0, 1
	v_mul_f32_e32 v29, v30, v32
	v_mov_b32_e32 v0, 0x3f317218
	v_pk_mul_f32 v[0:1], v[28:29], v[0:1]
	v_ldexp_f32 v31, v30, 1
	v_fma_f32 v29, v28, s2, -v0
	v_fmamk_f32 v30, v28, 0xb102e308, v29
	v_pk_add_f32 v[28:29], v[0:1], v[30:31]
	v_mov_b32_e32 v32, v0
	v_sub_f32_e32 v31, v29, v31
	v_sub_f32_e32 v31, v1, v31
	v_add_f32_e32 v33, v33, v31
	v_pk_add_f32 v[0:1], v[28:29], v[0:1] neg_lo:[0,1] neg_hi:[0,1]
	v_pk_add_f32 v[34:35], v[28:29], v[32:33]
	v_mov_b32_e32 v31, v28
	v_mov_b32_e32 v1, v35
	v_pk_add_f32 v[36:37], v[30:31], v[0:1] neg_lo:[0,1] neg_hi:[0,1]
	v_pk_add_f32 v[0:1], v[30:31], v[0:1]
	v_mov_b32_e32 v32, v33
	v_mov_b32_e32 v30, v1
	v_pk_add_f32 v[38:39], v[30:31], v[28:29] neg_lo:[0,1] neg_hi:[0,1]
	v_mov_b32_e32 v0, v35
	v_mov_b32_e32 v31, v38
	v_pk_add_f32 v[40:41], v[34:35], v[30:31] neg_lo:[0,1] neg_hi:[0,1]
	v_mov_b32_e32 v34, v29
	v_mov_b32_e32 v35, v38
	;; [unrolled: 1-line block ×3, first 2 shown]
	v_pk_add_f32 v[0:1], v[0:1], v[34:35] neg_lo:[0,1] neg_hi:[0,1]
	v_mov_b32_e32 v33, v28
	v_pk_add_f32 v[0:1], v[32:33], v[0:1] neg_lo:[0,1] neg_hi:[0,1]
	v_mov_b32_e32 v40, v36
	v_pk_add_f32 v[28:29], v[40:41], v[0:1]
	s_mov_b32 s2, 0x33800000
	v_mov_b32_e32 v32, v29
	v_pk_add_f32 v[32:33], v[28:29], v[32:33]
	v_cmp_lt_f32_e64 s[2:3], |v42|, s2
	v_pk_add_f32 v[30:31], v[30:31], v[32:33]
	v_mov_b32_e32 v1, v32
	v_mov_b32_e32 v29, v30
	v_pk_add_f32 v[34:35], v[28:29], v[36:37] neg_lo:[0,1] neg_hi:[0,1]
	s_or_b64 vcc, vcc, s[2:3]
	v_sub_f32_e32 v28, v28, v34
	v_pk_add_f32 v[0:1], v[0:1], v[34:35] neg_lo:[0,1] neg_hi:[0,1]
	v_sub_f32_e32 v28, v36, v28
	v_add_f32_e32 v0, v0, v28
	v_add_f32_e32 v0, v0, v1
	;; [unrolled: 1-line block ×3, first 2 shown]
	v_cndmask_b32_e32 v0, v0, v42, vcc
	v_add_f32_e32 v0, v15, v0
	v_cvt_f16_f32_e32 v31, v0
	v_cvt_f32_f16_e32 v1, v31
	v_mov_b32_e32 v0, v31
.LBB378_140:
	s_or_b64 exec, exec, s[0:1]
	v_max_f32_e32 v15, v16, v16
	v_max_f32_e32 v29, v1, v1
	v_min_f32_e32 v28, v29, v15
	v_cmp_u_f16_e32 vcc, v31, v31
	v_max_f32_e32 v15, v29, v15
	s_nop 0
	v_cndmask_b32_e32 v28, v28, v1, vcc
	v_cndmask_b32_e32 v15, v15, v1, vcc
	v_cndmask_b32_e64 v28, v28, v16, s[50:51]
	v_cndmask_b32_e64 v16, v15, v16, s[50:51]
	v_cmp_neq_f32_e32 vcc, v28, v16
	v_cmp_class_f32_e64 s[0:1], v28, s33
	s_or_b64 s[2:3], vcc, s[0:1]
	v_mov_b32_e32 v15, v0
	s_and_saveexec_b64 s[0:1], s[2:3]
	s_cbranch_execz .LBB378_142
; %bb.141:
	v_sub_f32_e32 v1, v28, v16
	s_mov_b32 s2, 0x3fb8aa3b
	v_mul_f32_e32 v15, 0x3fb8aa3b, v1
	v_fma_f32 v28, v1, s2, -v15
	v_rndne_f32_e32 v29, v15
	v_fmamk_f32 v28, v1, 0x32a5705f, v28
	v_sub_f32_e32 v15, v15, v29
	v_add_f32_e32 v15, v15, v28
	v_exp_f32_e32 v15, v15
	v_cvt_i32_f32_e32 v28, v29
	s_mov_b32 s2, 0xc2ce8ed0
	v_cmp_ngt_f32_e32 vcc, s2, v1
	s_mov_b32 s2, 0x42b17218
	v_ldexp_f32 v15, v15, v28
	v_cndmask_b32_e32 v15, 0, v15, vcc
	v_mov_b32_e32 v28, 0x7f800000
	v_cmp_nlt_f32_e32 vcc, s2, v1
	s_mov_b32 s2, 0x3f2aaaab
	s_mov_b32 s3, 0x7f800000
	v_cndmask_b32_e32 v15, v28, v15, vcc
	v_add_f32_e32 v1, 1.0, v15
	v_add_f32_e32 v28, -1.0, v1
	v_sub_f32_e32 v29, v28, v1
	v_add_f32_e32 v29, 1.0, v29
	v_sub_f32_e32 v28, v15, v28
	v_add_f32_e32 v30, v28, v29
	v_frexp_mant_f32_e32 v31, v1
	v_cvt_f64_f32_e32 v[28:29], v1
	v_frexp_exp_i32_f64_e32 v28, v[28:29]
	v_cmp_gt_f32_e32 vcc, s2, v31
	s_mov_b32 s2, 0x3f317218
	s_nop 0
	v_subbrev_co_u32_e32 v36, vcc, 0, v28, vcc
	v_sub_u32_e32 v28, 0, v36
	v_ldexp_f32 v1, v1, v28
	v_ldexp_f32 v28, v30, v28
	v_add_f32_e32 v30, -1.0, v1
	v_add_f32_e32 v29, 1.0, v30
	v_sub_f32_e32 v29, v1, v29
	v_add_f32_e32 v31, v28, v29
	v_add_f32_e32 v29, 1.0, v1
	s_waitcnt lgkmcnt(0)
	v_add_f32_e32 v32, -1.0, v29
	v_sub_f32_e32 v1, v1, v32
	v_add_f32_e32 v1, v28, v1
	v_add_f32_e32 v37, v29, v1
	v_rcp_f32_e32 v38, v37
	v_sub_f32_e32 v28, v29, v37
	v_add_f32_e32 v29, v30, v31
	v_add_f32_e32 v1, v1, v28
	v_mul_f32_e32 v40, v29, v38
	v_sub_f32_e32 v28, v30, v29
	v_mul_f32_e32 v30, v37, v40
	v_fma_f32 v32, v40, v37, -v30
	v_fmac_f32_e32 v32, v40, v1
	v_add_f32_e32 v39, v31, v28
	v_add_f32_e32 v28, v30, v32
	v_sub_f32_e32 v31, v29, v28
	v_pk_add_f32 v[34:35], v[28:29], v[30:31] neg_lo:[0,1] neg_hi:[0,1]
	v_mov_b32_e32 v33, v28
	v_pk_add_f32 v[28:29], v[34:35], v[32:33] neg_lo:[0,1] neg_hi:[0,1]
	v_cmp_eq_f32_e32 vcc, s3, v15
	v_add_f32_e32 v29, v39, v29
	v_add_f32_e32 v28, v28, v29
	;; [unrolled: 1-line block ×3, first 2 shown]
	v_mul_f32_e32 v39, v38, v29
	v_mul_f32_e32 v30, v37, v39
	v_fma_f32 v32, v39, v37, -v30
	v_fmac_f32_e32 v32, v39, v1
	v_sub_f32_e32 v1, v31, v29
	v_add_f32_e32 v1, v28, v1
	v_add_f32_e32 v28, v30, v32
	v_sub_f32_e32 v31, v29, v28
	v_pk_add_f32 v[34:35], v[28:29], v[30:31] neg_lo:[0,1] neg_hi:[0,1]
	v_mov_b32_e32 v33, v28
	v_pk_add_f32 v[28:29], v[34:35], v[32:33] neg_lo:[0,1] neg_hi:[0,1]
	v_cvt_f32_i32_e32 v30, v36
	v_add_f32_e32 v1, v1, v29
	v_add_f32_e32 v1, v28, v1
	;; [unrolled: 1-line block ×4, first 2 shown]
	v_sub_f32_e32 v29, v28, v40
	v_mul_f32_e32 v1, v38, v1
	v_sub_f32_e32 v29, v39, v29
	v_add_f32_e32 v1, v29, v1
	v_add_f32_e32 v31, v28, v1
	v_mul_f32_e32 v32, v31, v31
	v_mov_b32_e32 v29, 0x3ecc95a3
	v_fmac_f32_e32 v29, 0x3e9b6dac, v32
	v_sub_f32_e32 v28, v31, v28
	v_fmaak_f32 v29, v32, v29, 0x3f2aaada
	v_sub_f32_e32 v1, v1, v28
	v_ldexp_f32 v33, v31, 1
	v_mul_f32_e32 v31, v31, v32
	v_mov_b32_e32 v28, 0x3f317218
	v_pk_mul_f32 v[28:29], v[30:31], v[28:29]
	v_ldexp_f32 v1, v1, 1
	v_fma_f32 v31, v30, s2, -v28
	v_fmamk_f32 v32, v30, 0xb102e308, v31
	v_pk_add_f32 v[30:31], v[28:29], v[32:33]
	v_mov_b32_e32 v34, v28
	v_sub_f32_e32 v33, v31, v33
	v_sub_f32_e32 v33, v29, v33
	v_add_f32_e32 v35, v1, v33
	v_pk_add_f32 v[28:29], v[30:31], v[28:29] neg_lo:[0,1] neg_hi:[0,1]
	v_pk_add_f32 v[36:37], v[30:31], v[34:35]
	v_mov_b32_e32 v33, v30
	v_mov_b32_e32 v29, v37
	v_pk_add_f32 v[38:39], v[32:33], v[28:29] neg_lo:[0,1] neg_hi:[0,1]
	v_pk_add_f32 v[28:29], v[32:33], v[28:29]
	v_mov_b32_e32 v34, v35
	v_mov_b32_e32 v32, v29
	v_pk_add_f32 v[40:41], v[32:33], v[30:31] neg_lo:[0,1] neg_hi:[0,1]
	v_mov_b32_e32 v28, v37
	v_mov_b32_e32 v1, v40
	v_pk_add_f32 v[42:43], v[36:37], v[0:1] neg_lo:[0,1] neg_hi:[0,1]
	v_mov_b32_e32 v36, v31
	v_mov_b32_e32 v37, v40
	;; [unrolled: 1-line block ×3, first 2 shown]
	v_pk_add_f32 v[28:29], v[28:29], v[36:37] neg_lo:[0,1] neg_hi:[0,1]
	v_mov_b32_e32 v35, v30
	v_pk_add_f32 v[28:29], v[34:35], v[28:29] neg_lo:[0,1] neg_hi:[0,1]
	v_mov_b32_e32 v42, v38
	v_pk_add_f32 v[30:31], v[42:43], v[28:29]
	s_mov_b32 s2, 0x33800000
	v_mov_b32_e32 v34, v31
	v_pk_add_f32 v[34:35], v[30:31], v[34:35]
	v_cmp_lt_f32_e64 s[2:3], |v15|, s2
	v_pk_add_f32 v[32:33], v[32:33], v[34:35]
	v_mov_b32_e32 v29, v34
	v_mov_b32_e32 v31, v32
	v_pk_add_f32 v[36:37], v[30:31], v[38:39] neg_lo:[0,1] neg_hi:[0,1]
	s_or_b64 vcc, vcc, s[2:3]
	v_sub_f32_e32 v1, v30, v36
	v_pk_add_f32 v[28:29], v[28:29], v[36:37] neg_lo:[0,1] neg_hi:[0,1]
	v_sub_f32_e32 v1, v38, v1
	v_add_f32_e32 v1, v28, v1
	v_add_f32_e32 v1, v1, v29
	;; [unrolled: 1-line block ×3, first 2 shown]
	v_cndmask_b32_e32 v1, v1, v15, vcc
	v_add_f32_e32 v1, v16, v1
	v_cvt_f16_f32_e32 v31, v1
	v_cvt_f32_f16_e32 v1, v31
	v_mov_b32_e32 v15, v31
.LBB378_142:
	s_or_b64 exec, exec, s[0:1]
	v_max_f32_e32 v16, v17, v17
	v_max_f32_e32 v29, v1, v1
	v_min_f32_e32 v28, v29, v16
	v_cmp_u_f16_e32 vcc, v31, v31
	v_max_f32_e32 v16, v29, v16
	s_nop 0
	v_cndmask_b32_e32 v28, v28, v1, vcc
	v_cndmask_b32_e32 v16, v16, v1, vcc
	v_cndmask_b32_e64 v28, v28, v17, s[52:53]
	v_cndmask_b32_e64 v17, v16, v17, s[52:53]
	v_cmp_neq_f32_e32 vcc, v28, v17
	v_cmp_class_f32_e64 s[0:1], v28, s33
	s_or_b64 s[2:3], vcc, s[0:1]
	v_mov_b32_e32 v16, v15
	s_and_saveexec_b64 s[0:1], s[2:3]
	s_cbranch_execz .LBB378_144
; %bb.143:
	v_sub_f32_e32 v1, v28, v17
	s_mov_b32 s2, 0x3fb8aa3b
	v_mul_f32_e32 v16, 0x3fb8aa3b, v1
	v_fma_f32 v28, v1, s2, -v16
	v_rndne_f32_e32 v29, v16
	v_fmamk_f32 v28, v1, 0x32a5705f, v28
	v_sub_f32_e32 v16, v16, v29
	v_add_f32_e32 v16, v16, v28
	v_exp_f32_e32 v16, v16
	v_cvt_i32_f32_e32 v28, v29
	s_mov_b32 s2, 0xc2ce8ed0
	v_cmp_ngt_f32_e32 vcc, s2, v1
	s_mov_b32 s2, 0x42b17218
	v_ldexp_f32 v16, v16, v28
	v_cndmask_b32_e32 v16, 0, v16, vcc
	v_mov_b32_e32 v28, 0x7f800000
	v_cmp_nlt_f32_e32 vcc, s2, v1
	s_mov_b32 s2, 0x3f2aaaab
	s_mov_b32 s3, 0x7f800000
	v_cndmask_b32_e32 v42, v28, v16, vcc
	v_add_f32_e32 v1, 1.0, v42
	v_add_f32_e32 v16, -1.0, v1
	v_sub_f32_e32 v28, v16, v1
	v_add_f32_e32 v28, 1.0, v28
	v_sub_f32_e32 v16, v42, v16
	v_add_f32_e32 v16, v16, v28
	v_frexp_mant_f32_e32 v30, v1
	v_cvt_f64_f32_e32 v[28:29], v1
	v_frexp_exp_i32_f64_e32 v28, v[28:29]
	v_cmp_gt_f32_e32 vcc, s2, v30
	s_mov_b32 s2, 0x3f317218
	s_nop 0
	v_subbrev_co_u32_e32 v36, vcc, 0, v28, vcc
	v_sub_u32_e32 v28, 0, v36
	v_ldexp_f32 v1, v1, v28
	v_ldexp_f32 v16, v16, v28
	v_add_f32_e32 v28, -1.0, v1
	v_add_f32_e32 v29, 1.0, v28
	v_sub_f32_e32 v29, v1, v29
	v_add_f32_e32 v30, v16, v29
	v_add_f32_e32 v29, 1.0, v1
	v_add_f32_e32 v31, -1.0, v29
	v_sub_f32_e32 v1, v1, v31
	v_add_f32_e32 v1, v16, v1
	v_add_f32_e32 v16, v29, v1
	v_rcp_f32_e32 v37, v16
	v_sub_f32_e32 v29, v29, v16
	v_add_f32_e32 v1, v1, v29
	v_add_f32_e32 v29, v28, v30
	v_sub_f32_e32 v28, v28, v29
	v_mul_f32_e32 v39, v29, v37
	v_add_f32_e32 v38, v30, v28
	v_mul_f32_e32 v30, v16, v39
	s_waitcnt lgkmcnt(0)
	v_fma_f32 v32, v39, v16, -v30
	v_fmac_f32_e32 v32, v39, v1
	v_add_f32_e32 v28, v30, v32
	v_sub_f32_e32 v31, v29, v28
	v_pk_add_f32 v[34:35], v[28:29], v[30:31] neg_lo:[0,1] neg_hi:[0,1]
	v_mov_b32_e32 v33, v28
	v_pk_add_f32 v[28:29], v[34:35], v[32:33] neg_lo:[0,1] neg_hi:[0,1]
	v_cmp_eq_f32_e32 vcc, s3, v42
	v_add_f32_e32 v29, v38, v29
	v_add_f32_e32 v28, v28, v29
	;; [unrolled: 1-line block ×3, first 2 shown]
	v_mul_f32_e32 v38, v37, v29
	v_mul_f32_e32 v30, v16, v38
	v_fma_f32 v32, v38, v16, -v30
	v_fmac_f32_e32 v32, v38, v1
	v_sub_f32_e32 v1, v31, v29
	v_add_f32_e32 v1, v28, v1
	v_add_f32_e32 v28, v30, v32
	v_sub_f32_e32 v31, v29, v28
	v_pk_add_f32 v[34:35], v[28:29], v[30:31] neg_lo:[0,1] neg_hi:[0,1]
	v_mov_b32_e32 v33, v28
	v_pk_add_f32 v[28:29], v[34:35], v[32:33] neg_lo:[0,1] neg_hi:[0,1]
	v_add_f32_e32 v16, v39, v38
	v_add_f32_e32 v1, v1, v29
	;; [unrolled: 1-line block ×4, first 2 shown]
	v_sub_f32_e32 v28, v16, v39
	v_mul_f32_e32 v1, v37, v1
	v_sub_f32_e32 v28, v38, v28
	v_add_f32_e32 v1, v28, v1
	v_add_f32_e32 v28, v16, v1
	v_cvt_f32_i32_e32 v30, v36
	v_mul_f32_e32 v31, v28, v28
	v_mov_b32_e32 v29, 0x3ecc95a3
	v_fmac_f32_e32 v29, 0x3e9b6dac, v31
	v_fmaak_f32 v29, v31, v29, 0x3f2aaada
	v_sub_f32_e32 v16, v28, v16
	v_ldexp_f32 v33, v28, 1
	v_mul_f32_e32 v31, v28, v31
	v_mov_b32_e32 v28, 0x3f317218
	v_pk_mul_f32 v[28:29], v[30:31], v[28:29]
	v_sub_f32_e32 v1, v1, v16
	v_fma_f32 v16, v30, s2, -v28
	v_fmamk_f32 v32, v30, 0xb102e308, v16
	v_pk_add_f32 v[30:31], v[28:29], v[32:33]
	v_ldexp_f32 v1, v1, 1
	v_sub_f32_e32 v16, v31, v33
	v_sub_f32_e32 v16, v29, v16
	v_add_f32_e32 v35, v1, v16
	v_mov_b32_e32 v34, v28
	v_pk_add_f32 v[28:29], v[30:31], v[28:29] neg_lo:[0,1] neg_hi:[0,1]
	v_pk_add_f32 v[36:37], v[30:31], v[34:35]
	v_mov_b32_e32 v33, v30
	v_mov_b32_e32 v29, v37
	v_pk_add_f32 v[38:39], v[32:33], v[28:29] neg_lo:[0,1] neg_hi:[0,1]
	v_pk_add_f32 v[28:29], v[32:33], v[28:29]
	s_mov_b32 s2, 0x33800000
	v_mov_b32_e32 v16, v29
	v_pk_add_f32 v[32:33], v[16:17], v[30:31] neg_lo:[0,1] neg_hi:[0,1]
	v_mov_b32_e32 v28, v37
	v_mov_b32_e32 v1, v32
	v_pk_add_f32 v[40:41], v[36:37], v[0:1] neg_lo:[0,1] neg_hi:[0,1]
	v_mov_b32_e32 v36, v31
	v_mov_b32_e32 v37, v32
	;; [unrolled: 1-line block ×3, first 2 shown]
	v_pk_add_f32 v[28:29], v[28:29], v[36:37] neg_lo:[0,1] neg_hi:[0,1]
	v_mov_b32_e32 v32, v35
	v_mov_b32_e32 v33, v30
	v_pk_add_f32 v[28:29], v[32:33], v[28:29] neg_lo:[0,1] neg_hi:[0,1]
	v_mov_b32_e32 v40, v38
	v_pk_add_f32 v[30:31], v[40:41], v[28:29]
	v_cmp_lt_f32_e64 s[2:3], |v42|, s2
	v_mov_b32_e32 v32, v31
	v_pk_add_f32 v[32:33], v[30:31], v[32:33]
	s_or_b64 vcc, vcc, s[2:3]
	v_pk_add_f32 v[34:35], v[16:17], v[32:33]
	v_mov_b32_e32 v29, v32
	v_mov_b32_e32 v31, v34
	v_pk_add_f32 v[36:37], v[30:31], v[38:39] neg_lo:[0,1] neg_hi:[0,1]
	s_nop 0
	v_sub_f32_e32 v1, v30, v36
	v_pk_add_f32 v[28:29], v[28:29], v[36:37] neg_lo:[0,1] neg_hi:[0,1]
	v_sub_f32_e32 v1, v38, v1
	v_add_f32_e32 v1, v28, v1
	v_add_f32_e32 v1, v1, v29
	;; [unrolled: 1-line block ×3, first 2 shown]
	v_cndmask_b32_e32 v1, v1, v42, vcc
	v_add_f32_e32 v1, v17, v1
	v_cvt_f16_f32_e32 v31, v1
	v_cvt_f32_f16_e32 v1, v31
	v_mov_b32_e32 v16, v31
.LBB378_144:
	s_or_b64 exec, exec, s[0:1]
	v_max_f32_e32 v17, v3, v3
	v_max_f32_e32 v29, v1, v1
	v_min_f32_e32 v28, v29, v17
	v_cmp_u_f16_e32 vcc, v31, v31
	v_max_f32_e32 v17, v29, v17
	s_nop 0
	v_cndmask_b32_e32 v28, v28, v1, vcc
	v_cndmask_b32_e32 v17, v17, v1, vcc
	v_cndmask_b32_e64 v28, v28, v3, s[54:55]
	v_cndmask_b32_e64 v17, v17, v3, s[54:55]
	v_cmp_neq_f32_e32 vcc, v28, v17
	v_cmp_class_f32_e64 s[0:1], v28, s33
	s_or_b64 s[2:3], vcc, s[0:1]
	v_mov_b32_e32 v3, v16
	s_and_saveexec_b64 s[0:1], s[2:3]
	s_cbranch_execz .LBB378_146
; %bb.145:
	v_sub_f32_e32 v1, v28, v17
	s_mov_b32 s2, 0x3fb8aa3b
	v_mul_f32_e32 v3, 0x3fb8aa3b, v1
	v_fma_f32 v28, v1, s2, -v3
	v_rndne_f32_e32 v29, v3
	v_fmamk_f32 v28, v1, 0x32a5705f, v28
	v_sub_f32_e32 v3, v3, v29
	v_add_f32_e32 v3, v3, v28
	v_exp_f32_e32 v3, v3
	v_cvt_i32_f32_e32 v28, v29
	s_mov_b32 s2, 0xc2ce8ed0
	v_cmp_ngt_f32_e32 vcc, s2, v1
	s_mov_b32 s2, 0x42b17218
	v_ldexp_f32 v3, v3, v28
	v_cndmask_b32_e32 v3, 0, v3, vcc
	v_mov_b32_e32 v28, 0x7f800000
	v_cmp_nlt_f32_e32 vcc, s2, v1
	s_mov_b32 s2, 0x3f2aaaab
	s_mov_b32 s3, 0x7f800000
	v_cndmask_b32_e32 v3, v28, v3, vcc
	v_add_f32_e32 v1, 1.0, v3
	v_add_f32_e32 v28, -1.0, v1
	v_sub_f32_e32 v29, v28, v1
	v_add_f32_e32 v29, 1.0, v29
	v_sub_f32_e32 v28, v3, v28
	v_add_f32_e32 v30, v28, v29
	v_frexp_mant_f32_e32 v31, v1
	v_cvt_f64_f32_e32 v[28:29], v1
	v_frexp_exp_i32_f64_e32 v28, v[28:29]
	v_cmp_gt_f32_e32 vcc, s2, v31
	s_mov_b32 s2, 0x3f317218
	s_nop 0
	v_subbrev_co_u32_e32 v36, vcc, 0, v28, vcc
	v_sub_u32_e32 v28, 0, v36
	v_ldexp_f32 v1, v1, v28
	v_ldexp_f32 v28, v30, v28
	v_add_f32_e32 v30, -1.0, v1
	v_add_f32_e32 v29, 1.0, v30
	v_sub_f32_e32 v29, v1, v29
	v_add_f32_e32 v31, v28, v29
	v_add_f32_e32 v29, 1.0, v1
	s_waitcnt lgkmcnt(0)
	v_add_f32_e32 v32, -1.0, v29
	v_sub_f32_e32 v1, v1, v32
	v_add_f32_e32 v1, v28, v1
	v_add_f32_e32 v37, v29, v1
	v_rcp_f32_e32 v38, v37
	v_sub_f32_e32 v28, v29, v37
	v_add_f32_e32 v29, v30, v31
	v_add_f32_e32 v1, v1, v28
	v_mul_f32_e32 v40, v29, v38
	v_sub_f32_e32 v28, v30, v29
	v_mul_f32_e32 v30, v37, v40
	v_fma_f32 v32, v40, v37, -v30
	v_fmac_f32_e32 v32, v40, v1
	v_add_f32_e32 v39, v31, v28
	v_add_f32_e32 v28, v30, v32
	v_sub_f32_e32 v31, v29, v28
	v_pk_add_f32 v[34:35], v[28:29], v[30:31] neg_lo:[0,1] neg_hi:[0,1]
	v_mov_b32_e32 v33, v28
	v_pk_add_f32 v[28:29], v[34:35], v[32:33] neg_lo:[0,1] neg_hi:[0,1]
	v_cmp_eq_f32_e32 vcc, s3, v3
	v_add_f32_e32 v29, v39, v29
	v_add_f32_e32 v28, v28, v29
	;; [unrolled: 1-line block ×3, first 2 shown]
	v_mul_f32_e32 v39, v38, v29
	v_mul_f32_e32 v30, v37, v39
	v_fma_f32 v32, v39, v37, -v30
	v_fmac_f32_e32 v32, v39, v1
	v_sub_f32_e32 v1, v31, v29
	v_add_f32_e32 v1, v28, v1
	v_add_f32_e32 v28, v30, v32
	v_sub_f32_e32 v31, v29, v28
	v_pk_add_f32 v[34:35], v[28:29], v[30:31] neg_lo:[0,1] neg_hi:[0,1]
	v_mov_b32_e32 v33, v28
	v_pk_add_f32 v[28:29], v[34:35], v[32:33] neg_lo:[0,1] neg_hi:[0,1]
	v_cvt_f32_i32_e32 v30, v36
	v_add_f32_e32 v1, v1, v29
	v_add_f32_e32 v1, v28, v1
	;; [unrolled: 1-line block ×4, first 2 shown]
	v_sub_f32_e32 v29, v28, v40
	v_mul_f32_e32 v1, v38, v1
	v_sub_f32_e32 v29, v39, v29
	v_add_f32_e32 v1, v29, v1
	v_add_f32_e32 v31, v28, v1
	v_mul_f32_e32 v32, v31, v31
	v_mov_b32_e32 v29, 0x3ecc95a3
	v_fmac_f32_e32 v29, 0x3e9b6dac, v32
	v_sub_f32_e32 v28, v31, v28
	v_fmaak_f32 v29, v32, v29, 0x3f2aaada
	v_sub_f32_e32 v1, v1, v28
	v_ldexp_f32 v33, v31, 1
	v_mul_f32_e32 v31, v31, v32
	v_mov_b32_e32 v28, 0x3f317218
	v_pk_mul_f32 v[28:29], v[30:31], v[28:29]
	v_ldexp_f32 v1, v1, 1
	v_fma_f32 v31, v30, s2, -v28
	v_fmamk_f32 v32, v30, 0xb102e308, v31
	v_pk_add_f32 v[30:31], v[28:29], v[32:33]
	v_mov_b32_e32 v34, v28
	v_sub_f32_e32 v33, v31, v33
	v_sub_f32_e32 v33, v29, v33
	v_add_f32_e32 v35, v1, v33
	v_pk_add_f32 v[28:29], v[30:31], v[28:29] neg_lo:[0,1] neg_hi:[0,1]
	v_pk_add_f32 v[36:37], v[30:31], v[34:35]
	v_mov_b32_e32 v33, v30
	v_mov_b32_e32 v29, v37
	v_pk_add_f32 v[38:39], v[32:33], v[28:29] neg_lo:[0,1] neg_hi:[0,1]
	v_pk_add_f32 v[28:29], v[32:33], v[28:29]
	v_mov_b32_e32 v34, v35
	v_mov_b32_e32 v32, v29
	v_pk_add_f32 v[40:41], v[32:33], v[30:31] neg_lo:[0,1] neg_hi:[0,1]
	v_mov_b32_e32 v28, v37
	v_mov_b32_e32 v1, v40
	v_pk_add_f32 v[42:43], v[36:37], v[0:1] neg_lo:[0,1] neg_hi:[0,1]
	v_mov_b32_e32 v36, v31
	v_mov_b32_e32 v37, v40
	v_mov_b32_e32 v39, v29
	v_pk_add_f32 v[28:29], v[28:29], v[36:37] neg_lo:[0,1] neg_hi:[0,1]
	v_mov_b32_e32 v35, v30
	v_pk_add_f32 v[28:29], v[34:35], v[28:29] neg_lo:[0,1] neg_hi:[0,1]
	v_mov_b32_e32 v42, v38
	v_pk_add_f32 v[30:31], v[42:43], v[28:29]
	s_mov_b32 s2, 0x33800000
	v_mov_b32_e32 v34, v31
	v_pk_add_f32 v[34:35], v[30:31], v[34:35]
	v_cmp_lt_f32_e64 s[2:3], |v3|, s2
	v_pk_add_f32 v[32:33], v[32:33], v[34:35]
	v_mov_b32_e32 v29, v34
	v_mov_b32_e32 v31, v32
	v_pk_add_f32 v[36:37], v[30:31], v[38:39] neg_lo:[0,1] neg_hi:[0,1]
	s_or_b64 vcc, vcc, s[2:3]
	v_sub_f32_e32 v1, v30, v36
	v_pk_add_f32 v[28:29], v[28:29], v[36:37] neg_lo:[0,1] neg_hi:[0,1]
	v_sub_f32_e32 v1, v38, v1
	v_add_f32_e32 v1, v28, v1
	v_add_f32_e32 v1, v1, v29
	;; [unrolled: 1-line block ×3, first 2 shown]
	v_cndmask_b32_e32 v1, v1, v3, vcc
	v_add_f32_e32 v1, v17, v1
	v_cvt_f16_f32_e32 v31, v1
	v_cvt_f32_f16_e32 v1, v31
	v_mov_b32_e32 v3, v31
.LBB378_146:
	s_or_b64 exec, exec, s[0:1]
	v_max_f32_e32 v17, v18, v18
	v_max_f32_e32 v29, v1, v1
	v_min_f32_e32 v28, v29, v17
	v_cmp_u_f16_e32 vcc, v31, v31
	v_max_f32_e32 v17, v29, v17
	s_nop 0
	v_cndmask_b32_e32 v28, v28, v1, vcc
	v_cndmask_b32_e32 v17, v17, v1, vcc
	v_cndmask_b32_e64 v28, v28, v18, s[56:57]
	v_cndmask_b32_e64 v18, v17, v18, s[56:57]
	v_cmp_neq_f32_e32 vcc, v28, v18
	v_cmp_class_f32_e64 s[0:1], v28, s33
	s_or_b64 s[2:3], vcc, s[0:1]
	v_mov_b32_e32 v17, v3
	s_and_saveexec_b64 s[0:1], s[2:3]
	s_cbranch_execz .LBB378_148
; %bb.147:
	v_sub_f32_e32 v1, v28, v18
	s_mov_b32 s2, 0x3fb8aa3b
	v_mul_f32_e32 v17, 0x3fb8aa3b, v1
	v_fma_f32 v28, v1, s2, -v17
	v_rndne_f32_e32 v29, v17
	v_fmamk_f32 v28, v1, 0x32a5705f, v28
	v_sub_f32_e32 v17, v17, v29
	v_add_f32_e32 v17, v17, v28
	v_exp_f32_e32 v17, v17
	v_cvt_i32_f32_e32 v28, v29
	s_mov_b32 s2, 0xc2ce8ed0
	v_cmp_ngt_f32_e32 vcc, s2, v1
	s_mov_b32 s2, 0x42b17218
	v_ldexp_f32 v17, v17, v28
	v_cndmask_b32_e32 v17, 0, v17, vcc
	v_mov_b32_e32 v28, 0x7f800000
	v_cmp_nlt_f32_e32 vcc, s2, v1
	s_mov_b32 s2, 0x3f2aaaab
	s_mov_b32 s3, 0x7f800000
	v_cndmask_b32_e32 v17, v28, v17, vcc
	v_add_f32_e32 v1, 1.0, v17
	v_add_f32_e32 v28, -1.0, v1
	v_sub_f32_e32 v29, v28, v1
	v_add_f32_e32 v29, 1.0, v29
	v_sub_f32_e32 v28, v17, v28
	v_add_f32_e32 v30, v28, v29
	v_frexp_mant_f32_e32 v31, v1
	v_cvt_f64_f32_e32 v[28:29], v1
	v_frexp_exp_i32_f64_e32 v28, v[28:29]
	v_cmp_gt_f32_e32 vcc, s2, v31
	s_mov_b32 s2, 0x3f317218
	s_nop 0
	v_subbrev_co_u32_e32 v36, vcc, 0, v28, vcc
	v_sub_u32_e32 v28, 0, v36
	v_ldexp_f32 v1, v1, v28
	v_ldexp_f32 v28, v30, v28
	v_add_f32_e32 v30, -1.0, v1
	v_add_f32_e32 v29, 1.0, v30
	v_sub_f32_e32 v29, v1, v29
	v_add_f32_e32 v31, v28, v29
	v_add_f32_e32 v29, 1.0, v1
	s_waitcnt lgkmcnt(0)
	v_add_f32_e32 v32, -1.0, v29
	v_sub_f32_e32 v1, v1, v32
	v_add_f32_e32 v1, v28, v1
	v_add_f32_e32 v37, v29, v1
	v_rcp_f32_e32 v38, v37
	v_sub_f32_e32 v28, v29, v37
	v_add_f32_e32 v29, v30, v31
	v_add_f32_e32 v1, v1, v28
	v_mul_f32_e32 v40, v29, v38
	v_sub_f32_e32 v28, v30, v29
	v_mul_f32_e32 v30, v37, v40
	v_fma_f32 v32, v40, v37, -v30
	v_fmac_f32_e32 v32, v40, v1
	v_add_f32_e32 v39, v31, v28
	v_add_f32_e32 v28, v30, v32
	v_sub_f32_e32 v31, v29, v28
	v_pk_add_f32 v[34:35], v[28:29], v[30:31] neg_lo:[0,1] neg_hi:[0,1]
	v_mov_b32_e32 v33, v28
	v_pk_add_f32 v[28:29], v[34:35], v[32:33] neg_lo:[0,1] neg_hi:[0,1]
	v_cmp_eq_f32_e32 vcc, s3, v17
	v_add_f32_e32 v29, v39, v29
	v_add_f32_e32 v28, v28, v29
	;; [unrolled: 1-line block ×3, first 2 shown]
	v_mul_f32_e32 v39, v38, v29
	v_mul_f32_e32 v30, v37, v39
	v_fma_f32 v32, v39, v37, -v30
	v_fmac_f32_e32 v32, v39, v1
	v_sub_f32_e32 v1, v31, v29
	v_add_f32_e32 v1, v28, v1
	v_add_f32_e32 v28, v30, v32
	v_sub_f32_e32 v31, v29, v28
	v_pk_add_f32 v[34:35], v[28:29], v[30:31] neg_lo:[0,1] neg_hi:[0,1]
	v_mov_b32_e32 v33, v28
	v_pk_add_f32 v[28:29], v[34:35], v[32:33] neg_lo:[0,1] neg_hi:[0,1]
	v_cvt_f32_i32_e32 v30, v36
	v_add_f32_e32 v1, v1, v29
	v_add_f32_e32 v1, v28, v1
	;; [unrolled: 1-line block ×4, first 2 shown]
	v_sub_f32_e32 v29, v28, v40
	v_mul_f32_e32 v1, v38, v1
	v_sub_f32_e32 v29, v39, v29
	v_add_f32_e32 v1, v29, v1
	v_add_f32_e32 v31, v28, v1
	v_mul_f32_e32 v32, v31, v31
	v_mov_b32_e32 v29, 0x3ecc95a3
	v_fmac_f32_e32 v29, 0x3e9b6dac, v32
	v_sub_f32_e32 v28, v31, v28
	v_fmaak_f32 v29, v32, v29, 0x3f2aaada
	v_sub_f32_e32 v1, v1, v28
	v_ldexp_f32 v33, v31, 1
	v_mul_f32_e32 v31, v31, v32
	v_mov_b32_e32 v28, 0x3f317218
	v_pk_mul_f32 v[28:29], v[30:31], v[28:29]
	v_ldexp_f32 v1, v1, 1
	v_fma_f32 v31, v30, s2, -v28
	v_fmamk_f32 v32, v30, 0xb102e308, v31
	v_pk_add_f32 v[30:31], v[28:29], v[32:33]
	v_mov_b32_e32 v34, v28
	v_sub_f32_e32 v33, v31, v33
	v_sub_f32_e32 v33, v29, v33
	v_add_f32_e32 v35, v1, v33
	v_pk_add_f32 v[28:29], v[30:31], v[28:29] neg_lo:[0,1] neg_hi:[0,1]
	v_pk_add_f32 v[36:37], v[30:31], v[34:35]
	v_mov_b32_e32 v33, v30
	v_mov_b32_e32 v29, v37
	v_pk_add_f32 v[38:39], v[32:33], v[28:29] neg_lo:[0,1] neg_hi:[0,1]
	v_pk_add_f32 v[28:29], v[32:33], v[28:29]
	v_mov_b32_e32 v34, v35
	v_mov_b32_e32 v32, v29
	v_pk_add_f32 v[40:41], v[32:33], v[30:31] neg_lo:[0,1] neg_hi:[0,1]
	v_mov_b32_e32 v28, v37
	v_mov_b32_e32 v1, v40
	v_pk_add_f32 v[42:43], v[36:37], v[0:1] neg_lo:[0,1] neg_hi:[0,1]
	v_mov_b32_e32 v36, v31
	v_mov_b32_e32 v37, v40
	;; [unrolled: 1-line block ×3, first 2 shown]
	v_pk_add_f32 v[28:29], v[28:29], v[36:37] neg_lo:[0,1] neg_hi:[0,1]
	v_mov_b32_e32 v35, v30
	v_pk_add_f32 v[28:29], v[34:35], v[28:29] neg_lo:[0,1] neg_hi:[0,1]
	v_mov_b32_e32 v42, v38
	v_pk_add_f32 v[30:31], v[42:43], v[28:29]
	s_mov_b32 s2, 0x33800000
	v_mov_b32_e32 v34, v31
	v_pk_add_f32 v[34:35], v[30:31], v[34:35]
	v_cmp_lt_f32_e64 s[2:3], |v17|, s2
	v_pk_add_f32 v[32:33], v[32:33], v[34:35]
	v_mov_b32_e32 v29, v34
	v_mov_b32_e32 v31, v32
	v_pk_add_f32 v[36:37], v[30:31], v[38:39] neg_lo:[0,1] neg_hi:[0,1]
	s_or_b64 vcc, vcc, s[2:3]
	v_sub_f32_e32 v1, v30, v36
	v_pk_add_f32 v[28:29], v[28:29], v[36:37] neg_lo:[0,1] neg_hi:[0,1]
	v_sub_f32_e32 v1, v38, v1
	v_add_f32_e32 v1, v28, v1
	v_add_f32_e32 v1, v1, v29
	;; [unrolled: 1-line block ×3, first 2 shown]
	v_cndmask_b32_e32 v1, v1, v17, vcc
	v_add_f32_e32 v1, v18, v1
	v_cvt_f16_f32_e32 v31, v1
	v_cvt_f32_f16_e32 v1, v31
	v_mov_b32_e32 v17, v31
.LBB378_148:
	s_or_b64 exec, exec, s[0:1]
	v_max_f32_e32 v18, v4, v4
	v_max_f32_e32 v29, v1, v1
	v_min_f32_e32 v28, v29, v18
	v_cmp_u_f16_e32 vcc, v31, v31
	v_max_f32_e32 v18, v29, v18
	s_nop 0
	v_cndmask_b32_e32 v28, v28, v1, vcc
	v_cndmask_b32_e32 v18, v18, v1, vcc
	v_cndmask_b32_e64 v28, v28, v4, s[58:59]
	v_cndmask_b32_e64 v18, v18, v4, s[58:59]
	v_cmp_neq_f32_e32 vcc, v28, v18
	v_cmp_class_f32_e64 s[0:1], v28, s33
	s_or_b64 s[2:3], vcc, s[0:1]
	v_mov_b32_e32 v4, v17
	s_and_saveexec_b64 s[0:1], s[2:3]
	s_cbranch_execz .LBB378_150
; %bb.149:
	v_sub_f32_e32 v1, v28, v18
	s_mov_b32 s2, 0x3fb8aa3b
	v_mul_f32_e32 v4, 0x3fb8aa3b, v1
	v_fma_f32 v28, v1, s2, -v4
	v_rndne_f32_e32 v29, v4
	v_fmamk_f32 v28, v1, 0x32a5705f, v28
	v_sub_f32_e32 v4, v4, v29
	v_add_f32_e32 v4, v4, v28
	v_exp_f32_e32 v4, v4
	v_cvt_i32_f32_e32 v28, v29
	s_mov_b32 s2, 0xc2ce8ed0
	v_cmp_ngt_f32_e32 vcc, s2, v1
	s_mov_b32 s2, 0x42b17218
	v_ldexp_f32 v4, v4, v28
	v_cndmask_b32_e32 v4, 0, v4, vcc
	v_mov_b32_e32 v28, 0x7f800000
	v_cmp_nlt_f32_e32 vcc, s2, v1
	s_mov_b32 s2, 0x3f2aaaab
	s_mov_b32 s3, 0x7f800000
	v_cndmask_b32_e32 v42, v28, v4, vcc
	v_add_f32_e32 v1, 1.0, v42
	v_add_f32_e32 v4, -1.0, v1
	v_sub_f32_e32 v28, v4, v1
	v_add_f32_e32 v28, 1.0, v28
	v_sub_f32_e32 v4, v42, v4
	v_add_f32_e32 v4, v4, v28
	v_frexp_mant_f32_e32 v30, v1
	v_cvt_f64_f32_e32 v[28:29], v1
	v_frexp_exp_i32_f64_e32 v28, v[28:29]
	v_cmp_gt_f32_e32 vcc, s2, v30
	s_mov_b32 s2, 0x3f317218
	s_nop 0
	v_subbrev_co_u32_e32 v36, vcc, 0, v28, vcc
	v_sub_u32_e32 v28, 0, v36
	v_ldexp_f32 v1, v1, v28
	v_ldexp_f32 v4, v4, v28
	v_add_f32_e32 v28, -1.0, v1
	v_add_f32_e32 v29, 1.0, v28
	v_sub_f32_e32 v29, v1, v29
	v_add_f32_e32 v30, v4, v29
	v_add_f32_e32 v29, 1.0, v1
	v_add_f32_e32 v31, -1.0, v29
	v_sub_f32_e32 v1, v1, v31
	v_add_f32_e32 v1, v4, v1
	v_add_f32_e32 v4, v29, v1
	v_rcp_f32_e32 v37, v4
	v_sub_f32_e32 v29, v29, v4
	v_add_f32_e32 v1, v1, v29
	v_add_f32_e32 v29, v28, v30
	v_sub_f32_e32 v28, v28, v29
	v_mul_f32_e32 v39, v29, v37
	v_add_f32_e32 v38, v30, v28
	v_mul_f32_e32 v30, v4, v39
	s_waitcnt lgkmcnt(0)
	v_fma_f32 v32, v39, v4, -v30
	v_fmac_f32_e32 v32, v39, v1
	v_add_f32_e32 v28, v30, v32
	v_sub_f32_e32 v31, v29, v28
	v_pk_add_f32 v[34:35], v[28:29], v[30:31] neg_lo:[0,1] neg_hi:[0,1]
	v_mov_b32_e32 v33, v28
	v_pk_add_f32 v[28:29], v[34:35], v[32:33] neg_lo:[0,1] neg_hi:[0,1]
	v_cmp_eq_f32_e32 vcc, s3, v42
	v_add_f32_e32 v29, v38, v29
	v_add_f32_e32 v28, v28, v29
	;; [unrolled: 1-line block ×3, first 2 shown]
	v_mul_f32_e32 v38, v37, v29
	v_mul_f32_e32 v30, v4, v38
	v_fma_f32 v32, v38, v4, -v30
	v_fmac_f32_e32 v32, v38, v1
	v_sub_f32_e32 v1, v31, v29
	v_add_f32_e32 v1, v28, v1
	v_add_f32_e32 v28, v30, v32
	v_sub_f32_e32 v31, v29, v28
	v_pk_add_f32 v[34:35], v[28:29], v[30:31] neg_lo:[0,1] neg_hi:[0,1]
	v_mov_b32_e32 v33, v28
	v_pk_add_f32 v[28:29], v[34:35], v[32:33] neg_lo:[0,1] neg_hi:[0,1]
	v_add_f32_e32 v4, v39, v38
	v_add_f32_e32 v1, v1, v29
	;; [unrolled: 1-line block ×4, first 2 shown]
	v_sub_f32_e32 v28, v4, v39
	v_mul_f32_e32 v1, v37, v1
	v_sub_f32_e32 v28, v38, v28
	v_add_f32_e32 v1, v28, v1
	v_add_f32_e32 v28, v4, v1
	v_cvt_f32_i32_e32 v30, v36
	v_mul_f32_e32 v31, v28, v28
	v_mov_b32_e32 v29, 0x3ecc95a3
	v_fmac_f32_e32 v29, 0x3e9b6dac, v31
	v_fmaak_f32 v29, v31, v29, 0x3f2aaada
	v_sub_f32_e32 v4, v28, v4
	v_ldexp_f32 v33, v28, 1
	v_mul_f32_e32 v31, v28, v31
	v_mov_b32_e32 v28, 0x3f317218
	v_pk_mul_f32 v[28:29], v[30:31], v[28:29]
	v_sub_f32_e32 v1, v1, v4
	v_fma_f32 v4, v30, s2, -v28
	v_fmamk_f32 v32, v30, 0xb102e308, v4
	v_pk_add_f32 v[30:31], v[28:29], v[32:33]
	v_ldexp_f32 v1, v1, 1
	v_sub_f32_e32 v4, v31, v33
	v_sub_f32_e32 v4, v29, v4
	v_add_f32_e32 v35, v1, v4
	v_mov_b32_e32 v34, v28
	v_pk_add_f32 v[28:29], v[30:31], v[28:29] neg_lo:[0,1] neg_hi:[0,1]
	v_pk_add_f32 v[36:37], v[30:31], v[34:35]
	v_mov_b32_e32 v33, v30
	v_mov_b32_e32 v29, v37
	v_pk_add_f32 v[38:39], v[32:33], v[28:29] neg_lo:[0,1] neg_hi:[0,1]
	v_pk_add_f32 v[28:29], v[32:33], v[28:29]
	s_mov_b32 s2, 0x33800000
	v_mov_b32_e32 v4, v29
	v_pk_add_f32 v[32:33], v[4:5], v[30:31] neg_lo:[0,1] neg_hi:[0,1]
	v_mov_b32_e32 v28, v37
	v_mov_b32_e32 v1, v32
	v_pk_add_f32 v[40:41], v[36:37], v[0:1] neg_lo:[0,1] neg_hi:[0,1]
	v_mov_b32_e32 v36, v31
	v_mov_b32_e32 v37, v32
	;; [unrolled: 1-line block ×3, first 2 shown]
	v_pk_add_f32 v[28:29], v[28:29], v[36:37] neg_lo:[0,1] neg_hi:[0,1]
	v_mov_b32_e32 v32, v35
	v_mov_b32_e32 v33, v30
	v_pk_add_f32 v[28:29], v[32:33], v[28:29] neg_lo:[0,1] neg_hi:[0,1]
	v_mov_b32_e32 v40, v38
	v_pk_add_f32 v[30:31], v[40:41], v[28:29]
	v_cmp_lt_f32_e64 s[2:3], |v42|, s2
	v_mov_b32_e32 v32, v31
	v_pk_add_f32 v[32:33], v[30:31], v[32:33]
	s_or_b64 vcc, vcc, s[2:3]
	v_pk_add_f32 v[34:35], v[4:5], v[32:33]
	v_mov_b32_e32 v29, v32
	v_mov_b32_e32 v31, v34
	v_pk_add_f32 v[36:37], v[30:31], v[38:39] neg_lo:[0,1] neg_hi:[0,1]
	s_nop 0
	v_sub_f32_e32 v1, v30, v36
	v_pk_add_f32 v[28:29], v[28:29], v[36:37] neg_lo:[0,1] neg_hi:[0,1]
	v_sub_f32_e32 v1, v38, v1
	v_add_f32_e32 v1, v28, v1
	v_add_f32_e32 v1, v1, v29
	;; [unrolled: 1-line block ×3, first 2 shown]
	v_cndmask_b32_e32 v1, v1, v42, vcc
	v_add_f32_e32 v1, v18, v1
	v_cvt_f16_f32_e32 v31, v1
	v_cvt_f32_f16_e32 v1, v31
	v_mov_b32_e32 v4, v31
.LBB378_150:
	s_or_b64 exec, exec, s[0:1]
	v_max_f32_e32 v18, v19, v19
	v_max_f32_e32 v29, v1, v1
	v_min_f32_e32 v28, v29, v18
	v_cmp_u_f16_e32 vcc, v31, v31
	v_max_f32_e32 v18, v29, v18
	s_nop 0
	v_cndmask_b32_e32 v28, v28, v1, vcc
	v_cndmask_b32_e32 v18, v18, v1, vcc
	v_cndmask_b32_e64 v28, v28, v19, s[60:61]
	v_cndmask_b32_e64 v19, v18, v19, s[60:61]
	v_cmp_neq_f32_e32 vcc, v28, v19
	v_cmp_class_f32_e64 s[0:1], v28, s33
	s_or_b64 s[2:3], vcc, s[0:1]
	v_mov_b32_e32 v18, v4
	s_and_saveexec_b64 s[0:1], s[2:3]
	s_cbranch_execz .LBB378_152
; %bb.151:
	v_sub_f32_e32 v1, v28, v19
	s_mov_b32 s2, 0x3fb8aa3b
	v_mul_f32_e32 v18, 0x3fb8aa3b, v1
	v_fma_f32 v28, v1, s2, -v18
	v_rndne_f32_e32 v29, v18
	v_fmamk_f32 v28, v1, 0x32a5705f, v28
	v_sub_f32_e32 v18, v18, v29
	v_add_f32_e32 v18, v18, v28
	v_exp_f32_e32 v18, v18
	v_cvt_i32_f32_e32 v28, v29
	s_mov_b32 s2, 0xc2ce8ed0
	v_cmp_ngt_f32_e32 vcc, s2, v1
	s_mov_b32 s2, 0x42b17218
	v_ldexp_f32 v18, v18, v28
	v_cndmask_b32_e32 v18, 0, v18, vcc
	v_mov_b32_e32 v28, 0x7f800000
	v_cmp_nlt_f32_e32 vcc, s2, v1
	s_mov_b32 s2, 0x3f2aaaab
	s_mov_b32 s3, 0x7f800000
	v_cndmask_b32_e32 v42, v28, v18, vcc
	v_add_f32_e32 v1, 1.0, v42
	v_add_f32_e32 v18, -1.0, v1
	v_sub_f32_e32 v28, v18, v1
	v_add_f32_e32 v28, 1.0, v28
	v_sub_f32_e32 v18, v42, v18
	v_add_f32_e32 v18, v18, v28
	v_frexp_mant_f32_e32 v30, v1
	v_cvt_f64_f32_e32 v[28:29], v1
	v_frexp_exp_i32_f64_e32 v28, v[28:29]
	v_cmp_gt_f32_e32 vcc, s2, v30
	s_mov_b32 s2, 0x3f317218
	s_nop 0
	v_subbrev_co_u32_e32 v36, vcc, 0, v28, vcc
	v_sub_u32_e32 v28, 0, v36
	v_ldexp_f32 v1, v1, v28
	v_ldexp_f32 v18, v18, v28
	v_add_f32_e32 v28, -1.0, v1
	v_add_f32_e32 v29, 1.0, v28
	v_sub_f32_e32 v29, v1, v29
	v_add_f32_e32 v30, v18, v29
	v_add_f32_e32 v29, 1.0, v1
	v_add_f32_e32 v31, -1.0, v29
	v_sub_f32_e32 v1, v1, v31
	v_add_f32_e32 v1, v18, v1
	v_add_f32_e32 v18, v29, v1
	v_rcp_f32_e32 v37, v18
	v_sub_f32_e32 v29, v29, v18
	v_add_f32_e32 v1, v1, v29
	v_add_f32_e32 v29, v28, v30
	v_sub_f32_e32 v28, v28, v29
	v_mul_f32_e32 v39, v29, v37
	v_add_f32_e32 v38, v30, v28
	v_mul_f32_e32 v30, v18, v39
	s_waitcnt lgkmcnt(0)
	v_fma_f32 v32, v39, v18, -v30
	v_fmac_f32_e32 v32, v39, v1
	v_add_f32_e32 v28, v30, v32
	v_sub_f32_e32 v31, v29, v28
	v_pk_add_f32 v[34:35], v[28:29], v[30:31] neg_lo:[0,1] neg_hi:[0,1]
	v_mov_b32_e32 v33, v28
	v_pk_add_f32 v[28:29], v[34:35], v[32:33] neg_lo:[0,1] neg_hi:[0,1]
	v_cmp_eq_f32_e32 vcc, s3, v42
	v_add_f32_e32 v29, v38, v29
	v_add_f32_e32 v28, v28, v29
	;; [unrolled: 1-line block ×3, first 2 shown]
	v_mul_f32_e32 v38, v37, v29
	v_mul_f32_e32 v30, v18, v38
	v_fma_f32 v32, v38, v18, -v30
	v_fmac_f32_e32 v32, v38, v1
	v_sub_f32_e32 v1, v31, v29
	v_add_f32_e32 v1, v28, v1
	v_add_f32_e32 v28, v30, v32
	v_sub_f32_e32 v31, v29, v28
	v_pk_add_f32 v[34:35], v[28:29], v[30:31] neg_lo:[0,1] neg_hi:[0,1]
	v_mov_b32_e32 v33, v28
	v_pk_add_f32 v[28:29], v[34:35], v[32:33] neg_lo:[0,1] neg_hi:[0,1]
	v_add_f32_e32 v18, v39, v38
	v_add_f32_e32 v1, v1, v29
	;; [unrolled: 1-line block ×4, first 2 shown]
	v_sub_f32_e32 v28, v18, v39
	v_mul_f32_e32 v1, v37, v1
	v_sub_f32_e32 v28, v38, v28
	v_add_f32_e32 v1, v28, v1
	v_add_f32_e32 v28, v18, v1
	v_cvt_f32_i32_e32 v30, v36
	v_mul_f32_e32 v31, v28, v28
	v_mov_b32_e32 v29, 0x3ecc95a3
	v_fmac_f32_e32 v29, 0x3e9b6dac, v31
	v_fmaak_f32 v29, v31, v29, 0x3f2aaada
	v_sub_f32_e32 v18, v28, v18
	v_ldexp_f32 v33, v28, 1
	v_mul_f32_e32 v31, v28, v31
	v_mov_b32_e32 v28, 0x3f317218
	v_pk_mul_f32 v[28:29], v[30:31], v[28:29]
	v_sub_f32_e32 v1, v1, v18
	v_fma_f32 v18, v30, s2, -v28
	v_fmamk_f32 v32, v30, 0xb102e308, v18
	v_pk_add_f32 v[30:31], v[28:29], v[32:33]
	v_ldexp_f32 v1, v1, 1
	v_sub_f32_e32 v18, v31, v33
	v_sub_f32_e32 v18, v29, v18
	v_add_f32_e32 v35, v1, v18
	v_mov_b32_e32 v34, v28
	v_pk_add_f32 v[28:29], v[30:31], v[28:29] neg_lo:[0,1] neg_hi:[0,1]
	v_pk_add_f32 v[36:37], v[30:31], v[34:35]
	v_mov_b32_e32 v33, v30
	v_mov_b32_e32 v29, v37
	v_pk_add_f32 v[38:39], v[32:33], v[28:29] neg_lo:[0,1] neg_hi:[0,1]
	v_pk_add_f32 v[28:29], v[32:33], v[28:29]
	s_mov_b32 s2, 0x33800000
	v_mov_b32_e32 v18, v29
	v_pk_add_f32 v[32:33], v[18:19], v[30:31] neg_lo:[0,1] neg_hi:[0,1]
	v_mov_b32_e32 v28, v37
	v_mov_b32_e32 v1, v32
	v_pk_add_f32 v[40:41], v[36:37], v[0:1] neg_lo:[0,1] neg_hi:[0,1]
	v_mov_b32_e32 v36, v31
	v_mov_b32_e32 v37, v32
	;; [unrolled: 1-line block ×3, first 2 shown]
	v_pk_add_f32 v[28:29], v[28:29], v[36:37] neg_lo:[0,1] neg_hi:[0,1]
	v_mov_b32_e32 v32, v35
	v_mov_b32_e32 v33, v30
	v_pk_add_f32 v[28:29], v[32:33], v[28:29] neg_lo:[0,1] neg_hi:[0,1]
	v_mov_b32_e32 v40, v38
	v_pk_add_f32 v[30:31], v[40:41], v[28:29]
	v_cmp_lt_f32_e64 s[2:3], |v42|, s2
	v_mov_b32_e32 v32, v31
	v_pk_add_f32 v[32:33], v[30:31], v[32:33]
	s_or_b64 vcc, vcc, s[2:3]
	v_pk_add_f32 v[34:35], v[18:19], v[32:33]
	v_mov_b32_e32 v29, v32
	v_mov_b32_e32 v31, v34
	v_pk_add_f32 v[36:37], v[30:31], v[38:39] neg_lo:[0,1] neg_hi:[0,1]
	s_nop 0
	v_sub_f32_e32 v1, v30, v36
	v_pk_add_f32 v[28:29], v[28:29], v[36:37] neg_lo:[0,1] neg_hi:[0,1]
	v_sub_f32_e32 v1, v38, v1
	v_add_f32_e32 v1, v28, v1
	v_add_f32_e32 v1, v1, v29
	;; [unrolled: 1-line block ×3, first 2 shown]
	v_cndmask_b32_e32 v1, v1, v42, vcc
	v_add_f32_e32 v1, v19, v1
	v_cvt_f16_f32_e32 v31, v1
	v_cvt_f32_f16_e32 v1, v31
	v_mov_b32_e32 v18, v31
.LBB378_152:
	s_or_b64 exec, exec, s[0:1]
	v_max_f32_e32 v19, v5, v5
	v_max_f32_e32 v29, v1, v1
	v_min_f32_e32 v28, v29, v19
	v_cmp_u_f16_e32 vcc, v31, v31
	v_max_f32_e32 v19, v29, v19
	s_nop 0
	v_cndmask_b32_e32 v28, v28, v1, vcc
	v_cndmask_b32_e32 v19, v19, v1, vcc
	v_cndmask_b32_e64 v28, v28, v5, s[62:63]
	v_cndmask_b32_e64 v19, v19, v5, s[62:63]
	v_cmp_neq_f32_e32 vcc, v28, v19
	v_cmp_class_f32_e64 s[0:1], v28, s33
	s_or_b64 s[2:3], vcc, s[0:1]
	v_mov_b32_e32 v5, v18
	s_and_saveexec_b64 s[0:1], s[2:3]
	s_cbranch_execz .LBB378_154
; %bb.153:
	v_sub_f32_e32 v1, v28, v19
	s_mov_b32 s2, 0x3fb8aa3b
	v_mul_f32_e32 v5, 0x3fb8aa3b, v1
	v_fma_f32 v28, v1, s2, -v5
	v_rndne_f32_e32 v29, v5
	v_fmamk_f32 v28, v1, 0x32a5705f, v28
	v_sub_f32_e32 v5, v5, v29
	v_add_f32_e32 v5, v5, v28
	v_exp_f32_e32 v5, v5
	v_cvt_i32_f32_e32 v28, v29
	s_mov_b32 s2, 0xc2ce8ed0
	v_cmp_ngt_f32_e32 vcc, s2, v1
	s_mov_b32 s2, 0x42b17218
	v_ldexp_f32 v5, v5, v28
	v_cndmask_b32_e32 v5, 0, v5, vcc
	v_mov_b32_e32 v28, 0x7f800000
	v_cmp_nlt_f32_e32 vcc, s2, v1
	s_mov_b32 s2, 0x3f2aaaab
	s_mov_b32 s3, 0x7f800000
	v_cndmask_b32_e32 v5, v28, v5, vcc
	v_add_f32_e32 v1, 1.0, v5
	v_add_f32_e32 v28, -1.0, v1
	v_sub_f32_e32 v29, v28, v1
	v_add_f32_e32 v29, 1.0, v29
	v_sub_f32_e32 v28, v5, v28
	v_add_f32_e32 v30, v28, v29
	v_frexp_mant_f32_e32 v31, v1
	v_cvt_f64_f32_e32 v[28:29], v1
	v_frexp_exp_i32_f64_e32 v28, v[28:29]
	v_cmp_gt_f32_e32 vcc, s2, v31
	s_mov_b32 s2, 0x3f317218
	s_nop 0
	v_subbrev_co_u32_e32 v36, vcc, 0, v28, vcc
	v_sub_u32_e32 v28, 0, v36
	v_ldexp_f32 v1, v1, v28
	v_ldexp_f32 v28, v30, v28
	v_add_f32_e32 v30, -1.0, v1
	v_add_f32_e32 v29, 1.0, v30
	v_sub_f32_e32 v29, v1, v29
	v_add_f32_e32 v31, v28, v29
	v_add_f32_e32 v29, 1.0, v1
	s_waitcnt lgkmcnt(0)
	v_add_f32_e32 v32, -1.0, v29
	v_sub_f32_e32 v1, v1, v32
	v_add_f32_e32 v1, v28, v1
	v_add_f32_e32 v37, v29, v1
	v_rcp_f32_e32 v38, v37
	v_sub_f32_e32 v28, v29, v37
	v_add_f32_e32 v29, v30, v31
	v_add_f32_e32 v1, v1, v28
	v_mul_f32_e32 v40, v29, v38
	v_sub_f32_e32 v28, v30, v29
	v_mul_f32_e32 v30, v37, v40
	v_fma_f32 v32, v40, v37, -v30
	v_fmac_f32_e32 v32, v40, v1
	v_add_f32_e32 v39, v31, v28
	v_add_f32_e32 v28, v30, v32
	v_sub_f32_e32 v31, v29, v28
	v_pk_add_f32 v[34:35], v[28:29], v[30:31] neg_lo:[0,1] neg_hi:[0,1]
	v_mov_b32_e32 v33, v28
	v_pk_add_f32 v[28:29], v[34:35], v[32:33] neg_lo:[0,1] neg_hi:[0,1]
	v_cmp_eq_f32_e32 vcc, s3, v5
	v_add_f32_e32 v29, v39, v29
	v_add_f32_e32 v28, v28, v29
	;; [unrolled: 1-line block ×3, first 2 shown]
	v_mul_f32_e32 v39, v38, v29
	v_mul_f32_e32 v30, v37, v39
	v_fma_f32 v32, v39, v37, -v30
	v_fmac_f32_e32 v32, v39, v1
	v_sub_f32_e32 v1, v31, v29
	v_add_f32_e32 v1, v28, v1
	v_add_f32_e32 v28, v30, v32
	v_sub_f32_e32 v31, v29, v28
	v_pk_add_f32 v[34:35], v[28:29], v[30:31] neg_lo:[0,1] neg_hi:[0,1]
	v_mov_b32_e32 v33, v28
	v_pk_add_f32 v[28:29], v[34:35], v[32:33] neg_lo:[0,1] neg_hi:[0,1]
	v_cvt_f32_i32_e32 v30, v36
	v_add_f32_e32 v1, v1, v29
	v_add_f32_e32 v1, v28, v1
	;; [unrolled: 1-line block ×4, first 2 shown]
	v_sub_f32_e32 v29, v28, v40
	v_mul_f32_e32 v1, v38, v1
	v_sub_f32_e32 v29, v39, v29
	v_add_f32_e32 v1, v29, v1
	v_add_f32_e32 v31, v28, v1
	v_mul_f32_e32 v32, v31, v31
	v_mov_b32_e32 v29, 0x3ecc95a3
	v_fmac_f32_e32 v29, 0x3e9b6dac, v32
	v_sub_f32_e32 v28, v31, v28
	v_fmaak_f32 v29, v32, v29, 0x3f2aaada
	v_sub_f32_e32 v1, v1, v28
	v_ldexp_f32 v33, v31, 1
	v_mul_f32_e32 v31, v31, v32
	v_mov_b32_e32 v28, 0x3f317218
	v_pk_mul_f32 v[28:29], v[30:31], v[28:29]
	v_ldexp_f32 v1, v1, 1
	v_fma_f32 v31, v30, s2, -v28
	v_fmamk_f32 v32, v30, 0xb102e308, v31
	v_pk_add_f32 v[30:31], v[28:29], v[32:33]
	v_mov_b32_e32 v34, v28
	v_sub_f32_e32 v33, v31, v33
	v_sub_f32_e32 v33, v29, v33
	v_add_f32_e32 v35, v1, v33
	v_pk_add_f32 v[28:29], v[30:31], v[28:29] neg_lo:[0,1] neg_hi:[0,1]
	v_pk_add_f32 v[36:37], v[30:31], v[34:35]
	v_mov_b32_e32 v33, v30
	v_mov_b32_e32 v29, v37
	v_pk_add_f32 v[38:39], v[32:33], v[28:29] neg_lo:[0,1] neg_hi:[0,1]
	v_pk_add_f32 v[28:29], v[32:33], v[28:29]
	v_mov_b32_e32 v34, v35
	v_mov_b32_e32 v32, v29
	v_pk_add_f32 v[40:41], v[32:33], v[30:31] neg_lo:[0,1] neg_hi:[0,1]
	v_mov_b32_e32 v28, v37
	v_mov_b32_e32 v1, v40
	v_pk_add_f32 v[42:43], v[36:37], v[0:1] neg_lo:[0,1] neg_hi:[0,1]
	v_mov_b32_e32 v36, v31
	v_mov_b32_e32 v37, v40
	;; [unrolled: 1-line block ×3, first 2 shown]
	v_pk_add_f32 v[28:29], v[28:29], v[36:37] neg_lo:[0,1] neg_hi:[0,1]
	v_mov_b32_e32 v35, v30
	v_pk_add_f32 v[28:29], v[34:35], v[28:29] neg_lo:[0,1] neg_hi:[0,1]
	v_mov_b32_e32 v42, v38
	v_pk_add_f32 v[30:31], v[42:43], v[28:29]
	s_mov_b32 s2, 0x33800000
	v_mov_b32_e32 v34, v31
	v_pk_add_f32 v[34:35], v[30:31], v[34:35]
	v_cmp_lt_f32_e64 s[2:3], |v5|, s2
	v_pk_add_f32 v[32:33], v[32:33], v[34:35]
	v_mov_b32_e32 v29, v34
	v_mov_b32_e32 v31, v32
	v_pk_add_f32 v[36:37], v[30:31], v[38:39] neg_lo:[0,1] neg_hi:[0,1]
	s_or_b64 vcc, vcc, s[2:3]
	v_sub_f32_e32 v1, v30, v36
	v_pk_add_f32 v[28:29], v[28:29], v[36:37] neg_lo:[0,1] neg_hi:[0,1]
	v_sub_f32_e32 v1, v38, v1
	v_add_f32_e32 v1, v28, v1
	v_add_f32_e32 v1, v1, v29
	;; [unrolled: 1-line block ×3, first 2 shown]
	v_cndmask_b32_e32 v1, v1, v5, vcc
	v_add_f32_e32 v1, v19, v1
	v_cvt_f16_f32_e32 v31, v1
	v_cvt_f32_f16_e32 v1, v31
	v_mov_b32_e32 v5, v31
.LBB378_154:
	s_or_b64 exec, exec, s[0:1]
	v_max_f32_e32 v19, v20, v20
	v_max_f32_e32 v29, v1, v1
	v_min_f32_e32 v28, v29, v19
	v_cmp_u_f16_e32 vcc, v31, v31
	v_max_f32_e32 v19, v29, v19
	s_nop 0
	v_cndmask_b32_e32 v28, v28, v1, vcc
	v_cndmask_b32_e32 v19, v19, v1, vcc
	v_cndmask_b32_e64 v28, v28, v20, s[64:65]
	v_cndmask_b32_e64 v20, v19, v20, s[64:65]
	v_cmp_neq_f32_e32 vcc, v28, v20
	v_cmp_class_f32_e64 s[0:1], v28, s33
	s_or_b64 s[2:3], vcc, s[0:1]
	v_mov_b32_e32 v19, v5
	s_and_saveexec_b64 s[0:1], s[2:3]
	s_cbranch_execz .LBB378_156
; %bb.155:
	v_sub_f32_e32 v1, v28, v20
	s_mov_b32 s2, 0x3fb8aa3b
	v_mul_f32_e32 v19, 0x3fb8aa3b, v1
	v_fma_f32 v28, v1, s2, -v19
	v_rndne_f32_e32 v29, v19
	v_fmamk_f32 v28, v1, 0x32a5705f, v28
	v_sub_f32_e32 v19, v19, v29
	v_add_f32_e32 v19, v19, v28
	v_exp_f32_e32 v19, v19
	v_cvt_i32_f32_e32 v28, v29
	s_mov_b32 s2, 0xc2ce8ed0
	v_cmp_ngt_f32_e32 vcc, s2, v1
	s_mov_b32 s2, 0x42b17218
	v_ldexp_f32 v19, v19, v28
	v_cndmask_b32_e32 v19, 0, v19, vcc
	v_mov_b32_e32 v28, 0x7f800000
	v_cmp_nlt_f32_e32 vcc, s2, v1
	s_mov_b32 s2, 0x3f2aaaab
	s_mov_b32 s3, 0x7f800000
	v_cndmask_b32_e32 v19, v28, v19, vcc
	v_add_f32_e32 v1, 1.0, v19
	v_add_f32_e32 v28, -1.0, v1
	v_sub_f32_e32 v29, v28, v1
	v_add_f32_e32 v29, 1.0, v29
	v_sub_f32_e32 v28, v19, v28
	v_add_f32_e32 v30, v28, v29
	v_frexp_mant_f32_e32 v31, v1
	v_cvt_f64_f32_e32 v[28:29], v1
	v_frexp_exp_i32_f64_e32 v28, v[28:29]
	v_cmp_gt_f32_e32 vcc, s2, v31
	s_mov_b32 s2, 0x3f317218
	s_nop 0
	v_subbrev_co_u32_e32 v36, vcc, 0, v28, vcc
	v_sub_u32_e32 v28, 0, v36
	v_ldexp_f32 v1, v1, v28
	v_ldexp_f32 v28, v30, v28
	v_add_f32_e32 v30, -1.0, v1
	v_add_f32_e32 v29, 1.0, v30
	v_sub_f32_e32 v29, v1, v29
	v_add_f32_e32 v31, v28, v29
	v_add_f32_e32 v29, 1.0, v1
	s_waitcnt lgkmcnt(0)
	v_add_f32_e32 v32, -1.0, v29
	v_sub_f32_e32 v1, v1, v32
	v_add_f32_e32 v1, v28, v1
	v_add_f32_e32 v37, v29, v1
	v_rcp_f32_e32 v38, v37
	v_sub_f32_e32 v28, v29, v37
	v_add_f32_e32 v29, v30, v31
	v_add_f32_e32 v1, v1, v28
	v_mul_f32_e32 v40, v29, v38
	v_sub_f32_e32 v28, v30, v29
	v_mul_f32_e32 v30, v37, v40
	v_fma_f32 v32, v40, v37, -v30
	v_fmac_f32_e32 v32, v40, v1
	v_add_f32_e32 v39, v31, v28
	v_add_f32_e32 v28, v30, v32
	v_sub_f32_e32 v31, v29, v28
	v_pk_add_f32 v[34:35], v[28:29], v[30:31] neg_lo:[0,1] neg_hi:[0,1]
	v_mov_b32_e32 v33, v28
	v_pk_add_f32 v[28:29], v[34:35], v[32:33] neg_lo:[0,1] neg_hi:[0,1]
	v_cmp_eq_f32_e32 vcc, s3, v19
	v_add_f32_e32 v29, v39, v29
	v_add_f32_e32 v28, v28, v29
	;; [unrolled: 1-line block ×3, first 2 shown]
	v_mul_f32_e32 v39, v38, v29
	v_mul_f32_e32 v30, v37, v39
	v_fma_f32 v32, v39, v37, -v30
	v_fmac_f32_e32 v32, v39, v1
	v_sub_f32_e32 v1, v31, v29
	v_add_f32_e32 v1, v28, v1
	v_add_f32_e32 v28, v30, v32
	v_sub_f32_e32 v31, v29, v28
	v_pk_add_f32 v[34:35], v[28:29], v[30:31] neg_lo:[0,1] neg_hi:[0,1]
	v_mov_b32_e32 v33, v28
	v_pk_add_f32 v[28:29], v[34:35], v[32:33] neg_lo:[0,1] neg_hi:[0,1]
	v_cvt_f32_i32_e32 v30, v36
	v_add_f32_e32 v1, v1, v29
	v_add_f32_e32 v1, v28, v1
	;; [unrolled: 1-line block ×4, first 2 shown]
	v_sub_f32_e32 v29, v28, v40
	v_mul_f32_e32 v1, v38, v1
	v_sub_f32_e32 v29, v39, v29
	v_add_f32_e32 v1, v29, v1
	v_add_f32_e32 v31, v28, v1
	v_mul_f32_e32 v32, v31, v31
	v_mov_b32_e32 v29, 0x3ecc95a3
	v_fmac_f32_e32 v29, 0x3e9b6dac, v32
	v_sub_f32_e32 v28, v31, v28
	v_fmaak_f32 v29, v32, v29, 0x3f2aaada
	v_sub_f32_e32 v1, v1, v28
	v_ldexp_f32 v33, v31, 1
	v_mul_f32_e32 v31, v31, v32
	v_mov_b32_e32 v28, 0x3f317218
	v_pk_mul_f32 v[28:29], v[30:31], v[28:29]
	v_ldexp_f32 v1, v1, 1
	v_fma_f32 v31, v30, s2, -v28
	v_fmamk_f32 v32, v30, 0xb102e308, v31
	v_pk_add_f32 v[30:31], v[28:29], v[32:33]
	v_mov_b32_e32 v34, v28
	v_sub_f32_e32 v33, v31, v33
	v_sub_f32_e32 v33, v29, v33
	v_add_f32_e32 v35, v1, v33
	v_pk_add_f32 v[28:29], v[30:31], v[28:29] neg_lo:[0,1] neg_hi:[0,1]
	v_pk_add_f32 v[36:37], v[30:31], v[34:35]
	v_mov_b32_e32 v33, v30
	v_mov_b32_e32 v29, v37
	v_pk_add_f32 v[38:39], v[32:33], v[28:29] neg_lo:[0,1] neg_hi:[0,1]
	v_pk_add_f32 v[28:29], v[32:33], v[28:29]
	v_mov_b32_e32 v34, v35
	v_mov_b32_e32 v32, v29
	v_pk_add_f32 v[40:41], v[32:33], v[30:31] neg_lo:[0,1] neg_hi:[0,1]
	v_mov_b32_e32 v28, v37
	v_mov_b32_e32 v1, v40
	v_pk_add_f32 v[42:43], v[36:37], v[0:1] neg_lo:[0,1] neg_hi:[0,1]
	v_mov_b32_e32 v36, v31
	v_mov_b32_e32 v37, v40
	;; [unrolled: 1-line block ×3, first 2 shown]
	v_pk_add_f32 v[28:29], v[28:29], v[36:37] neg_lo:[0,1] neg_hi:[0,1]
	v_mov_b32_e32 v35, v30
	v_pk_add_f32 v[28:29], v[34:35], v[28:29] neg_lo:[0,1] neg_hi:[0,1]
	v_mov_b32_e32 v42, v38
	v_pk_add_f32 v[30:31], v[42:43], v[28:29]
	s_mov_b32 s2, 0x33800000
	v_mov_b32_e32 v34, v31
	v_pk_add_f32 v[34:35], v[30:31], v[34:35]
	v_cmp_lt_f32_e64 s[2:3], |v19|, s2
	v_pk_add_f32 v[32:33], v[32:33], v[34:35]
	v_mov_b32_e32 v29, v34
	v_mov_b32_e32 v31, v32
	v_pk_add_f32 v[36:37], v[30:31], v[38:39] neg_lo:[0,1] neg_hi:[0,1]
	s_or_b64 vcc, vcc, s[2:3]
	v_sub_f32_e32 v1, v30, v36
	v_pk_add_f32 v[28:29], v[28:29], v[36:37] neg_lo:[0,1] neg_hi:[0,1]
	v_sub_f32_e32 v1, v38, v1
	v_add_f32_e32 v1, v28, v1
	v_add_f32_e32 v1, v1, v29
	;; [unrolled: 1-line block ×3, first 2 shown]
	v_cndmask_b32_e32 v1, v1, v19, vcc
	v_add_f32_e32 v1, v20, v1
	v_cvt_f16_f32_e32 v31, v1
	v_cvt_f32_f16_e32 v1, v31
	v_mov_b32_e32 v19, v31
.LBB378_156:
	s_or_b64 exec, exec, s[0:1]
	v_max_f32_e32 v20, v10, v10
	v_max_f32_e32 v29, v1, v1
	v_min_f32_e32 v28, v29, v20
	v_cmp_u_f16_e32 vcc, v31, v31
	v_max_f32_e32 v20, v29, v20
	s_nop 0
	v_cndmask_b32_e32 v28, v28, v1, vcc
	v_cndmask_b32_e32 v20, v20, v1, vcc
	v_cndmask_b32_e64 v28, v28, v10, s[66:67]
	v_cndmask_b32_e64 v20, v20, v10, s[66:67]
	v_cmp_neq_f32_e32 vcc, v28, v20
	v_cmp_class_f32_e64 s[0:1], v28, s33
	s_or_b64 s[2:3], vcc, s[0:1]
	v_mov_b32_e32 v10, v19
	s_and_saveexec_b64 s[0:1], s[2:3]
	s_cbranch_execz .LBB378_158
; %bb.157:
	v_sub_f32_e32 v1, v28, v20
	s_mov_b32 s2, 0x3fb8aa3b
	v_mul_f32_e32 v10, 0x3fb8aa3b, v1
	v_fma_f32 v28, v1, s2, -v10
	v_rndne_f32_e32 v29, v10
	v_fmamk_f32 v28, v1, 0x32a5705f, v28
	v_sub_f32_e32 v10, v10, v29
	v_add_f32_e32 v10, v10, v28
	v_exp_f32_e32 v10, v10
	v_cvt_i32_f32_e32 v28, v29
	s_mov_b32 s2, 0xc2ce8ed0
	v_cmp_ngt_f32_e32 vcc, s2, v1
	s_mov_b32 s2, 0x42b17218
	v_ldexp_f32 v10, v10, v28
	v_cndmask_b32_e32 v10, 0, v10, vcc
	v_mov_b32_e32 v28, 0x7f800000
	v_cmp_nlt_f32_e32 vcc, s2, v1
	s_mov_b32 s2, 0x3f2aaaab
	s_mov_b32 s3, 0x7f800000
	v_cndmask_b32_e32 v42, v28, v10, vcc
	v_add_f32_e32 v1, 1.0, v42
	v_add_f32_e32 v10, -1.0, v1
	v_sub_f32_e32 v28, v10, v1
	v_add_f32_e32 v28, 1.0, v28
	v_sub_f32_e32 v10, v42, v10
	v_add_f32_e32 v10, v10, v28
	v_frexp_mant_f32_e32 v30, v1
	v_cvt_f64_f32_e32 v[28:29], v1
	v_frexp_exp_i32_f64_e32 v28, v[28:29]
	v_cmp_gt_f32_e32 vcc, s2, v30
	s_mov_b32 s2, 0x3f317218
	s_nop 0
	v_subbrev_co_u32_e32 v36, vcc, 0, v28, vcc
	v_sub_u32_e32 v28, 0, v36
	v_ldexp_f32 v1, v1, v28
	v_ldexp_f32 v10, v10, v28
	v_add_f32_e32 v28, -1.0, v1
	v_add_f32_e32 v29, 1.0, v28
	v_sub_f32_e32 v29, v1, v29
	v_add_f32_e32 v30, v10, v29
	v_add_f32_e32 v29, 1.0, v1
	v_add_f32_e32 v31, -1.0, v29
	v_sub_f32_e32 v1, v1, v31
	v_add_f32_e32 v1, v10, v1
	v_add_f32_e32 v10, v29, v1
	v_rcp_f32_e32 v37, v10
	v_sub_f32_e32 v29, v29, v10
	v_add_f32_e32 v1, v1, v29
	v_add_f32_e32 v29, v28, v30
	v_sub_f32_e32 v28, v28, v29
	v_mul_f32_e32 v39, v29, v37
	v_add_f32_e32 v38, v30, v28
	v_mul_f32_e32 v30, v10, v39
	s_waitcnt lgkmcnt(0)
	v_fma_f32 v32, v39, v10, -v30
	v_fmac_f32_e32 v32, v39, v1
	v_add_f32_e32 v28, v30, v32
	v_sub_f32_e32 v31, v29, v28
	v_pk_add_f32 v[34:35], v[28:29], v[30:31] neg_lo:[0,1] neg_hi:[0,1]
	v_mov_b32_e32 v33, v28
	v_pk_add_f32 v[28:29], v[34:35], v[32:33] neg_lo:[0,1] neg_hi:[0,1]
	v_cmp_eq_f32_e32 vcc, s3, v42
	v_add_f32_e32 v29, v38, v29
	v_add_f32_e32 v28, v28, v29
	;; [unrolled: 1-line block ×3, first 2 shown]
	v_mul_f32_e32 v38, v37, v29
	v_mul_f32_e32 v30, v10, v38
	v_fma_f32 v32, v38, v10, -v30
	v_fmac_f32_e32 v32, v38, v1
	v_sub_f32_e32 v1, v31, v29
	v_add_f32_e32 v1, v28, v1
	v_add_f32_e32 v28, v30, v32
	v_sub_f32_e32 v31, v29, v28
	v_pk_add_f32 v[34:35], v[28:29], v[30:31] neg_lo:[0,1] neg_hi:[0,1]
	v_mov_b32_e32 v33, v28
	v_pk_add_f32 v[28:29], v[34:35], v[32:33] neg_lo:[0,1] neg_hi:[0,1]
	v_add_f32_e32 v10, v39, v38
	v_add_f32_e32 v1, v1, v29
	;; [unrolled: 1-line block ×4, first 2 shown]
	v_sub_f32_e32 v28, v10, v39
	v_mul_f32_e32 v1, v37, v1
	v_sub_f32_e32 v28, v38, v28
	v_add_f32_e32 v1, v28, v1
	v_add_f32_e32 v28, v10, v1
	v_cvt_f32_i32_e32 v30, v36
	v_mul_f32_e32 v31, v28, v28
	v_mov_b32_e32 v29, 0x3ecc95a3
	v_fmac_f32_e32 v29, 0x3e9b6dac, v31
	v_fmaak_f32 v29, v31, v29, 0x3f2aaada
	v_sub_f32_e32 v10, v28, v10
	v_ldexp_f32 v33, v28, 1
	v_mul_f32_e32 v31, v28, v31
	v_mov_b32_e32 v28, 0x3f317218
	v_pk_mul_f32 v[28:29], v[30:31], v[28:29]
	v_sub_f32_e32 v1, v1, v10
	v_fma_f32 v10, v30, s2, -v28
	v_fmamk_f32 v32, v30, 0xb102e308, v10
	v_pk_add_f32 v[30:31], v[28:29], v[32:33]
	v_ldexp_f32 v1, v1, 1
	v_sub_f32_e32 v10, v31, v33
	v_sub_f32_e32 v10, v29, v10
	v_add_f32_e32 v35, v1, v10
	v_mov_b32_e32 v34, v28
	v_pk_add_f32 v[28:29], v[30:31], v[28:29] neg_lo:[0,1] neg_hi:[0,1]
	v_pk_add_f32 v[36:37], v[30:31], v[34:35]
	v_mov_b32_e32 v33, v30
	v_mov_b32_e32 v29, v37
	v_pk_add_f32 v[38:39], v[32:33], v[28:29] neg_lo:[0,1] neg_hi:[0,1]
	v_pk_add_f32 v[28:29], v[32:33], v[28:29]
	s_mov_b32 s2, 0x33800000
	v_mov_b32_e32 v10, v29
	v_pk_add_f32 v[32:33], v[10:11], v[30:31] neg_lo:[0,1] neg_hi:[0,1]
	v_mov_b32_e32 v28, v37
	v_mov_b32_e32 v1, v32
	v_pk_add_f32 v[40:41], v[36:37], v[0:1] neg_lo:[0,1] neg_hi:[0,1]
	v_mov_b32_e32 v36, v31
	v_mov_b32_e32 v37, v32
	;; [unrolled: 1-line block ×3, first 2 shown]
	v_pk_add_f32 v[28:29], v[28:29], v[36:37] neg_lo:[0,1] neg_hi:[0,1]
	v_mov_b32_e32 v32, v35
	v_mov_b32_e32 v33, v30
	v_pk_add_f32 v[28:29], v[32:33], v[28:29] neg_lo:[0,1] neg_hi:[0,1]
	v_mov_b32_e32 v40, v38
	v_pk_add_f32 v[30:31], v[40:41], v[28:29]
	v_cmp_lt_f32_e64 s[2:3], |v42|, s2
	v_mov_b32_e32 v32, v31
	v_pk_add_f32 v[32:33], v[30:31], v[32:33]
	s_or_b64 vcc, vcc, s[2:3]
	v_pk_add_f32 v[34:35], v[10:11], v[32:33]
	v_mov_b32_e32 v29, v32
	v_mov_b32_e32 v31, v34
	v_pk_add_f32 v[36:37], v[30:31], v[38:39] neg_lo:[0,1] neg_hi:[0,1]
	s_nop 0
	v_sub_f32_e32 v1, v30, v36
	v_pk_add_f32 v[28:29], v[28:29], v[36:37] neg_lo:[0,1] neg_hi:[0,1]
	v_sub_f32_e32 v1, v38, v1
	v_add_f32_e32 v1, v28, v1
	v_add_f32_e32 v1, v1, v29
	;; [unrolled: 1-line block ×3, first 2 shown]
	v_cndmask_b32_e32 v1, v1, v42, vcc
	v_add_f32_e32 v1, v20, v1
	v_cvt_f16_f32_e32 v31, v1
	v_cvt_f32_f16_e32 v1, v31
	v_mov_b32_e32 v10, v31
.LBB378_158:
	s_or_b64 exec, exec, s[0:1]
	v_max_f32_e32 v20, v21, v21
	v_max_f32_e32 v29, v1, v1
	v_min_f32_e32 v28, v29, v20
	v_cmp_u_f16_e32 vcc, v31, v31
	v_max_f32_e32 v20, v29, v20
	s_nop 0
	v_cndmask_b32_e32 v28, v28, v1, vcc
	v_cndmask_b32_e32 v20, v20, v1, vcc
	v_cndmask_b32_e64 v28, v28, v21, s[68:69]
	v_cndmask_b32_e64 v21, v20, v21, s[68:69]
	v_cmp_neq_f32_e32 vcc, v28, v21
	v_cmp_class_f32_e64 s[0:1], v28, s33
	s_or_b64 s[2:3], vcc, s[0:1]
	v_mov_b32_e32 v20, v10
	s_and_saveexec_b64 s[0:1], s[2:3]
	s_cbranch_execz .LBB378_160
; %bb.159:
	v_sub_f32_e32 v1, v28, v21
	s_mov_b32 s2, 0x3fb8aa3b
	v_mul_f32_e32 v20, 0x3fb8aa3b, v1
	v_fma_f32 v28, v1, s2, -v20
	v_rndne_f32_e32 v29, v20
	v_fmamk_f32 v28, v1, 0x32a5705f, v28
	v_sub_f32_e32 v20, v20, v29
	v_add_f32_e32 v20, v20, v28
	v_exp_f32_e32 v20, v20
	v_cvt_i32_f32_e32 v28, v29
	s_mov_b32 s2, 0xc2ce8ed0
	v_cmp_ngt_f32_e32 vcc, s2, v1
	s_mov_b32 s2, 0x42b17218
	v_ldexp_f32 v20, v20, v28
	v_cndmask_b32_e32 v20, 0, v20, vcc
	v_mov_b32_e32 v28, 0x7f800000
	v_cmp_nlt_f32_e32 vcc, s2, v1
	s_mov_b32 s2, 0x3f2aaaab
	s_mov_b32 s3, 0x7f800000
	v_cndmask_b32_e32 v42, v28, v20, vcc
	v_add_f32_e32 v1, 1.0, v42
	v_add_f32_e32 v20, -1.0, v1
	v_sub_f32_e32 v28, v20, v1
	v_add_f32_e32 v28, 1.0, v28
	v_sub_f32_e32 v20, v42, v20
	v_add_f32_e32 v20, v20, v28
	v_frexp_mant_f32_e32 v30, v1
	v_cvt_f64_f32_e32 v[28:29], v1
	v_frexp_exp_i32_f64_e32 v28, v[28:29]
	v_cmp_gt_f32_e32 vcc, s2, v30
	s_mov_b32 s2, 0x3f317218
	s_nop 0
	v_subbrev_co_u32_e32 v36, vcc, 0, v28, vcc
	v_sub_u32_e32 v28, 0, v36
	v_ldexp_f32 v1, v1, v28
	v_ldexp_f32 v20, v20, v28
	v_add_f32_e32 v28, -1.0, v1
	v_add_f32_e32 v29, 1.0, v28
	v_sub_f32_e32 v29, v1, v29
	v_add_f32_e32 v30, v20, v29
	v_add_f32_e32 v29, 1.0, v1
	v_add_f32_e32 v31, -1.0, v29
	v_sub_f32_e32 v1, v1, v31
	v_add_f32_e32 v1, v20, v1
	v_add_f32_e32 v20, v29, v1
	v_rcp_f32_e32 v37, v20
	v_sub_f32_e32 v29, v29, v20
	v_add_f32_e32 v1, v1, v29
	v_add_f32_e32 v29, v28, v30
	v_sub_f32_e32 v28, v28, v29
	v_mul_f32_e32 v39, v29, v37
	v_add_f32_e32 v38, v30, v28
	v_mul_f32_e32 v30, v20, v39
	s_waitcnt lgkmcnt(0)
	v_fma_f32 v32, v39, v20, -v30
	v_fmac_f32_e32 v32, v39, v1
	v_add_f32_e32 v28, v30, v32
	v_sub_f32_e32 v31, v29, v28
	v_pk_add_f32 v[34:35], v[28:29], v[30:31] neg_lo:[0,1] neg_hi:[0,1]
	v_mov_b32_e32 v33, v28
	v_pk_add_f32 v[28:29], v[34:35], v[32:33] neg_lo:[0,1] neg_hi:[0,1]
	v_cmp_eq_f32_e32 vcc, s3, v42
	v_add_f32_e32 v29, v38, v29
	v_add_f32_e32 v28, v28, v29
	;; [unrolled: 1-line block ×3, first 2 shown]
	v_mul_f32_e32 v38, v37, v29
	v_mul_f32_e32 v30, v20, v38
	v_fma_f32 v32, v38, v20, -v30
	v_fmac_f32_e32 v32, v38, v1
	v_sub_f32_e32 v1, v31, v29
	v_add_f32_e32 v1, v28, v1
	v_add_f32_e32 v28, v30, v32
	v_sub_f32_e32 v31, v29, v28
	v_pk_add_f32 v[34:35], v[28:29], v[30:31] neg_lo:[0,1] neg_hi:[0,1]
	v_mov_b32_e32 v33, v28
	v_pk_add_f32 v[28:29], v[34:35], v[32:33] neg_lo:[0,1] neg_hi:[0,1]
	v_add_f32_e32 v20, v39, v38
	v_add_f32_e32 v1, v1, v29
	;; [unrolled: 1-line block ×4, first 2 shown]
	v_sub_f32_e32 v28, v20, v39
	v_mul_f32_e32 v1, v37, v1
	v_sub_f32_e32 v28, v38, v28
	v_add_f32_e32 v1, v28, v1
	v_add_f32_e32 v28, v20, v1
	v_cvt_f32_i32_e32 v30, v36
	v_mul_f32_e32 v31, v28, v28
	v_mov_b32_e32 v29, 0x3ecc95a3
	v_fmac_f32_e32 v29, 0x3e9b6dac, v31
	v_fmaak_f32 v29, v31, v29, 0x3f2aaada
	v_sub_f32_e32 v20, v28, v20
	v_ldexp_f32 v33, v28, 1
	v_mul_f32_e32 v31, v28, v31
	v_mov_b32_e32 v28, 0x3f317218
	v_pk_mul_f32 v[28:29], v[30:31], v[28:29]
	v_sub_f32_e32 v1, v1, v20
	v_fma_f32 v20, v30, s2, -v28
	v_fmamk_f32 v32, v30, 0xb102e308, v20
	v_pk_add_f32 v[30:31], v[28:29], v[32:33]
	v_ldexp_f32 v1, v1, 1
	v_sub_f32_e32 v20, v31, v33
	v_sub_f32_e32 v20, v29, v20
	v_add_f32_e32 v35, v1, v20
	v_mov_b32_e32 v34, v28
	v_pk_add_f32 v[28:29], v[30:31], v[28:29] neg_lo:[0,1] neg_hi:[0,1]
	v_pk_add_f32 v[36:37], v[30:31], v[34:35]
	v_mov_b32_e32 v33, v30
	v_mov_b32_e32 v29, v37
	v_pk_add_f32 v[38:39], v[32:33], v[28:29] neg_lo:[0,1] neg_hi:[0,1]
	v_pk_add_f32 v[28:29], v[32:33], v[28:29]
	s_mov_b32 s2, 0x33800000
	v_mov_b32_e32 v20, v29
	v_pk_add_f32 v[32:33], v[20:21], v[30:31] neg_lo:[0,1] neg_hi:[0,1]
	v_mov_b32_e32 v28, v37
	v_mov_b32_e32 v1, v32
	v_pk_add_f32 v[40:41], v[36:37], v[0:1] neg_lo:[0,1] neg_hi:[0,1]
	v_mov_b32_e32 v36, v31
	v_mov_b32_e32 v37, v32
	;; [unrolled: 1-line block ×3, first 2 shown]
	v_pk_add_f32 v[28:29], v[28:29], v[36:37] neg_lo:[0,1] neg_hi:[0,1]
	v_mov_b32_e32 v32, v35
	v_mov_b32_e32 v33, v30
	v_pk_add_f32 v[28:29], v[32:33], v[28:29] neg_lo:[0,1] neg_hi:[0,1]
	v_mov_b32_e32 v40, v38
	v_pk_add_f32 v[30:31], v[40:41], v[28:29]
	v_cmp_lt_f32_e64 s[2:3], |v42|, s2
	v_mov_b32_e32 v32, v31
	v_pk_add_f32 v[32:33], v[30:31], v[32:33]
	s_or_b64 vcc, vcc, s[2:3]
	v_pk_add_f32 v[34:35], v[20:21], v[32:33]
	v_mov_b32_e32 v29, v32
	v_mov_b32_e32 v31, v34
	v_pk_add_f32 v[36:37], v[30:31], v[38:39] neg_lo:[0,1] neg_hi:[0,1]
	s_nop 0
	v_sub_f32_e32 v1, v30, v36
	v_pk_add_f32 v[28:29], v[28:29], v[36:37] neg_lo:[0,1] neg_hi:[0,1]
	v_sub_f32_e32 v1, v38, v1
	v_add_f32_e32 v1, v28, v1
	v_add_f32_e32 v1, v1, v29
	;; [unrolled: 1-line block ×3, first 2 shown]
	v_cndmask_b32_e32 v1, v1, v42, vcc
	v_add_f32_e32 v1, v21, v1
	v_cvt_f16_f32_e32 v31, v1
	v_cvt_f32_f16_e32 v1, v31
	v_mov_b32_e32 v20, v31
.LBB378_160:
	s_or_b64 exec, exec, s[0:1]
	v_max_f32_e32 v21, v11, v11
	v_max_f32_e32 v29, v1, v1
	v_min_f32_e32 v28, v29, v21
	v_cmp_u_f16_e32 vcc, v31, v31
	v_max_f32_e32 v21, v29, v21
	s_nop 0
	v_cndmask_b32_e32 v28, v28, v1, vcc
	v_cndmask_b32_e32 v21, v21, v1, vcc
	v_cndmask_b32_e64 v28, v28, v11, s[70:71]
	v_cndmask_b32_e64 v21, v21, v11, s[70:71]
	v_cmp_neq_f32_e32 vcc, v28, v21
	v_cmp_class_f32_e64 s[0:1], v28, s33
	s_or_b64 s[2:3], vcc, s[0:1]
	v_mov_b32_e32 v11, v20
	s_and_saveexec_b64 s[0:1], s[2:3]
	s_cbranch_execz .LBB378_162
; %bb.161:
	v_sub_f32_e32 v1, v28, v21
	s_mov_b32 s2, 0x3fb8aa3b
	v_mul_f32_e32 v11, 0x3fb8aa3b, v1
	v_fma_f32 v28, v1, s2, -v11
	v_rndne_f32_e32 v29, v11
	v_fmamk_f32 v28, v1, 0x32a5705f, v28
	v_sub_f32_e32 v11, v11, v29
	v_add_f32_e32 v11, v11, v28
	v_exp_f32_e32 v11, v11
	v_cvt_i32_f32_e32 v28, v29
	s_mov_b32 s2, 0xc2ce8ed0
	v_cmp_ngt_f32_e32 vcc, s2, v1
	s_mov_b32 s2, 0x42b17218
	v_ldexp_f32 v11, v11, v28
	v_cndmask_b32_e32 v11, 0, v11, vcc
	v_mov_b32_e32 v28, 0x7f800000
	v_cmp_nlt_f32_e32 vcc, s2, v1
	s_mov_b32 s2, 0x3f2aaaab
	s_mov_b32 s3, 0x7f800000
	v_cndmask_b32_e32 v11, v28, v11, vcc
	v_add_f32_e32 v1, 1.0, v11
	v_add_f32_e32 v28, -1.0, v1
	v_sub_f32_e32 v29, v28, v1
	v_add_f32_e32 v29, 1.0, v29
	v_sub_f32_e32 v28, v11, v28
	v_add_f32_e32 v30, v28, v29
	v_frexp_mant_f32_e32 v31, v1
	v_cvt_f64_f32_e32 v[28:29], v1
	v_frexp_exp_i32_f64_e32 v28, v[28:29]
	v_cmp_gt_f32_e32 vcc, s2, v31
	s_mov_b32 s2, 0x3f317218
	s_nop 0
	v_subbrev_co_u32_e32 v36, vcc, 0, v28, vcc
	v_sub_u32_e32 v28, 0, v36
	v_ldexp_f32 v1, v1, v28
	v_ldexp_f32 v28, v30, v28
	v_add_f32_e32 v30, -1.0, v1
	v_add_f32_e32 v29, 1.0, v30
	v_sub_f32_e32 v29, v1, v29
	v_add_f32_e32 v31, v28, v29
	v_add_f32_e32 v29, 1.0, v1
	s_waitcnt lgkmcnt(0)
	v_add_f32_e32 v32, -1.0, v29
	v_sub_f32_e32 v1, v1, v32
	v_add_f32_e32 v1, v28, v1
	v_add_f32_e32 v37, v29, v1
	v_rcp_f32_e32 v38, v37
	v_sub_f32_e32 v28, v29, v37
	v_add_f32_e32 v29, v30, v31
	v_add_f32_e32 v1, v1, v28
	v_mul_f32_e32 v40, v29, v38
	v_sub_f32_e32 v28, v30, v29
	v_mul_f32_e32 v30, v37, v40
	v_fma_f32 v32, v40, v37, -v30
	v_fmac_f32_e32 v32, v40, v1
	v_add_f32_e32 v39, v31, v28
	v_add_f32_e32 v28, v30, v32
	v_sub_f32_e32 v31, v29, v28
	v_pk_add_f32 v[34:35], v[28:29], v[30:31] neg_lo:[0,1] neg_hi:[0,1]
	v_mov_b32_e32 v33, v28
	v_pk_add_f32 v[28:29], v[34:35], v[32:33] neg_lo:[0,1] neg_hi:[0,1]
	v_cmp_eq_f32_e32 vcc, s3, v11
	v_add_f32_e32 v29, v39, v29
	v_add_f32_e32 v28, v28, v29
	;; [unrolled: 1-line block ×3, first 2 shown]
	v_mul_f32_e32 v39, v38, v29
	v_mul_f32_e32 v30, v37, v39
	v_fma_f32 v32, v39, v37, -v30
	v_fmac_f32_e32 v32, v39, v1
	v_sub_f32_e32 v1, v31, v29
	v_add_f32_e32 v1, v28, v1
	v_add_f32_e32 v28, v30, v32
	v_sub_f32_e32 v31, v29, v28
	v_pk_add_f32 v[34:35], v[28:29], v[30:31] neg_lo:[0,1] neg_hi:[0,1]
	v_mov_b32_e32 v33, v28
	v_pk_add_f32 v[28:29], v[34:35], v[32:33] neg_lo:[0,1] neg_hi:[0,1]
	v_cvt_f32_i32_e32 v30, v36
	v_add_f32_e32 v1, v1, v29
	v_add_f32_e32 v1, v28, v1
	;; [unrolled: 1-line block ×4, first 2 shown]
	v_sub_f32_e32 v29, v28, v40
	v_mul_f32_e32 v1, v38, v1
	v_sub_f32_e32 v29, v39, v29
	v_add_f32_e32 v1, v29, v1
	v_add_f32_e32 v31, v28, v1
	v_mul_f32_e32 v32, v31, v31
	v_mov_b32_e32 v29, 0x3ecc95a3
	v_fmac_f32_e32 v29, 0x3e9b6dac, v32
	v_sub_f32_e32 v28, v31, v28
	v_fmaak_f32 v29, v32, v29, 0x3f2aaada
	v_sub_f32_e32 v1, v1, v28
	v_ldexp_f32 v33, v31, 1
	v_mul_f32_e32 v31, v31, v32
	v_mov_b32_e32 v28, 0x3f317218
	v_pk_mul_f32 v[28:29], v[30:31], v[28:29]
	v_ldexp_f32 v1, v1, 1
	v_fma_f32 v31, v30, s2, -v28
	v_fmamk_f32 v32, v30, 0xb102e308, v31
	v_pk_add_f32 v[30:31], v[28:29], v[32:33]
	v_mov_b32_e32 v34, v28
	v_sub_f32_e32 v33, v31, v33
	v_sub_f32_e32 v33, v29, v33
	v_add_f32_e32 v35, v1, v33
	v_pk_add_f32 v[28:29], v[30:31], v[28:29] neg_lo:[0,1] neg_hi:[0,1]
	v_pk_add_f32 v[36:37], v[30:31], v[34:35]
	v_mov_b32_e32 v33, v30
	v_mov_b32_e32 v29, v37
	v_pk_add_f32 v[38:39], v[32:33], v[28:29] neg_lo:[0,1] neg_hi:[0,1]
	v_pk_add_f32 v[28:29], v[32:33], v[28:29]
	v_mov_b32_e32 v34, v35
	v_mov_b32_e32 v32, v29
	v_pk_add_f32 v[40:41], v[32:33], v[30:31] neg_lo:[0,1] neg_hi:[0,1]
	v_mov_b32_e32 v28, v37
	v_mov_b32_e32 v1, v40
	v_pk_add_f32 v[42:43], v[36:37], v[0:1] neg_lo:[0,1] neg_hi:[0,1]
	v_mov_b32_e32 v36, v31
	v_mov_b32_e32 v37, v40
	;; [unrolled: 1-line block ×3, first 2 shown]
	v_pk_add_f32 v[28:29], v[28:29], v[36:37] neg_lo:[0,1] neg_hi:[0,1]
	v_mov_b32_e32 v35, v30
	v_pk_add_f32 v[28:29], v[34:35], v[28:29] neg_lo:[0,1] neg_hi:[0,1]
	v_mov_b32_e32 v42, v38
	v_pk_add_f32 v[30:31], v[42:43], v[28:29]
	s_mov_b32 s2, 0x33800000
	v_mov_b32_e32 v34, v31
	v_pk_add_f32 v[34:35], v[30:31], v[34:35]
	v_cmp_lt_f32_e64 s[2:3], |v11|, s2
	v_pk_add_f32 v[32:33], v[32:33], v[34:35]
	v_mov_b32_e32 v29, v34
	v_mov_b32_e32 v31, v32
	v_pk_add_f32 v[36:37], v[30:31], v[38:39] neg_lo:[0,1] neg_hi:[0,1]
	s_or_b64 vcc, vcc, s[2:3]
	v_sub_f32_e32 v1, v30, v36
	v_pk_add_f32 v[28:29], v[28:29], v[36:37] neg_lo:[0,1] neg_hi:[0,1]
	v_sub_f32_e32 v1, v38, v1
	v_add_f32_e32 v1, v28, v1
	v_add_f32_e32 v1, v1, v29
	;; [unrolled: 1-line block ×3, first 2 shown]
	v_cndmask_b32_e32 v1, v1, v11, vcc
	v_add_f32_e32 v1, v21, v1
	v_cvt_f16_f32_e32 v31, v1
	v_cvt_f32_f16_e32 v1, v31
	v_mov_b32_e32 v11, v31
.LBB378_162:
	s_or_b64 exec, exec, s[0:1]
	v_max_f32_e32 v21, v22, v22
	v_max_f32_e32 v29, v1, v1
	v_min_f32_e32 v28, v29, v21
	v_cmp_u_f16_e32 vcc, v31, v31
	v_max_f32_e32 v21, v29, v21
	s_nop 0
	v_cndmask_b32_e32 v28, v28, v1, vcc
	v_cndmask_b32_e32 v21, v21, v1, vcc
	v_cndmask_b32_e64 v28, v28, v22, s[72:73]
	v_cndmask_b32_e64 v22, v21, v22, s[72:73]
	v_cmp_neq_f32_e32 vcc, v28, v22
	v_cmp_class_f32_e64 s[0:1], v28, s33
	s_or_b64 s[2:3], vcc, s[0:1]
	v_mov_b32_e32 v21, v11
	s_and_saveexec_b64 s[0:1], s[2:3]
	s_cbranch_execz .LBB378_164
; %bb.163:
	v_sub_f32_e32 v1, v28, v22
	s_mov_b32 s2, 0x3fb8aa3b
	v_mul_f32_e32 v21, 0x3fb8aa3b, v1
	v_fma_f32 v28, v1, s2, -v21
	v_rndne_f32_e32 v29, v21
	v_fmamk_f32 v28, v1, 0x32a5705f, v28
	v_sub_f32_e32 v21, v21, v29
	v_add_f32_e32 v21, v21, v28
	v_exp_f32_e32 v21, v21
	v_cvt_i32_f32_e32 v28, v29
	s_mov_b32 s2, 0xc2ce8ed0
	v_cmp_ngt_f32_e32 vcc, s2, v1
	s_mov_b32 s2, 0x42b17218
	v_ldexp_f32 v21, v21, v28
	v_cndmask_b32_e32 v21, 0, v21, vcc
	v_mov_b32_e32 v28, 0x7f800000
	v_cmp_nlt_f32_e32 vcc, s2, v1
	s_mov_b32 s2, 0x3f2aaaab
	s_mov_b32 s3, 0x7f800000
	v_cndmask_b32_e32 v21, v28, v21, vcc
	v_add_f32_e32 v1, 1.0, v21
	v_add_f32_e32 v28, -1.0, v1
	v_sub_f32_e32 v29, v28, v1
	v_add_f32_e32 v29, 1.0, v29
	v_sub_f32_e32 v28, v21, v28
	v_add_f32_e32 v30, v28, v29
	v_frexp_mant_f32_e32 v31, v1
	v_cvt_f64_f32_e32 v[28:29], v1
	v_frexp_exp_i32_f64_e32 v28, v[28:29]
	v_cmp_gt_f32_e32 vcc, s2, v31
	s_mov_b32 s2, 0x3f317218
	s_nop 0
	v_subbrev_co_u32_e32 v36, vcc, 0, v28, vcc
	v_sub_u32_e32 v28, 0, v36
	v_ldexp_f32 v1, v1, v28
	v_ldexp_f32 v28, v30, v28
	v_add_f32_e32 v30, -1.0, v1
	v_add_f32_e32 v29, 1.0, v30
	v_sub_f32_e32 v29, v1, v29
	v_add_f32_e32 v31, v28, v29
	v_add_f32_e32 v29, 1.0, v1
	s_waitcnt lgkmcnt(0)
	v_add_f32_e32 v32, -1.0, v29
	v_sub_f32_e32 v1, v1, v32
	v_add_f32_e32 v1, v28, v1
	v_add_f32_e32 v37, v29, v1
	v_rcp_f32_e32 v38, v37
	v_sub_f32_e32 v28, v29, v37
	v_add_f32_e32 v29, v30, v31
	v_add_f32_e32 v1, v1, v28
	v_mul_f32_e32 v40, v29, v38
	v_sub_f32_e32 v28, v30, v29
	v_mul_f32_e32 v30, v37, v40
	v_fma_f32 v32, v40, v37, -v30
	v_fmac_f32_e32 v32, v40, v1
	v_add_f32_e32 v39, v31, v28
	v_add_f32_e32 v28, v30, v32
	v_sub_f32_e32 v31, v29, v28
	v_pk_add_f32 v[34:35], v[28:29], v[30:31] neg_lo:[0,1] neg_hi:[0,1]
	v_mov_b32_e32 v33, v28
	v_pk_add_f32 v[28:29], v[34:35], v[32:33] neg_lo:[0,1] neg_hi:[0,1]
	v_cmp_eq_f32_e32 vcc, s3, v21
	v_add_f32_e32 v29, v39, v29
	v_add_f32_e32 v28, v28, v29
	;; [unrolled: 1-line block ×3, first 2 shown]
	v_mul_f32_e32 v39, v38, v29
	v_mul_f32_e32 v30, v37, v39
	v_fma_f32 v32, v39, v37, -v30
	v_fmac_f32_e32 v32, v39, v1
	v_sub_f32_e32 v1, v31, v29
	v_add_f32_e32 v1, v28, v1
	v_add_f32_e32 v28, v30, v32
	v_sub_f32_e32 v31, v29, v28
	v_pk_add_f32 v[34:35], v[28:29], v[30:31] neg_lo:[0,1] neg_hi:[0,1]
	v_mov_b32_e32 v33, v28
	v_pk_add_f32 v[28:29], v[34:35], v[32:33] neg_lo:[0,1] neg_hi:[0,1]
	v_cvt_f32_i32_e32 v30, v36
	v_add_f32_e32 v1, v1, v29
	v_add_f32_e32 v1, v28, v1
	;; [unrolled: 1-line block ×4, first 2 shown]
	v_sub_f32_e32 v29, v28, v40
	v_mul_f32_e32 v1, v38, v1
	v_sub_f32_e32 v29, v39, v29
	v_add_f32_e32 v1, v29, v1
	v_add_f32_e32 v31, v28, v1
	v_mul_f32_e32 v32, v31, v31
	v_mov_b32_e32 v29, 0x3ecc95a3
	v_fmac_f32_e32 v29, 0x3e9b6dac, v32
	v_sub_f32_e32 v28, v31, v28
	v_fmaak_f32 v29, v32, v29, 0x3f2aaada
	v_sub_f32_e32 v1, v1, v28
	v_ldexp_f32 v33, v31, 1
	v_mul_f32_e32 v31, v31, v32
	v_mov_b32_e32 v28, 0x3f317218
	v_pk_mul_f32 v[28:29], v[30:31], v[28:29]
	v_ldexp_f32 v1, v1, 1
	v_fma_f32 v31, v30, s2, -v28
	v_fmamk_f32 v32, v30, 0xb102e308, v31
	v_pk_add_f32 v[30:31], v[28:29], v[32:33]
	v_mov_b32_e32 v34, v28
	v_sub_f32_e32 v33, v31, v33
	v_sub_f32_e32 v33, v29, v33
	v_add_f32_e32 v35, v1, v33
	v_pk_add_f32 v[28:29], v[30:31], v[28:29] neg_lo:[0,1] neg_hi:[0,1]
	v_pk_add_f32 v[36:37], v[30:31], v[34:35]
	v_mov_b32_e32 v33, v30
	v_mov_b32_e32 v29, v37
	v_pk_add_f32 v[38:39], v[32:33], v[28:29] neg_lo:[0,1] neg_hi:[0,1]
	v_pk_add_f32 v[28:29], v[32:33], v[28:29]
	v_mov_b32_e32 v34, v35
	v_mov_b32_e32 v32, v29
	v_pk_add_f32 v[40:41], v[32:33], v[30:31] neg_lo:[0,1] neg_hi:[0,1]
	v_mov_b32_e32 v28, v37
	v_mov_b32_e32 v1, v40
	v_pk_add_f32 v[42:43], v[36:37], v[0:1] neg_lo:[0,1] neg_hi:[0,1]
	v_mov_b32_e32 v36, v31
	v_mov_b32_e32 v37, v40
	;; [unrolled: 1-line block ×3, first 2 shown]
	v_pk_add_f32 v[28:29], v[28:29], v[36:37] neg_lo:[0,1] neg_hi:[0,1]
	v_mov_b32_e32 v35, v30
	v_pk_add_f32 v[28:29], v[34:35], v[28:29] neg_lo:[0,1] neg_hi:[0,1]
	v_mov_b32_e32 v42, v38
	v_pk_add_f32 v[30:31], v[42:43], v[28:29]
	s_mov_b32 s2, 0x33800000
	v_mov_b32_e32 v34, v31
	v_pk_add_f32 v[34:35], v[30:31], v[34:35]
	v_cmp_lt_f32_e64 s[2:3], |v21|, s2
	v_pk_add_f32 v[32:33], v[32:33], v[34:35]
	v_mov_b32_e32 v29, v34
	v_mov_b32_e32 v31, v32
	v_pk_add_f32 v[36:37], v[30:31], v[38:39] neg_lo:[0,1] neg_hi:[0,1]
	s_or_b64 vcc, vcc, s[2:3]
	v_sub_f32_e32 v1, v30, v36
	v_pk_add_f32 v[28:29], v[28:29], v[36:37] neg_lo:[0,1] neg_hi:[0,1]
	v_sub_f32_e32 v1, v38, v1
	v_add_f32_e32 v1, v28, v1
	v_add_f32_e32 v1, v1, v29
	;; [unrolled: 1-line block ×3, first 2 shown]
	v_cndmask_b32_e32 v1, v1, v21, vcc
	v_add_f32_e32 v1, v22, v1
	v_cvt_f16_f32_e32 v31, v1
	v_cvt_f32_f16_e32 v1, v31
	v_mov_b32_e32 v21, v31
.LBB378_164:
	s_or_b64 exec, exec, s[0:1]
	v_max_f32_e32 v22, v12, v12
	v_max_f32_e32 v29, v1, v1
	v_min_f32_e32 v28, v29, v22
	v_cmp_u_f16_e32 vcc, v31, v31
	v_max_f32_e32 v22, v29, v22
	s_nop 0
	v_cndmask_b32_e32 v28, v28, v1, vcc
	v_cndmask_b32_e32 v22, v22, v1, vcc
	v_cndmask_b32_e64 v28, v28, v12, s[74:75]
	v_cndmask_b32_e64 v22, v22, v12, s[74:75]
	v_cmp_neq_f32_e32 vcc, v28, v22
	v_cmp_class_f32_e64 s[0:1], v28, s33
	s_or_b64 s[2:3], vcc, s[0:1]
	v_mov_b32_e32 v12, v21
	s_and_saveexec_b64 s[0:1], s[2:3]
	s_cbranch_execz .LBB378_166
; %bb.165:
	v_sub_f32_e32 v1, v28, v22
	s_mov_b32 s2, 0x3fb8aa3b
	v_mul_f32_e32 v12, 0x3fb8aa3b, v1
	v_fma_f32 v28, v1, s2, -v12
	v_rndne_f32_e32 v29, v12
	v_fmamk_f32 v28, v1, 0x32a5705f, v28
	v_sub_f32_e32 v12, v12, v29
	v_add_f32_e32 v12, v12, v28
	v_exp_f32_e32 v12, v12
	v_cvt_i32_f32_e32 v28, v29
	s_mov_b32 s2, 0xc2ce8ed0
	v_cmp_ngt_f32_e32 vcc, s2, v1
	s_mov_b32 s2, 0x42b17218
	v_ldexp_f32 v12, v12, v28
	v_cndmask_b32_e32 v12, 0, v12, vcc
	v_mov_b32_e32 v28, 0x7f800000
	v_cmp_nlt_f32_e32 vcc, s2, v1
	s_mov_b32 s2, 0x3f2aaaab
	s_mov_b32 s3, 0x7f800000
	v_cndmask_b32_e32 v42, v28, v12, vcc
	v_add_f32_e32 v1, 1.0, v42
	v_add_f32_e32 v12, -1.0, v1
	v_sub_f32_e32 v28, v12, v1
	v_add_f32_e32 v28, 1.0, v28
	v_sub_f32_e32 v12, v42, v12
	v_add_f32_e32 v12, v12, v28
	v_frexp_mant_f32_e32 v30, v1
	v_cvt_f64_f32_e32 v[28:29], v1
	v_frexp_exp_i32_f64_e32 v28, v[28:29]
	v_cmp_gt_f32_e32 vcc, s2, v30
	s_mov_b32 s2, 0x3f317218
	s_nop 0
	v_subbrev_co_u32_e32 v36, vcc, 0, v28, vcc
	v_sub_u32_e32 v28, 0, v36
	v_ldexp_f32 v1, v1, v28
	v_ldexp_f32 v12, v12, v28
	v_add_f32_e32 v28, -1.0, v1
	v_add_f32_e32 v29, 1.0, v28
	v_sub_f32_e32 v29, v1, v29
	v_add_f32_e32 v30, v12, v29
	v_add_f32_e32 v29, 1.0, v1
	v_add_f32_e32 v31, -1.0, v29
	v_sub_f32_e32 v1, v1, v31
	v_add_f32_e32 v1, v12, v1
	v_add_f32_e32 v12, v29, v1
	v_rcp_f32_e32 v37, v12
	v_sub_f32_e32 v29, v29, v12
	v_add_f32_e32 v1, v1, v29
	v_add_f32_e32 v29, v28, v30
	v_sub_f32_e32 v28, v28, v29
	v_mul_f32_e32 v39, v29, v37
	v_add_f32_e32 v38, v30, v28
	v_mul_f32_e32 v30, v12, v39
	s_waitcnt lgkmcnt(0)
	v_fma_f32 v32, v39, v12, -v30
	v_fmac_f32_e32 v32, v39, v1
	v_add_f32_e32 v28, v30, v32
	v_sub_f32_e32 v31, v29, v28
	v_pk_add_f32 v[34:35], v[28:29], v[30:31] neg_lo:[0,1] neg_hi:[0,1]
	v_mov_b32_e32 v33, v28
	v_pk_add_f32 v[28:29], v[34:35], v[32:33] neg_lo:[0,1] neg_hi:[0,1]
	v_cmp_eq_f32_e32 vcc, s3, v42
	v_add_f32_e32 v29, v38, v29
	v_add_f32_e32 v28, v28, v29
	;; [unrolled: 1-line block ×3, first 2 shown]
	v_mul_f32_e32 v38, v37, v29
	v_mul_f32_e32 v30, v12, v38
	v_fma_f32 v32, v38, v12, -v30
	v_fmac_f32_e32 v32, v38, v1
	v_sub_f32_e32 v1, v31, v29
	v_add_f32_e32 v1, v28, v1
	v_add_f32_e32 v28, v30, v32
	v_sub_f32_e32 v31, v29, v28
	v_pk_add_f32 v[34:35], v[28:29], v[30:31] neg_lo:[0,1] neg_hi:[0,1]
	v_mov_b32_e32 v33, v28
	v_pk_add_f32 v[28:29], v[34:35], v[32:33] neg_lo:[0,1] neg_hi:[0,1]
	v_add_f32_e32 v12, v39, v38
	v_add_f32_e32 v1, v1, v29
	;; [unrolled: 1-line block ×4, first 2 shown]
	v_sub_f32_e32 v28, v12, v39
	v_mul_f32_e32 v1, v37, v1
	v_sub_f32_e32 v28, v38, v28
	v_add_f32_e32 v1, v28, v1
	v_add_f32_e32 v28, v12, v1
	v_cvt_f32_i32_e32 v30, v36
	v_mul_f32_e32 v31, v28, v28
	v_mov_b32_e32 v29, 0x3ecc95a3
	v_fmac_f32_e32 v29, 0x3e9b6dac, v31
	v_fmaak_f32 v29, v31, v29, 0x3f2aaada
	v_sub_f32_e32 v12, v28, v12
	v_ldexp_f32 v33, v28, 1
	v_mul_f32_e32 v31, v28, v31
	v_mov_b32_e32 v28, 0x3f317218
	v_pk_mul_f32 v[28:29], v[30:31], v[28:29]
	v_sub_f32_e32 v1, v1, v12
	v_fma_f32 v12, v30, s2, -v28
	v_fmamk_f32 v32, v30, 0xb102e308, v12
	v_pk_add_f32 v[30:31], v[28:29], v[32:33]
	v_ldexp_f32 v1, v1, 1
	v_sub_f32_e32 v12, v31, v33
	v_sub_f32_e32 v12, v29, v12
	v_add_f32_e32 v35, v1, v12
	v_mov_b32_e32 v34, v28
	v_pk_add_f32 v[28:29], v[30:31], v[28:29] neg_lo:[0,1] neg_hi:[0,1]
	v_pk_add_f32 v[36:37], v[30:31], v[34:35]
	v_mov_b32_e32 v33, v30
	v_mov_b32_e32 v29, v37
	v_pk_add_f32 v[38:39], v[32:33], v[28:29] neg_lo:[0,1] neg_hi:[0,1]
	v_pk_add_f32 v[28:29], v[32:33], v[28:29]
	s_mov_b32 s2, 0x33800000
	v_mov_b32_e32 v12, v29
	v_pk_add_f32 v[32:33], v[12:13], v[30:31] neg_lo:[0,1] neg_hi:[0,1]
	v_mov_b32_e32 v28, v37
	v_mov_b32_e32 v1, v32
	v_pk_add_f32 v[40:41], v[36:37], v[0:1] neg_lo:[0,1] neg_hi:[0,1]
	v_mov_b32_e32 v36, v31
	v_mov_b32_e32 v37, v32
	;; [unrolled: 1-line block ×3, first 2 shown]
	v_pk_add_f32 v[28:29], v[28:29], v[36:37] neg_lo:[0,1] neg_hi:[0,1]
	v_mov_b32_e32 v32, v35
	v_mov_b32_e32 v33, v30
	v_pk_add_f32 v[28:29], v[32:33], v[28:29] neg_lo:[0,1] neg_hi:[0,1]
	v_mov_b32_e32 v40, v38
	v_pk_add_f32 v[30:31], v[40:41], v[28:29]
	v_cmp_lt_f32_e64 s[2:3], |v42|, s2
	v_mov_b32_e32 v32, v31
	v_pk_add_f32 v[32:33], v[30:31], v[32:33]
	s_or_b64 vcc, vcc, s[2:3]
	v_pk_add_f32 v[34:35], v[12:13], v[32:33]
	v_mov_b32_e32 v29, v32
	v_mov_b32_e32 v31, v34
	v_pk_add_f32 v[36:37], v[30:31], v[38:39] neg_lo:[0,1] neg_hi:[0,1]
	s_nop 0
	v_sub_f32_e32 v1, v30, v36
	v_pk_add_f32 v[28:29], v[28:29], v[36:37] neg_lo:[0,1] neg_hi:[0,1]
	v_sub_f32_e32 v1, v38, v1
	v_add_f32_e32 v1, v28, v1
	v_add_f32_e32 v1, v1, v29
	;; [unrolled: 1-line block ×3, first 2 shown]
	v_cndmask_b32_e32 v1, v1, v42, vcc
	v_add_f32_e32 v1, v22, v1
	v_cvt_f16_f32_e32 v31, v1
	v_cvt_f32_f16_e32 v1, v31
	v_mov_b32_e32 v12, v31
.LBB378_166:
	s_or_b64 exec, exec, s[0:1]
	v_max_f32_e32 v22, v23, v23
	v_max_f32_e32 v29, v1, v1
	v_min_f32_e32 v28, v29, v22
	v_cmp_u_f16_e32 vcc, v31, v31
	v_max_f32_e32 v22, v29, v22
	s_nop 0
	v_cndmask_b32_e32 v28, v28, v1, vcc
	v_cndmask_b32_e32 v22, v22, v1, vcc
	v_cndmask_b32_e64 v28, v28, v23, s[76:77]
	v_cndmask_b32_e64 v23, v22, v23, s[76:77]
	v_cmp_neq_f32_e32 vcc, v28, v23
	v_cmp_class_f32_e64 s[0:1], v28, s33
	s_or_b64 s[2:3], vcc, s[0:1]
	v_mov_b32_e32 v22, v12
	s_and_saveexec_b64 s[0:1], s[2:3]
	s_cbranch_execz .LBB378_168
; %bb.167:
	v_sub_f32_e32 v1, v28, v23
	s_mov_b32 s2, 0x3fb8aa3b
	v_mul_f32_e32 v22, 0x3fb8aa3b, v1
	v_fma_f32 v28, v1, s2, -v22
	v_rndne_f32_e32 v29, v22
	v_fmamk_f32 v28, v1, 0x32a5705f, v28
	v_sub_f32_e32 v22, v22, v29
	v_add_f32_e32 v22, v22, v28
	v_exp_f32_e32 v22, v22
	v_cvt_i32_f32_e32 v28, v29
	s_mov_b32 s2, 0xc2ce8ed0
	v_cmp_ngt_f32_e32 vcc, s2, v1
	s_mov_b32 s2, 0x42b17218
	v_ldexp_f32 v22, v22, v28
	v_cndmask_b32_e32 v22, 0, v22, vcc
	v_mov_b32_e32 v28, 0x7f800000
	v_cmp_nlt_f32_e32 vcc, s2, v1
	s_mov_b32 s2, 0x3f2aaaab
	s_mov_b32 s3, 0x7f800000
	v_cndmask_b32_e32 v42, v28, v22, vcc
	v_add_f32_e32 v1, 1.0, v42
	v_add_f32_e32 v22, -1.0, v1
	v_sub_f32_e32 v28, v22, v1
	v_add_f32_e32 v28, 1.0, v28
	v_sub_f32_e32 v22, v42, v22
	v_add_f32_e32 v22, v22, v28
	v_frexp_mant_f32_e32 v30, v1
	v_cvt_f64_f32_e32 v[28:29], v1
	v_frexp_exp_i32_f64_e32 v28, v[28:29]
	v_cmp_gt_f32_e32 vcc, s2, v30
	s_mov_b32 s2, 0x3f317218
	s_nop 0
	v_subbrev_co_u32_e32 v36, vcc, 0, v28, vcc
	v_sub_u32_e32 v28, 0, v36
	v_ldexp_f32 v1, v1, v28
	v_ldexp_f32 v22, v22, v28
	v_add_f32_e32 v28, -1.0, v1
	v_add_f32_e32 v29, 1.0, v28
	v_sub_f32_e32 v29, v1, v29
	v_add_f32_e32 v30, v22, v29
	v_add_f32_e32 v29, 1.0, v1
	v_add_f32_e32 v31, -1.0, v29
	v_sub_f32_e32 v1, v1, v31
	v_add_f32_e32 v1, v22, v1
	v_add_f32_e32 v22, v29, v1
	v_rcp_f32_e32 v37, v22
	v_sub_f32_e32 v29, v29, v22
	v_add_f32_e32 v1, v1, v29
	v_add_f32_e32 v29, v28, v30
	v_sub_f32_e32 v28, v28, v29
	v_mul_f32_e32 v39, v29, v37
	v_add_f32_e32 v38, v30, v28
	v_mul_f32_e32 v30, v22, v39
	s_waitcnt lgkmcnt(0)
	v_fma_f32 v32, v39, v22, -v30
	v_fmac_f32_e32 v32, v39, v1
	v_add_f32_e32 v28, v30, v32
	v_sub_f32_e32 v31, v29, v28
	v_pk_add_f32 v[34:35], v[28:29], v[30:31] neg_lo:[0,1] neg_hi:[0,1]
	v_mov_b32_e32 v33, v28
	v_pk_add_f32 v[28:29], v[34:35], v[32:33] neg_lo:[0,1] neg_hi:[0,1]
	v_cmp_eq_f32_e32 vcc, s3, v42
	v_add_f32_e32 v29, v38, v29
	v_add_f32_e32 v28, v28, v29
	;; [unrolled: 1-line block ×3, first 2 shown]
	v_mul_f32_e32 v38, v37, v29
	v_mul_f32_e32 v30, v22, v38
	v_fma_f32 v32, v38, v22, -v30
	v_fmac_f32_e32 v32, v38, v1
	v_sub_f32_e32 v1, v31, v29
	v_add_f32_e32 v1, v28, v1
	v_add_f32_e32 v28, v30, v32
	v_sub_f32_e32 v31, v29, v28
	v_pk_add_f32 v[34:35], v[28:29], v[30:31] neg_lo:[0,1] neg_hi:[0,1]
	v_mov_b32_e32 v33, v28
	v_pk_add_f32 v[28:29], v[34:35], v[32:33] neg_lo:[0,1] neg_hi:[0,1]
	v_add_f32_e32 v22, v39, v38
	v_add_f32_e32 v1, v1, v29
	;; [unrolled: 1-line block ×4, first 2 shown]
	v_sub_f32_e32 v28, v22, v39
	v_mul_f32_e32 v1, v37, v1
	v_sub_f32_e32 v28, v38, v28
	v_add_f32_e32 v1, v28, v1
	v_add_f32_e32 v28, v22, v1
	v_cvt_f32_i32_e32 v30, v36
	v_mul_f32_e32 v31, v28, v28
	v_mov_b32_e32 v29, 0x3ecc95a3
	v_fmac_f32_e32 v29, 0x3e9b6dac, v31
	v_fmaak_f32 v29, v31, v29, 0x3f2aaada
	v_sub_f32_e32 v22, v28, v22
	v_ldexp_f32 v33, v28, 1
	v_mul_f32_e32 v31, v28, v31
	v_mov_b32_e32 v28, 0x3f317218
	v_pk_mul_f32 v[28:29], v[30:31], v[28:29]
	v_sub_f32_e32 v1, v1, v22
	v_fma_f32 v22, v30, s2, -v28
	v_fmamk_f32 v32, v30, 0xb102e308, v22
	v_pk_add_f32 v[30:31], v[28:29], v[32:33]
	v_ldexp_f32 v1, v1, 1
	v_sub_f32_e32 v22, v31, v33
	v_sub_f32_e32 v22, v29, v22
	v_add_f32_e32 v35, v1, v22
	v_mov_b32_e32 v34, v28
	v_pk_add_f32 v[28:29], v[30:31], v[28:29] neg_lo:[0,1] neg_hi:[0,1]
	v_pk_add_f32 v[36:37], v[30:31], v[34:35]
	v_mov_b32_e32 v33, v30
	v_mov_b32_e32 v29, v37
	v_pk_add_f32 v[38:39], v[32:33], v[28:29] neg_lo:[0,1] neg_hi:[0,1]
	v_pk_add_f32 v[28:29], v[32:33], v[28:29]
	s_mov_b32 s2, 0x33800000
	v_mov_b32_e32 v22, v29
	v_pk_add_f32 v[32:33], v[22:23], v[30:31] neg_lo:[0,1] neg_hi:[0,1]
	v_mov_b32_e32 v28, v37
	v_mov_b32_e32 v1, v32
	v_pk_add_f32 v[40:41], v[36:37], v[0:1] neg_lo:[0,1] neg_hi:[0,1]
	v_mov_b32_e32 v36, v31
	v_mov_b32_e32 v37, v32
	;; [unrolled: 1-line block ×3, first 2 shown]
	v_pk_add_f32 v[28:29], v[28:29], v[36:37] neg_lo:[0,1] neg_hi:[0,1]
	v_mov_b32_e32 v32, v35
	v_mov_b32_e32 v33, v30
	v_pk_add_f32 v[28:29], v[32:33], v[28:29] neg_lo:[0,1] neg_hi:[0,1]
	v_mov_b32_e32 v40, v38
	v_pk_add_f32 v[30:31], v[40:41], v[28:29]
	v_cmp_lt_f32_e64 s[2:3], |v42|, s2
	v_mov_b32_e32 v32, v31
	v_pk_add_f32 v[32:33], v[30:31], v[32:33]
	s_or_b64 vcc, vcc, s[2:3]
	v_pk_add_f32 v[34:35], v[22:23], v[32:33]
	v_mov_b32_e32 v29, v32
	v_mov_b32_e32 v31, v34
	v_pk_add_f32 v[36:37], v[30:31], v[38:39] neg_lo:[0,1] neg_hi:[0,1]
	s_nop 0
	v_sub_f32_e32 v1, v30, v36
	v_pk_add_f32 v[28:29], v[28:29], v[36:37] neg_lo:[0,1] neg_hi:[0,1]
	v_sub_f32_e32 v1, v38, v1
	v_add_f32_e32 v1, v28, v1
	v_add_f32_e32 v1, v1, v29
	;; [unrolled: 1-line block ×3, first 2 shown]
	v_cndmask_b32_e32 v1, v1, v42, vcc
	v_add_f32_e32 v1, v23, v1
	v_cvt_f16_f32_e32 v31, v1
	v_cvt_f32_f16_e32 v1, v31
	v_mov_b32_e32 v22, v31
.LBB378_168:
	s_or_b64 exec, exec, s[0:1]
	v_max_f32_e32 v23, v13, v13
	v_max_f32_e32 v29, v1, v1
	v_min_f32_e32 v28, v29, v23
	v_cmp_u_f16_e32 vcc, v31, v31
	v_max_f32_e32 v23, v29, v23
	s_nop 0
	v_cndmask_b32_e32 v28, v28, v1, vcc
	v_cndmask_b32_e32 v23, v23, v1, vcc
	v_cndmask_b32_e64 v28, v28, v13, s[78:79]
	v_cndmask_b32_e64 v23, v23, v13, s[78:79]
	v_cmp_neq_f32_e32 vcc, v28, v23
	v_cmp_class_f32_e64 s[0:1], v28, s33
	s_or_b64 s[2:3], vcc, s[0:1]
	v_mov_b32_e32 v13, v22
	s_and_saveexec_b64 s[0:1], s[2:3]
	s_cbranch_execz .LBB378_170
; %bb.169:
	v_sub_f32_e32 v1, v28, v23
	s_mov_b32 s2, 0x3fb8aa3b
	v_mul_f32_e32 v13, 0x3fb8aa3b, v1
	v_fma_f32 v28, v1, s2, -v13
	v_rndne_f32_e32 v29, v13
	v_fmamk_f32 v28, v1, 0x32a5705f, v28
	v_sub_f32_e32 v13, v13, v29
	v_add_f32_e32 v13, v13, v28
	v_exp_f32_e32 v13, v13
	v_cvt_i32_f32_e32 v28, v29
	s_mov_b32 s2, 0xc2ce8ed0
	v_cmp_ngt_f32_e32 vcc, s2, v1
	s_mov_b32 s2, 0x42b17218
	v_ldexp_f32 v13, v13, v28
	v_cndmask_b32_e32 v13, 0, v13, vcc
	v_mov_b32_e32 v28, 0x7f800000
	v_cmp_nlt_f32_e32 vcc, s2, v1
	s_mov_b32 s2, 0x3f2aaaab
	s_mov_b32 s3, 0x7f800000
	v_cndmask_b32_e32 v13, v28, v13, vcc
	v_add_f32_e32 v1, 1.0, v13
	v_add_f32_e32 v28, -1.0, v1
	v_sub_f32_e32 v29, v28, v1
	v_add_f32_e32 v29, 1.0, v29
	v_sub_f32_e32 v28, v13, v28
	v_add_f32_e32 v30, v28, v29
	v_frexp_mant_f32_e32 v31, v1
	v_cvt_f64_f32_e32 v[28:29], v1
	v_frexp_exp_i32_f64_e32 v28, v[28:29]
	v_cmp_gt_f32_e32 vcc, s2, v31
	s_mov_b32 s2, 0x3f317218
	s_nop 0
	v_subbrev_co_u32_e32 v36, vcc, 0, v28, vcc
	v_sub_u32_e32 v28, 0, v36
	v_ldexp_f32 v1, v1, v28
	v_ldexp_f32 v28, v30, v28
	v_add_f32_e32 v30, -1.0, v1
	v_add_f32_e32 v29, 1.0, v30
	v_sub_f32_e32 v29, v1, v29
	v_add_f32_e32 v31, v28, v29
	v_add_f32_e32 v29, 1.0, v1
	s_waitcnt lgkmcnt(0)
	v_add_f32_e32 v32, -1.0, v29
	v_sub_f32_e32 v1, v1, v32
	v_add_f32_e32 v1, v28, v1
	v_add_f32_e32 v37, v29, v1
	v_rcp_f32_e32 v38, v37
	v_sub_f32_e32 v28, v29, v37
	v_add_f32_e32 v29, v30, v31
	v_add_f32_e32 v1, v1, v28
	v_mul_f32_e32 v40, v29, v38
	v_sub_f32_e32 v28, v30, v29
	v_mul_f32_e32 v30, v37, v40
	v_fma_f32 v32, v40, v37, -v30
	v_fmac_f32_e32 v32, v40, v1
	v_add_f32_e32 v39, v31, v28
	v_add_f32_e32 v28, v30, v32
	v_sub_f32_e32 v31, v29, v28
	v_pk_add_f32 v[34:35], v[28:29], v[30:31] neg_lo:[0,1] neg_hi:[0,1]
	v_mov_b32_e32 v33, v28
	v_pk_add_f32 v[28:29], v[34:35], v[32:33] neg_lo:[0,1] neg_hi:[0,1]
	v_cmp_eq_f32_e32 vcc, s3, v13
	v_add_f32_e32 v29, v39, v29
	v_add_f32_e32 v28, v28, v29
	;; [unrolled: 1-line block ×3, first 2 shown]
	v_mul_f32_e32 v39, v38, v29
	v_mul_f32_e32 v30, v37, v39
	v_fma_f32 v32, v39, v37, -v30
	v_fmac_f32_e32 v32, v39, v1
	v_sub_f32_e32 v1, v31, v29
	v_add_f32_e32 v1, v28, v1
	v_add_f32_e32 v28, v30, v32
	v_sub_f32_e32 v31, v29, v28
	v_pk_add_f32 v[34:35], v[28:29], v[30:31] neg_lo:[0,1] neg_hi:[0,1]
	v_mov_b32_e32 v33, v28
	v_pk_add_f32 v[28:29], v[34:35], v[32:33] neg_lo:[0,1] neg_hi:[0,1]
	v_cvt_f32_i32_e32 v30, v36
	v_add_f32_e32 v1, v1, v29
	v_add_f32_e32 v1, v28, v1
	;; [unrolled: 1-line block ×4, first 2 shown]
	v_sub_f32_e32 v29, v28, v40
	v_mul_f32_e32 v1, v38, v1
	v_sub_f32_e32 v29, v39, v29
	v_add_f32_e32 v1, v29, v1
	v_add_f32_e32 v31, v28, v1
	v_mul_f32_e32 v32, v31, v31
	v_mov_b32_e32 v29, 0x3ecc95a3
	v_fmac_f32_e32 v29, 0x3e9b6dac, v32
	v_sub_f32_e32 v28, v31, v28
	v_fmaak_f32 v29, v32, v29, 0x3f2aaada
	v_sub_f32_e32 v1, v1, v28
	v_ldexp_f32 v33, v31, 1
	v_mul_f32_e32 v31, v31, v32
	v_mov_b32_e32 v28, 0x3f317218
	v_pk_mul_f32 v[28:29], v[30:31], v[28:29]
	v_ldexp_f32 v1, v1, 1
	v_fma_f32 v31, v30, s2, -v28
	v_fmamk_f32 v32, v30, 0xb102e308, v31
	v_pk_add_f32 v[30:31], v[28:29], v[32:33]
	v_mov_b32_e32 v34, v28
	v_sub_f32_e32 v33, v31, v33
	v_sub_f32_e32 v33, v29, v33
	v_add_f32_e32 v35, v1, v33
	v_pk_add_f32 v[28:29], v[30:31], v[28:29] neg_lo:[0,1] neg_hi:[0,1]
	v_pk_add_f32 v[36:37], v[30:31], v[34:35]
	v_mov_b32_e32 v33, v30
	v_mov_b32_e32 v29, v37
	v_pk_add_f32 v[38:39], v[32:33], v[28:29] neg_lo:[0,1] neg_hi:[0,1]
	v_pk_add_f32 v[28:29], v[32:33], v[28:29]
	v_mov_b32_e32 v34, v35
	v_mov_b32_e32 v32, v29
	v_pk_add_f32 v[40:41], v[32:33], v[30:31] neg_lo:[0,1] neg_hi:[0,1]
	v_mov_b32_e32 v28, v37
	v_mov_b32_e32 v1, v40
	v_pk_add_f32 v[42:43], v[36:37], v[0:1] neg_lo:[0,1] neg_hi:[0,1]
	v_mov_b32_e32 v36, v31
	v_mov_b32_e32 v37, v40
	;; [unrolled: 1-line block ×3, first 2 shown]
	v_pk_add_f32 v[28:29], v[28:29], v[36:37] neg_lo:[0,1] neg_hi:[0,1]
	v_mov_b32_e32 v35, v30
	v_pk_add_f32 v[28:29], v[34:35], v[28:29] neg_lo:[0,1] neg_hi:[0,1]
	v_mov_b32_e32 v42, v38
	v_pk_add_f32 v[30:31], v[42:43], v[28:29]
	s_mov_b32 s2, 0x33800000
	v_mov_b32_e32 v34, v31
	v_pk_add_f32 v[34:35], v[30:31], v[34:35]
	v_cmp_lt_f32_e64 s[2:3], |v13|, s2
	v_pk_add_f32 v[32:33], v[32:33], v[34:35]
	v_mov_b32_e32 v29, v34
	v_mov_b32_e32 v31, v32
	v_pk_add_f32 v[36:37], v[30:31], v[38:39] neg_lo:[0,1] neg_hi:[0,1]
	s_or_b64 vcc, vcc, s[2:3]
	v_sub_f32_e32 v1, v30, v36
	v_pk_add_f32 v[28:29], v[28:29], v[36:37] neg_lo:[0,1] neg_hi:[0,1]
	v_sub_f32_e32 v1, v38, v1
	v_add_f32_e32 v1, v28, v1
	v_add_f32_e32 v1, v1, v29
	;; [unrolled: 1-line block ×3, first 2 shown]
	v_cndmask_b32_e32 v1, v1, v13, vcc
	v_add_f32_e32 v1, v23, v1
	v_cvt_f16_f32_e32 v31, v1
	v_cvt_f32_f16_e32 v1, v31
	v_mov_b32_e32 v13, v31
.LBB378_170:
	s_or_b64 exec, exec, s[0:1]
	v_max_f32_e32 v23, v24, v24
	v_max_f32_e32 v29, v1, v1
	v_min_f32_e32 v28, v29, v23
	v_cmp_u_f16_e32 vcc, v31, v31
	v_max_f32_e32 v23, v29, v23
	s_nop 0
	v_cndmask_b32_e32 v28, v28, v1, vcc
	v_cndmask_b32_e32 v23, v23, v1, vcc
	v_cndmask_b32_e64 v28, v28, v24, s[80:81]
	v_cndmask_b32_e64 v24, v23, v24, s[80:81]
	v_cmp_neq_f32_e32 vcc, v28, v24
	v_cmp_class_f32_e64 s[0:1], v28, s33
	s_or_b64 s[2:3], vcc, s[0:1]
	v_mov_b32_e32 v23, v13
	s_and_saveexec_b64 s[0:1], s[2:3]
	s_cbranch_execz .LBB378_172
; %bb.171:
	v_sub_f32_e32 v1, v28, v24
	s_mov_b32 s2, 0x3fb8aa3b
	v_mul_f32_e32 v23, 0x3fb8aa3b, v1
	v_fma_f32 v28, v1, s2, -v23
	v_rndne_f32_e32 v29, v23
	v_fmamk_f32 v28, v1, 0x32a5705f, v28
	v_sub_f32_e32 v23, v23, v29
	v_add_f32_e32 v23, v23, v28
	v_exp_f32_e32 v23, v23
	v_cvt_i32_f32_e32 v28, v29
	s_mov_b32 s2, 0xc2ce8ed0
	v_cmp_ngt_f32_e32 vcc, s2, v1
	s_mov_b32 s2, 0x42b17218
	v_ldexp_f32 v23, v23, v28
	v_cndmask_b32_e32 v23, 0, v23, vcc
	v_mov_b32_e32 v28, 0x7f800000
	v_cmp_nlt_f32_e32 vcc, s2, v1
	s_mov_b32 s2, 0x3f2aaaab
	s_mov_b32 s3, 0x7f800000
	v_cndmask_b32_e32 v23, v28, v23, vcc
	v_add_f32_e32 v1, 1.0, v23
	v_add_f32_e32 v28, -1.0, v1
	v_sub_f32_e32 v29, v28, v1
	v_add_f32_e32 v29, 1.0, v29
	v_sub_f32_e32 v28, v23, v28
	v_add_f32_e32 v30, v28, v29
	v_frexp_mant_f32_e32 v31, v1
	v_cvt_f64_f32_e32 v[28:29], v1
	v_frexp_exp_i32_f64_e32 v28, v[28:29]
	v_cmp_gt_f32_e32 vcc, s2, v31
	s_mov_b32 s2, 0x3f317218
	s_nop 0
	v_subbrev_co_u32_e32 v36, vcc, 0, v28, vcc
	v_sub_u32_e32 v28, 0, v36
	v_ldexp_f32 v1, v1, v28
	v_ldexp_f32 v28, v30, v28
	v_add_f32_e32 v30, -1.0, v1
	v_add_f32_e32 v29, 1.0, v30
	v_sub_f32_e32 v29, v1, v29
	v_add_f32_e32 v31, v28, v29
	v_add_f32_e32 v29, 1.0, v1
	s_waitcnt lgkmcnt(0)
	v_add_f32_e32 v32, -1.0, v29
	v_sub_f32_e32 v1, v1, v32
	v_add_f32_e32 v1, v28, v1
	v_add_f32_e32 v37, v29, v1
	v_rcp_f32_e32 v38, v37
	v_sub_f32_e32 v28, v29, v37
	v_add_f32_e32 v29, v30, v31
	v_add_f32_e32 v1, v1, v28
	v_mul_f32_e32 v40, v29, v38
	v_sub_f32_e32 v28, v30, v29
	v_mul_f32_e32 v30, v37, v40
	v_fma_f32 v32, v40, v37, -v30
	v_fmac_f32_e32 v32, v40, v1
	v_add_f32_e32 v39, v31, v28
	v_add_f32_e32 v28, v30, v32
	v_sub_f32_e32 v31, v29, v28
	v_pk_add_f32 v[34:35], v[28:29], v[30:31] neg_lo:[0,1] neg_hi:[0,1]
	v_mov_b32_e32 v33, v28
	v_pk_add_f32 v[28:29], v[34:35], v[32:33] neg_lo:[0,1] neg_hi:[0,1]
	v_cmp_eq_f32_e32 vcc, s3, v23
	v_add_f32_e32 v29, v39, v29
	v_add_f32_e32 v28, v28, v29
	;; [unrolled: 1-line block ×3, first 2 shown]
	v_mul_f32_e32 v39, v38, v29
	v_mul_f32_e32 v30, v37, v39
	v_fma_f32 v32, v39, v37, -v30
	v_fmac_f32_e32 v32, v39, v1
	v_sub_f32_e32 v1, v31, v29
	v_add_f32_e32 v1, v28, v1
	v_add_f32_e32 v28, v30, v32
	v_sub_f32_e32 v31, v29, v28
	v_pk_add_f32 v[34:35], v[28:29], v[30:31] neg_lo:[0,1] neg_hi:[0,1]
	v_mov_b32_e32 v33, v28
	v_pk_add_f32 v[28:29], v[34:35], v[32:33] neg_lo:[0,1] neg_hi:[0,1]
	v_cvt_f32_i32_e32 v30, v36
	v_add_f32_e32 v1, v1, v29
	v_add_f32_e32 v1, v28, v1
	;; [unrolled: 1-line block ×4, first 2 shown]
	v_sub_f32_e32 v29, v28, v40
	v_mul_f32_e32 v1, v38, v1
	v_sub_f32_e32 v29, v39, v29
	v_add_f32_e32 v1, v29, v1
	v_add_f32_e32 v31, v28, v1
	v_mul_f32_e32 v32, v31, v31
	v_mov_b32_e32 v29, 0x3ecc95a3
	v_fmac_f32_e32 v29, 0x3e9b6dac, v32
	v_sub_f32_e32 v28, v31, v28
	v_fmaak_f32 v29, v32, v29, 0x3f2aaada
	v_sub_f32_e32 v1, v1, v28
	v_ldexp_f32 v33, v31, 1
	v_mul_f32_e32 v31, v31, v32
	v_mov_b32_e32 v28, 0x3f317218
	v_pk_mul_f32 v[28:29], v[30:31], v[28:29]
	v_ldexp_f32 v1, v1, 1
	v_fma_f32 v31, v30, s2, -v28
	v_fmamk_f32 v32, v30, 0xb102e308, v31
	v_pk_add_f32 v[30:31], v[28:29], v[32:33]
	v_mov_b32_e32 v34, v28
	v_sub_f32_e32 v33, v31, v33
	v_sub_f32_e32 v33, v29, v33
	v_add_f32_e32 v35, v1, v33
	v_pk_add_f32 v[28:29], v[30:31], v[28:29] neg_lo:[0,1] neg_hi:[0,1]
	v_pk_add_f32 v[36:37], v[30:31], v[34:35]
	v_mov_b32_e32 v33, v30
	v_mov_b32_e32 v29, v37
	v_pk_add_f32 v[38:39], v[32:33], v[28:29] neg_lo:[0,1] neg_hi:[0,1]
	v_pk_add_f32 v[28:29], v[32:33], v[28:29]
	v_mov_b32_e32 v34, v35
	v_mov_b32_e32 v32, v29
	v_pk_add_f32 v[40:41], v[32:33], v[30:31] neg_lo:[0,1] neg_hi:[0,1]
	v_mov_b32_e32 v28, v37
	v_mov_b32_e32 v1, v40
	v_pk_add_f32 v[42:43], v[36:37], v[0:1] neg_lo:[0,1] neg_hi:[0,1]
	v_mov_b32_e32 v36, v31
	v_mov_b32_e32 v37, v40
	;; [unrolled: 1-line block ×3, first 2 shown]
	v_pk_add_f32 v[28:29], v[28:29], v[36:37] neg_lo:[0,1] neg_hi:[0,1]
	v_mov_b32_e32 v35, v30
	v_pk_add_f32 v[28:29], v[34:35], v[28:29] neg_lo:[0,1] neg_hi:[0,1]
	v_mov_b32_e32 v42, v38
	v_pk_add_f32 v[30:31], v[42:43], v[28:29]
	s_mov_b32 s2, 0x33800000
	v_mov_b32_e32 v34, v31
	v_pk_add_f32 v[34:35], v[30:31], v[34:35]
	v_cmp_lt_f32_e64 s[2:3], |v23|, s2
	v_pk_add_f32 v[32:33], v[32:33], v[34:35]
	v_mov_b32_e32 v29, v34
	v_mov_b32_e32 v31, v32
	v_pk_add_f32 v[36:37], v[30:31], v[38:39] neg_lo:[0,1] neg_hi:[0,1]
	s_or_b64 vcc, vcc, s[2:3]
	v_sub_f32_e32 v1, v30, v36
	v_pk_add_f32 v[28:29], v[28:29], v[36:37] neg_lo:[0,1] neg_hi:[0,1]
	v_sub_f32_e32 v1, v38, v1
	v_add_f32_e32 v1, v28, v1
	v_add_f32_e32 v1, v1, v29
	;; [unrolled: 1-line block ×3, first 2 shown]
	v_cndmask_b32_e32 v1, v1, v23, vcc
	v_add_f32_e32 v1, v24, v1
	v_cvt_f16_f32_e32 v31, v1
	v_cvt_f32_f16_e32 v1, v31
	v_mov_b32_e32 v23, v31
.LBB378_172:
	s_or_b64 exec, exec, s[0:1]
	v_max_f32_e32 v24, v6, v6
	v_max_f32_e32 v29, v1, v1
	v_min_f32_e32 v28, v29, v24
	v_cmp_u_f16_e32 vcc, v31, v31
	v_max_f32_e32 v24, v29, v24
	s_nop 0
	v_cndmask_b32_e32 v28, v28, v1, vcc
	v_cndmask_b32_e32 v24, v24, v1, vcc
	v_cndmask_b32_e64 v28, v28, v6, s[82:83]
	v_cndmask_b32_e64 v24, v24, v6, s[82:83]
	v_cmp_neq_f32_e32 vcc, v28, v24
	v_cmp_class_f32_e64 s[0:1], v28, s33
	s_or_b64 s[2:3], vcc, s[0:1]
	v_mov_b32_e32 v6, v23
	s_and_saveexec_b64 s[0:1], s[2:3]
	s_cbranch_execz .LBB378_174
; %bb.173:
	v_sub_f32_e32 v1, v28, v24
	s_mov_b32 s2, 0x3fb8aa3b
	v_mul_f32_e32 v6, 0x3fb8aa3b, v1
	v_fma_f32 v28, v1, s2, -v6
	v_rndne_f32_e32 v29, v6
	v_fmamk_f32 v28, v1, 0x32a5705f, v28
	v_sub_f32_e32 v6, v6, v29
	v_add_f32_e32 v6, v6, v28
	v_exp_f32_e32 v6, v6
	v_cvt_i32_f32_e32 v28, v29
	s_mov_b32 s2, 0xc2ce8ed0
	v_cmp_ngt_f32_e32 vcc, s2, v1
	s_mov_b32 s2, 0x42b17218
	v_ldexp_f32 v6, v6, v28
	v_cndmask_b32_e32 v6, 0, v6, vcc
	v_mov_b32_e32 v28, 0x7f800000
	v_cmp_nlt_f32_e32 vcc, s2, v1
	s_mov_b32 s2, 0x3f2aaaab
	s_mov_b32 s3, 0x7f800000
	v_cndmask_b32_e32 v42, v28, v6, vcc
	v_add_f32_e32 v1, 1.0, v42
	v_add_f32_e32 v6, -1.0, v1
	v_sub_f32_e32 v28, v6, v1
	v_add_f32_e32 v28, 1.0, v28
	v_sub_f32_e32 v6, v42, v6
	v_add_f32_e32 v6, v6, v28
	v_frexp_mant_f32_e32 v30, v1
	v_cvt_f64_f32_e32 v[28:29], v1
	v_frexp_exp_i32_f64_e32 v28, v[28:29]
	v_cmp_gt_f32_e32 vcc, s2, v30
	s_mov_b32 s2, 0x3f317218
	s_nop 0
	v_subbrev_co_u32_e32 v36, vcc, 0, v28, vcc
	v_sub_u32_e32 v28, 0, v36
	v_ldexp_f32 v1, v1, v28
	v_ldexp_f32 v6, v6, v28
	v_add_f32_e32 v28, -1.0, v1
	v_add_f32_e32 v29, 1.0, v28
	v_sub_f32_e32 v29, v1, v29
	v_add_f32_e32 v30, v6, v29
	v_add_f32_e32 v29, 1.0, v1
	v_add_f32_e32 v31, -1.0, v29
	v_sub_f32_e32 v1, v1, v31
	v_add_f32_e32 v1, v6, v1
	v_add_f32_e32 v6, v29, v1
	v_rcp_f32_e32 v37, v6
	v_sub_f32_e32 v29, v29, v6
	v_add_f32_e32 v1, v1, v29
	v_add_f32_e32 v29, v28, v30
	v_sub_f32_e32 v28, v28, v29
	v_mul_f32_e32 v39, v29, v37
	v_add_f32_e32 v38, v30, v28
	v_mul_f32_e32 v30, v6, v39
	s_waitcnt lgkmcnt(0)
	v_fma_f32 v32, v39, v6, -v30
	v_fmac_f32_e32 v32, v39, v1
	v_add_f32_e32 v28, v30, v32
	v_sub_f32_e32 v31, v29, v28
	v_pk_add_f32 v[34:35], v[28:29], v[30:31] neg_lo:[0,1] neg_hi:[0,1]
	v_mov_b32_e32 v33, v28
	v_pk_add_f32 v[28:29], v[34:35], v[32:33] neg_lo:[0,1] neg_hi:[0,1]
	v_cmp_eq_f32_e32 vcc, s3, v42
	v_add_f32_e32 v29, v38, v29
	v_add_f32_e32 v28, v28, v29
	;; [unrolled: 1-line block ×3, first 2 shown]
	v_mul_f32_e32 v38, v37, v29
	v_mul_f32_e32 v30, v6, v38
	v_fma_f32 v32, v38, v6, -v30
	v_fmac_f32_e32 v32, v38, v1
	v_sub_f32_e32 v1, v31, v29
	v_add_f32_e32 v1, v28, v1
	v_add_f32_e32 v28, v30, v32
	v_sub_f32_e32 v31, v29, v28
	v_pk_add_f32 v[34:35], v[28:29], v[30:31] neg_lo:[0,1] neg_hi:[0,1]
	v_mov_b32_e32 v33, v28
	v_pk_add_f32 v[28:29], v[34:35], v[32:33] neg_lo:[0,1] neg_hi:[0,1]
	v_add_f32_e32 v6, v39, v38
	v_add_f32_e32 v1, v1, v29
	;; [unrolled: 1-line block ×4, first 2 shown]
	v_sub_f32_e32 v28, v6, v39
	v_mul_f32_e32 v1, v37, v1
	v_sub_f32_e32 v28, v38, v28
	v_add_f32_e32 v1, v28, v1
	v_add_f32_e32 v28, v6, v1
	v_cvt_f32_i32_e32 v30, v36
	v_mul_f32_e32 v31, v28, v28
	v_mov_b32_e32 v29, 0x3ecc95a3
	v_fmac_f32_e32 v29, 0x3e9b6dac, v31
	v_fmaak_f32 v29, v31, v29, 0x3f2aaada
	v_sub_f32_e32 v6, v28, v6
	v_ldexp_f32 v33, v28, 1
	v_mul_f32_e32 v31, v28, v31
	v_mov_b32_e32 v28, 0x3f317218
	v_pk_mul_f32 v[28:29], v[30:31], v[28:29]
	v_sub_f32_e32 v1, v1, v6
	v_fma_f32 v6, v30, s2, -v28
	v_fmamk_f32 v32, v30, 0xb102e308, v6
	v_pk_add_f32 v[30:31], v[28:29], v[32:33]
	v_ldexp_f32 v1, v1, 1
	v_sub_f32_e32 v6, v31, v33
	v_sub_f32_e32 v6, v29, v6
	v_add_f32_e32 v35, v1, v6
	v_mov_b32_e32 v34, v28
	v_pk_add_f32 v[28:29], v[30:31], v[28:29] neg_lo:[0,1] neg_hi:[0,1]
	v_pk_add_f32 v[36:37], v[30:31], v[34:35]
	v_mov_b32_e32 v33, v30
	v_mov_b32_e32 v29, v37
	v_pk_add_f32 v[38:39], v[32:33], v[28:29] neg_lo:[0,1] neg_hi:[0,1]
	v_pk_add_f32 v[28:29], v[32:33], v[28:29]
	s_mov_b32 s2, 0x33800000
	v_mov_b32_e32 v6, v29
	v_pk_add_f32 v[32:33], v[6:7], v[30:31] neg_lo:[0,1] neg_hi:[0,1]
	v_mov_b32_e32 v28, v37
	v_mov_b32_e32 v1, v32
	v_pk_add_f32 v[40:41], v[36:37], v[0:1] neg_lo:[0,1] neg_hi:[0,1]
	v_mov_b32_e32 v36, v31
	v_mov_b32_e32 v37, v32
	;; [unrolled: 1-line block ×3, first 2 shown]
	v_pk_add_f32 v[28:29], v[28:29], v[36:37] neg_lo:[0,1] neg_hi:[0,1]
	v_mov_b32_e32 v32, v35
	v_mov_b32_e32 v33, v30
	v_pk_add_f32 v[28:29], v[32:33], v[28:29] neg_lo:[0,1] neg_hi:[0,1]
	v_mov_b32_e32 v40, v38
	v_pk_add_f32 v[30:31], v[40:41], v[28:29]
	v_cmp_lt_f32_e64 s[2:3], |v42|, s2
	v_mov_b32_e32 v32, v31
	v_pk_add_f32 v[32:33], v[30:31], v[32:33]
	s_or_b64 vcc, vcc, s[2:3]
	v_pk_add_f32 v[34:35], v[6:7], v[32:33]
	v_mov_b32_e32 v29, v32
	v_mov_b32_e32 v31, v34
	v_pk_add_f32 v[36:37], v[30:31], v[38:39] neg_lo:[0,1] neg_hi:[0,1]
	s_nop 0
	v_sub_f32_e32 v1, v30, v36
	v_pk_add_f32 v[28:29], v[28:29], v[36:37] neg_lo:[0,1] neg_hi:[0,1]
	v_sub_f32_e32 v1, v38, v1
	v_add_f32_e32 v1, v28, v1
	v_add_f32_e32 v1, v1, v29
	;; [unrolled: 1-line block ×3, first 2 shown]
	v_cndmask_b32_e32 v1, v1, v42, vcc
	v_add_f32_e32 v1, v24, v1
	v_cvt_f16_f32_e32 v31, v1
	v_cvt_f32_f16_e32 v1, v31
	v_mov_b32_e32 v6, v31
.LBB378_174:
	s_or_b64 exec, exec, s[0:1]
	v_max_f32_e32 v24, v25, v25
	v_max_f32_e32 v29, v1, v1
	v_min_f32_e32 v28, v29, v24
	v_cmp_u_f16_e32 vcc, v31, v31
	v_max_f32_e32 v24, v29, v24
	s_nop 0
	v_cndmask_b32_e32 v28, v28, v1, vcc
	v_cndmask_b32_e32 v24, v24, v1, vcc
	v_cndmask_b32_e64 v28, v28, v25, s[84:85]
	v_cndmask_b32_e64 v25, v24, v25, s[84:85]
	v_cmp_neq_f32_e32 vcc, v28, v25
	v_cmp_class_f32_e64 s[0:1], v28, s33
	s_or_b64 s[2:3], vcc, s[0:1]
	v_mov_b32_e32 v24, v6
	s_and_saveexec_b64 s[0:1], s[2:3]
	s_cbranch_execz .LBB378_176
; %bb.175:
	v_sub_f32_e32 v1, v28, v25
	s_mov_b32 s2, 0x3fb8aa3b
	v_mul_f32_e32 v24, 0x3fb8aa3b, v1
	v_fma_f32 v28, v1, s2, -v24
	v_rndne_f32_e32 v29, v24
	v_fmamk_f32 v28, v1, 0x32a5705f, v28
	v_sub_f32_e32 v24, v24, v29
	v_add_f32_e32 v24, v24, v28
	v_exp_f32_e32 v24, v24
	v_cvt_i32_f32_e32 v28, v29
	s_mov_b32 s2, 0xc2ce8ed0
	v_cmp_ngt_f32_e32 vcc, s2, v1
	s_mov_b32 s2, 0x42b17218
	v_ldexp_f32 v24, v24, v28
	v_cndmask_b32_e32 v24, 0, v24, vcc
	v_mov_b32_e32 v28, 0x7f800000
	v_cmp_nlt_f32_e32 vcc, s2, v1
	s_mov_b32 s2, 0x3f2aaaab
	s_mov_b32 s3, 0x7f800000
	v_cndmask_b32_e32 v42, v28, v24, vcc
	v_add_f32_e32 v1, 1.0, v42
	v_add_f32_e32 v24, -1.0, v1
	v_sub_f32_e32 v28, v24, v1
	v_add_f32_e32 v28, 1.0, v28
	v_sub_f32_e32 v24, v42, v24
	v_add_f32_e32 v24, v24, v28
	v_frexp_mant_f32_e32 v30, v1
	v_cvt_f64_f32_e32 v[28:29], v1
	v_frexp_exp_i32_f64_e32 v28, v[28:29]
	v_cmp_gt_f32_e32 vcc, s2, v30
	s_mov_b32 s2, 0x3f317218
	s_nop 0
	v_subbrev_co_u32_e32 v36, vcc, 0, v28, vcc
	v_sub_u32_e32 v28, 0, v36
	v_ldexp_f32 v1, v1, v28
	v_ldexp_f32 v24, v24, v28
	v_add_f32_e32 v28, -1.0, v1
	v_add_f32_e32 v29, 1.0, v28
	v_sub_f32_e32 v29, v1, v29
	v_add_f32_e32 v30, v24, v29
	v_add_f32_e32 v29, 1.0, v1
	v_add_f32_e32 v31, -1.0, v29
	v_sub_f32_e32 v1, v1, v31
	v_add_f32_e32 v1, v24, v1
	v_add_f32_e32 v24, v29, v1
	v_rcp_f32_e32 v37, v24
	v_sub_f32_e32 v29, v29, v24
	v_add_f32_e32 v1, v1, v29
	v_add_f32_e32 v29, v28, v30
	v_sub_f32_e32 v28, v28, v29
	v_mul_f32_e32 v39, v29, v37
	v_add_f32_e32 v38, v30, v28
	v_mul_f32_e32 v30, v24, v39
	s_waitcnt lgkmcnt(0)
	v_fma_f32 v32, v39, v24, -v30
	v_fmac_f32_e32 v32, v39, v1
	v_add_f32_e32 v28, v30, v32
	v_sub_f32_e32 v31, v29, v28
	v_pk_add_f32 v[34:35], v[28:29], v[30:31] neg_lo:[0,1] neg_hi:[0,1]
	v_mov_b32_e32 v33, v28
	v_pk_add_f32 v[28:29], v[34:35], v[32:33] neg_lo:[0,1] neg_hi:[0,1]
	v_cmp_eq_f32_e32 vcc, s3, v42
	v_add_f32_e32 v29, v38, v29
	v_add_f32_e32 v28, v28, v29
	;; [unrolled: 1-line block ×3, first 2 shown]
	v_mul_f32_e32 v38, v37, v29
	v_mul_f32_e32 v30, v24, v38
	v_fma_f32 v32, v38, v24, -v30
	v_fmac_f32_e32 v32, v38, v1
	v_sub_f32_e32 v1, v31, v29
	v_add_f32_e32 v1, v28, v1
	v_add_f32_e32 v28, v30, v32
	v_sub_f32_e32 v31, v29, v28
	v_pk_add_f32 v[34:35], v[28:29], v[30:31] neg_lo:[0,1] neg_hi:[0,1]
	v_mov_b32_e32 v33, v28
	v_pk_add_f32 v[28:29], v[34:35], v[32:33] neg_lo:[0,1] neg_hi:[0,1]
	v_add_f32_e32 v24, v39, v38
	v_add_f32_e32 v1, v1, v29
	;; [unrolled: 1-line block ×4, first 2 shown]
	v_sub_f32_e32 v28, v24, v39
	v_mul_f32_e32 v1, v37, v1
	v_sub_f32_e32 v28, v38, v28
	v_add_f32_e32 v1, v28, v1
	v_add_f32_e32 v28, v24, v1
	v_cvt_f32_i32_e32 v30, v36
	v_mul_f32_e32 v31, v28, v28
	v_mov_b32_e32 v29, 0x3ecc95a3
	v_fmac_f32_e32 v29, 0x3e9b6dac, v31
	v_fmaak_f32 v29, v31, v29, 0x3f2aaada
	v_sub_f32_e32 v24, v28, v24
	v_ldexp_f32 v33, v28, 1
	v_mul_f32_e32 v31, v28, v31
	v_mov_b32_e32 v28, 0x3f317218
	v_pk_mul_f32 v[28:29], v[30:31], v[28:29]
	v_sub_f32_e32 v1, v1, v24
	v_fma_f32 v24, v30, s2, -v28
	v_fmamk_f32 v32, v30, 0xb102e308, v24
	v_pk_add_f32 v[30:31], v[28:29], v[32:33]
	v_ldexp_f32 v1, v1, 1
	v_sub_f32_e32 v24, v31, v33
	v_sub_f32_e32 v24, v29, v24
	v_add_f32_e32 v35, v1, v24
	v_mov_b32_e32 v34, v28
	v_pk_add_f32 v[28:29], v[30:31], v[28:29] neg_lo:[0,1] neg_hi:[0,1]
	v_pk_add_f32 v[36:37], v[30:31], v[34:35]
	v_mov_b32_e32 v33, v30
	v_mov_b32_e32 v29, v37
	v_pk_add_f32 v[38:39], v[32:33], v[28:29] neg_lo:[0,1] neg_hi:[0,1]
	v_pk_add_f32 v[28:29], v[32:33], v[28:29]
	s_mov_b32 s2, 0x33800000
	v_mov_b32_e32 v24, v29
	v_pk_add_f32 v[32:33], v[24:25], v[30:31] neg_lo:[0,1] neg_hi:[0,1]
	v_mov_b32_e32 v28, v37
	v_mov_b32_e32 v1, v32
	v_pk_add_f32 v[40:41], v[36:37], v[0:1] neg_lo:[0,1] neg_hi:[0,1]
	v_mov_b32_e32 v36, v31
	v_mov_b32_e32 v37, v32
	;; [unrolled: 1-line block ×3, first 2 shown]
	v_pk_add_f32 v[28:29], v[28:29], v[36:37] neg_lo:[0,1] neg_hi:[0,1]
	v_mov_b32_e32 v32, v35
	v_mov_b32_e32 v33, v30
	v_pk_add_f32 v[28:29], v[32:33], v[28:29] neg_lo:[0,1] neg_hi:[0,1]
	v_mov_b32_e32 v40, v38
	v_pk_add_f32 v[30:31], v[40:41], v[28:29]
	v_cmp_lt_f32_e64 s[2:3], |v42|, s2
	v_mov_b32_e32 v32, v31
	v_pk_add_f32 v[32:33], v[30:31], v[32:33]
	s_or_b64 vcc, vcc, s[2:3]
	v_pk_add_f32 v[34:35], v[24:25], v[32:33]
	v_mov_b32_e32 v29, v32
	v_mov_b32_e32 v31, v34
	v_pk_add_f32 v[36:37], v[30:31], v[38:39] neg_lo:[0,1] neg_hi:[0,1]
	s_nop 0
	v_sub_f32_e32 v1, v30, v36
	v_pk_add_f32 v[28:29], v[28:29], v[36:37] neg_lo:[0,1] neg_hi:[0,1]
	v_sub_f32_e32 v1, v38, v1
	v_add_f32_e32 v1, v28, v1
	v_add_f32_e32 v1, v1, v29
	;; [unrolled: 1-line block ×3, first 2 shown]
	v_cndmask_b32_e32 v1, v1, v42, vcc
	v_add_f32_e32 v1, v25, v1
	v_cvt_f16_f32_e32 v31, v1
	v_cvt_f32_f16_e32 v1, v31
	v_mov_b32_e32 v24, v31
.LBB378_176:
	s_or_b64 exec, exec, s[0:1]
	v_max_f32_e32 v25, v7, v7
	v_max_f32_e32 v29, v1, v1
	v_min_f32_e32 v28, v29, v25
	v_cmp_u_f16_e32 vcc, v31, v31
	v_max_f32_e32 v25, v29, v25
	s_nop 0
	v_cndmask_b32_e32 v28, v28, v1, vcc
	v_cndmask_b32_e32 v25, v25, v1, vcc
	v_cndmask_b32_e64 v28, v28, v7, s[86:87]
	v_cndmask_b32_e64 v25, v25, v7, s[86:87]
	v_cmp_neq_f32_e32 vcc, v28, v25
	v_cmp_class_f32_e64 s[0:1], v28, s33
	s_or_b64 s[2:3], vcc, s[0:1]
	v_mov_b32_e32 v7, v24
	s_and_saveexec_b64 s[0:1], s[2:3]
	s_cbranch_execz .LBB378_178
; %bb.177:
	v_sub_f32_e32 v1, v28, v25
	s_mov_b32 s2, 0x3fb8aa3b
	v_mul_f32_e32 v7, 0x3fb8aa3b, v1
	v_fma_f32 v28, v1, s2, -v7
	v_rndne_f32_e32 v29, v7
	v_fmamk_f32 v28, v1, 0x32a5705f, v28
	v_sub_f32_e32 v7, v7, v29
	v_add_f32_e32 v7, v7, v28
	v_exp_f32_e32 v7, v7
	v_cvt_i32_f32_e32 v28, v29
	s_mov_b32 s2, 0xc2ce8ed0
	v_cmp_ngt_f32_e32 vcc, s2, v1
	s_mov_b32 s2, 0x42b17218
	v_ldexp_f32 v7, v7, v28
	v_cndmask_b32_e32 v7, 0, v7, vcc
	v_mov_b32_e32 v28, 0x7f800000
	v_cmp_nlt_f32_e32 vcc, s2, v1
	s_mov_b32 s2, 0x3f2aaaab
	s_mov_b32 s3, 0x7f800000
	v_cndmask_b32_e32 v7, v28, v7, vcc
	v_add_f32_e32 v1, 1.0, v7
	v_add_f32_e32 v28, -1.0, v1
	v_sub_f32_e32 v29, v28, v1
	v_add_f32_e32 v29, 1.0, v29
	v_sub_f32_e32 v28, v7, v28
	v_add_f32_e32 v30, v28, v29
	v_frexp_mant_f32_e32 v31, v1
	v_cvt_f64_f32_e32 v[28:29], v1
	v_frexp_exp_i32_f64_e32 v28, v[28:29]
	v_cmp_gt_f32_e32 vcc, s2, v31
	s_mov_b32 s2, 0x3f317218
	s_nop 0
	v_subbrev_co_u32_e32 v36, vcc, 0, v28, vcc
	v_sub_u32_e32 v28, 0, v36
	v_ldexp_f32 v1, v1, v28
	v_ldexp_f32 v28, v30, v28
	v_add_f32_e32 v30, -1.0, v1
	v_add_f32_e32 v29, 1.0, v30
	v_sub_f32_e32 v29, v1, v29
	v_add_f32_e32 v31, v28, v29
	v_add_f32_e32 v29, 1.0, v1
	s_waitcnt lgkmcnt(0)
	v_add_f32_e32 v32, -1.0, v29
	v_sub_f32_e32 v1, v1, v32
	v_add_f32_e32 v1, v28, v1
	v_add_f32_e32 v37, v29, v1
	v_rcp_f32_e32 v38, v37
	v_sub_f32_e32 v28, v29, v37
	v_add_f32_e32 v29, v30, v31
	v_add_f32_e32 v1, v1, v28
	v_mul_f32_e32 v40, v29, v38
	v_sub_f32_e32 v28, v30, v29
	v_mul_f32_e32 v30, v37, v40
	v_fma_f32 v32, v40, v37, -v30
	v_fmac_f32_e32 v32, v40, v1
	v_add_f32_e32 v39, v31, v28
	v_add_f32_e32 v28, v30, v32
	v_sub_f32_e32 v31, v29, v28
	v_pk_add_f32 v[34:35], v[28:29], v[30:31] neg_lo:[0,1] neg_hi:[0,1]
	v_mov_b32_e32 v33, v28
	v_pk_add_f32 v[28:29], v[34:35], v[32:33] neg_lo:[0,1] neg_hi:[0,1]
	v_cmp_eq_f32_e32 vcc, s3, v7
	v_add_f32_e32 v29, v39, v29
	v_add_f32_e32 v28, v28, v29
	;; [unrolled: 1-line block ×3, first 2 shown]
	v_mul_f32_e32 v39, v38, v29
	v_mul_f32_e32 v30, v37, v39
	v_fma_f32 v32, v39, v37, -v30
	v_fmac_f32_e32 v32, v39, v1
	v_sub_f32_e32 v1, v31, v29
	v_add_f32_e32 v1, v28, v1
	v_add_f32_e32 v28, v30, v32
	v_sub_f32_e32 v31, v29, v28
	v_pk_add_f32 v[34:35], v[28:29], v[30:31] neg_lo:[0,1] neg_hi:[0,1]
	v_mov_b32_e32 v33, v28
	v_pk_add_f32 v[28:29], v[34:35], v[32:33] neg_lo:[0,1] neg_hi:[0,1]
	v_cvt_f32_i32_e32 v30, v36
	v_add_f32_e32 v1, v1, v29
	v_add_f32_e32 v1, v28, v1
	;; [unrolled: 1-line block ×4, first 2 shown]
	v_sub_f32_e32 v29, v28, v40
	v_mul_f32_e32 v1, v38, v1
	v_sub_f32_e32 v29, v39, v29
	v_add_f32_e32 v1, v29, v1
	v_add_f32_e32 v31, v28, v1
	v_mul_f32_e32 v32, v31, v31
	v_mov_b32_e32 v29, 0x3ecc95a3
	v_fmac_f32_e32 v29, 0x3e9b6dac, v32
	v_sub_f32_e32 v28, v31, v28
	v_fmaak_f32 v29, v32, v29, 0x3f2aaada
	v_sub_f32_e32 v1, v1, v28
	v_ldexp_f32 v33, v31, 1
	v_mul_f32_e32 v31, v31, v32
	v_mov_b32_e32 v28, 0x3f317218
	v_pk_mul_f32 v[28:29], v[30:31], v[28:29]
	v_ldexp_f32 v1, v1, 1
	v_fma_f32 v31, v30, s2, -v28
	v_fmamk_f32 v32, v30, 0xb102e308, v31
	v_pk_add_f32 v[30:31], v[28:29], v[32:33]
	v_mov_b32_e32 v34, v28
	v_sub_f32_e32 v33, v31, v33
	v_sub_f32_e32 v33, v29, v33
	v_add_f32_e32 v35, v1, v33
	v_pk_add_f32 v[28:29], v[30:31], v[28:29] neg_lo:[0,1] neg_hi:[0,1]
	v_pk_add_f32 v[36:37], v[30:31], v[34:35]
	v_mov_b32_e32 v33, v30
	v_mov_b32_e32 v29, v37
	v_pk_add_f32 v[38:39], v[32:33], v[28:29] neg_lo:[0,1] neg_hi:[0,1]
	v_pk_add_f32 v[28:29], v[32:33], v[28:29]
	v_mov_b32_e32 v34, v35
	v_mov_b32_e32 v32, v29
	v_pk_add_f32 v[40:41], v[32:33], v[30:31] neg_lo:[0,1] neg_hi:[0,1]
	v_mov_b32_e32 v28, v37
	v_mov_b32_e32 v1, v40
	v_pk_add_f32 v[42:43], v[36:37], v[0:1] neg_lo:[0,1] neg_hi:[0,1]
	v_mov_b32_e32 v36, v31
	v_mov_b32_e32 v37, v40
	;; [unrolled: 1-line block ×3, first 2 shown]
	v_pk_add_f32 v[28:29], v[28:29], v[36:37] neg_lo:[0,1] neg_hi:[0,1]
	v_mov_b32_e32 v35, v30
	v_pk_add_f32 v[28:29], v[34:35], v[28:29] neg_lo:[0,1] neg_hi:[0,1]
	v_mov_b32_e32 v42, v38
	v_pk_add_f32 v[30:31], v[42:43], v[28:29]
	s_mov_b32 s2, 0x33800000
	v_mov_b32_e32 v34, v31
	v_pk_add_f32 v[34:35], v[30:31], v[34:35]
	v_cmp_lt_f32_e64 s[2:3], |v7|, s2
	v_pk_add_f32 v[32:33], v[32:33], v[34:35]
	v_mov_b32_e32 v29, v34
	v_mov_b32_e32 v31, v32
	v_pk_add_f32 v[36:37], v[30:31], v[38:39] neg_lo:[0,1] neg_hi:[0,1]
	s_or_b64 vcc, vcc, s[2:3]
	v_sub_f32_e32 v1, v30, v36
	v_pk_add_f32 v[28:29], v[28:29], v[36:37] neg_lo:[0,1] neg_hi:[0,1]
	v_sub_f32_e32 v1, v38, v1
	v_add_f32_e32 v1, v28, v1
	v_add_f32_e32 v1, v1, v29
	;; [unrolled: 1-line block ×3, first 2 shown]
	v_cndmask_b32_e32 v1, v1, v7, vcc
	v_add_f32_e32 v1, v25, v1
	v_cvt_f16_f32_e32 v31, v1
	v_cvt_f32_f16_e32 v1, v31
	v_mov_b32_e32 v7, v31
.LBB378_178:
	s_or_b64 exec, exec, s[0:1]
	v_max_f32_e32 v25, v26, v26
	v_max_f32_e32 v29, v1, v1
	v_min_f32_e32 v28, v29, v25
	v_cmp_u_f16_e32 vcc, v31, v31
	v_max_f32_e32 v25, v29, v25
	s_nop 0
	v_cndmask_b32_e32 v28, v28, v1, vcc
	v_cndmask_b32_e32 v25, v25, v1, vcc
	v_cndmask_b32_e64 v28, v28, v26, s[88:89]
	v_cndmask_b32_e64 v26, v25, v26, s[88:89]
	v_cmp_neq_f32_e32 vcc, v28, v26
	v_cmp_class_f32_e64 s[0:1], v28, s33
	s_or_b64 s[2:3], vcc, s[0:1]
	v_mov_b32_e32 v25, v7
	s_and_saveexec_b64 s[0:1], s[2:3]
	s_cbranch_execz .LBB378_180
; %bb.179:
	v_sub_f32_e32 v1, v28, v26
	s_mov_b32 s2, 0x3fb8aa3b
	v_mul_f32_e32 v25, 0x3fb8aa3b, v1
	v_fma_f32 v28, v1, s2, -v25
	v_rndne_f32_e32 v29, v25
	v_fmamk_f32 v28, v1, 0x32a5705f, v28
	v_sub_f32_e32 v25, v25, v29
	v_add_f32_e32 v25, v25, v28
	v_exp_f32_e32 v25, v25
	v_cvt_i32_f32_e32 v28, v29
	s_mov_b32 s2, 0xc2ce8ed0
	v_cmp_ngt_f32_e32 vcc, s2, v1
	s_mov_b32 s2, 0x42b17218
	v_ldexp_f32 v25, v25, v28
	v_cndmask_b32_e32 v25, 0, v25, vcc
	v_mov_b32_e32 v28, 0x7f800000
	v_cmp_nlt_f32_e32 vcc, s2, v1
	s_mov_b32 s2, 0x3f2aaaab
	s_mov_b32 s3, 0x7f800000
	v_cndmask_b32_e32 v25, v28, v25, vcc
	v_add_f32_e32 v1, 1.0, v25
	v_add_f32_e32 v28, -1.0, v1
	v_sub_f32_e32 v29, v28, v1
	v_add_f32_e32 v29, 1.0, v29
	v_sub_f32_e32 v28, v25, v28
	v_add_f32_e32 v30, v28, v29
	v_frexp_mant_f32_e32 v31, v1
	v_cvt_f64_f32_e32 v[28:29], v1
	v_frexp_exp_i32_f64_e32 v28, v[28:29]
	v_cmp_gt_f32_e32 vcc, s2, v31
	s_mov_b32 s2, 0x3f317218
	s_nop 0
	v_subbrev_co_u32_e32 v36, vcc, 0, v28, vcc
	v_sub_u32_e32 v28, 0, v36
	v_ldexp_f32 v1, v1, v28
	v_ldexp_f32 v28, v30, v28
	v_add_f32_e32 v30, -1.0, v1
	v_add_f32_e32 v29, 1.0, v30
	v_sub_f32_e32 v29, v1, v29
	v_add_f32_e32 v31, v28, v29
	v_add_f32_e32 v29, 1.0, v1
	s_waitcnt lgkmcnt(0)
	v_add_f32_e32 v32, -1.0, v29
	v_sub_f32_e32 v1, v1, v32
	v_add_f32_e32 v1, v28, v1
	v_add_f32_e32 v37, v29, v1
	v_rcp_f32_e32 v38, v37
	v_sub_f32_e32 v28, v29, v37
	v_add_f32_e32 v29, v30, v31
	v_add_f32_e32 v1, v1, v28
	v_mul_f32_e32 v40, v29, v38
	v_sub_f32_e32 v28, v30, v29
	v_mul_f32_e32 v30, v37, v40
	v_fma_f32 v32, v40, v37, -v30
	v_fmac_f32_e32 v32, v40, v1
	v_add_f32_e32 v39, v31, v28
	v_add_f32_e32 v28, v30, v32
	v_sub_f32_e32 v31, v29, v28
	v_pk_add_f32 v[34:35], v[28:29], v[30:31] neg_lo:[0,1] neg_hi:[0,1]
	v_mov_b32_e32 v33, v28
	v_pk_add_f32 v[28:29], v[34:35], v[32:33] neg_lo:[0,1] neg_hi:[0,1]
	v_cmp_eq_f32_e32 vcc, s3, v25
	v_add_f32_e32 v29, v39, v29
	v_add_f32_e32 v28, v28, v29
	;; [unrolled: 1-line block ×3, first 2 shown]
	v_mul_f32_e32 v39, v38, v29
	v_mul_f32_e32 v30, v37, v39
	v_fma_f32 v32, v39, v37, -v30
	v_fmac_f32_e32 v32, v39, v1
	v_sub_f32_e32 v1, v31, v29
	v_add_f32_e32 v1, v28, v1
	v_add_f32_e32 v28, v30, v32
	v_sub_f32_e32 v31, v29, v28
	v_pk_add_f32 v[34:35], v[28:29], v[30:31] neg_lo:[0,1] neg_hi:[0,1]
	v_mov_b32_e32 v33, v28
	v_pk_add_f32 v[28:29], v[34:35], v[32:33] neg_lo:[0,1] neg_hi:[0,1]
	v_cvt_f32_i32_e32 v30, v36
	v_add_f32_e32 v1, v1, v29
	v_add_f32_e32 v1, v28, v1
	;; [unrolled: 1-line block ×4, first 2 shown]
	v_sub_f32_e32 v29, v28, v40
	v_mul_f32_e32 v1, v38, v1
	v_sub_f32_e32 v29, v39, v29
	v_add_f32_e32 v1, v29, v1
	v_add_f32_e32 v31, v28, v1
	v_mul_f32_e32 v32, v31, v31
	v_mov_b32_e32 v29, 0x3ecc95a3
	v_fmac_f32_e32 v29, 0x3e9b6dac, v32
	v_sub_f32_e32 v28, v31, v28
	v_fmaak_f32 v29, v32, v29, 0x3f2aaada
	v_sub_f32_e32 v1, v1, v28
	v_ldexp_f32 v33, v31, 1
	v_mul_f32_e32 v31, v31, v32
	v_mov_b32_e32 v28, 0x3f317218
	v_pk_mul_f32 v[28:29], v[30:31], v[28:29]
	v_ldexp_f32 v1, v1, 1
	v_fma_f32 v31, v30, s2, -v28
	v_fmamk_f32 v32, v30, 0xb102e308, v31
	v_pk_add_f32 v[30:31], v[28:29], v[32:33]
	v_mov_b32_e32 v34, v28
	v_sub_f32_e32 v33, v31, v33
	v_sub_f32_e32 v33, v29, v33
	v_add_f32_e32 v35, v1, v33
	v_pk_add_f32 v[28:29], v[30:31], v[28:29] neg_lo:[0,1] neg_hi:[0,1]
	v_pk_add_f32 v[36:37], v[30:31], v[34:35]
	v_mov_b32_e32 v33, v30
	v_mov_b32_e32 v29, v37
	v_pk_add_f32 v[38:39], v[32:33], v[28:29] neg_lo:[0,1] neg_hi:[0,1]
	v_pk_add_f32 v[28:29], v[32:33], v[28:29]
	v_mov_b32_e32 v34, v35
	v_mov_b32_e32 v32, v29
	v_pk_add_f32 v[40:41], v[32:33], v[30:31] neg_lo:[0,1] neg_hi:[0,1]
	v_mov_b32_e32 v28, v37
	v_mov_b32_e32 v1, v40
	v_pk_add_f32 v[42:43], v[36:37], v[0:1] neg_lo:[0,1] neg_hi:[0,1]
	v_mov_b32_e32 v36, v31
	v_mov_b32_e32 v37, v40
	;; [unrolled: 1-line block ×3, first 2 shown]
	v_pk_add_f32 v[28:29], v[28:29], v[36:37] neg_lo:[0,1] neg_hi:[0,1]
	v_mov_b32_e32 v35, v30
	v_pk_add_f32 v[28:29], v[34:35], v[28:29] neg_lo:[0,1] neg_hi:[0,1]
	v_mov_b32_e32 v42, v38
	v_pk_add_f32 v[30:31], v[42:43], v[28:29]
	s_mov_b32 s2, 0x33800000
	v_mov_b32_e32 v34, v31
	v_pk_add_f32 v[34:35], v[30:31], v[34:35]
	v_cmp_lt_f32_e64 s[2:3], |v25|, s2
	v_pk_add_f32 v[32:33], v[32:33], v[34:35]
	v_mov_b32_e32 v29, v34
	v_mov_b32_e32 v31, v32
	v_pk_add_f32 v[36:37], v[30:31], v[38:39] neg_lo:[0,1] neg_hi:[0,1]
	s_or_b64 vcc, vcc, s[2:3]
	v_sub_f32_e32 v1, v30, v36
	v_pk_add_f32 v[28:29], v[28:29], v[36:37] neg_lo:[0,1] neg_hi:[0,1]
	v_sub_f32_e32 v1, v38, v1
	v_add_f32_e32 v1, v28, v1
	v_add_f32_e32 v1, v1, v29
	;; [unrolled: 1-line block ×3, first 2 shown]
	v_cndmask_b32_e32 v1, v1, v25, vcc
	v_add_f32_e32 v1, v26, v1
	v_cvt_f16_f32_e32 v31, v1
	v_cvt_f32_f16_e32 v1, v31
	v_mov_b32_e32 v25, v31
.LBB378_180:
	s_or_b64 exec, exec, s[0:1]
	v_max_f32_e32 v26, v8, v8
	v_max_f32_e32 v29, v1, v1
	v_min_f32_e32 v28, v29, v26
	v_cmp_u_f16_e32 vcc, v31, v31
	v_max_f32_e32 v26, v29, v26
	s_nop 0
	v_cndmask_b32_e32 v28, v28, v1, vcc
	v_cndmask_b32_e32 v26, v26, v1, vcc
	v_cndmask_b32_e64 v28, v28, v8, s[90:91]
	v_cndmask_b32_e64 v26, v26, v8, s[90:91]
	v_cmp_neq_f32_e32 vcc, v28, v26
	v_cmp_class_f32_e64 s[0:1], v28, s33
	s_or_b64 s[2:3], vcc, s[0:1]
	v_mov_b32_e32 v8, v25
	s_and_saveexec_b64 s[0:1], s[2:3]
	s_cbranch_execz .LBB378_182
; %bb.181:
	v_sub_f32_e32 v1, v28, v26
	s_mov_b32 s2, 0x3fb8aa3b
	v_mul_f32_e32 v8, 0x3fb8aa3b, v1
	v_fma_f32 v28, v1, s2, -v8
	v_rndne_f32_e32 v29, v8
	v_fmamk_f32 v28, v1, 0x32a5705f, v28
	v_sub_f32_e32 v8, v8, v29
	v_add_f32_e32 v8, v8, v28
	v_exp_f32_e32 v8, v8
	v_cvt_i32_f32_e32 v28, v29
	s_mov_b32 s2, 0xc2ce8ed0
	v_cmp_ngt_f32_e32 vcc, s2, v1
	s_mov_b32 s2, 0x42b17218
	v_ldexp_f32 v8, v8, v28
	v_cndmask_b32_e32 v8, 0, v8, vcc
	v_mov_b32_e32 v28, 0x7f800000
	v_cmp_nlt_f32_e32 vcc, s2, v1
	s_mov_b32 s2, 0x3f2aaaab
	s_mov_b32 s3, 0x7f800000
	v_cndmask_b32_e32 v42, v28, v8, vcc
	v_add_f32_e32 v1, 1.0, v42
	v_add_f32_e32 v8, -1.0, v1
	v_sub_f32_e32 v28, v8, v1
	v_add_f32_e32 v28, 1.0, v28
	v_sub_f32_e32 v8, v42, v8
	v_add_f32_e32 v8, v8, v28
	v_frexp_mant_f32_e32 v30, v1
	v_cvt_f64_f32_e32 v[28:29], v1
	v_frexp_exp_i32_f64_e32 v28, v[28:29]
	v_cmp_gt_f32_e32 vcc, s2, v30
	s_mov_b32 s2, 0x3f317218
	s_nop 0
	v_subbrev_co_u32_e32 v36, vcc, 0, v28, vcc
	v_sub_u32_e32 v28, 0, v36
	v_ldexp_f32 v1, v1, v28
	v_ldexp_f32 v8, v8, v28
	v_add_f32_e32 v28, -1.0, v1
	v_add_f32_e32 v29, 1.0, v28
	v_sub_f32_e32 v29, v1, v29
	v_add_f32_e32 v30, v8, v29
	v_add_f32_e32 v29, 1.0, v1
	v_add_f32_e32 v31, -1.0, v29
	v_sub_f32_e32 v1, v1, v31
	v_add_f32_e32 v1, v8, v1
	v_add_f32_e32 v8, v29, v1
	v_rcp_f32_e32 v37, v8
	v_sub_f32_e32 v29, v29, v8
	v_add_f32_e32 v1, v1, v29
	v_add_f32_e32 v29, v28, v30
	v_sub_f32_e32 v28, v28, v29
	v_mul_f32_e32 v39, v29, v37
	v_add_f32_e32 v38, v30, v28
	v_mul_f32_e32 v30, v8, v39
	s_waitcnt lgkmcnt(0)
	v_fma_f32 v32, v39, v8, -v30
	v_fmac_f32_e32 v32, v39, v1
	v_add_f32_e32 v28, v30, v32
	v_sub_f32_e32 v31, v29, v28
	v_pk_add_f32 v[34:35], v[28:29], v[30:31] neg_lo:[0,1] neg_hi:[0,1]
	v_mov_b32_e32 v33, v28
	v_pk_add_f32 v[28:29], v[34:35], v[32:33] neg_lo:[0,1] neg_hi:[0,1]
	v_cmp_eq_f32_e32 vcc, s3, v42
	v_add_f32_e32 v29, v38, v29
	v_add_f32_e32 v28, v28, v29
	;; [unrolled: 1-line block ×3, first 2 shown]
	v_mul_f32_e32 v38, v37, v29
	v_mul_f32_e32 v30, v8, v38
	v_fma_f32 v32, v38, v8, -v30
	v_fmac_f32_e32 v32, v38, v1
	v_sub_f32_e32 v1, v31, v29
	v_add_f32_e32 v1, v28, v1
	v_add_f32_e32 v28, v30, v32
	v_sub_f32_e32 v31, v29, v28
	v_pk_add_f32 v[34:35], v[28:29], v[30:31] neg_lo:[0,1] neg_hi:[0,1]
	v_mov_b32_e32 v33, v28
	v_pk_add_f32 v[28:29], v[34:35], v[32:33] neg_lo:[0,1] neg_hi:[0,1]
	v_add_f32_e32 v8, v39, v38
	v_add_f32_e32 v1, v1, v29
	;; [unrolled: 1-line block ×4, first 2 shown]
	v_sub_f32_e32 v28, v8, v39
	v_mul_f32_e32 v1, v37, v1
	v_sub_f32_e32 v28, v38, v28
	v_add_f32_e32 v1, v28, v1
	v_add_f32_e32 v28, v8, v1
	v_cvt_f32_i32_e32 v30, v36
	v_mul_f32_e32 v31, v28, v28
	v_mov_b32_e32 v29, 0x3ecc95a3
	v_fmac_f32_e32 v29, 0x3e9b6dac, v31
	v_fmaak_f32 v29, v31, v29, 0x3f2aaada
	v_sub_f32_e32 v8, v28, v8
	v_ldexp_f32 v33, v28, 1
	v_mul_f32_e32 v31, v28, v31
	v_mov_b32_e32 v28, 0x3f317218
	v_pk_mul_f32 v[28:29], v[30:31], v[28:29]
	v_sub_f32_e32 v1, v1, v8
	v_fma_f32 v8, v30, s2, -v28
	v_fmamk_f32 v32, v30, 0xb102e308, v8
	v_pk_add_f32 v[30:31], v[28:29], v[32:33]
	v_ldexp_f32 v1, v1, 1
	v_sub_f32_e32 v8, v31, v33
	v_sub_f32_e32 v8, v29, v8
	v_add_f32_e32 v35, v1, v8
	v_mov_b32_e32 v34, v28
	v_pk_add_f32 v[28:29], v[30:31], v[28:29] neg_lo:[0,1] neg_hi:[0,1]
	v_pk_add_f32 v[36:37], v[30:31], v[34:35]
	v_mov_b32_e32 v33, v30
	v_mov_b32_e32 v29, v37
	v_pk_add_f32 v[38:39], v[32:33], v[28:29] neg_lo:[0,1] neg_hi:[0,1]
	v_pk_add_f32 v[28:29], v[32:33], v[28:29]
	s_mov_b32 s2, 0x33800000
	v_mov_b32_e32 v8, v29
	v_pk_add_f32 v[32:33], v[8:9], v[30:31] neg_lo:[0,1] neg_hi:[0,1]
	v_mov_b32_e32 v28, v37
	v_mov_b32_e32 v1, v32
	v_pk_add_f32 v[40:41], v[36:37], v[0:1] neg_lo:[0,1] neg_hi:[0,1]
	v_mov_b32_e32 v36, v31
	v_mov_b32_e32 v37, v32
	;; [unrolled: 1-line block ×3, first 2 shown]
	v_pk_add_f32 v[28:29], v[28:29], v[36:37] neg_lo:[0,1] neg_hi:[0,1]
	v_mov_b32_e32 v32, v35
	v_mov_b32_e32 v33, v30
	v_pk_add_f32 v[28:29], v[32:33], v[28:29] neg_lo:[0,1] neg_hi:[0,1]
	v_mov_b32_e32 v40, v38
	v_pk_add_f32 v[30:31], v[40:41], v[28:29]
	v_cmp_lt_f32_e64 s[2:3], |v42|, s2
	v_mov_b32_e32 v32, v31
	v_pk_add_f32 v[32:33], v[30:31], v[32:33]
	s_or_b64 vcc, vcc, s[2:3]
	v_pk_add_f32 v[34:35], v[8:9], v[32:33]
	v_mov_b32_e32 v29, v32
	v_mov_b32_e32 v31, v34
	v_pk_add_f32 v[36:37], v[30:31], v[38:39] neg_lo:[0,1] neg_hi:[0,1]
	s_nop 0
	v_sub_f32_e32 v1, v30, v36
	v_pk_add_f32 v[28:29], v[28:29], v[36:37] neg_lo:[0,1] neg_hi:[0,1]
	v_sub_f32_e32 v1, v38, v1
	v_add_f32_e32 v1, v28, v1
	v_add_f32_e32 v1, v1, v29
	;; [unrolled: 1-line block ×3, first 2 shown]
	v_cndmask_b32_e32 v1, v1, v42, vcc
	v_add_f32_e32 v1, v26, v1
	v_cvt_f16_f32_e32 v31, v1
	v_cvt_f32_f16_e32 v1, v31
	v_mov_b32_e32 v8, v31
.LBB378_182:
	s_or_b64 exec, exec, s[0:1]
	v_max_f32_e32 v26, v27, v27
	v_max_f32_e32 v29, v1, v1
	v_min_f32_e32 v28, v29, v26
	v_cmp_u_f16_e32 vcc, v31, v31
	v_max_f32_e32 v26, v29, v26
	s_movk_i32 s0, 0x1f8
	v_cndmask_b32_e32 v28, v28, v1, vcc
	v_cndmask_b32_e32 v1, v26, v1, vcc
	v_cndmask_b32_e64 v28, v28, v27, s[92:93]
	v_cndmask_b32_e64 v1, v1, v27, s[92:93]
	v_cmp_neq_f32_e32 vcc, v28, v1
	v_cmp_class_f32_e64 s[0:1], v28, s0
	s_or_b64 s[2:3], vcc, s[0:1]
	v_mov_b32_e32 v26, v8
	s_and_saveexec_b64 s[0:1], s[2:3]
	s_cbranch_execz .LBB378_184
; %bb.183:
	v_sub_f32_e32 v26, v28, v1
	s_mov_b32 s2, 0x3fb8aa3b
	v_mul_f32_e32 v27, 0x3fb8aa3b, v26
	v_fma_f32 v28, v26, s2, -v27
	v_rndne_f32_e32 v29, v27
	v_fmamk_f32 v28, v26, 0x32a5705f, v28
	v_sub_f32_e32 v27, v27, v29
	v_add_f32_e32 v27, v27, v28
	v_exp_f32_e32 v27, v27
	v_cvt_i32_f32_e32 v28, v29
	s_mov_b32 s2, 0xc2ce8ed0
	v_cmp_ngt_f32_e32 vcc, s2, v26
	s_mov_b32 s2, 0x42b17218
	v_ldexp_f32 v27, v27, v28
	v_cndmask_b32_e32 v27, 0, v27, vcc
	v_mov_b32_e32 v28, 0x7f800000
	v_cmp_nlt_f32_e32 vcc, s2, v26
	s_mov_b32 s2, 0x3f2aaaab
	s_mov_b32 s3, 0x7f800000
	v_cndmask_b32_e32 v42, v28, v27, vcc
	v_add_f32_e32 v28, 1.0, v42
	v_add_f32_e32 v26, -1.0, v28
	v_sub_f32_e32 v27, v26, v28
	v_add_f32_e32 v27, 1.0, v27
	v_sub_f32_e32 v26, v42, v26
	v_add_f32_e32 v29, v26, v27
	v_frexp_mant_f32_e32 v30, v28
	v_cvt_f64_f32_e32 v[26:27], v28
	v_frexp_exp_i32_f64_e32 v26, v[26:27]
	v_cmp_gt_f32_e32 vcc, s2, v30
	s_mov_b32 s2, 0x3f317218
	s_nop 0
	v_subbrev_co_u32_e32 v34, vcc, 0, v26, vcc
	v_sub_u32_e32 v26, 0, v34
	v_ldexp_f32 v27, v28, v26
	v_add_f32_e32 v28, -1.0, v27
	v_add_f32_e32 v30, 1.0, v27
	v_ldexp_f32 v26, v29, v26
	v_add_f32_e32 v29, 1.0, v28
	v_add_f32_e32 v31, -1.0, v30
	v_sub_f32_e32 v29, v27, v29
	v_sub_f32_e32 v27, v27, v31
	v_add_f32_e32 v29, v26, v29
	v_add_f32_e32 v26, v26, v27
	v_add_f32_e32 v35, v30, v26
	v_rcp_f32_e32 v37, v35
	v_sub_f32_e32 v27, v30, v35
	v_add_f32_e32 v36, v26, v27
	v_add_f32_e32 v27, v28, v29
	v_mul_f32_e32 v39, v27, v37
	v_sub_f32_e32 v26, v28, v27
	v_mul_f32_e32 v28, v35, v39
	v_fma_f32 v30, v39, v35, -v28
	v_fmac_f32_e32 v30, v39, v36
	v_add_f32_e32 v38, v29, v26
	v_add_f32_e32 v26, v28, v30
	v_sub_f32_e32 v29, v27, v26
	s_waitcnt lgkmcnt(0)
	v_pk_add_f32 v[32:33], v[26:27], v[28:29] neg_lo:[0,1] neg_hi:[0,1]
	v_mov_b32_e32 v31, v26
	v_pk_add_f32 v[26:27], v[32:33], v[30:31] neg_lo:[0,1] neg_hi:[0,1]
	v_cmp_eq_f32_e32 vcc, s3, v42
	v_add_f32_e32 v27, v38, v27
	v_add_f32_e32 v26, v26, v27
	;; [unrolled: 1-line block ×3, first 2 shown]
	v_mul_f32_e32 v38, v37, v27
	v_mul_f32_e32 v28, v35, v38
	v_fma_f32 v30, v38, v35, -v28
	v_fmac_f32_e32 v30, v38, v36
	v_sub_f32_e32 v29, v29, v27
	v_add_f32_e32 v35, v26, v29
	v_add_f32_e32 v26, v28, v30
	v_sub_f32_e32 v29, v27, v26
	v_pk_add_f32 v[32:33], v[26:27], v[28:29] neg_lo:[0,1] neg_hi:[0,1]
	v_mov_b32_e32 v31, v26
	v_pk_add_f32 v[26:27], v[32:33], v[30:31] neg_lo:[0,1] neg_hi:[0,1]
	v_cvt_f32_i32_e32 v28, v34
	v_add_f32_e32 v27, v35, v27
	v_add_f32_e32 v26, v26, v27
	v_add_f32_e32 v26, v29, v26
	v_add_f32_e32 v29, v39, v38
	v_sub_f32_e32 v27, v29, v39
	v_mul_f32_e32 v26, v37, v26
	v_sub_f32_e32 v27, v38, v27
	v_add_f32_e32 v26, v27, v26
	v_add_f32_e32 v30, v29, v26
	v_mul_f32_e32 v32, v30, v30
	v_mov_b32_e32 v27, 0x3ecc95a3
	v_sub_f32_e32 v29, v30, v29
	v_fmac_f32_e32 v27, 0x3e9b6dac, v32
	v_sub_f32_e32 v26, v26, v29
	v_fmaak_f32 v27, v32, v27, 0x3f2aaada
	v_ldexp_f32 v33, v26, 1
	v_mul_f32_e32 v29, v30, v32
	v_mov_b32_e32 v26, 0x3f317218
	v_pk_mul_f32 v[26:27], v[28:29], v[26:27]
	v_ldexp_f32 v31, v30, 1
	v_fma_f32 v29, v28, s2, -v26
	v_fmamk_f32 v30, v28, 0xb102e308, v29
	v_pk_add_f32 v[28:29], v[26:27], v[30:31]
	v_mov_b32_e32 v32, v26
	v_sub_f32_e32 v31, v29, v31
	v_sub_f32_e32 v31, v27, v31
	v_add_f32_e32 v33, v33, v31
	v_pk_add_f32 v[26:27], v[28:29], v[26:27] neg_lo:[0,1] neg_hi:[0,1]
	v_pk_add_f32 v[34:35], v[28:29], v[32:33]
	v_mov_b32_e32 v31, v28
	v_mov_b32_e32 v27, v35
	v_pk_add_f32 v[36:37], v[30:31], v[26:27] neg_lo:[0,1] neg_hi:[0,1]
	v_pk_add_f32 v[26:27], v[30:31], v[26:27]
	v_mov_b32_e32 v32, v33
	v_mov_b32_e32 v30, v27
	v_pk_add_f32 v[38:39], v[30:31], v[28:29] neg_lo:[0,1] neg_hi:[0,1]
	v_mov_b32_e32 v26, v35
	v_mov_b32_e32 v31, v38
	v_pk_add_f32 v[40:41], v[34:35], v[30:31] neg_lo:[0,1] neg_hi:[0,1]
	v_mov_b32_e32 v34, v29
	v_mov_b32_e32 v35, v38
	;; [unrolled: 1-line block ×3, first 2 shown]
	v_pk_add_f32 v[26:27], v[26:27], v[34:35] neg_lo:[0,1] neg_hi:[0,1]
	v_mov_b32_e32 v33, v28
	v_pk_add_f32 v[26:27], v[32:33], v[26:27] neg_lo:[0,1] neg_hi:[0,1]
	v_mov_b32_e32 v40, v36
	v_pk_add_f32 v[28:29], v[40:41], v[26:27]
	s_mov_b32 s2, 0x33800000
	v_mov_b32_e32 v32, v29
	v_pk_add_f32 v[32:33], v[28:29], v[32:33]
	v_cmp_lt_f32_e64 s[2:3], |v42|, s2
	v_pk_add_f32 v[30:31], v[30:31], v[32:33]
	v_mov_b32_e32 v27, v32
	v_mov_b32_e32 v29, v30
	v_pk_add_f32 v[34:35], v[28:29], v[36:37] neg_lo:[0,1] neg_hi:[0,1]
	s_or_b64 vcc, vcc, s[2:3]
	v_sub_f32_e32 v28, v28, v34
	v_pk_add_f32 v[26:27], v[26:27], v[34:35] neg_lo:[0,1] neg_hi:[0,1]
	v_sub_f32_e32 v28, v36, v28
	v_add_f32_e32 v26, v26, v28
	v_add_f32_e32 v26, v26, v27
	;; [unrolled: 1-line block ×3, first 2 shown]
	v_cndmask_b32_e32 v26, v26, v42, vcc
	v_add_f32_e32 v1, v1, v26
	v_cvt_f16_f32_e32 v26, v1
.LBB378_184:
	s_or_b64 exec, exec, s[0:1]
	s_mov_b32 s0, 0x5040100
	v_add_u32_e32 v9, v14, v9
	v_perm_b32 v30, v17, v3, s0
	v_perm_b32 v28, v0, v2, s0
	;; [unrolled: 1-line block ×6, first 2 shown]
	s_waitcnt lgkmcnt(0)
	s_barrier
	v_perm_b32 v31, v18, v4, s0
	v_perm_b32 v29, v16, v15, s0
	ds_write_b128 v9, v[0:3] offset:16
	v_perm_b32 v3, v26, v8, s0
	v_perm_b32 v2, v25, v7, s0
	;; [unrolled: 1-line block ×4, first 2 shown]
	ds_write_b128 v9, v[28:31]
	ds_write_b128 v9, v[0:3] offset:32
	s_waitcnt lgkmcnt(0)
	s_barrier
	ds_read_u16 v26, v14 offset:512
	ds_read_u16 v25, v14 offset:1024
	ds_read_u16 v24, v14 offset:1536
	ds_read_u16 v23, v14 offset:2048
	ds_read_u16 v22, v14 offset:2560
	ds_read_u16 v21, v14 offset:3072
	ds_read_u16 v20, v14 offset:3584
	ds_read_u16 v19, v14 offset:4096
	ds_read_u16 v18, v14 offset:4608
	ds_read_u16 v17, v14 offset:5120
	ds_read_u16 v16, v14 offset:5632
	ds_read_u16 v13, v14 offset:6144
	ds_read_u16 v12, v14 offset:6656
	ds_read_u16 v11, v14 offset:7168
	ds_read_u16 v10, v14 offset:7680
	ds_read_u16 v9, v14 offset:8192
	ds_read_u16 v8, v14 offset:8704
	ds_read_u16 v7, v14 offset:9216
	ds_read_u16 v6, v14 offset:9728
	ds_read_u16 v5, v14 offset:10240
	ds_read_u16 v4, v14 offset:10752
	ds_read_u16 v3, v14 offset:11264
	ds_read_u16 v2, v14 offset:11776
	v_readlane_b32 s0, v53, 6
	v_mov_b32_e32 v15, 0
	v_readlane_b32 s1, v53, 7
	s_nop 1
	v_lshl_add_u64 v[0:1], s[0:1], 0, v[14:15]
	s_mov_b64 s[0:1], exec
	v_readlane_b32 s2, v53, 0
	v_readlane_b32 s3, v53, 1
	s_and_b64 s[2:3], s[0:1], s[2:3]
	s_mov_b64 exec, s[2:3]
	s_cbranch_execz .LBB378_186
; %bb.185:
	ds_read_u16 v14, v14
	s_waitcnt lgkmcnt(0)
	global_store_short v[0:1], v14, off
.LBB378_186:
	s_or_b64 exec, exec, s[0:1]
	s_mov_b64 s[0:1], exec
	v_readlane_b32 s2, v53, 2
	v_readlane_b32 s3, v53, 3
	s_and_b64 s[2:3], s[0:1], s[2:3]
	s_mov_b64 exec, s[2:3]
	s_cbranch_execz .LBB378_188
; %bb.187:
	s_waitcnt lgkmcnt(14)
	global_store_short v[0:1], v26, off offset:512
.LBB378_188:
	s_or_b64 exec, exec, s[0:1]
	s_mov_b64 s[0:1], exec
	v_readlane_b32 s2, v53, 4
	v_readlane_b32 s3, v53, 5
	s_and_b64 s[2:3], s[0:1], s[2:3]
	s_mov_b64 exec, s[2:3]
	s_cbranch_execnz .LBB378_211
; %bb.189:
	s_or_b64 exec, exec, s[0:1]
	s_and_saveexec_b64 s[0:1], s[4:5]
	s_cbranch_execnz .LBB378_212
.LBB378_190:
	s_or_b64 exec, exec, s[0:1]
	s_and_saveexec_b64 s[0:1], s[6:7]
	s_cbranch_execnz .LBB378_213
.LBB378_191:
	s_or_b64 exec, exec, s[0:1]
	s_and_saveexec_b64 s[0:1], s[8:9]
	s_cbranch_execnz .LBB378_214
.LBB378_192:
	s_or_b64 exec, exec, s[0:1]
	s_and_saveexec_b64 s[0:1], s[10:11]
	s_cbranch_execnz .LBB378_215
.LBB378_193:
	s_or_b64 exec, exec, s[0:1]
	s_and_saveexec_b64 s[0:1], s[12:13]
	s_cbranch_execnz .LBB378_216
.LBB378_194:
	s_or_b64 exec, exec, s[0:1]
	s_and_saveexec_b64 s[0:1], s[14:15]
	s_cbranch_execnz .LBB378_217
.LBB378_195:
	s_or_b64 exec, exec, s[0:1]
	s_and_saveexec_b64 s[0:1], s[16:17]
	s_cbranch_execnz .LBB378_218
.LBB378_196:
	s_or_b64 exec, exec, s[0:1]
	s_and_saveexec_b64 s[0:1], s[18:19]
	s_cbranch_execnz .LBB378_219
.LBB378_197:
	s_or_b64 exec, exec, s[0:1]
	s_and_saveexec_b64 s[0:1], s[20:21]
	s_cbranch_execnz .LBB378_220
.LBB378_198:
	s_or_b64 exec, exec, s[0:1]
	s_and_saveexec_b64 s[0:1], s[22:23]
	s_cbranch_execnz .LBB378_221
.LBB378_199:
	s_or_b64 exec, exec, s[0:1]
	s_and_saveexec_b64 s[0:1], s[24:25]
	s_cbranch_execnz .LBB378_222
.LBB378_200:
	s_or_b64 exec, exec, s[0:1]
	s_and_saveexec_b64 s[0:1], s[26:27]
	s_cbranch_execnz .LBB378_223
.LBB378_201:
	s_or_b64 exec, exec, s[0:1]
	s_and_saveexec_b64 s[0:1], s[28:29]
	s_cbranch_execnz .LBB378_224
.LBB378_202:
	s_or_b64 exec, exec, s[0:1]
	s_and_saveexec_b64 s[0:1], s[30:31]
	s_cbranch_execnz .LBB378_225
.LBB378_203:
	s_or_b64 exec, exec, s[0:1]
	s_and_saveexec_b64 s[0:1], s[34:35]
	s_cbranch_execnz .LBB378_226
.LBB378_204:
	s_or_b64 exec, exec, s[0:1]
	s_and_saveexec_b64 s[0:1], s[36:37]
	s_cbranch_execnz .LBB378_227
.LBB378_205:
	s_or_b64 exec, exec, s[0:1]
	s_and_saveexec_b64 s[0:1], s[38:39]
	s_cbranch_execnz .LBB378_228
.LBB378_206:
	s_or_b64 exec, exec, s[0:1]
	s_and_saveexec_b64 s[0:1], s[40:41]
	s_cbranch_execnz .LBB378_229
.LBB378_207:
	s_or_b64 exec, exec, s[0:1]
	s_and_saveexec_b64 s[0:1], s[42:43]
	s_cbranch_execnz .LBB378_230
.LBB378_208:
	s_or_b64 exec, exec, s[0:1]
	s_and_saveexec_b64 s[0:1], s[44:45]
	s_cbranch_execnz .LBB378_231
.LBB378_209:
	s_or_b64 exec, exec, s[0:1]
	s_and_saveexec_b64 s[0:1], s[46:47]
	s_cbranch_execnz .LBB378_232
.LBB378_210:
	s_endpgm
.LBB378_211:
	s_waitcnt lgkmcnt(14)
	global_store_short v[0:1], v25, off offset:1024
	s_or_b64 exec, exec, s[0:1]
	s_and_saveexec_b64 s[0:1], s[4:5]
	s_cbranch_execz .LBB378_190
.LBB378_212:
	s_waitcnt lgkmcnt(14)
	global_store_short v[0:1], v24, off offset:1536
	s_or_b64 exec, exec, s[0:1]
	s_and_saveexec_b64 s[0:1], s[6:7]
	s_cbranch_execz .LBB378_191
.LBB378_213:
	s_waitcnt lgkmcnt(14)
	global_store_short v[0:1], v23, off offset:2048
	s_or_b64 exec, exec, s[0:1]
	s_and_saveexec_b64 s[0:1], s[8:9]
	s_cbranch_execz .LBB378_192
.LBB378_214:
	s_waitcnt lgkmcnt(14)
	global_store_short v[0:1], v22, off offset:2560
	s_or_b64 exec, exec, s[0:1]
	s_and_saveexec_b64 s[0:1], s[10:11]
	s_cbranch_execz .LBB378_193
.LBB378_215:
	s_waitcnt lgkmcnt(14)
	global_store_short v[0:1], v21, off offset:3072
	s_or_b64 exec, exec, s[0:1]
	s_and_saveexec_b64 s[0:1], s[12:13]
	s_cbranch_execz .LBB378_194
.LBB378_216:
	s_waitcnt lgkmcnt(14)
	global_store_short v[0:1], v20, off offset:3584
	s_or_b64 exec, exec, s[0:1]
	s_and_saveexec_b64 s[0:1], s[14:15]
	s_cbranch_execz .LBB378_195
.LBB378_217:
	v_add_co_u32_e32 v14, vcc, 0x1000, v0
	s_nop 1
	v_addc_co_u32_e32 v15, vcc, 0, v1, vcc
	s_waitcnt lgkmcnt(14)
	global_store_short v[14:15], v19, off
	s_or_b64 exec, exec, s[0:1]
	s_and_saveexec_b64 s[0:1], s[16:17]
	s_cbranch_execz .LBB378_196
.LBB378_218:
	v_add_co_u32_e32 v14, vcc, 0x1000, v0
	s_nop 1
	v_addc_co_u32_e32 v15, vcc, 0, v1, vcc
	s_waitcnt lgkmcnt(14)
	global_store_short v[14:15], v18, off offset:512
	s_or_b64 exec, exec, s[0:1]
	s_and_saveexec_b64 s[0:1], s[18:19]
	s_cbranch_execz .LBB378_197
.LBB378_219:
	v_add_co_u32_e32 v14, vcc, 0x1000, v0
	s_nop 1
	v_addc_co_u32_e32 v15, vcc, 0, v1, vcc
	s_waitcnt lgkmcnt(13)
	global_store_short v[14:15], v17, off offset:1024
	s_or_b64 exec, exec, s[0:1]
	s_and_saveexec_b64 s[0:1], s[20:21]
	s_cbranch_execz .LBB378_198
.LBB378_220:
	v_add_co_u32_e32 v14, vcc, 0x1000, v0
	s_nop 1
	v_addc_co_u32_e32 v15, vcc, 0, v1, vcc
	s_waitcnt lgkmcnt(12)
	global_store_short v[14:15], v16, off offset:1536
	s_or_b64 exec, exec, s[0:1]
	s_and_saveexec_b64 s[0:1], s[22:23]
	s_cbranch_execz .LBB378_199
.LBB378_221:
	v_add_co_u32_e32 v14, vcc, 0x1000, v0
	s_nop 1
	v_addc_co_u32_e32 v15, vcc, 0, v1, vcc
	s_waitcnt lgkmcnt(11)
	global_store_short v[14:15], v13, off offset:2048
	s_or_b64 exec, exec, s[0:1]
	s_and_saveexec_b64 s[0:1], s[24:25]
	s_cbranch_execz .LBB378_200
.LBB378_222:
	v_add_co_u32_e32 v14, vcc, 0x1000, v0
	s_nop 1
	v_addc_co_u32_e32 v15, vcc, 0, v1, vcc
	s_waitcnt lgkmcnt(10)
	global_store_short v[14:15], v12, off offset:2560
	s_or_b64 exec, exec, s[0:1]
	s_and_saveexec_b64 s[0:1], s[26:27]
	s_cbranch_execz .LBB378_201
.LBB378_223:
	s_waitcnt lgkmcnt(10)
	v_add_co_u32_e32 v12, vcc, 0x1000, v0
	s_nop 1
	v_addc_co_u32_e32 v13, vcc, 0, v1, vcc
	s_waitcnt lgkmcnt(9)
	global_store_short v[12:13], v11, off offset:3072
	s_or_b64 exec, exec, s[0:1]
	s_and_saveexec_b64 s[0:1], s[28:29]
	s_cbranch_execz .LBB378_202
.LBB378_224:
	s_waitcnt lgkmcnt(10)
	v_add_co_u32_e32 v12, vcc, 0x1000, v0
	s_nop 1
	v_addc_co_u32_e32 v13, vcc, 0, v1, vcc
	s_waitcnt lgkmcnt(8)
	global_store_short v[12:13], v10, off offset:3584
	s_or_b64 exec, exec, s[0:1]
	s_and_saveexec_b64 s[0:1], s[30:31]
	s_cbranch_execz .LBB378_203
.LBB378_225:
	s_waitcnt lgkmcnt(8)
	v_add_co_u32_e32 v10, vcc, 0x2000, v0
	s_nop 1
	v_addc_co_u32_e32 v11, vcc, 0, v1, vcc
	s_waitcnt lgkmcnt(7)
	global_store_short v[10:11], v9, off
	s_or_b64 exec, exec, s[0:1]
	s_and_saveexec_b64 s[0:1], s[34:35]
	s_cbranch_execz .LBB378_204
.LBB378_226:
	s_waitcnt lgkmcnt(8)
	v_add_co_u32_e32 v10, vcc, 0x2000, v0
	s_nop 1
	v_addc_co_u32_e32 v11, vcc, 0, v1, vcc
	s_waitcnt lgkmcnt(6)
	global_store_short v[10:11], v8, off offset:512
	s_or_b64 exec, exec, s[0:1]
	s_and_saveexec_b64 s[0:1], s[36:37]
	s_cbranch_execz .LBB378_205
.LBB378_227:
	s_waitcnt lgkmcnt(6)
	v_add_co_u32_e32 v8, vcc, 0x2000, v0
	s_nop 1
	v_addc_co_u32_e32 v9, vcc, 0, v1, vcc
	s_waitcnt lgkmcnt(5)
	global_store_short v[8:9], v7, off offset:1024
	s_or_b64 exec, exec, s[0:1]
	s_and_saveexec_b64 s[0:1], s[38:39]
	s_cbranch_execz .LBB378_206
.LBB378_228:
	s_waitcnt lgkmcnt(6)
	v_add_co_u32_e32 v8, vcc, 0x2000, v0
	s_nop 1
	v_addc_co_u32_e32 v9, vcc, 0, v1, vcc
	s_waitcnt lgkmcnt(4)
	global_store_short v[8:9], v6, off offset:1536
	s_or_b64 exec, exec, s[0:1]
	s_and_saveexec_b64 s[0:1], s[40:41]
	s_cbranch_execz .LBB378_207
.LBB378_229:
	s_waitcnt lgkmcnt(4)
	v_add_co_u32_e32 v6, vcc, 0x2000, v0
	s_nop 1
	v_addc_co_u32_e32 v7, vcc, 0, v1, vcc
	s_waitcnt lgkmcnt(3)
	global_store_short v[6:7], v5, off offset:2048
	s_or_b64 exec, exec, s[0:1]
	s_and_saveexec_b64 s[0:1], s[42:43]
	s_cbranch_execz .LBB378_208
.LBB378_230:
	s_waitcnt lgkmcnt(4)
	v_add_co_u32_e32 v6, vcc, 0x2000, v0
	s_nop 1
	v_addc_co_u32_e32 v7, vcc, 0, v1, vcc
	s_waitcnt lgkmcnt(2)
	global_store_short v[6:7], v4, off offset:2560
	s_or_b64 exec, exec, s[0:1]
	s_and_saveexec_b64 s[0:1], s[44:45]
	s_cbranch_execz .LBB378_209
.LBB378_231:
	s_waitcnt lgkmcnt(2)
	v_add_co_u32_e32 v4, vcc, 0x2000, v0
	s_nop 1
	v_addc_co_u32_e32 v5, vcc, 0, v1, vcc
	s_waitcnt lgkmcnt(1)
	global_store_short v[4:5], v3, off offset:3072
	s_or_b64 exec, exec, s[0:1]
	s_and_saveexec_b64 s[0:1], s[46:47]
	s_cbranch_execz .LBB378_210
.LBB378_232:
	v_add_co_u32_e32 v0, vcc, 0x2000, v0
	s_nop 1
	v_addc_co_u32_e32 v1, vcc, 0, v1, vcc
	s_waitcnt lgkmcnt(0)
	global_store_short v[0:1], v2, off offset:3584
	s_endpgm
	.section	.rodata,"a",@progbits
	.p2align	6, 0x0
	.amdhsa_kernel _ZN7rocprim17ROCPRIM_400000_NS6detail17trampoline_kernelINS0_14default_configENS1_20scan_config_selectorIN3c104HalfEEEZZNS1_9scan_implILNS1_25lookback_scan_determinismE0ELb0ELb0ES3_PKS6_PS6_S6_ZZZN2at6native31launch_logcumsumexp_cuda_kernelERKNSD_10TensorBaseESH_lENKUlvE_clEvENKUlvE3_clEvEUlS6_S6_E_S6_EEDaPvRmT3_T4_T5_mT6_P12ihipStream_tbENKUlT_T0_E_clISt17integral_constantIbLb0EESY_EEDaST_SU_EUlST_E0_NS1_11comp_targetILNS1_3genE5ELNS1_11target_archE942ELNS1_3gpuE9ELNS1_3repE0EEENS1_30default_config_static_selectorELNS0_4arch9wavefront6targetE1EEEvT1_
		.amdhsa_group_segment_fixed_size 12288
		.amdhsa_private_segment_fixed_size 0
		.amdhsa_kernarg_size 32
		.amdhsa_user_sgpr_count 2
		.amdhsa_user_sgpr_dispatch_ptr 0
		.amdhsa_user_sgpr_queue_ptr 0
		.amdhsa_user_sgpr_kernarg_segment_ptr 1
		.amdhsa_user_sgpr_dispatch_id 0
		.amdhsa_user_sgpr_kernarg_preload_length 0
		.amdhsa_user_sgpr_kernarg_preload_offset 0
		.amdhsa_user_sgpr_private_segment_size 0
		.amdhsa_uses_dynamic_stack 0
		.amdhsa_enable_private_segment 0
		.amdhsa_system_sgpr_workgroup_id_x 1
		.amdhsa_system_sgpr_workgroup_id_y 0
		.amdhsa_system_sgpr_workgroup_id_z 0
		.amdhsa_system_sgpr_workgroup_info 0
		.amdhsa_system_vgpr_workitem_id 0
		.amdhsa_next_free_vgpr 54
		.amdhsa_next_free_sgpr 100
		.amdhsa_accum_offset 56
		.amdhsa_reserve_vcc 1
		.amdhsa_float_round_mode_32 0
		.amdhsa_float_round_mode_16_64 0
		.amdhsa_float_denorm_mode_32 3
		.amdhsa_float_denorm_mode_16_64 3
		.amdhsa_dx10_clamp 1
		.amdhsa_ieee_mode 1
		.amdhsa_fp16_overflow 0
		.amdhsa_tg_split 0
		.amdhsa_exception_fp_ieee_invalid_op 0
		.amdhsa_exception_fp_denorm_src 0
		.amdhsa_exception_fp_ieee_div_zero 0
		.amdhsa_exception_fp_ieee_overflow 0
		.amdhsa_exception_fp_ieee_underflow 0
		.amdhsa_exception_fp_ieee_inexact 0
		.amdhsa_exception_int_div_zero 0
	.end_amdhsa_kernel
	.section	.text._ZN7rocprim17ROCPRIM_400000_NS6detail17trampoline_kernelINS0_14default_configENS1_20scan_config_selectorIN3c104HalfEEEZZNS1_9scan_implILNS1_25lookback_scan_determinismE0ELb0ELb0ES3_PKS6_PS6_S6_ZZZN2at6native31launch_logcumsumexp_cuda_kernelERKNSD_10TensorBaseESH_lENKUlvE_clEvENKUlvE3_clEvEUlS6_S6_E_S6_EEDaPvRmT3_T4_T5_mT6_P12ihipStream_tbENKUlT_T0_E_clISt17integral_constantIbLb0EESY_EEDaST_SU_EUlST_E0_NS1_11comp_targetILNS1_3genE5ELNS1_11target_archE942ELNS1_3gpuE9ELNS1_3repE0EEENS1_30default_config_static_selectorELNS0_4arch9wavefront6targetE1EEEvT1_,"axG",@progbits,_ZN7rocprim17ROCPRIM_400000_NS6detail17trampoline_kernelINS0_14default_configENS1_20scan_config_selectorIN3c104HalfEEEZZNS1_9scan_implILNS1_25lookback_scan_determinismE0ELb0ELb0ES3_PKS6_PS6_S6_ZZZN2at6native31launch_logcumsumexp_cuda_kernelERKNSD_10TensorBaseESH_lENKUlvE_clEvENKUlvE3_clEvEUlS6_S6_E_S6_EEDaPvRmT3_T4_T5_mT6_P12ihipStream_tbENKUlT_T0_E_clISt17integral_constantIbLb0EESY_EEDaST_SU_EUlST_E0_NS1_11comp_targetILNS1_3genE5ELNS1_11target_archE942ELNS1_3gpuE9ELNS1_3repE0EEENS1_30default_config_static_selectorELNS0_4arch9wavefront6targetE1EEEvT1_,comdat
.Lfunc_end378:
	.size	_ZN7rocprim17ROCPRIM_400000_NS6detail17trampoline_kernelINS0_14default_configENS1_20scan_config_selectorIN3c104HalfEEEZZNS1_9scan_implILNS1_25lookback_scan_determinismE0ELb0ELb0ES3_PKS6_PS6_S6_ZZZN2at6native31launch_logcumsumexp_cuda_kernelERKNSD_10TensorBaseESH_lENKUlvE_clEvENKUlvE3_clEvEUlS6_S6_E_S6_EEDaPvRmT3_T4_T5_mT6_P12ihipStream_tbENKUlT_T0_E_clISt17integral_constantIbLb0EESY_EEDaST_SU_EUlST_E0_NS1_11comp_targetILNS1_3genE5ELNS1_11target_archE942ELNS1_3gpuE9ELNS1_3repE0EEENS1_30default_config_static_selectorELNS0_4arch9wavefront6targetE1EEEvT1_, .Lfunc_end378-_ZN7rocprim17ROCPRIM_400000_NS6detail17trampoline_kernelINS0_14default_configENS1_20scan_config_selectorIN3c104HalfEEEZZNS1_9scan_implILNS1_25lookback_scan_determinismE0ELb0ELb0ES3_PKS6_PS6_S6_ZZZN2at6native31launch_logcumsumexp_cuda_kernelERKNSD_10TensorBaseESH_lENKUlvE_clEvENKUlvE3_clEvEUlS6_S6_E_S6_EEDaPvRmT3_T4_T5_mT6_P12ihipStream_tbENKUlT_T0_E_clISt17integral_constantIbLb0EESY_EEDaST_SU_EUlST_E0_NS1_11comp_targetILNS1_3genE5ELNS1_11target_archE942ELNS1_3gpuE9ELNS1_3repE0EEENS1_30default_config_static_selectorELNS0_4arch9wavefront6targetE1EEEvT1_
                                        ; -- End function
	.section	.AMDGPU.csdata,"",@progbits
; Kernel info:
; codeLenInByte = 51128
; NumSgprs: 106
; NumVgprs: 54
; NumAgprs: 0
; TotalNumVgprs: 54
; ScratchSize: 0
; MemoryBound: 0
; FloatMode: 240
; IeeeMode: 1
; LDSByteSize: 12288 bytes/workgroup (compile time only)
; SGPRBlocks: 13
; VGPRBlocks: 6
; NumSGPRsForWavesPerEU: 106
; NumVGPRsForWavesPerEU: 54
; AccumOffset: 56
; Occupancy: 5
; WaveLimiterHint : 0
; COMPUTE_PGM_RSRC2:SCRATCH_EN: 0
; COMPUTE_PGM_RSRC2:USER_SGPR: 2
; COMPUTE_PGM_RSRC2:TRAP_HANDLER: 0
; COMPUTE_PGM_RSRC2:TGID_X_EN: 1
; COMPUTE_PGM_RSRC2:TGID_Y_EN: 0
; COMPUTE_PGM_RSRC2:TGID_Z_EN: 0
; COMPUTE_PGM_RSRC2:TIDIG_COMP_CNT: 0
; COMPUTE_PGM_RSRC3_GFX90A:ACCUM_OFFSET: 13
; COMPUTE_PGM_RSRC3_GFX90A:TG_SPLIT: 0
	.section	.text._ZN7rocprim17ROCPRIM_400000_NS6detail17trampoline_kernelINS0_14default_configENS1_20scan_config_selectorIN3c104HalfEEEZZNS1_9scan_implILNS1_25lookback_scan_determinismE0ELb0ELb0ES3_PKS6_PS6_S6_ZZZN2at6native31launch_logcumsumexp_cuda_kernelERKNSD_10TensorBaseESH_lENKUlvE_clEvENKUlvE3_clEvEUlS6_S6_E_S6_EEDaPvRmT3_T4_T5_mT6_P12ihipStream_tbENKUlT_T0_E_clISt17integral_constantIbLb0EESY_EEDaST_SU_EUlST_E0_NS1_11comp_targetILNS1_3genE4ELNS1_11target_archE910ELNS1_3gpuE8ELNS1_3repE0EEENS1_30default_config_static_selectorELNS0_4arch9wavefront6targetE1EEEvT1_,"axG",@progbits,_ZN7rocprim17ROCPRIM_400000_NS6detail17trampoline_kernelINS0_14default_configENS1_20scan_config_selectorIN3c104HalfEEEZZNS1_9scan_implILNS1_25lookback_scan_determinismE0ELb0ELb0ES3_PKS6_PS6_S6_ZZZN2at6native31launch_logcumsumexp_cuda_kernelERKNSD_10TensorBaseESH_lENKUlvE_clEvENKUlvE3_clEvEUlS6_S6_E_S6_EEDaPvRmT3_T4_T5_mT6_P12ihipStream_tbENKUlT_T0_E_clISt17integral_constantIbLb0EESY_EEDaST_SU_EUlST_E0_NS1_11comp_targetILNS1_3genE4ELNS1_11target_archE910ELNS1_3gpuE8ELNS1_3repE0EEENS1_30default_config_static_selectorELNS0_4arch9wavefront6targetE1EEEvT1_,comdat
	.globl	_ZN7rocprim17ROCPRIM_400000_NS6detail17trampoline_kernelINS0_14default_configENS1_20scan_config_selectorIN3c104HalfEEEZZNS1_9scan_implILNS1_25lookback_scan_determinismE0ELb0ELb0ES3_PKS6_PS6_S6_ZZZN2at6native31launch_logcumsumexp_cuda_kernelERKNSD_10TensorBaseESH_lENKUlvE_clEvENKUlvE3_clEvEUlS6_S6_E_S6_EEDaPvRmT3_T4_T5_mT6_P12ihipStream_tbENKUlT_T0_E_clISt17integral_constantIbLb0EESY_EEDaST_SU_EUlST_E0_NS1_11comp_targetILNS1_3genE4ELNS1_11target_archE910ELNS1_3gpuE8ELNS1_3repE0EEENS1_30default_config_static_selectorELNS0_4arch9wavefront6targetE1EEEvT1_ ; -- Begin function _ZN7rocprim17ROCPRIM_400000_NS6detail17trampoline_kernelINS0_14default_configENS1_20scan_config_selectorIN3c104HalfEEEZZNS1_9scan_implILNS1_25lookback_scan_determinismE0ELb0ELb0ES3_PKS6_PS6_S6_ZZZN2at6native31launch_logcumsumexp_cuda_kernelERKNSD_10TensorBaseESH_lENKUlvE_clEvENKUlvE3_clEvEUlS6_S6_E_S6_EEDaPvRmT3_T4_T5_mT6_P12ihipStream_tbENKUlT_T0_E_clISt17integral_constantIbLb0EESY_EEDaST_SU_EUlST_E0_NS1_11comp_targetILNS1_3genE4ELNS1_11target_archE910ELNS1_3gpuE8ELNS1_3repE0EEENS1_30default_config_static_selectorELNS0_4arch9wavefront6targetE1EEEvT1_
	.p2align	8
	.type	_ZN7rocprim17ROCPRIM_400000_NS6detail17trampoline_kernelINS0_14default_configENS1_20scan_config_selectorIN3c104HalfEEEZZNS1_9scan_implILNS1_25lookback_scan_determinismE0ELb0ELb0ES3_PKS6_PS6_S6_ZZZN2at6native31launch_logcumsumexp_cuda_kernelERKNSD_10TensorBaseESH_lENKUlvE_clEvENKUlvE3_clEvEUlS6_S6_E_S6_EEDaPvRmT3_T4_T5_mT6_P12ihipStream_tbENKUlT_T0_E_clISt17integral_constantIbLb0EESY_EEDaST_SU_EUlST_E0_NS1_11comp_targetILNS1_3genE4ELNS1_11target_archE910ELNS1_3gpuE8ELNS1_3repE0EEENS1_30default_config_static_selectorELNS0_4arch9wavefront6targetE1EEEvT1_,@function
_ZN7rocprim17ROCPRIM_400000_NS6detail17trampoline_kernelINS0_14default_configENS1_20scan_config_selectorIN3c104HalfEEEZZNS1_9scan_implILNS1_25lookback_scan_determinismE0ELb0ELb0ES3_PKS6_PS6_S6_ZZZN2at6native31launch_logcumsumexp_cuda_kernelERKNSD_10TensorBaseESH_lENKUlvE_clEvENKUlvE3_clEvEUlS6_S6_E_S6_EEDaPvRmT3_T4_T5_mT6_P12ihipStream_tbENKUlT_T0_E_clISt17integral_constantIbLb0EESY_EEDaST_SU_EUlST_E0_NS1_11comp_targetILNS1_3genE4ELNS1_11target_archE910ELNS1_3gpuE8ELNS1_3repE0EEENS1_30default_config_static_selectorELNS0_4arch9wavefront6targetE1EEEvT1_: ; @_ZN7rocprim17ROCPRIM_400000_NS6detail17trampoline_kernelINS0_14default_configENS1_20scan_config_selectorIN3c104HalfEEEZZNS1_9scan_implILNS1_25lookback_scan_determinismE0ELb0ELb0ES3_PKS6_PS6_S6_ZZZN2at6native31launch_logcumsumexp_cuda_kernelERKNSD_10TensorBaseESH_lENKUlvE_clEvENKUlvE3_clEvEUlS6_S6_E_S6_EEDaPvRmT3_T4_T5_mT6_P12ihipStream_tbENKUlT_T0_E_clISt17integral_constantIbLb0EESY_EEDaST_SU_EUlST_E0_NS1_11comp_targetILNS1_3genE4ELNS1_11target_archE910ELNS1_3gpuE8ELNS1_3repE0EEENS1_30default_config_static_selectorELNS0_4arch9wavefront6targetE1EEEvT1_
; %bb.0:
	.section	.rodata,"a",@progbits
	.p2align	6, 0x0
	.amdhsa_kernel _ZN7rocprim17ROCPRIM_400000_NS6detail17trampoline_kernelINS0_14default_configENS1_20scan_config_selectorIN3c104HalfEEEZZNS1_9scan_implILNS1_25lookback_scan_determinismE0ELb0ELb0ES3_PKS6_PS6_S6_ZZZN2at6native31launch_logcumsumexp_cuda_kernelERKNSD_10TensorBaseESH_lENKUlvE_clEvENKUlvE3_clEvEUlS6_S6_E_S6_EEDaPvRmT3_T4_T5_mT6_P12ihipStream_tbENKUlT_T0_E_clISt17integral_constantIbLb0EESY_EEDaST_SU_EUlST_E0_NS1_11comp_targetILNS1_3genE4ELNS1_11target_archE910ELNS1_3gpuE8ELNS1_3repE0EEENS1_30default_config_static_selectorELNS0_4arch9wavefront6targetE1EEEvT1_
		.amdhsa_group_segment_fixed_size 0
		.amdhsa_private_segment_fixed_size 0
		.amdhsa_kernarg_size 32
		.amdhsa_user_sgpr_count 2
		.amdhsa_user_sgpr_dispatch_ptr 0
		.amdhsa_user_sgpr_queue_ptr 0
		.amdhsa_user_sgpr_kernarg_segment_ptr 1
		.amdhsa_user_sgpr_dispatch_id 0
		.amdhsa_user_sgpr_kernarg_preload_length 0
		.amdhsa_user_sgpr_kernarg_preload_offset 0
		.amdhsa_user_sgpr_private_segment_size 0
		.amdhsa_uses_dynamic_stack 0
		.amdhsa_enable_private_segment 0
		.amdhsa_system_sgpr_workgroup_id_x 1
		.amdhsa_system_sgpr_workgroup_id_y 0
		.amdhsa_system_sgpr_workgroup_id_z 0
		.amdhsa_system_sgpr_workgroup_info 0
		.amdhsa_system_vgpr_workitem_id 0
		.amdhsa_next_free_vgpr 1
		.amdhsa_next_free_sgpr 0
		.amdhsa_accum_offset 4
		.amdhsa_reserve_vcc 0
		.amdhsa_float_round_mode_32 0
		.amdhsa_float_round_mode_16_64 0
		.amdhsa_float_denorm_mode_32 3
		.amdhsa_float_denorm_mode_16_64 3
		.amdhsa_dx10_clamp 1
		.amdhsa_ieee_mode 1
		.amdhsa_fp16_overflow 0
		.amdhsa_tg_split 0
		.amdhsa_exception_fp_ieee_invalid_op 0
		.amdhsa_exception_fp_denorm_src 0
		.amdhsa_exception_fp_ieee_div_zero 0
		.amdhsa_exception_fp_ieee_overflow 0
		.amdhsa_exception_fp_ieee_underflow 0
		.amdhsa_exception_fp_ieee_inexact 0
		.amdhsa_exception_int_div_zero 0
	.end_amdhsa_kernel
	.section	.text._ZN7rocprim17ROCPRIM_400000_NS6detail17trampoline_kernelINS0_14default_configENS1_20scan_config_selectorIN3c104HalfEEEZZNS1_9scan_implILNS1_25lookback_scan_determinismE0ELb0ELb0ES3_PKS6_PS6_S6_ZZZN2at6native31launch_logcumsumexp_cuda_kernelERKNSD_10TensorBaseESH_lENKUlvE_clEvENKUlvE3_clEvEUlS6_S6_E_S6_EEDaPvRmT3_T4_T5_mT6_P12ihipStream_tbENKUlT_T0_E_clISt17integral_constantIbLb0EESY_EEDaST_SU_EUlST_E0_NS1_11comp_targetILNS1_3genE4ELNS1_11target_archE910ELNS1_3gpuE8ELNS1_3repE0EEENS1_30default_config_static_selectorELNS0_4arch9wavefront6targetE1EEEvT1_,"axG",@progbits,_ZN7rocprim17ROCPRIM_400000_NS6detail17trampoline_kernelINS0_14default_configENS1_20scan_config_selectorIN3c104HalfEEEZZNS1_9scan_implILNS1_25lookback_scan_determinismE0ELb0ELb0ES3_PKS6_PS6_S6_ZZZN2at6native31launch_logcumsumexp_cuda_kernelERKNSD_10TensorBaseESH_lENKUlvE_clEvENKUlvE3_clEvEUlS6_S6_E_S6_EEDaPvRmT3_T4_T5_mT6_P12ihipStream_tbENKUlT_T0_E_clISt17integral_constantIbLb0EESY_EEDaST_SU_EUlST_E0_NS1_11comp_targetILNS1_3genE4ELNS1_11target_archE910ELNS1_3gpuE8ELNS1_3repE0EEENS1_30default_config_static_selectorELNS0_4arch9wavefront6targetE1EEEvT1_,comdat
.Lfunc_end379:
	.size	_ZN7rocprim17ROCPRIM_400000_NS6detail17trampoline_kernelINS0_14default_configENS1_20scan_config_selectorIN3c104HalfEEEZZNS1_9scan_implILNS1_25lookback_scan_determinismE0ELb0ELb0ES3_PKS6_PS6_S6_ZZZN2at6native31launch_logcumsumexp_cuda_kernelERKNSD_10TensorBaseESH_lENKUlvE_clEvENKUlvE3_clEvEUlS6_S6_E_S6_EEDaPvRmT3_T4_T5_mT6_P12ihipStream_tbENKUlT_T0_E_clISt17integral_constantIbLb0EESY_EEDaST_SU_EUlST_E0_NS1_11comp_targetILNS1_3genE4ELNS1_11target_archE910ELNS1_3gpuE8ELNS1_3repE0EEENS1_30default_config_static_selectorELNS0_4arch9wavefront6targetE1EEEvT1_, .Lfunc_end379-_ZN7rocprim17ROCPRIM_400000_NS6detail17trampoline_kernelINS0_14default_configENS1_20scan_config_selectorIN3c104HalfEEEZZNS1_9scan_implILNS1_25lookback_scan_determinismE0ELb0ELb0ES3_PKS6_PS6_S6_ZZZN2at6native31launch_logcumsumexp_cuda_kernelERKNSD_10TensorBaseESH_lENKUlvE_clEvENKUlvE3_clEvEUlS6_S6_E_S6_EEDaPvRmT3_T4_T5_mT6_P12ihipStream_tbENKUlT_T0_E_clISt17integral_constantIbLb0EESY_EEDaST_SU_EUlST_E0_NS1_11comp_targetILNS1_3genE4ELNS1_11target_archE910ELNS1_3gpuE8ELNS1_3repE0EEENS1_30default_config_static_selectorELNS0_4arch9wavefront6targetE1EEEvT1_
                                        ; -- End function
	.section	.AMDGPU.csdata,"",@progbits
; Kernel info:
; codeLenInByte = 0
; NumSgprs: 6
; NumVgprs: 0
; NumAgprs: 0
; TotalNumVgprs: 0
; ScratchSize: 0
; MemoryBound: 0
; FloatMode: 240
; IeeeMode: 1
; LDSByteSize: 0 bytes/workgroup (compile time only)
; SGPRBlocks: 0
; VGPRBlocks: 0
; NumSGPRsForWavesPerEU: 6
; NumVGPRsForWavesPerEU: 1
; AccumOffset: 4
; Occupancy: 8
; WaveLimiterHint : 0
; COMPUTE_PGM_RSRC2:SCRATCH_EN: 0
; COMPUTE_PGM_RSRC2:USER_SGPR: 2
; COMPUTE_PGM_RSRC2:TRAP_HANDLER: 0
; COMPUTE_PGM_RSRC2:TGID_X_EN: 1
; COMPUTE_PGM_RSRC2:TGID_Y_EN: 0
; COMPUTE_PGM_RSRC2:TGID_Z_EN: 0
; COMPUTE_PGM_RSRC2:TIDIG_COMP_CNT: 0
; COMPUTE_PGM_RSRC3_GFX90A:ACCUM_OFFSET: 0
; COMPUTE_PGM_RSRC3_GFX90A:TG_SPLIT: 0
	.section	.text._ZN7rocprim17ROCPRIM_400000_NS6detail17trampoline_kernelINS0_14default_configENS1_20scan_config_selectorIN3c104HalfEEEZZNS1_9scan_implILNS1_25lookback_scan_determinismE0ELb0ELb0ES3_PKS6_PS6_S6_ZZZN2at6native31launch_logcumsumexp_cuda_kernelERKNSD_10TensorBaseESH_lENKUlvE_clEvENKUlvE3_clEvEUlS6_S6_E_S6_EEDaPvRmT3_T4_T5_mT6_P12ihipStream_tbENKUlT_T0_E_clISt17integral_constantIbLb0EESY_EEDaST_SU_EUlST_E0_NS1_11comp_targetILNS1_3genE3ELNS1_11target_archE908ELNS1_3gpuE7ELNS1_3repE0EEENS1_30default_config_static_selectorELNS0_4arch9wavefront6targetE1EEEvT1_,"axG",@progbits,_ZN7rocprim17ROCPRIM_400000_NS6detail17trampoline_kernelINS0_14default_configENS1_20scan_config_selectorIN3c104HalfEEEZZNS1_9scan_implILNS1_25lookback_scan_determinismE0ELb0ELb0ES3_PKS6_PS6_S6_ZZZN2at6native31launch_logcumsumexp_cuda_kernelERKNSD_10TensorBaseESH_lENKUlvE_clEvENKUlvE3_clEvEUlS6_S6_E_S6_EEDaPvRmT3_T4_T5_mT6_P12ihipStream_tbENKUlT_T0_E_clISt17integral_constantIbLb0EESY_EEDaST_SU_EUlST_E0_NS1_11comp_targetILNS1_3genE3ELNS1_11target_archE908ELNS1_3gpuE7ELNS1_3repE0EEENS1_30default_config_static_selectorELNS0_4arch9wavefront6targetE1EEEvT1_,comdat
	.globl	_ZN7rocprim17ROCPRIM_400000_NS6detail17trampoline_kernelINS0_14default_configENS1_20scan_config_selectorIN3c104HalfEEEZZNS1_9scan_implILNS1_25lookback_scan_determinismE0ELb0ELb0ES3_PKS6_PS6_S6_ZZZN2at6native31launch_logcumsumexp_cuda_kernelERKNSD_10TensorBaseESH_lENKUlvE_clEvENKUlvE3_clEvEUlS6_S6_E_S6_EEDaPvRmT3_T4_T5_mT6_P12ihipStream_tbENKUlT_T0_E_clISt17integral_constantIbLb0EESY_EEDaST_SU_EUlST_E0_NS1_11comp_targetILNS1_3genE3ELNS1_11target_archE908ELNS1_3gpuE7ELNS1_3repE0EEENS1_30default_config_static_selectorELNS0_4arch9wavefront6targetE1EEEvT1_ ; -- Begin function _ZN7rocprim17ROCPRIM_400000_NS6detail17trampoline_kernelINS0_14default_configENS1_20scan_config_selectorIN3c104HalfEEEZZNS1_9scan_implILNS1_25lookback_scan_determinismE0ELb0ELb0ES3_PKS6_PS6_S6_ZZZN2at6native31launch_logcumsumexp_cuda_kernelERKNSD_10TensorBaseESH_lENKUlvE_clEvENKUlvE3_clEvEUlS6_S6_E_S6_EEDaPvRmT3_T4_T5_mT6_P12ihipStream_tbENKUlT_T0_E_clISt17integral_constantIbLb0EESY_EEDaST_SU_EUlST_E0_NS1_11comp_targetILNS1_3genE3ELNS1_11target_archE908ELNS1_3gpuE7ELNS1_3repE0EEENS1_30default_config_static_selectorELNS0_4arch9wavefront6targetE1EEEvT1_
	.p2align	8
	.type	_ZN7rocprim17ROCPRIM_400000_NS6detail17trampoline_kernelINS0_14default_configENS1_20scan_config_selectorIN3c104HalfEEEZZNS1_9scan_implILNS1_25lookback_scan_determinismE0ELb0ELb0ES3_PKS6_PS6_S6_ZZZN2at6native31launch_logcumsumexp_cuda_kernelERKNSD_10TensorBaseESH_lENKUlvE_clEvENKUlvE3_clEvEUlS6_S6_E_S6_EEDaPvRmT3_T4_T5_mT6_P12ihipStream_tbENKUlT_T0_E_clISt17integral_constantIbLb0EESY_EEDaST_SU_EUlST_E0_NS1_11comp_targetILNS1_3genE3ELNS1_11target_archE908ELNS1_3gpuE7ELNS1_3repE0EEENS1_30default_config_static_selectorELNS0_4arch9wavefront6targetE1EEEvT1_,@function
_ZN7rocprim17ROCPRIM_400000_NS6detail17trampoline_kernelINS0_14default_configENS1_20scan_config_selectorIN3c104HalfEEEZZNS1_9scan_implILNS1_25lookback_scan_determinismE0ELb0ELb0ES3_PKS6_PS6_S6_ZZZN2at6native31launch_logcumsumexp_cuda_kernelERKNSD_10TensorBaseESH_lENKUlvE_clEvENKUlvE3_clEvEUlS6_S6_E_S6_EEDaPvRmT3_T4_T5_mT6_P12ihipStream_tbENKUlT_T0_E_clISt17integral_constantIbLb0EESY_EEDaST_SU_EUlST_E0_NS1_11comp_targetILNS1_3genE3ELNS1_11target_archE908ELNS1_3gpuE7ELNS1_3repE0EEENS1_30default_config_static_selectorELNS0_4arch9wavefront6targetE1EEEvT1_: ; @_ZN7rocprim17ROCPRIM_400000_NS6detail17trampoline_kernelINS0_14default_configENS1_20scan_config_selectorIN3c104HalfEEEZZNS1_9scan_implILNS1_25lookback_scan_determinismE0ELb0ELb0ES3_PKS6_PS6_S6_ZZZN2at6native31launch_logcumsumexp_cuda_kernelERKNSD_10TensorBaseESH_lENKUlvE_clEvENKUlvE3_clEvEUlS6_S6_E_S6_EEDaPvRmT3_T4_T5_mT6_P12ihipStream_tbENKUlT_T0_E_clISt17integral_constantIbLb0EESY_EEDaST_SU_EUlST_E0_NS1_11comp_targetILNS1_3genE3ELNS1_11target_archE908ELNS1_3gpuE7ELNS1_3repE0EEENS1_30default_config_static_selectorELNS0_4arch9wavefront6targetE1EEEvT1_
; %bb.0:
	.section	.rodata,"a",@progbits
	.p2align	6, 0x0
	.amdhsa_kernel _ZN7rocprim17ROCPRIM_400000_NS6detail17trampoline_kernelINS0_14default_configENS1_20scan_config_selectorIN3c104HalfEEEZZNS1_9scan_implILNS1_25lookback_scan_determinismE0ELb0ELb0ES3_PKS6_PS6_S6_ZZZN2at6native31launch_logcumsumexp_cuda_kernelERKNSD_10TensorBaseESH_lENKUlvE_clEvENKUlvE3_clEvEUlS6_S6_E_S6_EEDaPvRmT3_T4_T5_mT6_P12ihipStream_tbENKUlT_T0_E_clISt17integral_constantIbLb0EESY_EEDaST_SU_EUlST_E0_NS1_11comp_targetILNS1_3genE3ELNS1_11target_archE908ELNS1_3gpuE7ELNS1_3repE0EEENS1_30default_config_static_selectorELNS0_4arch9wavefront6targetE1EEEvT1_
		.amdhsa_group_segment_fixed_size 0
		.amdhsa_private_segment_fixed_size 0
		.amdhsa_kernarg_size 32
		.amdhsa_user_sgpr_count 2
		.amdhsa_user_sgpr_dispatch_ptr 0
		.amdhsa_user_sgpr_queue_ptr 0
		.amdhsa_user_sgpr_kernarg_segment_ptr 1
		.amdhsa_user_sgpr_dispatch_id 0
		.amdhsa_user_sgpr_kernarg_preload_length 0
		.amdhsa_user_sgpr_kernarg_preload_offset 0
		.amdhsa_user_sgpr_private_segment_size 0
		.amdhsa_uses_dynamic_stack 0
		.amdhsa_enable_private_segment 0
		.amdhsa_system_sgpr_workgroup_id_x 1
		.amdhsa_system_sgpr_workgroup_id_y 0
		.amdhsa_system_sgpr_workgroup_id_z 0
		.amdhsa_system_sgpr_workgroup_info 0
		.amdhsa_system_vgpr_workitem_id 0
		.amdhsa_next_free_vgpr 1
		.amdhsa_next_free_sgpr 0
		.amdhsa_accum_offset 4
		.amdhsa_reserve_vcc 0
		.amdhsa_float_round_mode_32 0
		.amdhsa_float_round_mode_16_64 0
		.amdhsa_float_denorm_mode_32 3
		.amdhsa_float_denorm_mode_16_64 3
		.amdhsa_dx10_clamp 1
		.amdhsa_ieee_mode 1
		.amdhsa_fp16_overflow 0
		.amdhsa_tg_split 0
		.amdhsa_exception_fp_ieee_invalid_op 0
		.amdhsa_exception_fp_denorm_src 0
		.amdhsa_exception_fp_ieee_div_zero 0
		.amdhsa_exception_fp_ieee_overflow 0
		.amdhsa_exception_fp_ieee_underflow 0
		.amdhsa_exception_fp_ieee_inexact 0
		.amdhsa_exception_int_div_zero 0
	.end_amdhsa_kernel
	.section	.text._ZN7rocprim17ROCPRIM_400000_NS6detail17trampoline_kernelINS0_14default_configENS1_20scan_config_selectorIN3c104HalfEEEZZNS1_9scan_implILNS1_25lookback_scan_determinismE0ELb0ELb0ES3_PKS6_PS6_S6_ZZZN2at6native31launch_logcumsumexp_cuda_kernelERKNSD_10TensorBaseESH_lENKUlvE_clEvENKUlvE3_clEvEUlS6_S6_E_S6_EEDaPvRmT3_T4_T5_mT6_P12ihipStream_tbENKUlT_T0_E_clISt17integral_constantIbLb0EESY_EEDaST_SU_EUlST_E0_NS1_11comp_targetILNS1_3genE3ELNS1_11target_archE908ELNS1_3gpuE7ELNS1_3repE0EEENS1_30default_config_static_selectorELNS0_4arch9wavefront6targetE1EEEvT1_,"axG",@progbits,_ZN7rocprim17ROCPRIM_400000_NS6detail17trampoline_kernelINS0_14default_configENS1_20scan_config_selectorIN3c104HalfEEEZZNS1_9scan_implILNS1_25lookback_scan_determinismE0ELb0ELb0ES3_PKS6_PS6_S6_ZZZN2at6native31launch_logcumsumexp_cuda_kernelERKNSD_10TensorBaseESH_lENKUlvE_clEvENKUlvE3_clEvEUlS6_S6_E_S6_EEDaPvRmT3_T4_T5_mT6_P12ihipStream_tbENKUlT_T0_E_clISt17integral_constantIbLb0EESY_EEDaST_SU_EUlST_E0_NS1_11comp_targetILNS1_3genE3ELNS1_11target_archE908ELNS1_3gpuE7ELNS1_3repE0EEENS1_30default_config_static_selectorELNS0_4arch9wavefront6targetE1EEEvT1_,comdat
.Lfunc_end380:
	.size	_ZN7rocprim17ROCPRIM_400000_NS6detail17trampoline_kernelINS0_14default_configENS1_20scan_config_selectorIN3c104HalfEEEZZNS1_9scan_implILNS1_25lookback_scan_determinismE0ELb0ELb0ES3_PKS6_PS6_S6_ZZZN2at6native31launch_logcumsumexp_cuda_kernelERKNSD_10TensorBaseESH_lENKUlvE_clEvENKUlvE3_clEvEUlS6_S6_E_S6_EEDaPvRmT3_T4_T5_mT6_P12ihipStream_tbENKUlT_T0_E_clISt17integral_constantIbLb0EESY_EEDaST_SU_EUlST_E0_NS1_11comp_targetILNS1_3genE3ELNS1_11target_archE908ELNS1_3gpuE7ELNS1_3repE0EEENS1_30default_config_static_selectorELNS0_4arch9wavefront6targetE1EEEvT1_, .Lfunc_end380-_ZN7rocprim17ROCPRIM_400000_NS6detail17trampoline_kernelINS0_14default_configENS1_20scan_config_selectorIN3c104HalfEEEZZNS1_9scan_implILNS1_25lookback_scan_determinismE0ELb0ELb0ES3_PKS6_PS6_S6_ZZZN2at6native31launch_logcumsumexp_cuda_kernelERKNSD_10TensorBaseESH_lENKUlvE_clEvENKUlvE3_clEvEUlS6_S6_E_S6_EEDaPvRmT3_T4_T5_mT6_P12ihipStream_tbENKUlT_T0_E_clISt17integral_constantIbLb0EESY_EEDaST_SU_EUlST_E0_NS1_11comp_targetILNS1_3genE3ELNS1_11target_archE908ELNS1_3gpuE7ELNS1_3repE0EEENS1_30default_config_static_selectorELNS0_4arch9wavefront6targetE1EEEvT1_
                                        ; -- End function
	.section	.AMDGPU.csdata,"",@progbits
; Kernel info:
; codeLenInByte = 0
; NumSgprs: 6
; NumVgprs: 0
; NumAgprs: 0
; TotalNumVgprs: 0
; ScratchSize: 0
; MemoryBound: 0
; FloatMode: 240
; IeeeMode: 1
; LDSByteSize: 0 bytes/workgroup (compile time only)
; SGPRBlocks: 0
; VGPRBlocks: 0
; NumSGPRsForWavesPerEU: 6
; NumVGPRsForWavesPerEU: 1
; AccumOffset: 4
; Occupancy: 8
; WaveLimiterHint : 0
; COMPUTE_PGM_RSRC2:SCRATCH_EN: 0
; COMPUTE_PGM_RSRC2:USER_SGPR: 2
; COMPUTE_PGM_RSRC2:TRAP_HANDLER: 0
; COMPUTE_PGM_RSRC2:TGID_X_EN: 1
; COMPUTE_PGM_RSRC2:TGID_Y_EN: 0
; COMPUTE_PGM_RSRC2:TGID_Z_EN: 0
; COMPUTE_PGM_RSRC2:TIDIG_COMP_CNT: 0
; COMPUTE_PGM_RSRC3_GFX90A:ACCUM_OFFSET: 0
; COMPUTE_PGM_RSRC3_GFX90A:TG_SPLIT: 0
	.section	.text._ZN7rocprim17ROCPRIM_400000_NS6detail17trampoline_kernelINS0_14default_configENS1_20scan_config_selectorIN3c104HalfEEEZZNS1_9scan_implILNS1_25lookback_scan_determinismE0ELb0ELb0ES3_PKS6_PS6_S6_ZZZN2at6native31launch_logcumsumexp_cuda_kernelERKNSD_10TensorBaseESH_lENKUlvE_clEvENKUlvE3_clEvEUlS6_S6_E_S6_EEDaPvRmT3_T4_T5_mT6_P12ihipStream_tbENKUlT_T0_E_clISt17integral_constantIbLb0EESY_EEDaST_SU_EUlST_E0_NS1_11comp_targetILNS1_3genE2ELNS1_11target_archE906ELNS1_3gpuE6ELNS1_3repE0EEENS1_30default_config_static_selectorELNS0_4arch9wavefront6targetE1EEEvT1_,"axG",@progbits,_ZN7rocprim17ROCPRIM_400000_NS6detail17trampoline_kernelINS0_14default_configENS1_20scan_config_selectorIN3c104HalfEEEZZNS1_9scan_implILNS1_25lookback_scan_determinismE0ELb0ELb0ES3_PKS6_PS6_S6_ZZZN2at6native31launch_logcumsumexp_cuda_kernelERKNSD_10TensorBaseESH_lENKUlvE_clEvENKUlvE3_clEvEUlS6_S6_E_S6_EEDaPvRmT3_T4_T5_mT6_P12ihipStream_tbENKUlT_T0_E_clISt17integral_constantIbLb0EESY_EEDaST_SU_EUlST_E0_NS1_11comp_targetILNS1_3genE2ELNS1_11target_archE906ELNS1_3gpuE6ELNS1_3repE0EEENS1_30default_config_static_selectorELNS0_4arch9wavefront6targetE1EEEvT1_,comdat
	.globl	_ZN7rocprim17ROCPRIM_400000_NS6detail17trampoline_kernelINS0_14default_configENS1_20scan_config_selectorIN3c104HalfEEEZZNS1_9scan_implILNS1_25lookback_scan_determinismE0ELb0ELb0ES3_PKS6_PS6_S6_ZZZN2at6native31launch_logcumsumexp_cuda_kernelERKNSD_10TensorBaseESH_lENKUlvE_clEvENKUlvE3_clEvEUlS6_S6_E_S6_EEDaPvRmT3_T4_T5_mT6_P12ihipStream_tbENKUlT_T0_E_clISt17integral_constantIbLb0EESY_EEDaST_SU_EUlST_E0_NS1_11comp_targetILNS1_3genE2ELNS1_11target_archE906ELNS1_3gpuE6ELNS1_3repE0EEENS1_30default_config_static_selectorELNS0_4arch9wavefront6targetE1EEEvT1_ ; -- Begin function _ZN7rocprim17ROCPRIM_400000_NS6detail17trampoline_kernelINS0_14default_configENS1_20scan_config_selectorIN3c104HalfEEEZZNS1_9scan_implILNS1_25lookback_scan_determinismE0ELb0ELb0ES3_PKS6_PS6_S6_ZZZN2at6native31launch_logcumsumexp_cuda_kernelERKNSD_10TensorBaseESH_lENKUlvE_clEvENKUlvE3_clEvEUlS6_S6_E_S6_EEDaPvRmT3_T4_T5_mT6_P12ihipStream_tbENKUlT_T0_E_clISt17integral_constantIbLb0EESY_EEDaST_SU_EUlST_E0_NS1_11comp_targetILNS1_3genE2ELNS1_11target_archE906ELNS1_3gpuE6ELNS1_3repE0EEENS1_30default_config_static_selectorELNS0_4arch9wavefront6targetE1EEEvT1_
	.p2align	8
	.type	_ZN7rocprim17ROCPRIM_400000_NS6detail17trampoline_kernelINS0_14default_configENS1_20scan_config_selectorIN3c104HalfEEEZZNS1_9scan_implILNS1_25lookback_scan_determinismE0ELb0ELb0ES3_PKS6_PS6_S6_ZZZN2at6native31launch_logcumsumexp_cuda_kernelERKNSD_10TensorBaseESH_lENKUlvE_clEvENKUlvE3_clEvEUlS6_S6_E_S6_EEDaPvRmT3_T4_T5_mT6_P12ihipStream_tbENKUlT_T0_E_clISt17integral_constantIbLb0EESY_EEDaST_SU_EUlST_E0_NS1_11comp_targetILNS1_3genE2ELNS1_11target_archE906ELNS1_3gpuE6ELNS1_3repE0EEENS1_30default_config_static_selectorELNS0_4arch9wavefront6targetE1EEEvT1_,@function
_ZN7rocprim17ROCPRIM_400000_NS6detail17trampoline_kernelINS0_14default_configENS1_20scan_config_selectorIN3c104HalfEEEZZNS1_9scan_implILNS1_25lookback_scan_determinismE0ELb0ELb0ES3_PKS6_PS6_S6_ZZZN2at6native31launch_logcumsumexp_cuda_kernelERKNSD_10TensorBaseESH_lENKUlvE_clEvENKUlvE3_clEvEUlS6_S6_E_S6_EEDaPvRmT3_T4_T5_mT6_P12ihipStream_tbENKUlT_T0_E_clISt17integral_constantIbLb0EESY_EEDaST_SU_EUlST_E0_NS1_11comp_targetILNS1_3genE2ELNS1_11target_archE906ELNS1_3gpuE6ELNS1_3repE0EEENS1_30default_config_static_selectorELNS0_4arch9wavefront6targetE1EEEvT1_: ; @_ZN7rocprim17ROCPRIM_400000_NS6detail17trampoline_kernelINS0_14default_configENS1_20scan_config_selectorIN3c104HalfEEEZZNS1_9scan_implILNS1_25lookback_scan_determinismE0ELb0ELb0ES3_PKS6_PS6_S6_ZZZN2at6native31launch_logcumsumexp_cuda_kernelERKNSD_10TensorBaseESH_lENKUlvE_clEvENKUlvE3_clEvEUlS6_S6_E_S6_EEDaPvRmT3_T4_T5_mT6_P12ihipStream_tbENKUlT_T0_E_clISt17integral_constantIbLb0EESY_EEDaST_SU_EUlST_E0_NS1_11comp_targetILNS1_3genE2ELNS1_11target_archE906ELNS1_3gpuE6ELNS1_3repE0EEENS1_30default_config_static_selectorELNS0_4arch9wavefront6targetE1EEEvT1_
; %bb.0:
	.section	.rodata,"a",@progbits
	.p2align	6, 0x0
	.amdhsa_kernel _ZN7rocprim17ROCPRIM_400000_NS6detail17trampoline_kernelINS0_14default_configENS1_20scan_config_selectorIN3c104HalfEEEZZNS1_9scan_implILNS1_25lookback_scan_determinismE0ELb0ELb0ES3_PKS6_PS6_S6_ZZZN2at6native31launch_logcumsumexp_cuda_kernelERKNSD_10TensorBaseESH_lENKUlvE_clEvENKUlvE3_clEvEUlS6_S6_E_S6_EEDaPvRmT3_T4_T5_mT6_P12ihipStream_tbENKUlT_T0_E_clISt17integral_constantIbLb0EESY_EEDaST_SU_EUlST_E0_NS1_11comp_targetILNS1_3genE2ELNS1_11target_archE906ELNS1_3gpuE6ELNS1_3repE0EEENS1_30default_config_static_selectorELNS0_4arch9wavefront6targetE1EEEvT1_
		.amdhsa_group_segment_fixed_size 0
		.amdhsa_private_segment_fixed_size 0
		.amdhsa_kernarg_size 32
		.amdhsa_user_sgpr_count 2
		.amdhsa_user_sgpr_dispatch_ptr 0
		.amdhsa_user_sgpr_queue_ptr 0
		.amdhsa_user_sgpr_kernarg_segment_ptr 1
		.amdhsa_user_sgpr_dispatch_id 0
		.amdhsa_user_sgpr_kernarg_preload_length 0
		.amdhsa_user_sgpr_kernarg_preload_offset 0
		.amdhsa_user_sgpr_private_segment_size 0
		.amdhsa_uses_dynamic_stack 0
		.amdhsa_enable_private_segment 0
		.amdhsa_system_sgpr_workgroup_id_x 1
		.amdhsa_system_sgpr_workgroup_id_y 0
		.amdhsa_system_sgpr_workgroup_id_z 0
		.amdhsa_system_sgpr_workgroup_info 0
		.amdhsa_system_vgpr_workitem_id 0
		.amdhsa_next_free_vgpr 1
		.amdhsa_next_free_sgpr 0
		.amdhsa_accum_offset 4
		.amdhsa_reserve_vcc 0
		.amdhsa_float_round_mode_32 0
		.amdhsa_float_round_mode_16_64 0
		.amdhsa_float_denorm_mode_32 3
		.amdhsa_float_denorm_mode_16_64 3
		.amdhsa_dx10_clamp 1
		.amdhsa_ieee_mode 1
		.amdhsa_fp16_overflow 0
		.amdhsa_tg_split 0
		.amdhsa_exception_fp_ieee_invalid_op 0
		.amdhsa_exception_fp_denorm_src 0
		.amdhsa_exception_fp_ieee_div_zero 0
		.amdhsa_exception_fp_ieee_overflow 0
		.amdhsa_exception_fp_ieee_underflow 0
		.amdhsa_exception_fp_ieee_inexact 0
		.amdhsa_exception_int_div_zero 0
	.end_amdhsa_kernel
	.section	.text._ZN7rocprim17ROCPRIM_400000_NS6detail17trampoline_kernelINS0_14default_configENS1_20scan_config_selectorIN3c104HalfEEEZZNS1_9scan_implILNS1_25lookback_scan_determinismE0ELb0ELb0ES3_PKS6_PS6_S6_ZZZN2at6native31launch_logcumsumexp_cuda_kernelERKNSD_10TensorBaseESH_lENKUlvE_clEvENKUlvE3_clEvEUlS6_S6_E_S6_EEDaPvRmT3_T4_T5_mT6_P12ihipStream_tbENKUlT_T0_E_clISt17integral_constantIbLb0EESY_EEDaST_SU_EUlST_E0_NS1_11comp_targetILNS1_3genE2ELNS1_11target_archE906ELNS1_3gpuE6ELNS1_3repE0EEENS1_30default_config_static_selectorELNS0_4arch9wavefront6targetE1EEEvT1_,"axG",@progbits,_ZN7rocprim17ROCPRIM_400000_NS6detail17trampoline_kernelINS0_14default_configENS1_20scan_config_selectorIN3c104HalfEEEZZNS1_9scan_implILNS1_25lookback_scan_determinismE0ELb0ELb0ES3_PKS6_PS6_S6_ZZZN2at6native31launch_logcumsumexp_cuda_kernelERKNSD_10TensorBaseESH_lENKUlvE_clEvENKUlvE3_clEvEUlS6_S6_E_S6_EEDaPvRmT3_T4_T5_mT6_P12ihipStream_tbENKUlT_T0_E_clISt17integral_constantIbLb0EESY_EEDaST_SU_EUlST_E0_NS1_11comp_targetILNS1_3genE2ELNS1_11target_archE906ELNS1_3gpuE6ELNS1_3repE0EEENS1_30default_config_static_selectorELNS0_4arch9wavefront6targetE1EEEvT1_,comdat
.Lfunc_end381:
	.size	_ZN7rocprim17ROCPRIM_400000_NS6detail17trampoline_kernelINS0_14default_configENS1_20scan_config_selectorIN3c104HalfEEEZZNS1_9scan_implILNS1_25lookback_scan_determinismE0ELb0ELb0ES3_PKS6_PS6_S6_ZZZN2at6native31launch_logcumsumexp_cuda_kernelERKNSD_10TensorBaseESH_lENKUlvE_clEvENKUlvE3_clEvEUlS6_S6_E_S6_EEDaPvRmT3_T4_T5_mT6_P12ihipStream_tbENKUlT_T0_E_clISt17integral_constantIbLb0EESY_EEDaST_SU_EUlST_E0_NS1_11comp_targetILNS1_3genE2ELNS1_11target_archE906ELNS1_3gpuE6ELNS1_3repE0EEENS1_30default_config_static_selectorELNS0_4arch9wavefront6targetE1EEEvT1_, .Lfunc_end381-_ZN7rocprim17ROCPRIM_400000_NS6detail17trampoline_kernelINS0_14default_configENS1_20scan_config_selectorIN3c104HalfEEEZZNS1_9scan_implILNS1_25lookback_scan_determinismE0ELb0ELb0ES3_PKS6_PS6_S6_ZZZN2at6native31launch_logcumsumexp_cuda_kernelERKNSD_10TensorBaseESH_lENKUlvE_clEvENKUlvE3_clEvEUlS6_S6_E_S6_EEDaPvRmT3_T4_T5_mT6_P12ihipStream_tbENKUlT_T0_E_clISt17integral_constantIbLb0EESY_EEDaST_SU_EUlST_E0_NS1_11comp_targetILNS1_3genE2ELNS1_11target_archE906ELNS1_3gpuE6ELNS1_3repE0EEENS1_30default_config_static_selectorELNS0_4arch9wavefront6targetE1EEEvT1_
                                        ; -- End function
	.section	.AMDGPU.csdata,"",@progbits
; Kernel info:
; codeLenInByte = 0
; NumSgprs: 6
; NumVgprs: 0
; NumAgprs: 0
; TotalNumVgprs: 0
; ScratchSize: 0
; MemoryBound: 0
; FloatMode: 240
; IeeeMode: 1
; LDSByteSize: 0 bytes/workgroup (compile time only)
; SGPRBlocks: 0
; VGPRBlocks: 0
; NumSGPRsForWavesPerEU: 6
; NumVGPRsForWavesPerEU: 1
; AccumOffset: 4
; Occupancy: 8
; WaveLimiterHint : 0
; COMPUTE_PGM_RSRC2:SCRATCH_EN: 0
; COMPUTE_PGM_RSRC2:USER_SGPR: 2
; COMPUTE_PGM_RSRC2:TRAP_HANDLER: 0
; COMPUTE_PGM_RSRC2:TGID_X_EN: 1
; COMPUTE_PGM_RSRC2:TGID_Y_EN: 0
; COMPUTE_PGM_RSRC2:TGID_Z_EN: 0
; COMPUTE_PGM_RSRC2:TIDIG_COMP_CNT: 0
; COMPUTE_PGM_RSRC3_GFX90A:ACCUM_OFFSET: 0
; COMPUTE_PGM_RSRC3_GFX90A:TG_SPLIT: 0
	.section	.text._ZN7rocprim17ROCPRIM_400000_NS6detail17trampoline_kernelINS0_14default_configENS1_20scan_config_selectorIN3c104HalfEEEZZNS1_9scan_implILNS1_25lookback_scan_determinismE0ELb0ELb0ES3_PKS6_PS6_S6_ZZZN2at6native31launch_logcumsumexp_cuda_kernelERKNSD_10TensorBaseESH_lENKUlvE_clEvENKUlvE3_clEvEUlS6_S6_E_S6_EEDaPvRmT3_T4_T5_mT6_P12ihipStream_tbENKUlT_T0_E_clISt17integral_constantIbLb0EESY_EEDaST_SU_EUlST_E0_NS1_11comp_targetILNS1_3genE10ELNS1_11target_archE1201ELNS1_3gpuE5ELNS1_3repE0EEENS1_30default_config_static_selectorELNS0_4arch9wavefront6targetE1EEEvT1_,"axG",@progbits,_ZN7rocprim17ROCPRIM_400000_NS6detail17trampoline_kernelINS0_14default_configENS1_20scan_config_selectorIN3c104HalfEEEZZNS1_9scan_implILNS1_25lookback_scan_determinismE0ELb0ELb0ES3_PKS6_PS6_S6_ZZZN2at6native31launch_logcumsumexp_cuda_kernelERKNSD_10TensorBaseESH_lENKUlvE_clEvENKUlvE3_clEvEUlS6_S6_E_S6_EEDaPvRmT3_T4_T5_mT6_P12ihipStream_tbENKUlT_T0_E_clISt17integral_constantIbLb0EESY_EEDaST_SU_EUlST_E0_NS1_11comp_targetILNS1_3genE10ELNS1_11target_archE1201ELNS1_3gpuE5ELNS1_3repE0EEENS1_30default_config_static_selectorELNS0_4arch9wavefront6targetE1EEEvT1_,comdat
	.globl	_ZN7rocprim17ROCPRIM_400000_NS6detail17trampoline_kernelINS0_14default_configENS1_20scan_config_selectorIN3c104HalfEEEZZNS1_9scan_implILNS1_25lookback_scan_determinismE0ELb0ELb0ES3_PKS6_PS6_S6_ZZZN2at6native31launch_logcumsumexp_cuda_kernelERKNSD_10TensorBaseESH_lENKUlvE_clEvENKUlvE3_clEvEUlS6_S6_E_S6_EEDaPvRmT3_T4_T5_mT6_P12ihipStream_tbENKUlT_T0_E_clISt17integral_constantIbLb0EESY_EEDaST_SU_EUlST_E0_NS1_11comp_targetILNS1_3genE10ELNS1_11target_archE1201ELNS1_3gpuE5ELNS1_3repE0EEENS1_30default_config_static_selectorELNS0_4arch9wavefront6targetE1EEEvT1_ ; -- Begin function _ZN7rocprim17ROCPRIM_400000_NS6detail17trampoline_kernelINS0_14default_configENS1_20scan_config_selectorIN3c104HalfEEEZZNS1_9scan_implILNS1_25lookback_scan_determinismE0ELb0ELb0ES3_PKS6_PS6_S6_ZZZN2at6native31launch_logcumsumexp_cuda_kernelERKNSD_10TensorBaseESH_lENKUlvE_clEvENKUlvE3_clEvEUlS6_S6_E_S6_EEDaPvRmT3_T4_T5_mT6_P12ihipStream_tbENKUlT_T0_E_clISt17integral_constantIbLb0EESY_EEDaST_SU_EUlST_E0_NS1_11comp_targetILNS1_3genE10ELNS1_11target_archE1201ELNS1_3gpuE5ELNS1_3repE0EEENS1_30default_config_static_selectorELNS0_4arch9wavefront6targetE1EEEvT1_
	.p2align	8
	.type	_ZN7rocprim17ROCPRIM_400000_NS6detail17trampoline_kernelINS0_14default_configENS1_20scan_config_selectorIN3c104HalfEEEZZNS1_9scan_implILNS1_25lookback_scan_determinismE0ELb0ELb0ES3_PKS6_PS6_S6_ZZZN2at6native31launch_logcumsumexp_cuda_kernelERKNSD_10TensorBaseESH_lENKUlvE_clEvENKUlvE3_clEvEUlS6_S6_E_S6_EEDaPvRmT3_T4_T5_mT6_P12ihipStream_tbENKUlT_T0_E_clISt17integral_constantIbLb0EESY_EEDaST_SU_EUlST_E0_NS1_11comp_targetILNS1_3genE10ELNS1_11target_archE1201ELNS1_3gpuE5ELNS1_3repE0EEENS1_30default_config_static_selectorELNS0_4arch9wavefront6targetE1EEEvT1_,@function
_ZN7rocprim17ROCPRIM_400000_NS6detail17trampoline_kernelINS0_14default_configENS1_20scan_config_selectorIN3c104HalfEEEZZNS1_9scan_implILNS1_25lookback_scan_determinismE0ELb0ELb0ES3_PKS6_PS6_S6_ZZZN2at6native31launch_logcumsumexp_cuda_kernelERKNSD_10TensorBaseESH_lENKUlvE_clEvENKUlvE3_clEvEUlS6_S6_E_S6_EEDaPvRmT3_T4_T5_mT6_P12ihipStream_tbENKUlT_T0_E_clISt17integral_constantIbLb0EESY_EEDaST_SU_EUlST_E0_NS1_11comp_targetILNS1_3genE10ELNS1_11target_archE1201ELNS1_3gpuE5ELNS1_3repE0EEENS1_30default_config_static_selectorELNS0_4arch9wavefront6targetE1EEEvT1_: ; @_ZN7rocprim17ROCPRIM_400000_NS6detail17trampoline_kernelINS0_14default_configENS1_20scan_config_selectorIN3c104HalfEEEZZNS1_9scan_implILNS1_25lookback_scan_determinismE0ELb0ELb0ES3_PKS6_PS6_S6_ZZZN2at6native31launch_logcumsumexp_cuda_kernelERKNSD_10TensorBaseESH_lENKUlvE_clEvENKUlvE3_clEvEUlS6_S6_E_S6_EEDaPvRmT3_T4_T5_mT6_P12ihipStream_tbENKUlT_T0_E_clISt17integral_constantIbLb0EESY_EEDaST_SU_EUlST_E0_NS1_11comp_targetILNS1_3genE10ELNS1_11target_archE1201ELNS1_3gpuE5ELNS1_3repE0EEENS1_30default_config_static_selectorELNS0_4arch9wavefront6targetE1EEEvT1_
; %bb.0:
	.section	.rodata,"a",@progbits
	.p2align	6, 0x0
	.amdhsa_kernel _ZN7rocprim17ROCPRIM_400000_NS6detail17trampoline_kernelINS0_14default_configENS1_20scan_config_selectorIN3c104HalfEEEZZNS1_9scan_implILNS1_25lookback_scan_determinismE0ELb0ELb0ES3_PKS6_PS6_S6_ZZZN2at6native31launch_logcumsumexp_cuda_kernelERKNSD_10TensorBaseESH_lENKUlvE_clEvENKUlvE3_clEvEUlS6_S6_E_S6_EEDaPvRmT3_T4_T5_mT6_P12ihipStream_tbENKUlT_T0_E_clISt17integral_constantIbLb0EESY_EEDaST_SU_EUlST_E0_NS1_11comp_targetILNS1_3genE10ELNS1_11target_archE1201ELNS1_3gpuE5ELNS1_3repE0EEENS1_30default_config_static_selectorELNS0_4arch9wavefront6targetE1EEEvT1_
		.amdhsa_group_segment_fixed_size 0
		.amdhsa_private_segment_fixed_size 0
		.amdhsa_kernarg_size 32
		.amdhsa_user_sgpr_count 2
		.amdhsa_user_sgpr_dispatch_ptr 0
		.amdhsa_user_sgpr_queue_ptr 0
		.amdhsa_user_sgpr_kernarg_segment_ptr 1
		.amdhsa_user_sgpr_dispatch_id 0
		.amdhsa_user_sgpr_kernarg_preload_length 0
		.amdhsa_user_sgpr_kernarg_preload_offset 0
		.amdhsa_user_sgpr_private_segment_size 0
		.amdhsa_uses_dynamic_stack 0
		.amdhsa_enable_private_segment 0
		.amdhsa_system_sgpr_workgroup_id_x 1
		.amdhsa_system_sgpr_workgroup_id_y 0
		.amdhsa_system_sgpr_workgroup_id_z 0
		.amdhsa_system_sgpr_workgroup_info 0
		.amdhsa_system_vgpr_workitem_id 0
		.amdhsa_next_free_vgpr 1
		.amdhsa_next_free_sgpr 0
		.amdhsa_accum_offset 4
		.amdhsa_reserve_vcc 0
		.amdhsa_float_round_mode_32 0
		.amdhsa_float_round_mode_16_64 0
		.amdhsa_float_denorm_mode_32 3
		.amdhsa_float_denorm_mode_16_64 3
		.amdhsa_dx10_clamp 1
		.amdhsa_ieee_mode 1
		.amdhsa_fp16_overflow 0
		.amdhsa_tg_split 0
		.amdhsa_exception_fp_ieee_invalid_op 0
		.amdhsa_exception_fp_denorm_src 0
		.amdhsa_exception_fp_ieee_div_zero 0
		.amdhsa_exception_fp_ieee_overflow 0
		.amdhsa_exception_fp_ieee_underflow 0
		.amdhsa_exception_fp_ieee_inexact 0
		.amdhsa_exception_int_div_zero 0
	.end_amdhsa_kernel
	.section	.text._ZN7rocprim17ROCPRIM_400000_NS6detail17trampoline_kernelINS0_14default_configENS1_20scan_config_selectorIN3c104HalfEEEZZNS1_9scan_implILNS1_25lookback_scan_determinismE0ELb0ELb0ES3_PKS6_PS6_S6_ZZZN2at6native31launch_logcumsumexp_cuda_kernelERKNSD_10TensorBaseESH_lENKUlvE_clEvENKUlvE3_clEvEUlS6_S6_E_S6_EEDaPvRmT3_T4_T5_mT6_P12ihipStream_tbENKUlT_T0_E_clISt17integral_constantIbLb0EESY_EEDaST_SU_EUlST_E0_NS1_11comp_targetILNS1_3genE10ELNS1_11target_archE1201ELNS1_3gpuE5ELNS1_3repE0EEENS1_30default_config_static_selectorELNS0_4arch9wavefront6targetE1EEEvT1_,"axG",@progbits,_ZN7rocprim17ROCPRIM_400000_NS6detail17trampoline_kernelINS0_14default_configENS1_20scan_config_selectorIN3c104HalfEEEZZNS1_9scan_implILNS1_25lookback_scan_determinismE0ELb0ELb0ES3_PKS6_PS6_S6_ZZZN2at6native31launch_logcumsumexp_cuda_kernelERKNSD_10TensorBaseESH_lENKUlvE_clEvENKUlvE3_clEvEUlS6_S6_E_S6_EEDaPvRmT3_T4_T5_mT6_P12ihipStream_tbENKUlT_T0_E_clISt17integral_constantIbLb0EESY_EEDaST_SU_EUlST_E0_NS1_11comp_targetILNS1_3genE10ELNS1_11target_archE1201ELNS1_3gpuE5ELNS1_3repE0EEENS1_30default_config_static_selectorELNS0_4arch9wavefront6targetE1EEEvT1_,comdat
.Lfunc_end382:
	.size	_ZN7rocprim17ROCPRIM_400000_NS6detail17trampoline_kernelINS0_14default_configENS1_20scan_config_selectorIN3c104HalfEEEZZNS1_9scan_implILNS1_25lookback_scan_determinismE0ELb0ELb0ES3_PKS6_PS6_S6_ZZZN2at6native31launch_logcumsumexp_cuda_kernelERKNSD_10TensorBaseESH_lENKUlvE_clEvENKUlvE3_clEvEUlS6_S6_E_S6_EEDaPvRmT3_T4_T5_mT6_P12ihipStream_tbENKUlT_T0_E_clISt17integral_constantIbLb0EESY_EEDaST_SU_EUlST_E0_NS1_11comp_targetILNS1_3genE10ELNS1_11target_archE1201ELNS1_3gpuE5ELNS1_3repE0EEENS1_30default_config_static_selectorELNS0_4arch9wavefront6targetE1EEEvT1_, .Lfunc_end382-_ZN7rocprim17ROCPRIM_400000_NS6detail17trampoline_kernelINS0_14default_configENS1_20scan_config_selectorIN3c104HalfEEEZZNS1_9scan_implILNS1_25lookback_scan_determinismE0ELb0ELb0ES3_PKS6_PS6_S6_ZZZN2at6native31launch_logcumsumexp_cuda_kernelERKNSD_10TensorBaseESH_lENKUlvE_clEvENKUlvE3_clEvEUlS6_S6_E_S6_EEDaPvRmT3_T4_T5_mT6_P12ihipStream_tbENKUlT_T0_E_clISt17integral_constantIbLb0EESY_EEDaST_SU_EUlST_E0_NS1_11comp_targetILNS1_3genE10ELNS1_11target_archE1201ELNS1_3gpuE5ELNS1_3repE0EEENS1_30default_config_static_selectorELNS0_4arch9wavefront6targetE1EEEvT1_
                                        ; -- End function
	.section	.AMDGPU.csdata,"",@progbits
; Kernel info:
; codeLenInByte = 0
; NumSgprs: 6
; NumVgprs: 0
; NumAgprs: 0
; TotalNumVgprs: 0
; ScratchSize: 0
; MemoryBound: 0
; FloatMode: 240
; IeeeMode: 1
; LDSByteSize: 0 bytes/workgroup (compile time only)
; SGPRBlocks: 0
; VGPRBlocks: 0
; NumSGPRsForWavesPerEU: 6
; NumVGPRsForWavesPerEU: 1
; AccumOffset: 4
; Occupancy: 8
; WaveLimiterHint : 0
; COMPUTE_PGM_RSRC2:SCRATCH_EN: 0
; COMPUTE_PGM_RSRC2:USER_SGPR: 2
; COMPUTE_PGM_RSRC2:TRAP_HANDLER: 0
; COMPUTE_PGM_RSRC2:TGID_X_EN: 1
; COMPUTE_PGM_RSRC2:TGID_Y_EN: 0
; COMPUTE_PGM_RSRC2:TGID_Z_EN: 0
; COMPUTE_PGM_RSRC2:TIDIG_COMP_CNT: 0
; COMPUTE_PGM_RSRC3_GFX90A:ACCUM_OFFSET: 0
; COMPUTE_PGM_RSRC3_GFX90A:TG_SPLIT: 0
	.section	.text._ZN7rocprim17ROCPRIM_400000_NS6detail17trampoline_kernelINS0_14default_configENS1_20scan_config_selectorIN3c104HalfEEEZZNS1_9scan_implILNS1_25lookback_scan_determinismE0ELb0ELb0ES3_PKS6_PS6_S6_ZZZN2at6native31launch_logcumsumexp_cuda_kernelERKNSD_10TensorBaseESH_lENKUlvE_clEvENKUlvE3_clEvEUlS6_S6_E_S6_EEDaPvRmT3_T4_T5_mT6_P12ihipStream_tbENKUlT_T0_E_clISt17integral_constantIbLb0EESY_EEDaST_SU_EUlST_E0_NS1_11comp_targetILNS1_3genE10ELNS1_11target_archE1200ELNS1_3gpuE4ELNS1_3repE0EEENS1_30default_config_static_selectorELNS0_4arch9wavefront6targetE1EEEvT1_,"axG",@progbits,_ZN7rocprim17ROCPRIM_400000_NS6detail17trampoline_kernelINS0_14default_configENS1_20scan_config_selectorIN3c104HalfEEEZZNS1_9scan_implILNS1_25lookback_scan_determinismE0ELb0ELb0ES3_PKS6_PS6_S6_ZZZN2at6native31launch_logcumsumexp_cuda_kernelERKNSD_10TensorBaseESH_lENKUlvE_clEvENKUlvE3_clEvEUlS6_S6_E_S6_EEDaPvRmT3_T4_T5_mT6_P12ihipStream_tbENKUlT_T0_E_clISt17integral_constantIbLb0EESY_EEDaST_SU_EUlST_E0_NS1_11comp_targetILNS1_3genE10ELNS1_11target_archE1200ELNS1_3gpuE4ELNS1_3repE0EEENS1_30default_config_static_selectorELNS0_4arch9wavefront6targetE1EEEvT1_,comdat
	.globl	_ZN7rocprim17ROCPRIM_400000_NS6detail17trampoline_kernelINS0_14default_configENS1_20scan_config_selectorIN3c104HalfEEEZZNS1_9scan_implILNS1_25lookback_scan_determinismE0ELb0ELb0ES3_PKS6_PS6_S6_ZZZN2at6native31launch_logcumsumexp_cuda_kernelERKNSD_10TensorBaseESH_lENKUlvE_clEvENKUlvE3_clEvEUlS6_S6_E_S6_EEDaPvRmT3_T4_T5_mT6_P12ihipStream_tbENKUlT_T0_E_clISt17integral_constantIbLb0EESY_EEDaST_SU_EUlST_E0_NS1_11comp_targetILNS1_3genE10ELNS1_11target_archE1200ELNS1_3gpuE4ELNS1_3repE0EEENS1_30default_config_static_selectorELNS0_4arch9wavefront6targetE1EEEvT1_ ; -- Begin function _ZN7rocprim17ROCPRIM_400000_NS6detail17trampoline_kernelINS0_14default_configENS1_20scan_config_selectorIN3c104HalfEEEZZNS1_9scan_implILNS1_25lookback_scan_determinismE0ELb0ELb0ES3_PKS6_PS6_S6_ZZZN2at6native31launch_logcumsumexp_cuda_kernelERKNSD_10TensorBaseESH_lENKUlvE_clEvENKUlvE3_clEvEUlS6_S6_E_S6_EEDaPvRmT3_T4_T5_mT6_P12ihipStream_tbENKUlT_T0_E_clISt17integral_constantIbLb0EESY_EEDaST_SU_EUlST_E0_NS1_11comp_targetILNS1_3genE10ELNS1_11target_archE1200ELNS1_3gpuE4ELNS1_3repE0EEENS1_30default_config_static_selectorELNS0_4arch9wavefront6targetE1EEEvT1_
	.p2align	8
	.type	_ZN7rocprim17ROCPRIM_400000_NS6detail17trampoline_kernelINS0_14default_configENS1_20scan_config_selectorIN3c104HalfEEEZZNS1_9scan_implILNS1_25lookback_scan_determinismE0ELb0ELb0ES3_PKS6_PS6_S6_ZZZN2at6native31launch_logcumsumexp_cuda_kernelERKNSD_10TensorBaseESH_lENKUlvE_clEvENKUlvE3_clEvEUlS6_S6_E_S6_EEDaPvRmT3_T4_T5_mT6_P12ihipStream_tbENKUlT_T0_E_clISt17integral_constantIbLb0EESY_EEDaST_SU_EUlST_E0_NS1_11comp_targetILNS1_3genE10ELNS1_11target_archE1200ELNS1_3gpuE4ELNS1_3repE0EEENS1_30default_config_static_selectorELNS0_4arch9wavefront6targetE1EEEvT1_,@function
_ZN7rocprim17ROCPRIM_400000_NS6detail17trampoline_kernelINS0_14default_configENS1_20scan_config_selectorIN3c104HalfEEEZZNS1_9scan_implILNS1_25lookback_scan_determinismE0ELb0ELb0ES3_PKS6_PS6_S6_ZZZN2at6native31launch_logcumsumexp_cuda_kernelERKNSD_10TensorBaseESH_lENKUlvE_clEvENKUlvE3_clEvEUlS6_S6_E_S6_EEDaPvRmT3_T4_T5_mT6_P12ihipStream_tbENKUlT_T0_E_clISt17integral_constantIbLb0EESY_EEDaST_SU_EUlST_E0_NS1_11comp_targetILNS1_3genE10ELNS1_11target_archE1200ELNS1_3gpuE4ELNS1_3repE0EEENS1_30default_config_static_selectorELNS0_4arch9wavefront6targetE1EEEvT1_: ; @_ZN7rocprim17ROCPRIM_400000_NS6detail17trampoline_kernelINS0_14default_configENS1_20scan_config_selectorIN3c104HalfEEEZZNS1_9scan_implILNS1_25lookback_scan_determinismE0ELb0ELb0ES3_PKS6_PS6_S6_ZZZN2at6native31launch_logcumsumexp_cuda_kernelERKNSD_10TensorBaseESH_lENKUlvE_clEvENKUlvE3_clEvEUlS6_S6_E_S6_EEDaPvRmT3_T4_T5_mT6_P12ihipStream_tbENKUlT_T0_E_clISt17integral_constantIbLb0EESY_EEDaST_SU_EUlST_E0_NS1_11comp_targetILNS1_3genE10ELNS1_11target_archE1200ELNS1_3gpuE4ELNS1_3repE0EEENS1_30default_config_static_selectorELNS0_4arch9wavefront6targetE1EEEvT1_
; %bb.0:
	.section	.rodata,"a",@progbits
	.p2align	6, 0x0
	.amdhsa_kernel _ZN7rocprim17ROCPRIM_400000_NS6detail17trampoline_kernelINS0_14default_configENS1_20scan_config_selectorIN3c104HalfEEEZZNS1_9scan_implILNS1_25lookback_scan_determinismE0ELb0ELb0ES3_PKS6_PS6_S6_ZZZN2at6native31launch_logcumsumexp_cuda_kernelERKNSD_10TensorBaseESH_lENKUlvE_clEvENKUlvE3_clEvEUlS6_S6_E_S6_EEDaPvRmT3_T4_T5_mT6_P12ihipStream_tbENKUlT_T0_E_clISt17integral_constantIbLb0EESY_EEDaST_SU_EUlST_E0_NS1_11comp_targetILNS1_3genE10ELNS1_11target_archE1200ELNS1_3gpuE4ELNS1_3repE0EEENS1_30default_config_static_selectorELNS0_4arch9wavefront6targetE1EEEvT1_
		.amdhsa_group_segment_fixed_size 0
		.amdhsa_private_segment_fixed_size 0
		.amdhsa_kernarg_size 32
		.amdhsa_user_sgpr_count 2
		.amdhsa_user_sgpr_dispatch_ptr 0
		.amdhsa_user_sgpr_queue_ptr 0
		.amdhsa_user_sgpr_kernarg_segment_ptr 1
		.amdhsa_user_sgpr_dispatch_id 0
		.amdhsa_user_sgpr_kernarg_preload_length 0
		.amdhsa_user_sgpr_kernarg_preload_offset 0
		.amdhsa_user_sgpr_private_segment_size 0
		.amdhsa_uses_dynamic_stack 0
		.amdhsa_enable_private_segment 0
		.amdhsa_system_sgpr_workgroup_id_x 1
		.amdhsa_system_sgpr_workgroup_id_y 0
		.amdhsa_system_sgpr_workgroup_id_z 0
		.amdhsa_system_sgpr_workgroup_info 0
		.amdhsa_system_vgpr_workitem_id 0
		.amdhsa_next_free_vgpr 1
		.amdhsa_next_free_sgpr 0
		.amdhsa_accum_offset 4
		.amdhsa_reserve_vcc 0
		.amdhsa_float_round_mode_32 0
		.amdhsa_float_round_mode_16_64 0
		.amdhsa_float_denorm_mode_32 3
		.amdhsa_float_denorm_mode_16_64 3
		.amdhsa_dx10_clamp 1
		.amdhsa_ieee_mode 1
		.amdhsa_fp16_overflow 0
		.amdhsa_tg_split 0
		.amdhsa_exception_fp_ieee_invalid_op 0
		.amdhsa_exception_fp_denorm_src 0
		.amdhsa_exception_fp_ieee_div_zero 0
		.amdhsa_exception_fp_ieee_overflow 0
		.amdhsa_exception_fp_ieee_underflow 0
		.amdhsa_exception_fp_ieee_inexact 0
		.amdhsa_exception_int_div_zero 0
	.end_amdhsa_kernel
	.section	.text._ZN7rocprim17ROCPRIM_400000_NS6detail17trampoline_kernelINS0_14default_configENS1_20scan_config_selectorIN3c104HalfEEEZZNS1_9scan_implILNS1_25lookback_scan_determinismE0ELb0ELb0ES3_PKS6_PS6_S6_ZZZN2at6native31launch_logcumsumexp_cuda_kernelERKNSD_10TensorBaseESH_lENKUlvE_clEvENKUlvE3_clEvEUlS6_S6_E_S6_EEDaPvRmT3_T4_T5_mT6_P12ihipStream_tbENKUlT_T0_E_clISt17integral_constantIbLb0EESY_EEDaST_SU_EUlST_E0_NS1_11comp_targetILNS1_3genE10ELNS1_11target_archE1200ELNS1_3gpuE4ELNS1_3repE0EEENS1_30default_config_static_selectorELNS0_4arch9wavefront6targetE1EEEvT1_,"axG",@progbits,_ZN7rocprim17ROCPRIM_400000_NS6detail17trampoline_kernelINS0_14default_configENS1_20scan_config_selectorIN3c104HalfEEEZZNS1_9scan_implILNS1_25lookback_scan_determinismE0ELb0ELb0ES3_PKS6_PS6_S6_ZZZN2at6native31launch_logcumsumexp_cuda_kernelERKNSD_10TensorBaseESH_lENKUlvE_clEvENKUlvE3_clEvEUlS6_S6_E_S6_EEDaPvRmT3_T4_T5_mT6_P12ihipStream_tbENKUlT_T0_E_clISt17integral_constantIbLb0EESY_EEDaST_SU_EUlST_E0_NS1_11comp_targetILNS1_3genE10ELNS1_11target_archE1200ELNS1_3gpuE4ELNS1_3repE0EEENS1_30default_config_static_selectorELNS0_4arch9wavefront6targetE1EEEvT1_,comdat
.Lfunc_end383:
	.size	_ZN7rocprim17ROCPRIM_400000_NS6detail17trampoline_kernelINS0_14default_configENS1_20scan_config_selectorIN3c104HalfEEEZZNS1_9scan_implILNS1_25lookback_scan_determinismE0ELb0ELb0ES3_PKS6_PS6_S6_ZZZN2at6native31launch_logcumsumexp_cuda_kernelERKNSD_10TensorBaseESH_lENKUlvE_clEvENKUlvE3_clEvEUlS6_S6_E_S6_EEDaPvRmT3_T4_T5_mT6_P12ihipStream_tbENKUlT_T0_E_clISt17integral_constantIbLb0EESY_EEDaST_SU_EUlST_E0_NS1_11comp_targetILNS1_3genE10ELNS1_11target_archE1200ELNS1_3gpuE4ELNS1_3repE0EEENS1_30default_config_static_selectorELNS0_4arch9wavefront6targetE1EEEvT1_, .Lfunc_end383-_ZN7rocprim17ROCPRIM_400000_NS6detail17trampoline_kernelINS0_14default_configENS1_20scan_config_selectorIN3c104HalfEEEZZNS1_9scan_implILNS1_25lookback_scan_determinismE0ELb0ELb0ES3_PKS6_PS6_S6_ZZZN2at6native31launch_logcumsumexp_cuda_kernelERKNSD_10TensorBaseESH_lENKUlvE_clEvENKUlvE3_clEvEUlS6_S6_E_S6_EEDaPvRmT3_T4_T5_mT6_P12ihipStream_tbENKUlT_T0_E_clISt17integral_constantIbLb0EESY_EEDaST_SU_EUlST_E0_NS1_11comp_targetILNS1_3genE10ELNS1_11target_archE1200ELNS1_3gpuE4ELNS1_3repE0EEENS1_30default_config_static_selectorELNS0_4arch9wavefront6targetE1EEEvT1_
                                        ; -- End function
	.section	.AMDGPU.csdata,"",@progbits
; Kernel info:
; codeLenInByte = 0
; NumSgprs: 6
; NumVgprs: 0
; NumAgprs: 0
; TotalNumVgprs: 0
; ScratchSize: 0
; MemoryBound: 0
; FloatMode: 240
; IeeeMode: 1
; LDSByteSize: 0 bytes/workgroup (compile time only)
; SGPRBlocks: 0
; VGPRBlocks: 0
; NumSGPRsForWavesPerEU: 6
; NumVGPRsForWavesPerEU: 1
; AccumOffset: 4
; Occupancy: 8
; WaveLimiterHint : 0
; COMPUTE_PGM_RSRC2:SCRATCH_EN: 0
; COMPUTE_PGM_RSRC2:USER_SGPR: 2
; COMPUTE_PGM_RSRC2:TRAP_HANDLER: 0
; COMPUTE_PGM_RSRC2:TGID_X_EN: 1
; COMPUTE_PGM_RSRC2:TGID_Y_EN: 0
; COMPUTE_PGM_RSRC2:TGID_Z_EN: 0
; COMPUTE_PGM_RSRC2:TIDIG_COMP_CNT: 0
; COMPUTE_PGM_RSRC3_GFX90A:ACCUM_OFFSET: 0
; COMPUTE_PGM_RSRC3_GFX90A:TG_SPLIT: 0
	.section	.text._ZN7rocprim17ROCPRIM_400000_NS6detail17trampoline_kernelINS0_14default_configENS1_20scan_config_selectorIN3c104HalfEEEZZNS1_9scan_implILNS1_25lookback_scan_determinismE0ELb0ELb0ES3_PKS6_PS6_S6_ZZZN2at6native31launch_logcumsumexp_cuda_kernelERKNSD_10TensorBaseESH_lENKUlvE_clEvENKUlvE3_clEvEUlS6_S6_E_S6_EEDaPvRmT3_T4_T5_mT6_P12ihipStream_tbENKUlT_T0_E_clISt17integral_constantIbLb0EESY_EEDaST_SU_EUlST_E0_NS1_11comp_targetILNS1_3genE9ELNS1_11target_archE1100ELNS1_3gpuE3ELNS1_3repE0EEENS1_30default_config_static_selectorELNS0_4arch9wavefront6targetE1EEEvT1_,"axG",@progbits,_ZN7rocprim17ROCPRIM_400000_NS6detail17trampoline_kernelINS0_14default_configENS1_20scan_config_selectorIN3c104HalfEEEZZNS1_9scan_implILNS1_25lookback_scan_determinismE0ELb0ELb0ES3_PKS6_PS6_S6_ZZZN2at6native31launch_logcumsumexp_cuda_kernelERKNSD_10TensorBaseESH_lENKUlvE_clEvENKUlvE3_clEvEUlS6_S6_E_S6_EEDaPvRmT3_T4_T5_mT6_P12ihipStream_tbENKUlT_T0_E_clISt17integral_constantIbLb0EESY_EEDaST_SU_EUlST_E0_NS1_11comp_targetILNS1_3genE9ELNS1_11target_archE1100ELNS1_3gpuE3ELNS1_3repE0EEENS1_30default_config_static_selectorELNS0_4arch9wavefront6targetE1EEEvT1_,comdat
	.globl	_ZN7rocprim17ROCPRIM_400000_NS6detail17trampoline_kernelINS0_14default_configENS1_20scan_config_selectorIN3c104HalfEEEZZNS1_9scan_implILNS1_25lookback_scan_determinismE0ELb0ELb0ES3_PKS6_PS6_S6_ZZZN2at6native31launch_logcumsumexp_cuda_kernelERKNSD_10TensorBaseESH_lENKUlvE_clEvENKUlvE3_clEvEUlS6_S6_E_S6_EEDaPvRmT3_T4_T5_mT6_P12ihipStream_tbENKUlT_T0_E_clISt17integral_constantIbLb0EESY_EEDaST_SU_EUlST_E0_NS1_11comp_targetILNS1_3genE9ELNS1_11target_archE1100ELNS1_3gpuE3ELNS1_3repE0EEENS1_30default_config_static_selectorELNS0_4arch9wavefront6targetE1EEEvT1_ ; -- Begin function _ZN7rocprim17ROCPRIM_400000_NS6detail17trampoline_kernelINS0_14default_configENS1_20scan_config_selectorIN3c104HalfEEEZZNS1_9scan_implILNS1_25lookback_scan_determinismE0ELb0ELb0ES3_PKS6_PS6_S6_ZZZN2at6native31launch_logcumsumexp_cuda_kernelERKNSD_10TensorBaseESH_lENKUlvE_clEvENKUlvE3_clEvEUlS6_S6_E_S6_EEDaPvRmT3_T4_T5_mT6_P12ihipStream_tbENKUlT_T0_E_clISt17integral_constantIbLb0EESY_EEDaST_SU_EUlST_E0_NS1_11comp_targetILNS1_3genE9ELNS1_11target_archE1100ELNS1_3gpuE3ELNS1_3repE0EEENS1_30default_config_static_selectorELNS0_4arch9wavefront6targetE1EEEvT1_
	.p2align	8
	.type	_ZN7rocprim17ROCPRIM_400000_NS6detail17trampoline_kernelINS0_14default_configENS1_20scan_config_selectorIN3c104HalfEEEZZNS1_9scan_implILNS1_25lookback_scan_determinismE0ELb0ELb0ES3_PKS6_PS6_S6_ZZZN2at6native31launch_logcumsumexp_cuda_kernelERKNSD_10TensorBaseESH_lENKUlvE_clEvENKUlvE3_clEvEUlS6_S6_E_S6_EEDaPvRmT3_T4_T5_mT6_P12ihipStream_tbENKUlT_T0_E_clISt17integral_constantIbLb0EESY_EEDaST_SU_EUlST_E0_NS1_11comp_targetILNS1_3genE9ELNS1_11target_archE1100ELNS1_3gpuE3ELNS1_3repE0EEENS1_30default_config_static_selectorELNS0_4arch9wavefront6targetE1EEEvT1_,@function
_ZN7rocprim17ROCPRIM_400000_NS6detail17trampoline_kernelINS0_14default_configENS1_20scan_config_selectorIN3c104HalfEEEZZNS1_9scan_implILNS1_25lookback_scan_determinismE0ELb0ELb0ES3_PKS6_PS6_S6_ZZZN2at6native31launch_logcumsumexp_cuda_kernelERKNSD_10TensorBaseESH_lENKUlvE_clEvENKUlvE3_clEvEUlS6_S6_E_S6_EEDaPvRmT3_T4_T5_mT6_P12ihipStream_tbENKUlT_T0_E_clISt17integral_constantIbLb0EESY_EEDaST_SU_EUlST_E0_NS1_11comp_targetILNS1_3genE9ELNS1_11target_archE1100ELNS1_3gpuE3ELNS1_3repE0EEENS1_30default_config_static_selectorELNS0_4arch9wavefront6targetE1EEEvT1_: ; @_ZN7rocprim17ROCPRIM_400000_NS6detail17trampoline_kernelINS0_14default_configENS1_20scan_config_selectorIN3c104HalfEEEZZNS1_9scan_implILNS1_25lookback_scan_determinismE0ELb0ELb0ES3_PKS6_PS6_S6_ZZZN2at6native31launch_logcumsumexp_cuda_kernelERKNSD_10TensorBaseESH_lENKUlvE_clEvENKUlvE3_clEvEUlS6_S6_E_S6_EEDaPvRmT3_T4_T5_mT6_P12ihipStream_tbENKUlT_T0_E_clISt17integral_constantIbLb0EESY_EEDaST_SU_EUlST_E0_NS1_11comp_targetILNS1_3genE9ELNS1_11target_archE1100ELNS1_3gpuE3ELNS1_3repE0EEENS1_30default_config_static_selectorELNS0_4arch9wavefront6targetE1EEEvT1_
; %bb.0:
	.section	.rodata,"a",@progbits
	.p2align	6, 0x0
	.amdhsa_kernel _ZN7rocprim17ROCPRIM_400000_NS6detail17trampoline_kernelINS0_14default_configENS1_20scan_config_selectorIN3c104HalfEEEZZNS1_9scan_implILNS1_25lookback_scan_determinismE0ELb0ELb0ES3_PKS6_PS6_S6_ZZZN2at6native31launch_logcumsumexp_cuda_kernelERKNSD_10TensorBaseESH_lENKUlvE_clEvENKUlvE3_clEvEUlS6_S6_E_S6_EEDaPvRmT3_T4_T5_mT6_P12ihipStream_tbENKUlT_T0_E_clISt17integral_constantIbLb0EESY_EEDaST_SU_EUlST_E0_NS1_11comp_targetILNS1_3genE9ELNS1_11target_archE1100ELNS1_3gpuE3ELNS1_3repE0EEENS1_30default_config_static_selectorELNS0_4arch9wavefront6targetE1EEEvT1_
		.amdhsa_group_segment_fixed_size 0
		.amdhsa_private_segment_fixed_size 0
		.amdhsa_kernarg_size 32
		.amdhsa_user_sgpr_count 2
		.amdhsa_user_sgpr_dispatch_ptr 0
		.amdhsa_user_sgpr_queue_ptr 0
		.amdhsa_user_sgpr_kernarg_segment_ptr 1
		.amdhsa_user_sgpr_dispatch_id 0
		.amdhsa_user_sgpr_kernarg_preload_length 0
		.amdhsa_user_sgpr_kernarg_preload_offset 0
		.amdhsa_user_sgpr_private_segment_size 0
		.amdhsa_uses_dynamic_stack 0
		.amdhsa_enable_private_segment 0
		.amdhsa_system_sgpr_workgroup_id_x 1
		.amdhsa_system_sgpr_workgroup_id_y 0
		.amdhsa_system_sgpr_workgroup_id_z 0
		.amdhsa_system_sgpr_workgroup_info 0
		.amdhsa_system_vgpr_workitem_id 0
		.amdhsa_next_free_vgpr 1
		.amdhsa_next_free_sgpr 0
		.amdhsa_accum_offset 4
		.amdhsa_reserve_vcc 0
		.amdhsa_float_round_mode_32 0
		.amdhsa_float_round_mode_16_64 0
		.amdhsa_float_denorm_mode_32 3
		.amdhsa_float_denorm_mode_16_64 3
		.amdhsa_dx10_clamp 1
		.amdhsa_ieee_mode 1
		.amdhsa_fp16_overflow 0
		.amdhsa_tg_split 0
		.amdhsa_exception_fp_ieee_invalid_op 0
		.amdhsa_exception_fp_denorm_src 0
		.amdhsa_exception_fp_ieee_div_zero 0
		.amdhsa_exception_fp_ieee_overflow 0
		.amdhsa_exception_fp_ieee_underflow 0
		.amdhsa_exception_fp_ieee_inexact 0
		.amdhsa_exception_int_div_zero 0
	.end_amdhsa_kernel
	.section	.text._ZN7rocprim17ROCPRIM_400000_NS6detail17trampoline_kernelINS0_14default_configENS1_20scan_config_selectorIN3c104HalfEEEZZNS1_9scan_implILNS1_25lookback_scan_determinismE0ELb0ELb0ES3_PKS6_PS6_S6_ZZZN2at6native31launch_logcumsumexp_cuda_kernelERKNSD_10TensorBaseESH_lENKUlvE_clEvENKUlvE3_clEvEUlS6_S6_E_S6_EEDaPvRmT3_T4_T5_mT6_P12ihipStream_tbENKUlT_T0_E_clISt17integral_constantIbLb0EESY_EEDaST_SU_EUlST_E0_NS1_11comp_targetILNS1_3genE9ELNS1_11target_archE1100ELNS1_3gpuE3ELNS1_3repE0EEENS1_30default_config_static_selectorELNS0_4arch9wavefront6targetE1EEEvT1_,"axG",@progbits,_ZN7rocprim17ROCPRIM_400000_NS6detail17trampoline_kernelINS0_14default_configENS1_20scan_config_selectorIN3c104HalfEEEZZNS1_9scan_implILNS1_25lookback_scan_determinismE0ELb0ELb0ES3_PKS6_PS6_S6_ZZZN2at6native31launch_logcumsumexp_cuda_kernelERKNSD_10TensorBaseESH_lENKUlvE_clEvENKUlvE3_clEvEUlS6_S6_E_S6_EEDaPvRmT3_T4_T5_mT6_P12ihipStream_tbENKUlT_T0_E_clISt17integral_constantIbLb0EESY_EEDaST_SU_EUlST_E0_NS1_11comp_targetILNS1_3genE9ELNS1_11target_archE1100ELNS1_3gpuE3ELNS1_3repE0EEENS1_30default_config_static_selectorELNS0_4arch9wavefront6targetE1EEEvT1_,comdat
.Lfunc_end384:
	.size	_ZN7rocprim17ROCPRIM_400000_NS6detail17trampoline_kernelINS0_14default_configENS1_20scan_config_selectorIN3c104HalfEEEZZNS1_9scan_implILNS1_25lookback_scan_determinismE0ELb0ELb0ES3_PKS6_PS6_S6_ZZZN2at6native31launch_logcumsumexp_cuda_kernelERKNSD_10TensorBaseESH_lENKUlvE_clEvENKUlvE3_clEvEUlS6_S6_E_S6_EEDaPvRmT3_T4_T5_mT6_P12ihipStream_tbENKUlT_T0_E_clISt17integral_constantIbLb0EESY_EEDaST_SU_EUlST_E0_NS1_11comp_targetILNS1_3genE9ELNS1_11target_archE1100ELNS1_3gpuE3ELNS1_3repE0EEENS1_30default_config_static_selectorELNS0_4arch9wavefront6targetE1EEEvT1_, .Lfunc_end384-_ZN7rocprim17ROCPRIM_400000_NS6detail17trampoline_kernelINS0_14default_configENS1_20scan_config_selectorIN3c104HalfEEEZZNS1_9scan_implILNS1_25lookback_scan_determinismE0ELb0ELb0ES3_PKS6_PS6_S6_ZZZN2at6native31launch_logcumsumexp_cuda_kernelERKNSD_10TensorBaseESH_lENKUlvE_clEvENKUlvE3_clEvEUlS6_S6_E_S6_EEDaPvRmT3_T4_T5_mT6_P12ihipStream_tbENKUlT_T0_E_clISt17integral_constantIbLb0EESY_EEDaST_SU_EUlST_E0_NS1_11comp_targetILNS1_3genE9ELNS1_11target_archE1100ELNS1_3gpuE3ELNS1_3repE0EEENS1_30default_config_static_selectorELNS0_4arch9wavefront6targetE1EEEvT1_
                                        ; -- End function
	.section	.AMDGPU.csdata,"",@progbits
; Kernel info:
; codeLenInByte = 0
; NumSgprs: 6
; NumVgprs: 0
; NumAgprs: 0
; TotalNumVgprs: 0
; ScratchSize: 0
; MemoryBound: 0
; FloatMode: 240
; IeeeMode: 1
; LDSByteSize: 0 bytes/workgroup (compile time only)
; SGPRBlocks: 0
; VGPRBlocks: 0
; NumSGPRsForWavesPerEU: 6
; NumVGPRsForWavesPerEU: 1
; AccumOffset: 4
; Occupancy: 8
; WaveLimiterHint : 0
; COMPUTE_PGM_RSRC2:SCRATCH_EN: 0
; COMPUTE_PGM_RSRC2:USER_SGPR: 2
; COMPUTE_PGM_RSRC2:TRAP_HANDLER: 0
; COMPUTE_PGM_RSRC2:TGID_X_EN: 1
; COMPUTE_PGM_RSRC2:TGID_Y_EN: 0
; COMPUTE_PGM_RSRC2:TGID_Z_EN: 0
; COMPUTE_PGM_RSRC2:TIDIG_COMP_CNT: 0
; COMPUTE_PGM_RSRC3_GFX90A:ACCUM_OFFSET: 0
; COMPUTE_PGM_RSRC3_GFX90A:TG_SPLIT: 0
	.section	.text._ZN7rocprim17ROCPRIM_400000_NS6detail17trampoline_kernelINS0_14default_configENS1_20scan_config_selectorIN3c104HalfEEEZZNS1_9scan_implILNS1_25lookback_scan_determinismE0ELb0ELb0ES3_PKS6_PS6_S6_ZZZN2at6native31launch_logcumsumexp_cuda_kernelERKNSD_10TensorBaseESH_lENKUlvE_clEvENKUlvE3_clEvEUlS6_S6_E_S6_EEDaPvRmT3_T4_T5_mT6_P12ihipStream_tbENKUlT_T0_E_clISt17integral_constantIbLb0EESY_EEDaST_SU_EUlST_E0_NS1_11comp_targetILNS1_3genE8ELNS1_11target_archE1030ELNS1_3gpuE2ELNS1_3repE0EEENS1_30default_config_static_selectorELNS0_4arch9wavefront6targetE1EEEvT1_,"axG",@progbits,_ZN7rocprim17ROCPRIM_400000_NS6detail17trampoline_kernelINS0_14default_configENS1_20scan_config_selectorIN3c104HalfEEEZZNS1_9scan_implILNS1_25lookback_scan_determinismE0ELb0ELb0ES3_PKS6_PS6_S6_ZZZN2at6native31launch_logcumsumexp_cuda_kernelERKNSD_10TensorBaseESH_lENKUlvE_clEvENKUlvE3_clEvEUlS6_S6_E_S6_EEDaPvRmT3_T4_T5_mT6_P12ihipStream_tbENKUlT_T0_E_clISt17integral_constantIbLb0EESY_EEDaST_SU_EUlST_E0_NS1_11comp_targetILNS1_3genE8ELNS1_11target_archE1030ELNS1_3gpuE2ELNS1_3repE0EEENS1_30default_config_static_selectorELNS0_4arch9wavefront6targetE1EEEvT1_,comdat
	.globl	_ZN7rocprim17ROCPRIM_400000_NS6detail17trampoline_kernelINS0_14default_configENS1_20scan_config_selectorIN3c104HalfEEEZZNS1_9scan_implILNS1_25lookback_scan_determinismE0ELb0ELb0ES3_PKS6_PS6_S6_ZZZN2at6native31launch_logcumsumexp_cuda_kernelERKNSD_10TensorBaseESH_lENKUlvE_clEvENKUlvE3_clEvEUlS6_S6_E_S6_EEDaPvRmT3_T4_T5_mT6_P12ihipStream_tbENKUlT_T0_E_clISt17integral_constantIbLb0EESY_EEDaST_SU_EUlST_E0_NS1_11comp_targetILNS1_3genE8ELNS1_11target_archE1030ELNS1_3gpuE2ELNS1_3repE0EEENS1_30default_config_static_selectorELNS0_4arch9wavefront6targetE1EEEvT1_ ; -- Begin function _ZN7rocprim17ROCPRIM_400000_NS6detail17trampoline_kernelINS0_14default_configENS1_20scan_config_selectorIN3c104HalfEEEZZNS1_9scan_implILNS1_25lookback_scan_determinismE0ELb0ELb0ES3_PKS6_PS6_S6_ZZZN2at6native31launch_logcumsumexp_cuda_kernelERKNSD_10TensorBaseESH_lENKUlvE_clEvENKUlvE3_clEvEUlS6_S6_E_S6_EEDaPvRmT3_T4_T5_mT6_P12ihipStream_tbENKUlT_T0_E_clISt17integral_constantIbLb0EESY_EEDaST_SU_EUlST_E0_NS1_11comp_targetILNS1_3genE8ELNS1_11target_archE1030ELNS1_3gpuE2ELNS1_3repE0EEENS1_30default_config_static_selectorELNS0_4arch9wavefront6targetE1EEEvT1_
	.p2align	8
	.type	_ZN7rocprim17ROCPRIM_400000_NS6detail17trampoline_kernelINS0_14default_configENS1_20scan_config_selectorIN3c104HalfEEEZZNS1_9scan_implILNS1_25lookback_scan_determinismE0ELb0ELb0ES3_PKS6_PS6_S6_ZZZN2at6native31launch_logcumsumexp_cuda_kernelERKNSD_10TensorBaseESH_lENKUlvE_clEvENKUlvE3_clEvEUlS6_S6_E_S6_EEDaPvRmT3_T4_T5_mT6_P12ihipStream_tbENKUlT_T0_E_clISt17integral_constantIbLb0EESY_EEDaST_SU_EUlST_E0_NS1_11comp_targetILNS1_3genE8ELNS1_11target_archE1030ELNS1_3gpuE2ELNS1_3repE0EEENS1_30default_config_static_selectorELNS0_4arch9wavefront6targetE1EEEvT1_,@function
_ZN7rocprim17ROCPRIM_400000_NS6detail17trampoline_kernelINS0_14default_configENS1_20scan_config_selectorIN3c104HalfEEEZZNS1_9scan_implILNS1_25lookback_scan_determinismE0ELb0ELb0ES3_PKS6_PS6_S6_ZZZN2at6native31launch_logcumsumexp_cuda_kernelERKNSD_10TensorBaseESH_lENKUlvE_clEvENKUlvE3_clEvEUlS6_S6_E_S6_EEDaPvRmT3_T4_T5_mT6_P12ihipStream_tbENKUlT_T0_E_clISt17integral_constantIbLb0EESY_EEDaST_SU_EUlST_E0_NS1_11comp_targetILNS1_3genE8ELNS1_11target_archE1030ELNS1_3gpuE2ELNS1_3repE0EEENS1_30default_config_static_selectorELNS0_4arch9wavefront6targetE1EEEvT1_: ; @_ZN7rocprim17ROCPRIM_400000_NS6detail17trampoline_kernelINS0_14default_configENS1_20scan_config_selectorIN3c104HalfEEEZZNS1_9scan_implILNS1_25lookback_scan_determinismE0ELb0ELb0ES3_PKS6_PS6_S6_ZZZN2at6native31launch_logcumsumexp_cuda_kernelERKNSD_10TensorBaseESH_lENKUlvE_clEvENKUlvE3_clEvEUlS6_S6_E_S6_EEDaPvRmT3_T4_T5_mT6_P12ihipStream_tbENKUlT_T0_E_clISt17integral_constantIbLb0EESY_EEDaST_SU_EUlST_E0_NS1_11comp_targetILNS1_3genE8ELNS1_11target_archE1030ELNS1_3gpuE2ELNS1_3repE0EEENS1_30default_config_static_selectorELNS0_4arch9wavefront6targetE1EEEvT1_
; %bb.0:
	.section	.rodata,"a",@progbits
	.p2align	6, 0x0
	.amdhsa_kernel _ZN7rocprim17ROCPRIM_400000_NS6detail17trampoline_kernelINS0_14default_configENS1_20scan_config_selectorIN3c104HalfEEEZZNS1_9scan_implILNS1_25lookback_scan_determinismE0ELb0ELb0ES3_PKS6_PS6_S6_ZZZN2at6native31launch_logcumsumexp_cuda_kernelERKNSD_10TensorBaseESH_lENKUlvE_clEvENKUlvE3_clEvEUlS6_S6_E_S6_EEDaPvRmT3_T4_T5_mT6_P12ihipStream_tbENKUlT_T0_E_clISt17integral_constantIbLb0EESY_EEDaST_SU_EUlST_E0_NS1_11comp_targetILNS1_3genE8ELNS1_11target_archE1030ELNS1_3gpuE2ELNS1_3repE0EEENS1_30default_config_static_selectorELNS0_4arch9wavefront6targetE1EEEvT1_
		.amdhsa_group_segment_fixed_size 0
		.amdhsa_private_segment_fixed_size 0
		.amdhsa_kernarg_size 32
		.amdhsa_user_sgpr_count 2
		.amdhsa_user_sgpr_dispatch_ptr 0
		.amdhsa_user_sgpr_queue_ptr 0
		.amdhsa_user_sgpr_kernarg_segment_ptr 1
		.amdhsa_user_sgpr_dispatch_id 0
		.amdhsa_user_sgpr_kernarg_preload_length 0
		.amdhsa_user_sgpr_kernarg_preload_offset 0
		.amdhsa_user_sgpr_private_segment_size 0
		.amdhsa_uses_dynamic_stack 0
		.amdhsa_enable_private_segment 0
		.amdhsa_system_sgpr_workgroup_id_x 1
		.amdhsa_system_sgpr_workgroup_id_y 0
		.amdhsa_system_sgpr_workgroup_id_z 0
		.amdhsa_system_sgpr_workgroup_info 0
		.amdhsa_system_vgpr_workitem_id 0
		.amdhsa_next_free_vgpr 1
		.amdhsa_next_free_sgpr 0
		.amdhsa_accum_offset 4
		.amdhsa_reserve_vcc 0
		.amdhsa_float_round_mode_32 0
		.amdhsa_float_round_mode_16_64 0
		.amdhsa_float_denorm_mode_32 3
		.amdhsa_float_denorm_mode_16_64 3
		.amdhsa_dx10_clamp 1
		.amdhsa_ieee_mode 1
		.amdhsa_fp16_overflow 0
		.amdhsa_tg_split 0
		.amdhsa_exception_fp_ieee_invalid_op 0
		.amdhsa_exception_fp_denorm_src 0
		.amdhsa_exception_fp_ieee_div_zero 0
		.amdhsa_exception_fp_ieee_overflow 0
		.amdhsa_exception_fp_ieee_underflow 0
		.amdhsa_exception_fp_ieee_inexact 0
		.amdhsa_exception_int_div_zero 0
	.end_amdhsa_kernel
	.section	.text._ZN7rocprim17ROCPRIM_400000_NS6detail17trampoline_kernelINS0_14default_configENS1_20scan_config_selectorIN3c104HalfEEEZZNS1_9scan_implILNS1_25lookback_scan_determinismE0ELb0ELb0ES3_PKS6_PS6_S6_ZZZN2at6native31launch_logcumsumexp_cuda_kernelERKNSD_10TensorBaseESH_lENKUlvE_clEvENKUlvE3_clEvEUlS6_S6_E_S6_EEDaPvRmT3_T4_T5_mT6_P12ihipStream_tbENKUlT_T0_E_clISt17integral_constantIbLb0EESY_EEDaST_SU_EUlST_E0_NS1_11comp_targetILNS1_3genE8ELNS1_11target_archE1030ELNS1_3gpuE2ELNS1_3repE0EEENS1_30default_config_static_selectorELNS0_4arch9wavefront6targetE1EEEvT1_,"axG",@progbits,_ZN7rocprim17ROCPRIM_400000_NS6detail17trampoline_kernelINS0_14default_configENS1_20scan_config_selectorIN3c104HalfEEEZZNS1_9scan_implILNS1_25lookback_scan_determinismE0ELb0ELb0ES3_PKS6_PS6_S6_ZZZN2at6native31launch_logcumsumexp_cuda_kernelERKNSD_10TensorBaseESH_lENKUlvE_clEvENKUlvE3_clEvEUlS6_S6_E_S6_EEDaPvRmT3_T4_T5_mT6_P12ihipStream_tbENKUlT_T0_E_clISt17integral_constantIbLb0EESY_EEDaST_SU_EUlST_E0_NS1_11comp_targetILNS1_3genE8ELNS1_11target_archE1030ELNS1_3gpuE2ELNS1_3repE0EEENS1_30default_config_static_selectorELNS0_4arch9wavefront6targetE1EEEvT1_,comdat
.Lfunc_end385:
	.size	_ZN7rocprim17ROCPRIM_400000_NS6detail17trampoline_kernelINS0_14default_configENS1_20scan_config_selectorIN3c104HalfEEEZZNS1_9scan_implILNS1_25lookback_scan_determinismE0ELb0ELb0ES3_PKS6_PS6_S6_ZZZN2at6native31launch_logcumsumexp_cuda_kernelERKNSD_10TensorBaseESH_lENKUlvE_clEvENKUlvE3_clEvEUlS6_S6_E_S6_EEDaPvRmT3_T4_T5_mT6_P12ihipStream_tbENKUlT_T0_E_clISt17integral_constantIbLb0EESY_EEDaST_SU_EUlST_E0_NS1_11comp_targetILNS1_3genE8ELNS1_11target_archE1030ELNS1_3gpuE2ELNS1_3repE0EEENS1_30default_config_static_selectorELNS0_4arch9wavefront6targetE1EEEvT1_, .Lfunc_end385-_ZN7rocprim17ROCPRIM_400000_NS6detail17trampoline_kernelINS0_14default_configENS1_20scan_config_selectorIN3c104HalfEEEZZNS1_9scan_implILNS1_25lookback_scan_determinismE0ELb0ELb0ES3_PKS6_PS6_S6_ZZZN2at6native31launch_logcumsumexp_cuda_kernelERKNSD_10TensorBaseESH_lENKUlvE_clEvENKUlvE3_clEvEUlS6_S6_E_S6_EEDaPvRmT3_T4_T5_mT6_P12ihipStream_tbENKUlT_T0_E_clISt17integral_constantIbLb0EESY_EEDaST_SU_EUlST_E0_NS1_11comp_targetILNS1_3genE8ELNS1_11target_archE1030ELNS1_3gpuE2ELNS1_3repE0EEENS1_30default_config_static_selectorELNS0_4arch9wavefront6targetE1EEEvT1_
                                        ; -- End function
	.section	.AMDGPU.csdata,"",@progbits
; Kernel info:
; codeLenInByte = 0
; NumSgprs: 6
; NumVgprs: 0
; NumAgprs: 0
; TotalNumVgprs: 0
; ScratchSize: 0
; MemoryBound: 0
; FloatMode: 240
; IeeeMode: 1
; LDSByteSize: 0 bytes/workgroup (compile time only)
; SGPRBlocks: 0
; VGPRBlocks: 0
; NumSGPRsForWavesPerEU: 6
; NumVGPRsForWavesPerEU: 1
; AccumOffset: 4
; Occupancy: 8
; WaveLimiterHint : 0
; COMPUTE_PGM_RSRC2:SCRATCH_EN: 0
; COMPUTE_PGM_RSRC2:USER_SGPR: 2
; COMPUTE_PGM_RSRC2:TRAP_HANDLER: 0
; COMPUTE_PGM_RSRC2:TGID_X_EN: 1
; COMPUTE_PGM_RSRC2:TGID_Y_EN: 0
; COMPUTE_PGM_RSRC2:TGID_Z_EN: 0
; COMPUTE_PGM_RSRC2:TIDIG_COMP_CNT: 0
; COMPUTE_PGM_RSRC3_GFX90A:ACCUM_OFFSET: 0
; COMPUTE_PGM_RSRC3_GFX90A:TG_SPLIT: 0
	.section	.text._ZN7rocprim17ROCPRIM_400000_NS6detail31init_lookback_scan_state_kernelINS1_19lookback_scan_stateIN3c104HalfELb1ELb1EEENS1_16block_id_wrapperIjLb1EEEEEvT_jT0_jPNS9_10value_typeE,"axG",@progbits,_ZN7rocprim17ROCPRIM_400000_NS6detail31init_lookback_scan_state_kernelINS1_19lookback_scan_stateIN3c104HalfELb1ELb1EEENS1_16block_id_wrapperIjLb1EEEEEvT_jT0_jPNS9_10value_typeE,comdat
	.protected	_ZN7rocprim17ROCPRIM_400000_NS6detail31init_lookback_scan_state_kernelINS1_19lookback_scan_stateIN3c104HalfELb1ELb1EEENS1_16block_id_wrapperIjLb1EEEEEvT_jT0_jPNS9_10value_typeE ; -- Begin function _ZN7rocprim17ROCPRIM_400000_NS6detail31init_lookback_scan_state_kernelINS1_19lookback_scan_stateIN3c104HalfELb1ELb1EEENS1_16block_id_wrapperIjLb1EEEEEvT_jT0_jPNS9_10value_typeE
	.globl	_ZN7rocprim17ROCPRIM_400000_NS6detail31init_lookback_scan_state_kernelINS1_19lookback_scan_stateIN3c104HalfELb1ELb1EEENS1_16block_id_wrapperIjLb1EEEEEvT_jT0_jPNS9_10value_typeE
	.p2align	8
	.type	_ZN7rocprim17ROCPRIM_400000_NS6detail31init_lookback_scan_state_kernelINS1_19lookback_scan_stateIN3c104HalfELb1ELb1EEENS1_16block_id_wrapperIjLb1EEEEEvT_jT0_jPNS9_10value_typeE,@function
_ZN7rocprim17ROCPRIM_400000_NS6detail31init_lookback_scan_state_kernelINS1_19lookback_scan_stateIN3c104HalfELb1ELb1EEENS1_16block_id_wrapperIjLb1EEEEEvT_jT0_jPNS9_10value_typeE: ; @_ZN7rocprim17ROCPRIM_400000_NS6detail31init_lookback_scan_state_kernelINS1_19lookback_scan_stateIN3c104HalfELb1ELb1EEENS1_16block_id_wrapperIjLb1EEEEEvT_jT0_jPNS9_10value_typeE
; %bb.0:
	s_load_dword s3, s[0:1], 0x34
	s_load_dwordx2 s[6:7], s[0:1], 0x20
	s_load_dwordx2 s[4:5], s[0:1], 0x0
	s_load_dword s10, s[0:1], 0x8
	s_waitcnt lgkmcnt(0)
	s_and_b32 s3, s3, 0xffff
	s_mul_i32 s2, s2, s3
	s_cmp_eq_u64 s[6:7], 0
	v_add_u32_e32 v0, s2, v0
	s_cbranch_scc1 .LBB386_9
; %bb.1:
	s_load_dword s8, s[0:1], 0x18
	s_mov_b32 s9, 0
	s_waitcnt lgkmcnt(0)
	s_cmp_lt_u32 s8, s10
	s_cselect_b32 s2, s8, 0
	v_cmp_eq_u32_e32 vcc, s2, v0
	s_and_saveexec_b64 s[2:3], vcc
	s_cbranch_execz .LBB386_8
; %bb.2:
	s_add_i32 s8, s8, 64
	s_lshl_b64 s[8:9], s[8:9], 2
	s_add_u32 s8, s4, s8
	s_addc_u32 s9, s5, s9
	v_mov_b32_e32 v1, 0
	global_load_dword v2, v1, s[8:9] sc1
	s_waitcnt vmcnt(0)
	v_and_b32_e32 v3, 0xff0000, v2
	v_cmp_ne_u32_e32 vcc, 0, v3
	s_cbranch_vccnz .LBB386_7
; %bb.3:
	s_mov_b32 s11, 1
.LBB386_4:                              ; =>This Loop Header: Depth=1
                                        ;     Child Loop BB386_5 Depth 2
	s_max_u32 s12, s11, 1
.LBB386_5:                              ;   Parent Loop BB386_4 Depth=1
                                        ; =>  This Inner Loop Header: Depth=2
	s_add_i32 s12, s12, -1
	s_cmp_eq_u32 s12, 0
	s_sleep 1
	s_cbranch_scc0 .LBB386_5
; %bb.6:                                ;   in Loop: Header=BB386_4 Depth=1
	global_load_dword v2, v1, s[8:9] sc1
	s_cmp_lt_u32 s11, 32
	s_cselect_b64 s[12:13], -1, 0
	s_cmp_lg_u64 s[12:13], 0
	s_addc_u32 s11, s11, 0
	s_waitcnt vmcnt(0)
	v_and_b32_e32 v3, 0xff0000, v2
	v_cmp_ne_u32_e32 vcc, 0, v3
	s_cbranch_vccz .LBB386_4
.LBB386_7:
	v_mov_b32_e32 v1, 0
	global_store_short v1, v2, s[6:7]
.LBB386_8:
	s_or_b64 exec, exec, s[2:3]
.LBB386_9:
	v_cmp_eq_u32_e32 vcc, 0, v0
	s_and_saveexec_b64 s[2:3], vcc
	s_cbranch_execnz .LBB386_13
; %bb.10:
	s_or_b64 exec, exec, s[2:3]
	v_cmp_gt_u32_e32 vcc, s10, v0
	s_and_saveexec_b64 s[0:1], vcc
	s_cbranch_execnz .LBB386_14
.LBB386_11:
	s_or_b64 exec, exec, s[0:1]
	v_cmp_gt_u32_e32 vcc, 64, v0
	s_and_saveexec_b64 s[0:1], vcc
	s_cbranch_execnz .LBB386_15
.LBB386_12:
	s_endpgm
.LBB386_13:
	s_load_dwordx2 s[0:1], s[0:1], 0x10
	v_mov_b32_e32 v1, 0
	s_waitcnt lgkmcnt(0)
	global_store_dword v1, v1, s[0:1]
	s_or_b64 exec, exec, s[2:3]
	v_cmp_gt_u32_e32 vcc, s10, v0
	s_and_saveexec_b64 s[0:1], vcc
	s_cbranch_execz .LBB386_11
.LBB386_14:
	v_add_u32_e32 v2, 64, v0
	v_mov_b32_e32 v3, 0
	v_lshl_add_u64 v[4:5], v[2:3], 2, s[4:5]
	global_store_dword v[4:5], v3, off
	s_or_b64 exec, exec, s[0:1]
	v_cmp_gt_u32_e32 vcc, 64, v0
	s_and_saveexec_b64 s[0:1], vcc
	s_cbranch_execz .LBB386_12
.LBB386_15:
	v_mov_b32_e32 v1, 0
	v_lshl_add_u64 v[0:1], v[0:1], 2, s[4:5]
	v_mov_b32_e32 v2, 0xff0000
	global_store_dword v[0:1], v2, off
	s_endpgm
	.section	.rodata,"a",@progbits
	.p2align	6, 0x0
	.amdhsa_kernel _ZN7rocprim17ROCPRIM_400000_NS6detail31init_lookback_scan_state_kernelINS1_19lookback_scan_stateIN3c104HalfELb1ELb1EEENS1_16block_id_wrapperIjLb1EEEEEvT_jT0_jPNS9_10value_typeE
		.amdhsa_group_segment_fixed_size 0
		.amdhsa_private_segment_fixed_size 0
		.amdhsa_kernarg_size 296
		.amdhsa_user_sgpr_count 2
		.amdhsa_user_sgpr_dispatch_ptr 0
		.amdhsa_user_sgpr_queue_ptr 0
		.amdhsa_user_sgpr_kernarg_segment_ptr 1
		.amdhsa_user_sgpr_dispatch_id 0
		.amdhsa_user_sgpr_kernarg_preload_length 0
		.amdhsa_user_sgpr_kernarg_preload_offset 0
		.amdhsa_user_sgpr_private_segment_size 0
		.amdhsa_uses_dynamic_stack 0
		.amdhsa_enable_private_segment 0
		.amdhsa_system_sgpr_workgroup_id_x 1
		.amdhsa_system_sgpr_workgroup_id_y 0
		.amdhsa_system_sgpr_workgroup_id_z 0
		.amdhsa_system_sgpr_workgroup_info 0
		.amdhsa_system_vgpr_workitem_id 0
		.amdhsa_next_free_vgpr 6
		.amdhsa_next_free_sgpr 14
		.amdhsa_accum_offset 8
		.amdhsa_reserve_vcc 1
		.amdhsa_float_round_mode_32 0
		.amdhsa_float_round_mode_16_64 0
		.amdhsa_float_denorm_mode_32 3
		.amdhsa_float_denorm_mode_16_64 3
		.amdhsa_dx10_clamp 1
		.amdhsa_ieee_mode 1
		.amdhsa_fp16_overflow 0
		.amdhsa_tg_split 0
		.amdhsa_exception_fp_ieee_invalid_op 0
		.amdhsa_exception_fp_denorm_src 0
		.amdhsa_exception_fp_ieee_div_zero 0
		.amdhsa_exception_fp_ieee_overflow 0
		.amdhsa_exception_fp_ieee_underflow 0
		.amdhsa_exception_fp_ieee_inexact 0
		.amdhsa_exception_int_div_zero 0
	.end_amdhsa_kernel
	.section	.text._ZN7rocprim17ROCPRIM_400000_NS6detail31init_lookback_scan_state_kernelINS1_19lookback_scan_stateIN3c104HalfELb1ELb1EEENS1_16block_id_wrapperIjLb1EEEEEvT_jT0_jPNS9_10value_typeE,"axG",@progbits,_ZN7rocprim17ROCPRIM_400000_NS6detail31init_lookback_scan_state_kernelINS1_19lookback_scan_stateIN3c104HalfELb1ELb1EEENS1_16block_id_wrapperIjLb1EEEEEvT_jT0_jPNS9_10value_typeE,comdat
.Lfunc_end386:
	.size	_ZN7rocprim17ROCPRIM_400000_NS6detail31init_lookback_scan_state_kernelINS1_19lookback_scan_stateIN3c104HalfELb1ELb1EEENS1_16block_id_wrapperIjLb1EEEEEvT_jT0_jPNS9_10value_typeE, .Lfunc_end386-_ZN7rocprim17ROCPRIM_400000_NS6detail31init_lookback_scan_state_kernelINS1_19lookback_scan_stateIN3c104HalfELb1ELb1EEENS1_16block_id_wrapperIjLb1EEEEEvT_jT0_jPNS9_10value_typeE
                                        ; -- End function
	.section	.AMDGPU.csdata,"",@progbits
; Kernel info:
; codeLenInByte = 388
; NumSgprs: 20
; NumVgprs: 6
; NumAgprs: 0
; TotalNumVgprs: 6
; ScratchSize: 0
; MemoryBound: 0
; FloatMode: 240
; IeeeMode: 1
; LDSByteSize: 0 bytes/workgroup (compile time only)
; SGPRBlocks: 2
; VGPRBlocks: 0
; NumSGPRsForWavesPerEU: 20
; NumVGPRsForWavesPerEU: 6
; AccumOffset: 8
; Occupancy: 8
; WaveLimiterHint : 0
; COMPUTE_PGM_RSRC2:SCRATCH_EN: 0
; COMPUTE_PGM_RSRC2:USER_SGPR: 2
; COMPUTE_PGM_RSRC2:TRAP_HANDLER: 0
; COMPUTE_PGM_RSRC2:TGID_X_EN: 1
; COMPUTE_PGM_RSRC2:TGID_Y_EN: 0
; COMPUTE_PGM_RSRC2:TGID_Z_EN: 0
; COMPUTE_PGM_RSRC2:TIDIG_COMP_CNT: 0
; COMPUTE_PGM_RSRC3_GFX90A:ACCUM_OFFSET: 1
; COMPUTE_PGM_RSRC3_GFX90A:TG_SPLIT: 0
	.section	.text._ZN7rocprim17ROCPRIM_400000_NS6detail17trampoline_kernelINS0_14default_configENS1_20scan_config_selectorIN3c104HalfEEEZZNS1_9scan_implILNS1_25lookback_scan_determinismE0ELb0ELb0ES3_PKS6_PS6_S6_ZZZN2at6native31launch_logcumsumexp_cuda_kernelERKNSD_10TensorBaseESH_lENKUlvE_clEvENKUlvE3_clEvEUlS6_S6_E_S6_EEDaPvRmT3_T4_T5_mT6_P12ihipStream_tbENKUlT_T0_E_clISt17integral_constantIbLb1EESY_EEDaST_SU_EUlST_E_NS1_11comp_targetILNS1_3genE0ELNS1_11target_archE4294967295ELNS1_3gpuE0ELNS1_3repE0EEENS1_30default_config_static_selectorELNS0_4arch9wavefront6targetE1EEEvT1_,"axG",@progbits,_ZN7rocprim17ROCPRIM_400000_NS6detail17trampoline_kernelINS0_14default_configENS1_20scan_config_selectorIN3c104HalfEEEZZNS1_9scan_implILNS1_25lookback_scan_determinismE0ELb0ELb0ES3_PKS6_PS6_S6_ZZZN2at6native31launch_logcumsumexp_cuda_kernelERKNSD_10TensorBaseESH_lENKUlvE_clEvENKUlvE3_clEvEUlS6_S6_E_S6_EEDaPvRmT3_T4_T5_mT6_P12ihipStream_tbENKUlT_T0_E_clISt17integral_constantIbLb1EESY_EEDaST_SU_EUlST_E_NS1_11comp_targetILNS1_3genE0ELNS1_11target_archE4294967295ELNS1_3gpuE0ELNS1_3repE0EEENS1_30default_config_static_selectorELNS0_4arch9wavefront6targetE1EEEvT1_,comdat
	.globl	_ZN7rocprim17ROCPRIM_400000_NS6detail17trampoline_kernelINS0_14default_configENS1_20scan_config_selectorIN3c104HalfEEEZZNS1_9scan_implILNS1_25lookback_scan_determinismE0ELb0ELb0ES3_PKS6_PS6_S6_ZZZN2at6native31launch_logcumsumexp_cuda_kernelERKNSD_10TensorBaseESH_lENKUlvE_clEvENKUlvE3_clEvEUlS6_S6_E_S6_EEDaPvRmT3_T4_T5_mT6_P12ihipStream_tbENKUlT_T0_E_clISt17integral_constantIbLb1EESY_EEDaST_SU_EUlST_E_NS1_11comp_targetILNS1_3genE0ELNS1_11target_archE4294967295ELNS1_3gpuE0ELNS1_3repE0EEENS1_30default_config_static_selectorELNS0_4arch9wavefront6targetE1EEEvT1_ ; -- Begin function _ZN7rocprim17ROCPRIM_400000_NS6detail17trampoline_kernelINS0_14default_configENS1_20scan_config_selectorIN3c104HalfEEEZZNS1_9scan_implILNS1_25lookback_scan_determinismE0ELb0ELb0ES3_PKS6_PS6_S6_ZZZN2at6native31launch_logcumsumexp_cuda_kernelERKNSD_10TensorBaseESH_lENKUlvE_clEvENKUlvE3_clEvEUlS6_S6_E_S6_EEDaPvRmT3_T4_T5_mT6_P12ihipStream_tbENKUlT_T0_E_clISt17integral_constantIbLb1EESY_EEDaST_SU_EUlST_E_NS1_11comp_targetILNS1_3genE0ELNS1_11target_archE4294967295ELNS1_3gpuE0ELNS1_3repE0EEENS1_30default_config_static_selectorELNS0_4arch9wavefront6targetE1EEEvT1_
	.p2align	8
	.type	_ZN7rocprim17ROCPRIM_400000_NS6detail17trampoline_kernelINS0_14default_configENS1_20scan_config_selectorIN3c104HalfEEEZZNS1_9scan_implILNS1_25lookback_scan_determinismE0ELb0ELb0ES3_PKS6_PS6_S6_ZZZN2at6native31launch_logcumsumexp_cuda_kernelERKNSD_10TensorBaseESH_lENKUlvE_clEvENKUlvE3_clEvEUlS6_S6_E_S6_EEDaPvRmT3_T4_T5_mT6_P12ihipStream_tbENKUlT_T0_E_clISt17integral_constantIbLb1EESY_EEDaST_SU_EUlST_E_NS1_11comp_targetILNS1_3genE0ELNS1_11target_archE4294967295ELNS1_3gpuE0ELNS1_3repE0EEENS1_30default_config_static_selectorELNS0_4arch9wavefront6targetE1EEEvT1_,@function
_ZN7rocprim17ROCPRIM_400000_NS6detail17trampoline_kernelINS0_14default_configENS1_20scan_config_selectorIN3c104HalfEEEZZNS1_9scan_implILNS1_25lookback_scan_determinismE0ELb0ELb0ES3_PKS6_PS6_S6_ZZZN2at6native31launch_logcumsumexp_cuda_kernelERKNSD_10TensorBaseESH_lENKUlvE_clEvENKUlvE3_clEvEUlS6_S6_E_S6_EEDaPvRmT3_T4_T5_mT6_P12ihipStream_tbENKUlT_T0_E_clISt17integral_constantIbLb1EESY_EEDaST_SU_EUlST_E_NS1_11comp_targetILNS1_3genE0ELNS1_11target_archE4294967295ELNS1_3gpuE0ELNS1_3repE0EEENS1_30default_config_static_selectorELNS0_4arch9wavefront6targetE1EEEvT1_: ; @_ZN7rocprim17ROCPRIM_400000_NS6detail17trampoline_kernelINS0_14default_configENS1_20scan_config_selectorIN3c104HalfEEEZZNS1_9scan_implILNS1_25lookback_scan_determinismE0ELb0ELb0ES3_PKS6_PS6_S6_ZZZN2at6native31launch_logcumsumexp_cuda_kernelERKNSD_10TensorBaseESH_lENKUlvE_clEvENKUlvE3_clEvEUlS6_S6_E_S6_EEDaPvRmT3_T4_T5_mT6_P12ihipStream_tbENKUlT_T0_E_clISt17integral_constantIbLb1EESY_EEDaST_SU_EUlST_E_NS1_11comp_targetILNS1_3genE0ELNS1_11target_archE4294967295ELNS1_3gpuE0ELNS1_3repE0EEENS1_30default_config_static_selectorELNS0_4arch9wavefront6targetE1EEEvT1_
; %bb.0:
	.section	.rodata,"a",@progbits
	.p2align	6, 0x0
	.amdhsa_kernel _ZN7rocprim17ROCPRIM_400000_NS6detail17trampoline_kernelINS0_14default_configENS1_20scan_config_selectorIN3c104HalfEEEZZNS1_9scan_implILNS1_25lookback_scan_determinismE0ELb0ELb0ES3_PKS6_PS6_S6_ZZZN2at6native31launch_logcumsumexp_cuda_kernelERKNSD_10TensorBaseESH_lENKUlvE_clEvENKUlvE3_clEvEUlS6_S6_E_S6_EEDaPvRmT3_T4_T5_mT6_P12ihipStream_tbENKUlT_T0_E_clISt17integral_constantIbLb1EESY_EEDaST_SU_EUlST_E_NS1_11comp_targetILNS1_3genE0ELNS1_11target_archE4294967295ELNS1_3gpuE0ELNS1_3repE0EEENS1_30default_config_static_selectorELNS0_4arch9wavefront6targetE1EEEvT1_
		.amdhsa_group_segment_fixed_size 0
		.amdhsa_private_segment_fixed_size 0
		.amdhsa_kernarg_size 96
		.amdhsa_user_sgpr_count 2
		.amdhsa_user_sgpr_dispatch_ptr 0
		.amdhsa_user_sgpr_queue_ptr 0
		.amdhsa_user_sgpr_kernarg_segment_ptr 1
		.amdhsa_user_sgpr_dispatch_id 0
		.amdhsa_user_sgpr_kernarg_preload_length 0
		.amdhsa_user_sgpr_kernarg_preload_offset 0
		.amdhsa_user_sgpr_private_segment_size 0
		.amdhsa_uses_dynamic_stack 0
		.amdhsa_enable_private_segment 0
		.amdhsa_system_sgpr_workgroup_id_x 1
		.amdhsa_system_sgpr_workgroup_id_y 0
		.amdhsa_system_sgpr_workgroup_id_z 0
		.amdhsa_system_sgpr_workgroup_info 0
		.amdhsa_system_vgpr_workitem_id 0
		.amdhsa_next_free_vgpr 1
		.amdhsa_next_free_sgpr 0
		.amdhsa_accum_offset 4
		.amdhsa_reserve_vcc 0
		.amdhsa_float_round_mode_32 0
		.amdhsa_float_round_mode_16_64 0
		.amdhsa_float_denorm_mode_32 3
		.amdhsa_float_denorm_mode_16_64 3
		.amdhsa_dx10_clamp 1
		.amdhsa_ieee_mode 1
		.amdhsa_fp16_overflow 0
		.amdhsa_tg_split 0
		.amdhsa_exception_fp_ieee_invalid_op 0
		.amdhsa_exception_fp_denorm_src 0
		.amdhsa_exception_fp_ieee_div_zero 0
		.amdhsa_exception_fp_ieee_overflow 0
		.amdhsa_exception_fp_ieee_underflow 0
		.amdhsa_exception_fp_ieee_inexact 0
		.amdhsa_exception_int_div_zero 0
	.end_amdhsa_kernel
	.section	.text._ZN7rocprim17ROCPRIM_400000_NS6detail17trampoline_kernelINS0_14default_configENS1_20scan_config_selectorIN3c104HalfEEEZZNS1_9scan_implILNS1_25lookback_scan_determinismE0ELb0ELb0ES3_PKS6_PS6_S6_ZZZN2at6native31launch_logcumsumexp_cuda_kernelERKNSD_10TensorBaseESH_lENKUlvE_clEvENKUlvE3_clEvEUlS6_S6_E_S6_EEDaPvRmT3_T4_T5_mT6_P12ihipStream_tbENKUlT_T0_E_clISt17integral_constantIbLb1EESY_EEDaST_SU_EUlST_E_NS1_11comp_targetILNS1_3genE0ELNS1_11target_archE4294967295ELNS1_3gpuE0ELNS1_3repE0EEENS1_30default_config_static_selectorELNS0_4arch9wavefront6targetE1EEEvT1_,"axG",@progbits,_ZN7rocprim17ROCPRIM_400000_NS6detail17trampoline_kernelINS0_14default_configENS1_20scan_config_selectorIN3c104HalfEEEZZNS1_9scan_implILNS1_25lookback_scan_determinismE0ELb0ELb0ES3_PKS6_PS6_S6_ZZZN2at6native31launch_logcumsumexp_cuda_kernelERKNSD_10TensorBaseESH_lENKUlvE_clEvENKUlvE3_clEvEUlS6_S6_E_S6_EEDaPvRmT3_T4_T5_mT6_P12ihipStream_tbENKUlT_T0_E_clISt17integral_constantIbLb1EESY_EEDaST_SU_EUlST_E_NS1_11comp_targetILNS1_3genE0ELNS1_11target_archE4294967295ELNS1_3gpuE0ELNS1_3repE0EEENS1_30default_config_static_selectorELNS0_4arch9wavefront6targetE1EEEvT1_,comdat
.Lfunc_end387:
	.size	_ZN7rocprim17ROCPRIM_400000_NS6detail17trampoline_kernelINS0_14default_configENS1_20scan_config_selectorIN3c104HalfEEEZZNS1_9scan_implILNS1_25lookback_scan_determinismE0ELb0ELb0ES3_PKS6_PS6_S6_ZZZN2at6native31launch_logcumsumexp_cuda_kernelERKNSD_10TensorBaseESH_lENKUlvE_clEvENKUlvE3_clEvEUlS6_S6_E_S6_EEDaPvRmT3_T4_T5_mT6_P12ihipStream_tbENKUlT_T0_E_clISt17integral_constantIbLb1EESY_EEDaST_SU_EUlST_E_NS1_11comp_targetILNS1_3genE0ELNS1_11target_archE4294967295ELNS1_3gpuE0ELNS1_3repE0EEENS1_30default_config_static_selectorELNS0_4arch9wavefront6targetE1EEEvT1_, .Lfunc_end387-_ZN7rocprim17ROCPRIM_400000_NS6detail17trampoline_kernelINS0_14default_configENS1_20scan_config_selectorIN3c104HalfEEEZZNS1_9scan_implILNS1_25lookback_scan_determinismE0ELb0ELb0ES3_PKS6_PS6_S6_ZZZN2at6native31launch_logcumsumexp_cuda_kernelERKNSD_10TensorBaseESH_lENKUlvE_clEvENKUlvE3_clEvEUlS6_S6_E_S6_EEDaPvRmT3_T4_T5_mT6_P12ihipStream_tbENKUlT_T0_E_clISt17integral_constantIbLb1EESY_EEDaST_SU_EUlST_E_NS1_11comp_targetILNS1_3genE0ELNS1_11target_archE4294967295ELNS1_3gpuE0ELNS1_3repE0EEENS1_30default_config_static_selectorELNS0_4arch9wavefront6targetE1EEEvT1_
                                        ; -- End function
	.section	.AMDGPU.csdata,"",@progbits
; Kernel info:
; codeLenInByte = 0
; NumSgprs: 6
; NumVgprs: 0
; NumAgprs: 0
; TotalNumVgprs: 0
; ScratchSize: 0
; MemoryBound: 0
; FloatMode: 240
; IeeeMode: 1
; LDSByteSize: 0 bytes/workgroup (compile time only)
; SGPRBlocks: 0
; VGPRBlocks: 0
; NumSGPRsForWavesPerEU: 6
; NumVGPRsForWavesPerEU: 1
; AccumOffset: 4
; Occupancy: 8
; WaveLimiterHint : 0
; COMPUTE_PGM_RSRC2:SCRATCH_EN: 0
; COMPUTE_PGM_RSRC2:USER_SGPR: 2
; COMPUTE_PGM_RSRC2:TRAP_HANDLER: 0
; COMPUTE_PGM_RSRC2:TGID_X_EN: 1
; COMPUTE_PGM_RSRC2:TGID_Y_EN: 0
; COMPUTE_PGM_RSRC2:TGID_Z_EN: 0
; COMPUTE_PGM_RSRC2:TIDIG_COMP_CNT: 0
; COMPUTE_PGM_RSRC3_GFX90A:ACCUM_OFFSET: 0
; COMPUTE_PGM_RSRC3_GFX90A:TG_SPLIT: 0
	.text
	.p2align	2                               ; -- Begin function _ZZZN7rocprim17ROCPRIM_400000_NS6detail9scan_implILNS1_25lookback_scan_determinismE0ELb0ELb0ENS0_14default_configEPKN3c104HalfEPS6_S6_ZZZN2at6native31launch_logcumsumexp_cuda_kernelERKNSA_10TensorBaseESE_lENKUlvE_clEvENKUlvE3_clEvEUlS6_S6_E_S6_EEDaPvRmT3_T4_T5_mT6_P12ihipStream_tbENKUlT_T0_E_clISt17integral_constantIbLb1EESV_EEDaSQ_SR_ENKUlSQ_E_clINS1_13target_configIS4_NS1_20scan_config_selectorIS6_EENS1_11comp_targetILNS1_3genE5ELNS1_11target_archE942ELNS1_3gpuE9ELNS1_3repE0EEELNS0_4arch9wavefront6targetE1EEEEEDaSQ_
	.type	_ZZZN7rocprim17ROCPRIM_400000_NS6detail9scan_implILNS1_25lookback_scan_determinismE0ELb0ELb0ENS0_14default_configEPKN3c104HalfEPS6_S6_ZZZN2at6native31launch_logcumsumexp_cuda_kernelERKNSA_10TensorBaseESE_lENKUlvE_clEvENKUlvE3_clEvEUlS6_S6_E_S6_EEDaPvRmT3_T4_T5_mT6_P12ihipStream_tbENKUlT_T0_E_clISt17integral_constantIbLb1EESV_EEDaSQ_SR_ENKUlSQ_E_clINS1_13target_configIS4_NS1_20scan_config_selectorIS6_EENS1_11comp_targetILNS1_3genE5ELNS1_11target_archE942ELNS1_3gpuE9ELNS1_3repE0EEELNS0_4arch9wavefront6targetE1EEEEEDaSQ_,@function
_ZZZN7rocprim17ROCPRIM_400000_NS6detail9scan_implILNS1_25lookback_scan_determinismE0ELb0ELb0ENS0_14default_configEPKN3c104HalfEPS6_S6_ZZZN2at6native31launch_logcumsumexp_cuda_kernelERKNSA_10TensorBaseESE_lENKUlvE_clEvENKUlvE3_clEvEUlS6_S6_E_S6_EEDaPvRmT3_T4_T5_mT6_P12ihipStream_tbENKUlT_T0_E_clISt17integral_constantIbLb1EESV_EEDaSQ_SR_ENKUlSQ_E_clINS1_13target_configIS4_NS1_20scan_config_selectorIS6_EENS1_11comp_targetILNS1_3genE5ELNS1_11target_archE942ELNS1_3gpuE9ELNS1_3repE0EEELNS0_4arch9wavefront6targetE1EEEEEDaSQ_: ; @_ZZZN7rocprim17ROCPRIM_400000_NS6detail9scan_implILNS1_25lookback_scan_determinismE0ELb0ELb0ENS0_14default_configEPKN3c104HalfEPS6_S6_ZZZN2at6native31launch_logcumsumexp_cuda_kernelERKNSA_10TensorBaseESE_lENKUlvE_clEvENKUlvE3_clEvEUlS6_S6_E_S6_EEDaPvRmT3_T4_T5_mT6_P12ihipStream_tbENKUlT_T0_E_clISt17integral_constantIbLb1EESV_EEDaSQ_SR_ENKUlSQ_E_clINS1_13target_configIS4_NS1_20scan_config_selectorIS6_EENS1_11comp_targetILNS1_3genE5ELNS1_11target_archE942ELNS1_3gpuE9ELNS1_3repE0EEELNS0_4arch9wavefront6targetE1EEEEEDaSQ_
; %bb.0:
	s_waitcnt vmcnt(0) expcnt(0) lgkmcnt(0)
	s_or_saveexec_b64 s[0:1], -1
	scratch_store_dword off, v40, s32       ; 4-byte Folded Spill
	s_mov_b64 exec, s[0:1]
	v_writelane_b32 v40, s30, 0
	s_nop 1
	v_writelane_b32 v40, s31, 1
	flat_load_dwordx4 v[10:13], v[0:1]
	flat_load_dwordx4 v[14:17], v[0:1] offset:16
	flat_load_dwordx3 v[28:30], v[0:1] offset:40
	flat_load_dwordx4 v[2:5], v[0:1] offset:56
	flat_load_dwordx4 v[6:9], v[0:1] offset:72
	v_and_b32_e32 v32, 0x3ff, v31
	v_cmp_ne_u32_e64 s[2:3], 0, v32
	v_cmp_eq_u32_e64 s[4:5], 0, v32
	s_and_saveexec_b64 s[0:1], s[4:5]
	s_cbranch_execz .LBB388_2
; %bb.1:
	flat_load_dwordx2 v[0:1], v[0:1] offset:88
	v_mov_b32_e32 v18, 1
	s_waitcnt vmcnt(0) lgkmcnt(0)
	flat_atomic_add v0, v[0:1], v18 sc0
	v_mov_b32_e32 v1, 0
	s_waitcnt vmcnt(0) lgkmcnt(0)
	ds_write_b32 v1, v0
.LBB388_2:
	s_or_b64 exec, exec, s[0:1]
	v_mov_b32_e32 v35, 0
	s_waitcnt lgkmcnt(0)
	s_barrier
	ds_read_b32 v36, v35
	s_movk_i32 s0, 0x1800
	s_waitcnt vmcnt(0)
	v_add_u32_e32 v18, -1, v30
	v_lshl_add_u64 v[0:1], v[12:13], 1, v[10:11]
	v_mul_lo_u32 v10, v18, s0
	s_waitcnt lgkmcnt(0)
	v_mul_lo_u32 v34, v36, s0
	v_sub_co_u32_e32 v10, vcc, v16, v10
	v_cmp_ne_u32_e64 s[0:1], v36, v18
	s_nop 0
	v_subbrev_co_u32_e32 v11, vcc, 0, v17, vcc
	v_lshl_add_u64 v[16:17], v[34:35], 1, v[0:1]
	v_lshlrev_b32_e32 v0, 1, v32
	s_barrier
	s_and_saveexec_b64 s[6:7], s[0:1]
	s_xor_b64 s[6:7], exec, s[6:7]
	s_cbranch_execz .LBB388_4
; %bb.3:
	v_mov_b32_e32 v1, v35
	v_lshl_add_u64 v[16:17], v[16:17], 0, v[0:1]
	v_add_co_u32_e32 v18, vcc, 0x1000, v16
	flat_load_ushort v1, v[16:17]
	flat_load_ushort v20, v[16:17] offset:512
	flat_load_ushort v21, v[16:17] offset:1024
	;; [unrolled: 1-line block ×7, first 2 shown]
	v_addc_co_u32_e32 v19, vcc, 0, v17, vcc
	v_add_co_u32_e32 v16, vcc, 0x2000, v16
	flat_load_ushort v27, v[18:19]
	flat_load_ushort v30, v[18:19] offset:512
	flat_load_ushort v31, v[18:19] offset:1024
	;; [unrolled: 1-line block ×7, first 2 shown]
	v_addc_co_u32_e32 v17, vcc, 0, v17, vcc
	flat_load_ushort v18, v[16:17]
	flat_load_ushort v19, v[16:17] offset:512
	flat_load_ushort v49, v[16:17] offset:1024
	;; [unrolled: 1-line block ×7, first 2 shown]
                                        ; implicit-def: $vgpr16_vgpr17
	s_waitcnt vmcnt(0) lgkmcnt(0)
	ds_write_b16 v0, v1
	ds_write_b16 v0, v20 offset:512
	ds_write_b16 v0, v21 offset:1024
	;; [unrolled: 1-line block ×23, first 2 shown]
	s_waitcnt lgkmcnt(0)
	s_barrier
.LBB388_4:
	s_andn2_saveexec_b64 s[6:7], s[6:7]
	s_cbranch_execz .LBB388_54
; %bb.5:
	flat_load_ushort v18, v[16:17]
	v_cmp_lt_u32_e32 vcc, v32, v10
	s_waitcnt vmcnt(0) lgkmcnt(0)
	v_mov_b32_e32 v19, v18
	s_and_saveexec_b64 s[8:9], vcc
	s_cbranch_execz .LBB388_7
; %bb.6:
	v_mov_b32_e32 v1, 0
	v_lshl_add_u64 v[20:21], v[16:17], 0, v[0:1]
	flat_load_ushort v19, v[20:21]
.LBB388_7:
	s_or_b64 exec, exec, s[8:9]
	v_add_u32_e32 v1, 0x100, v32
	v_cmp_lt_u32_e32 vcc, v1, v10
	v_mov_b32_e32 v20, v18
	s_and_saveexec_b64 s[8:9], vcc
	s_cbranch_execz .LBB388_9
; %bb.8:
	v_mov_b32_e32 v1, 0
	v_lshl_add_u64 v[20:21], v[16:17], 0, v[0:1]
	flat_load_ushort v20, v[20:21] offset:512
.LBB388_9:
	s_or_b64 exec, exec, s[8:9]
	v_add_u32_e32 v1, 0x200, v32
	v_cmp_lt_u32_e32 vcc, v1, v10
	v_mov_b32_e32 v21, v18
	s_and_saveexec_b64 s[8:9], vcc
	s_cbranch_execz .LBB388_11
; %bb.10:
	v_mov_b32_e32 v1, 0
	v_lshl_add_u64 v[22:23], v[16:17], 0, v[0:1]
	flat_load_ushort v21, v[22:23] offset:1024
.LBB388_11:
	;; [unrolled: 11-line block ×3, first 2 shown]
	s_or_b64 exec, exec, s[8:9]
	v_or_b32_e32 v1, 0x400, v32
	v_cmp_lt_u32_e32 vcc, v1, v10
	v_mov_b32_e32 v23, v18
	s_and_saveexec_b64 s[8:9], vcc
	s_cbranch_execz .LBB388_15
; %bb.14:
	v_mov_b32_e32 v1, 0
	v_lshl_add_u64 v[24:25], v[16:17], 0, v[0:1]
	flat_load_ushort v23, v[24:25] offset:2048
.LBB388_15:
	s_or_b64 exec, exec, s[8:9]
	v_add_u32_e32 v1, 0x500, v32
	v_cmp_lt_u32_e32 vcc, v1, v10
	v_mov_b32_e32 v24, v18
	s_and_saveexec_b64 s[8:9], vcc
	s_cbranch_execz .LBB388_17
; %bb.16:
	v_mov_b32_e32 v1, 0
	v_lshl_add_u64 v[24:25], v[16:17], 0, v[0:1]
	flat_load_ushort v24, v[24:25] offset:2560
.LBB388_17:
	s_or_b64 exec, exec, s[8:9]
	v_add_u32_e32 v1, 0x600, v32
	;; [unrolled: 11-line block ×3, first 2 shown]
	v_cmp_lt_u32_e32 vcc, v1, v10
	v_mov_b32_e32 v1, v18
	s_and_saveexec_b64 s[8:9], vcc
	s_cbranch_execz .LBB388_21
; %bb.20:
	v_mov_b32_e32 v1, 0
	v_lshl_add_u64 v[26:27], v[16:17], 0, v[0:1]
	flat_load_ushort v1, v[26:27] offset:3584
.LBB388_21:
	s_or_b64 exec, exec, s[8:9]
	v_or_b32_e32 v27, 0x800, v32
	v_cmp_lt_u32_e32 vcc, v27, v10
	v_mov_b32_e32 v26, v18
	s_and_saveexec_b64 s[8:9], vcc
	s_cbranch_execz .LBB388_23
; %bb.22:
	v_lshlrev_b32_e32 v26, 1, v27
	v_mov_b32_e32 v27, 0
	v_lshl_add_u64 v[26:27], v[16:17], 0, v[26:27]
	flat_load_ushort v26, v[26:27]
.LBB388_23:
	s_or_b64 exec, exec, s[8:9]
	v_add_u32_e32 v30, 0x900, v32
	v_cmp_lt_u32_e32 vcc, v30, v10
	v_mov_b32_e32 v27, v18
	s_and_saveexec_b64 s[8:9], vcc
	s_cbranch_execz .LBB388_25
; %bb.24:
	v_lshlrev_b32_e32 v30, 1, v30
	v_mov_b32_e32 v31, 0
	v_lshl_add_u64 v[30:31], v[16:17], 0, v[30:31]
	flat_load_ushort v27, v[30:31]
.LBB388_25:
	s_or_b64 exec, exec, s[8:9]
	v_add_u32_e32 v31, 0xa00, v32
	v_cmp_lt_u32_e32 vcc, v31, v10
	v_mov_b32_e32 v30, v18
	s_and_saveexec_b64 s[8:9], vcc
	s_cbranch_execz .LBB388_27
; %bb.26:
	v_lshlrev_b32_e32 v30, 1, v31
	v_mov_b32_e32 v31, 0
	v_lshl_add_u64 v[30:31], v[16:17], 0, v[30:31]
	flat_load_ushort v30, v[30:31]
.LBB388_27:
	s_or_b64 exec, exec, s[8:9]
	v_add_u32_e32 v33, 0xb00, v32
	v_cmp_lt_u32_e32 vcc, v33, v10
	v_mov_b32_e32 v31, v18
	s_and_saveexec_b64 s[8:9], vcc
	s_cbranch_execz .LBB388_29
; %bb.28:
	v_lshlrev_b32_e32 v38, 1, v33
	v_mov_b32_e32 v39, 0
	v_lshl_add_u64 v[38:39], v[16:17], 0, v[38:39]
	flat_load_ushort v31, v[38:39]
.LBB388_29:
	s_or_b64 exec, exec, s[8:9]
	v_or_b32_e32 v37, 0xc00, v32
	v_cmp_lt_u32_e32 vcc, v37, v10
	v_mov_b32_e32 v33, v18
	s_and_saveexec_b64 s[8:9], vcc
	s_cbranch_execz .LBB388_31
; %bb.30:
	v_lshlrev_b32_e32 v38, 1, v37
	v_mov_b32_e32 v39, 0
	v_lshl_add_u64 v[38:39], v[16:17], 0, v[38:39]
	flat_load_ushort v33, v[38:39]
.LBB388_31:
	s_or_b64 exec, exec, s[8:9]
	v_add_u32_e32 v38, 0xd00, v32
	v_cmp_lt_u32_e32 vcc, v38, v10
	v_mov_b32_e32 v37, v18
	s_and_saveexec_b64 s[8:9], vcc
	s_cbranch_execz .LBB388_33
; %bb.32:
	v_lshlrev_b32_e32 v38, 1, v38
	v_mov_b32_e32 v39, 0
	v_lshl_add_u64 v[38:39], v[16:17], 0, v[38:39]
	flat_load_ushort v37, v[38:39]
.LBB388_33:
	s_or_b64 exec, exec, s[8:9]
	v_add_u32_e32 v39, 0xe00, v32
	v_cmp_lt_u32_e32 vcc, v39, v10
	v_mov_b32_e32 v38, v18
	s_and_saveexec_b64 s[8:9], vcc
	s_cbranch_execz .LBB388_35
; %bb.34:
	v_lshlrev_b32_e32 v38, 1, v39
	v_mov_b32_e32 v39, 0
	v_lshl_add_u64 v[38:39], v[16:17], 0, v[38:39]
	flat_load_ushort v38, v[38:39]
.LBB388_35:
	s_or_b64 exec, exec, s[8:9]
	v_add_u32_e32 v48, 0xf00, v32
	v_cmp_lt_u32_e32 vcc, v48, v10
	v_mov_b32_e32 v39, v18
	s_and_saveexec_b64 s[8:9], vcc
	s_cbranch_execz .LBB388_37
; %bb.36:
	v_lshlrev_b32_e32 v48, 1, v48
	v_mov_b32_e32 v49, 0
	v_lshl_add_u64 v[48:49], v[16:17], 0, v[48:49]
	flat_load_ushort v39, v[48:49]
.LBB388_37:
	;; [unrolled: 48-line block ×3, first 2 shown]
	s_or_b64 exec, exec, s[8:9]
	v_or_b32_e32 v53, 0x1400, v32
	v_cmp_lt_u32_e32 vcc, v53, v10
	v_mov_b32_e32 v52, v18
	s_and_saveexec_b64 s[8:9], vcc
	s_cbranch_execz .LBB388_47
; %bb.46:
	v_lshlrev_b32_e32 v52, 1, v53
	v_mov_b32_e32 v53, 0
	v_lshl_add_u64 v[52:53], v[16:17], 0, v[52:53]
	flat_load_ushort v52, v[52:53]
.LBB388_47:
	s_or_b64 exec, exec, s[8:9]
	v_add_u32_e32 v54, 0x1500, v32
	v_cmp_lt_u32_e32 vcc, v54, v10
	v_mov_b32_e32 v53, v18
	s_and_saveexec_b64 s[8:9], vcc
	s_cbranch_execz .LBB388_49
; %bb.48:
	v_lshlrev_b32_e32 v54, 1, v54
	v_mov_b32_e32 v55, 0
	v_lshl_add_u64 v[54:55], v[16:17], 0, v[54:55]
	flat_load_ushort v53, v[54:55]
.LBB388_49:
	s_or_b64 exec, exec, s[8:9]
	v_add_u32_e32 v55, 0x1600, v32
	;; [unrolled: 12-line block ×3, first 2 shown]
	v_cmp_lt_u32_e32 vcc, v55, v10
	s_and_saveexec_b64 s[8:9], vcc
	s_cbranch_execz .LBB388_53
; %bb.52:
	v_lshlrev_b32_e32 v64, 1, v55
	v_mov_b32_e32 v65, 0
	v_lshl_add_u64 v[16:17], v[16:17], 0, v[64:65]
	flat_load_ushort v18, v[16:17]
.LBB388_53:
	s_or_b64 exec, exec, s[8:9]
	s_waitcnt vmcnt(0) lgkmcnt(0)
	ds_write_b16 v0, v19
	ds_write_b16 v0, v20 offset:512
	ds_write_b16 v0, v21 offset:1024
	ds_write_b16 v0, v22 offset:1536
	ds_write_b16 v0, v23 offset:2048
	ds_write_b16 v0, v24 offset:2560
	ds_write_b16 v0, v25 offset:3072
	ds_write_b16 v0, v1 offset:3584
	ds_write_b16 v0, v26 offset:4096
	ds_write_b16 v0, v27 offset:4608
	ds_write_b16 v0, v30 offset:5120
	ds_write_b16 v0, v31 offset:5632
	ds_write_b16 v0, v33 offset:6144
	ds_write_b16 v0, v37 offset:6656
	ds_write_b16 v0, v38 offset:7168
	ds_write_b16 v0, v39 offset:7680
	ds_write_b16 v0, v48 offset:8192
	ds_write_b16 v0, v49 offset:8704
	ds_write_b16 v0, v50 offset:9216
	ds_write_b16 v0, v51 offset:9728
	ds_write_b16 v0, v52 offset:10240
	ds_write_b16 v0, v53 offset:10752
	ds_write_b16 v0, v54 offset:11264
	ds_write_b16 v0, v18 offset:11776
	s_waitcnt lgkmcnt(0)
	s_barrier
.LBB388_54:
	s_or_b64 exec, exec, s[6:7]
	v_mul_u32_u24_e32 v52, 24, v32
	v_lshlrev_b32_e32 v1, 1, v52
	ds_read_b128 v[24:27], v1
	ds_read_b128 v[20:23], v1 offset:16
	ds_read_b128 v[16:19], v1 offset:32
	v_cmp_ne_u32_e32 vcc, 0, v36
	s_and_b64 vcc, exec, vcc
	s_waitcnt lgkmcnt(2)
	v_cvt_f32_f16_sdwa v33, v24 dst_sel:DWORD dst_unused:UNUSED_PAD src0_sel:WORD_1
	v_cmp_u_f16_sdwa s[6:7], v24, v24 src0_sel:WORD_1 src1_sel:WORD_1
	s_waitcnt lgkmcnt(0)
	s_barrier
	s_cbranch_vccz .LBB388_269
; %bb.55:
	v_cvt_f32_f16_e32 v99, v24
	v_cmp_u_f16_e64 s[54:55], v24, v24
	s_movk_i32 s10, 0x1f8
	v_min_f32_e32 v30, v99, v33
	v_max_f32_e32 v31, v99, v33
	v_cndmask_b32_e64 v30, v30, v99, s[54:55]
	v_cndmask_b32_e64 v31, v31, v99, s[54:55]
	;; [unrolled: 1-line block ×4, first 2 shown]
	v_cmp_neq_f32_e32 vcc, v39, v38
	v_cmp_class_f32_e64 s[8:9], v39, s10
	s_or_b64 s[12:13], vcc, s[8:9]
	v_mov_b32_e32 v37, v99
	v_mov_b32_e32 v31, v24
	;; [unrolled: 1-line block ×3, first 2 shown]
	s_and_saveexec_b64 s[8:9], s[12:13]
	s_cbranch_execz .LBB388_57
; %bb.56:
	v_sub_f32_e32 v30, v39, v38
	s_mov_b32 s11, 0x3fb8aa3b
	v_mul_f32_e32 v31, 0x3fb8aa3b, v30
	v_fma_f32 v37, v30, s11, -v31
	v_rndne_f32_e32 v39, v31
	v_fmamk_f32 v37, v30, 0x32a5705f, v37
	v_sub_f32_e32 v31, v31, v39
	v_add_f32_e32 v31, v31, v37
	v_exp_f32_e32 v31, v31
	v_cvt_i32_f32_e32 v37, v39
	s_mov_b32 s11, 0xc2ce8ed0
	v_cmp_ngt_f32_e32 vcc, s11, v30
	s_mov_b32 s11, 0x42b17218
	v_ldexp_f32 v31, v31, v37
	v_cndmask_b32_e32 v31, 0, v31, vcc
	v_mov_b32_e32 v37, 0x7f800000
	v_cmp_nlt_f32_e32 vcc, s11, v30
	s_mov_b32 s11, 0x3f2aaaab
	s_mov_b32 s12, 0x7f800000
	v_cndmask_b32_e32 v39, v37, v31, vcc
	v_add_f32_e32 v37, 1.0, v39
	v_add_f32_e32 v30, -1.0, v37
	v_sub_f32_e32 v31, v30, v37
	v_add_f32_e32 v31, 1.0, v31
	v_sub_f32_e32 v30, v39, v30
	v_add_f32_e32 v48, v30, v31
	v_frexp_mant_f32_e32 v49, v37
	v_cvt_f64_f32_e32 v[30:31], v37
	v_frexp_exp_i32_f64_e32 v30, v[30:31]
	v_cmp_gt_f32_e32 vcc, s11, v49
	s_mov_b32 s11, 0x3f317218
	s_nop 0
	v_subbrev_co_u32_e32 v53, vcc, 0, v30, vcc
	v_sub_u32_e32 v30, 0, v53
	v_ldexp_f32 v31, v37, v30
	v_add_f32_e32 v37, -1.0, v31
	v_add_f32_e32 v49, 1.0, v31
	v_ldexp_f32 v30, v48, v30
	v_add_f32_e32 v48, 1.0, v37
	v_add_f32_e32 v50, -1.0, v49
	v_sub_f32_e32 v48, v31, v48
	v_sub_f32_e32 v31, v31, v50
	v_add_f32_e32 v48, v30, v48
	v_add_f32_e32 v30, v30, v31
	;; [unrolled: 1-line block ×3, first 2 shown]
	v_rcp_f32_e32 v66, v64
	v_sub_f32_e32 v31, v49, v64
	v_add_f32_e32 v65, v30, v31
	v_add_f32_e32 v31, v37, v48
	v_sub_f32_e32 v30, v37, v31
	v_mul_f32_e32 v67, v31, v66
	v_add_f32_e32 v37, v48, v30
	v_mul_f32_e32 v48, v64, v67
	v_fma_f32 v50, v67, v64, -v48
	v_fmac_f32_e32 v50, v67, v65
	v_add_f32_e32 v30, v48, v50
	v_sub_f32_e32 v49, v31, v30
	v_pk_add_f32 v[54:55], v[30:31], v[48:49] neg_lo:[0,1] neg_hi:[0,1]
	v_mov_b32_e32 v51, v30
	v_pk_add_f32 v[30:31], v[54:55], v[50:51] neg_lo:[0,1] neg_hi:[0,1]
	v_cmp_eq_f32_e32 vcc, s12, v39
	v_add_f32_e32 v31, v37, v31
	v_add_f32_e32 v30, v30, v31
	;; [unrolled: 1-line block ×3, first 2 shown]
	v_mul_f32_e32 v37, v66, v31
	v_mul_f32_e32 v48, v64, v37
	v_fma_f32 v50, v37, v64, -v48
	v_fmac_f32_e32 v50, v37, v65
	v_sub_f32_e32 v49, v49, v31
	v_add_f32_e32 v64, v30, v49
	v_add_f32_e32 v30, v48, v50
	v_sub_f32_e32 v49, v31, v30
	v_pk_add_f32 v[54:55], v[30:31], v[48:49] neg_lo:[0,1] neg_hi:[0,1]
	v_mov_b32_e32 v51, v30
	v_pk_add_f32 v[30:31], v[54:55], v[50:51] neg_lo:[0,1] neg_hi:[0,1]
	v_cvt_f32_i32_e32 v48, v53
	v_add_f32_e32 v31, v64, v31
	v_add_f32_e32 v30, v30, v31
	;; [unrolled: 1-line block ×4, first 2 shown]
	v_sub_f32_e32 v31, v49, v67
	v_mul_f32_e32 v30, v66, v30
	v_sub_f32_e32 v31, v37, v31
	v_add_f32_e32 v30, v31, v30
	v_add_f32_e32 v37, v49, v30
	v_mul_f32_e32 v50, v37, v37
	v_mov_b32_e32 v31, 0x3ecc95a3
	v_sub_f32_e32 v49, v37, v49
	v_fmac_f32_e32 v31, 0x3e9b6dac, v50
	v_sub_f32_e32 v30, v30, v49
	v_fmaak_f32 v31, v50, v31, 0x3f2aaada
	v_ldexp_f32 v53, v30, 1
	v_mul_f32_e32 v49, v37, v50
	v_mov_b32_e32 v30, 0x3f317218
	v_pk_mul_f32 v[30:31], v[48:49], v[30:31]
	v_ldexp_f32 v51, v37, 1
	v_fma_f32 v37, v48, s11, -v30
	v_fmamk_f32 v50, v48, 0xb102e308, v37
	v_pk_add_f32 v[48:49], v[30:31], v[50:51]
	v_mov_b32_e32 v54, v30
	v_sub_f32_e32 v37, v49, v51
	v_sub_f32_e32 v37, v31, v37
	v_add_f32_e32 v55, v53, v37
	v_pk_add_f32 v[30:31], v[48:49], v[30:31] neg_lo:[0,1] neg_hi:[0,1]
	v_pk_add_f32 v[64:65], v[48:49], v[54:55]
	v_mov_b32_e32 v51, v48
	v_mov_b32_e32 v31, v65
	v_pk_add_f32 v[66:67], v[50:51], v[30:31] neg_lo:[0,1] neg_hi:[0,1]
	v_pk_add_f32 v[30:31], v[50:51], v[30:31]
	v_mov_b32_e32 v54, v55
	v_mov_b32_e32 v50, v31
	v_pk_add_f32 v[68:69], v[50:51], v[48:49] neg_lo:[0,1] neg_hi:[0,1]
	v_mov_b32_e32 v30, v65
	v_mov_b32_e32 v37, v68
	v_pk_add_f32 v[70:71], v[64:65], v[36:37] neg_lo:[0,1] neg_hi:[0,1]
	v_mov_b32_e32 v64, v49
	v_mov_b32_e32 v65, v68
	;; [unrolled: 1-line block ×3, first 2 shown]
	v_pk_add_f32 v[30:31], v[30:31], v[64:65] neg_lo:[0,1] neg_hi:[0,1]
	v_mov_b32_e32 v55, v48
	v_pk_add_f32 v[30:31], v[54:55], v[30:31] neg_lo:[0,1] neg_hi:[0,1]
	v_mov_b32_e32 v70, v66
	v_pk_add_f32 v[48:49], v[70:71], v[30:31]
	s_mov_b32 s11, 0x33800000
	v_mov_b32_e32 v54, v49
	v_pk_add_f32 v[54:55], v[48:49], v[54:55]
	v_cmp_lt_f32_e64 s[12:13], |v39|, s11
	v_pk_add_f32 v[50:51], v[50:51], v[54:55]
	v_mov_b32_e32 v31, v54
	v_mov_b32_e32 v49, v50
	v_pk_add_f32 v[64:65], v[48:49], v[66:67] neg_lo:[0,1] neg_hi:[0,1]
	s_or_b64 vcc, vcc, s[12:13]
	v_sub_f32_e32 v37, v48, v64
	v_pk_add_f32 v[30:31], v[30:31], v[64:65] neg_lo:[0,1] neg_hi:[0,1]
	v_sub_f32_e32 v37, v66, v37
	v_add_f32_e32 v30, v30, v37
	v_add_f32_e32 v30, v30, v31
	;; [unrolled: 1-line block ×3, first 2 shown]
	v_cndmask_b32_e32 v30, v30, v39, vcc
	v_add_f32_e32 v30, v38, v30
	v_cvt_f16_f32_e32 v31, v30
	v_cvt_f32_f16_e32 v37, v31
	v_mov_b32_e32 v30, v31
.LBB388_57:
	s_or_b64 exec, exec, s[8:9]
	v_cvt_f32_f16_e32 v53, v25
	v_max_f32_e32 v38, v37, v37
	v_cmp_u_f16_e32 vcc, v31, v31
	v_cmp_u_f16_e64 s[8:9], v25, v25
	v_min_f32_e32 v39, v38, v53
	v_max_f32_e32 v38, v38, v53
	v_cndmask_b32_e32 v39, v39, v37, vcc
	v_cndmask_b32_e32 v38, v38, v37, vcc
	v_cndmask_b32_e64 v39, v39, v53, s[8:9]
	v_cndmask_b32_e64 v38, v38, v53, s[8:9]
	v_cmp_neq_f32_e32 vcc, v39, v38
	v_cmp_class_f32_e64 s[10:11], v39, s10
	s_or_b64 s[12:13], vcc, s[10:11]
	s_and_saveexec_b64 s[10:11], s[12:13]
	s_cbranch_execz .LBB388_59
; %bb.58:
	v_sub_f32_e32 v30, v39, v38
	s_mov_b32 s12, 0x3fb8aa3b
	v_mul_f32_e32 v31, 0x3fb8aa3b, v30
	v_fma_f32 v37, v30, s12, -v31
	v_rndne_f32_e32 v39, v31
	v_fmamk_f32 v37, v30, 0x32a5705f, v37
	v_sub_f32_e32 v31, v31, v39
	v_add_f32_e32 v31, v31, v37
	v_exp_f32_e32 v31, v31
	v_cvt_i32_f32_e32 v37, v39
	s_mov_b32 s12, 0xc2ce8ed0
	v_cmp_ngt_f32_e32 vcc, s12, v30
	s_mov_b32 s12, 0x42b17218
	v_ldexp_f32 v31, v31, v37
	v_cndmask_b32_e32 v31, 0, v31, vcc
	v_mov_b32_e32 v37, 0x7f800000
	v_cmp_nlt_f32_e32 vcc, s12, v30
	s_mov_b32 s12, 0x3f2aaaab
	s_mov_b32 s13, 0x7f800000
	v_cndmask_b32_e32 v39, v37, v31, vcc
	v_add_f32_e32 v37, 1.0, v39
	v_add_f32_e32 v30, -1.0, v37
	v_sub_f32_e32 v31, v30, v37
	v_add_f32_e32 v31, 1.0, v31
	v_sub_f32_e32 v30, v39, v30
	v_add_f32_e32 v48, v30, v31
	v_frexp_mant_f32_e32 v49, v37
	v_cvt_f64_f32_e32 v[30:31], v37
	v_frexp_exp_i32_f64_e32 v30, v[30:31]
	v_cmp_gt_f32_e32 vcc, s12, v49
	s_mov_b32 s12, 0x3f317218
	s_nop 0
	v_subbrev_co_u32_e32 v64, vcc, 0, v30, vcc
	v_sub_u32_e32 v30, 0, v64
	v_ldexp_f32 v31, v37, v30
	v_add_f32_e32 v37, -1.0, v31
	v_add_f32_e32 v49, 1.0, v31
	v_ldexp_f32 v30, v48, v30
	v_add_f32_e32 v48, 1.0, v37
	v_add_f32_e32 v50, -1.0, v49
	v_sub_f32_e32 v48, v31, v48
	v_sub_f32_e32 v31, v31, v50
	v_add_f32_e32 v48, v30, v48
	v_add_f32_e32 v30, v30, v31
	;; [unrolled: 1-line block ×3, first 2 shown]
	v_rcp_f32_e32 v67, v65
	v_sub_f32_e32 v31, v49, v65
	v_add_f32_e32 v66, v30, v31
	v_add_f32_e32 v31, v37, v48
	v_sub_f32_e32 v30, v37, v31
	v_mul_f32_e32 v68, v31, v67
	v_add_f32_e32 v37, v48, v30
	v_mul_f32_e32 v48, v65, v68
	v_fma_f32 v50, v68, v65, -v48
	v_fmac_f32_e32 v50, v68, v66
	v_add_f32_e32 v30, v48, v50
	v_sub_f32_e32 v49, v31, v30
	v_pk_add_f32 v[54:55], v[30:31], v[48:49] neg_lo:[0,1] neg_hi:[0,1]
	v_mov_b32_e32 v51, v30
	v_pk_add_f32 v[30:31], v[54:55], v[50:51] neg_lo:[0,1] neg_hi:[0,1]
	v_cmp_eq_f32_e32 vcc, s13, v39
	v_add_f32_e32 v31, v37, v31
	v_add_f32_e32 v30, v30, v31
	;; [unrolled: 1-line block ×3, first 2 shown]
	v_mul_f32_e32 v37, v67, v31
	v_mul_f32_e32 v48, v65, v37
	v_fma_f32 v50, v37, v65, -v48
	v_fmac_f32_e32 v50, v37, v66
	v_sub_f32_e32 v49, v49, v31
	v_add_f32_e32 v65, v30, v49
	v_add_f32_e32 v30, v48, v50
	v_sub_f32_e32 v49, v31, v30
	v_pk_add_f32 v[54:55], v[30:31], v[48:49] neg_lo:[0,1] neg_hi:[0,1]
	v_mov_b32_e32 v51, v30
	v_pk_add_f32 v[30:31], v[54:55], v[50:51] neg_lo:[0,1] neg_hi:[0,1]
	v_cvt_f32_i32_e32 v48, v64
	v_add_f32_e32 v31, v65, v31
	v_add_f32_e32 v30, v30, v31
	;; [unrolled: 1-line block ×4, first 2 shown]
	v_sub_f32_e32 v31, v49, v68
	v_mul_f32_e32 v30, v67, v30
	v_sub_f32_e32 v31, v37, v31
	v_add_f32_e32 v30, v31, v30
	v_add_f32_e32 v37, v49, v30
	v_mul_f32_e32 v50, v37, v37
	v_mov_b32_e32 v31, 0x3ecc95a3
	v_sub_f32_e32 v49, v37, v49
	v_fmac_f32_e32 v31, 0x3e9b6dac, v50
	v_sub_f32_e32 v30, v30, v49
	v_fmaak_f32 v31, v50, v31, 0x3f2aaada
	v_ldexp_f32 v54, v30, 1
	v_mul_f32_e32 v49, v37, v50
	v_mov_b32_e32 v30, 0x3f317218
	v_pk_mul_f32 v[30:31], v[48:49], v[30:31]
	v_ldexp_f32 v51, v37, 1
	v_fma_f32 v37, v48, s12, -v30
	v_fmamk_f32 v50, v48, 0xb102e308, v37
	v_pk_add_f32 v[48:49], v[30:31], v[50:51]
	s_mov_b32 s12, 0x33800000
	v_sub_f32_e32 v37, v49, v51
	v_sub_f32_e32 v37, v31, v37
	v_add_f32_e32 v55, v54, v37
	v_mov_b32_e32 v54, v30
	v_pk_add_f32 v[30:31], v[48:49], v[30:31] neg_lo:[0,1] neg_hi:[0,1]
	v_pk_add_f32 v[64:65], v[48:49], v[54:55]
	v_mov_b32_e32 v51, v48
	v_mov_b32_e32 v31, v65
	v_pk_add_f32 v[66:67], v[50:51], v[30:31] neg_lo:[0,1] neg_hi:[0,1]
	v_pk_add_f32 v[30:31], v[50:51], v[30:31]
	v_mov_b32_e32 v54, v55
	v_mov_b32_e32 v50, v31
	v_pk_add_f32 v[68:69], v[50:51], v[48:49] neg_lo:[0,1] neg_hi:[0,1]
	v_mov_b32_e32 v30, v65
	v_mov_b32_e32 v37, v68
	v_pk_add_f32 v[70:71], v[64:65], v[36:37] neg_lo:[0,1] neg_hi:[0,1]
	v_mov_b32_e32 v64, v49
	v_mov_b32_e32 v65, v68
	;; [unrolled: 1-line block ×3, first 2 shown]
	v_pk_add_f32 v[30:31], v[30:31], v[64:65] neg_lo:[0,1] neg_hi:[0,1]
	v_mov_b32_e32 v55, v48
	v_pk_add_f32 v[30:31], v[54:55], v[30:31] neg_lo:[0,1] neg_hi:[0,1]
	v_mov_b32_e32 v70, v66
	v_pk_add_f32 v[48:49], v[70:71], v[30:31]
	v_cmp_lt_f32_e64 s[12:13], |v39|, s12
	v_mov_b32_e32 v54, v49
	v_pk_add_f32 v[54:55], v[48:49], v[54:55]
	s_or_b64 vcc, vcc, s[12:13]
	v_pk_add_f32 v[50:51], v[50:51], v[54:55]
	v_mov_b32_e32 v31, v54
	v_mov_b32_e32 v49, v50
	v_pk_add_f32 v[64:65], v[48:49], v[66:67] neg_lo:[0,1] neg_hi:[0,1]
	s_nop 0
	v_sub_f32_e32 v37, v48, v64
	v_pk_add_f32 v[30:31], v[30:31], v[64:65] neg_lo:[0,1] neg_hi:[0,1]
	v_sub_f32_e32 v37, v66, v37
	v_add_f32_e32 v30, v30, v37
	v_add_f32_e32 v30, v30, v31
	v_add_f32_e32 v30, v50, v30
	v_cndmask_b32_e32 v30, v30, v39, vcc
	v_add_f32_e32 v30, v38, v30
	v_cvt_f16_f32_e32 v31, v30
	v_cvt_f32_f16_e32 v37, v31
	v_mov_b32_e32 v30, v31
.LBB388_59:
	s_or_b64 exec, exec, s[10:11]
	v_cvt_f32_f16_sdwa v54, v25 dst_sel:DWORD dst_unused:UNUSED_PAD src0_sel:WORD_1
	v_max_f32_e32 v38, v37, v37
	v_cmp_u_f16_e32 vcc, v31, v31
	v_cmp_u_f16_sdwa s[10:11], v25, v25 src0_sel:WORD_1 src1_sel:WORD_1
	v_min_f32_e32 v39, v38, v54
	v_max_f32_e32 v38, v38, v54
	v_cndmask_b32_e32 v39, v39, v37, vcc
	v_cndmask_b32_e32 v38, v38, v37, vcc
	v_cndmask_b32_e64 v39, v39, v54, s[10:11]
	v_cndmask_b32_e64 v38, v38, v54, s[10:11]
	s_movk_i32 s14, 0x1f8
	v_cmp_neq_f32_e32 vcc, v39, v38
	v_cmp_class_f32_e64 s[12:13], v39, s14
	s_or_b64 s[16:17], vcc, s[12:13]
	s_and_saveexec_b64 s[12:13], s[16:17]
	s_cbranch_execz .LBB388_61
; %bb.60:
	v_sub_f32_e32 v30, v39, v38
	s_mov_b32 s15, 0x3fb8aa3b
	v_mul_f32_e32 v31, 0x3fb8aa3b, v30
	v_fma_f32 v37, v30, s15, -v31
	v_rndne_f32_e32 v39, v31
	v_fmamk_f32 v37, v30, 0x32a5705f, v37
	v_sub_f32_e32 v31, v31, v39
	v_add_f32_e32 v31, v31, v37
	v_exp_f32_e32 v31, v31
	v_cvt_i32_f32_e32 v37, v39
	s_mov_b32 s15, 0xc2ce8ed0
	v_cmp_ngt_f32_e32 vcc, s15, v30
	s_mov_b32 s15, 0x42b17218
	v_ldexp_f32 v31, v31, v37
	v_cndmask_b32_e32 v31, 0, v31, vcc
	v_mov_b32_e32 v37, 0x7f800000
	v_cmp_nlt_f32_e32 vcc, s15, v30
	s_mov_b32 s15, 0x3f2aaaab
	s_mov_b32 s16, 0x7f800000
	v_cndmask_b32_e32 v39, v37, v31, vcc
	v_add_f32_e32 v37, 1.0, v39
	v_add_f32_e32 v30, -1.0, v37
	v_sub_f32_e32 v31, v30, v37
	v_add_f32_e32 v31, 1.0, v31
	v_sub_f32_e32 v30, v39, v30
	v_add_f32_e32 v48, v30, v31
	v_frexp_mant_f32_e32 v49, v37
	v_cvt_f64_f32_e32 v[30:31], v37
	v_frexp_exp_i32_f64_e32 v30, v[30:31]
	v_cmp_gt_f32_e32 vcc, s15, v49
	s_mov_b32 s15, 0x3f317218
	s_nop 0
	v_subbrev_co_u32_e32 v55, vcc, 0, v30, vcc
	v_sub_u32_e32 v30, 0, v55
	v_ldexp_f32 v31, v37, v30
	v_add_f32_e32 v37, -1.0, v31
	v_add_f32_e32 v49, 1.0, v31
	v_ldexp_f32 v30, v48, v30
	v_add_f32_e32 v48, 1.0, v37
	v_add_f32_e32 v50, -1.0, v49
	v_sub_f32_e32 v48, v31, v48
	v_sub_f32_e32 v31, v31, v50
	v_add_f32_e32 v48, v30, v48
	v_add_f32_e32 v30, v30, v31
	;; [unrolled: 1-line block ×3, first 2 shown]
	v_rcp_f32_e32 v68, v66
	v_sub_f32_e32 v31, v49, v66
	v_add_f32_e32 v67, v30, v31
	v_add_f32_e32 v31, v37, v48
	v_sub_f32_e32 v30, v37, v31
	v_mul_f32_e32 v69, v31, v68
	v_add_f32_e32 v37, v48, v30
	v_mul_f32_e32 v48, v66, v69
	v_fma_f32 v50, v69, v66, -v48
	v_fmac_f32_e32 v50, v69, v67
	v_add_f32_e32 v30, v48, v50
	v_sub_f32_e32 v49, v31, v30
	v_pk_add_f32 v[64:65], v[30:31], v[48:49] neg_lo:[0,1] neg_hi:[0,1]
	v_mov_b32_e32 v51, v30
	v_pk_add_f32 v[30:31], v[64:65], v[50:51] neg_lo:[0,1] neg_hi:[0,1]
	v_cmp_eq_f32_e32 vcc, s16, v39
	v_add_f32_e32 v31, v37, v31
	v_add_f32_e32 v30, v30, v31
	;; [unrolled: 1-line block ×3, first 2 shown]
	v_mul_f32_e32 v37, v68, v31
	v_mul_f32_e32 v48, v66, v37
	v_fma_f32 v50, v37, v66, -v48
	v_fmac_f32_e32 v50, v37, v67
	v_sub_f32_e32 v49, v49, v31
	v_add_f32_e32 v66, v30, v49
	v_add_f32_e32 v30, v48, v50
	v_sub_f32_e32 v49, v31, v30
	v_pk_add_f32 v[64:65], v[30:31], v[48:49] neg_lo:[0,1] neg_hi:[0,1]
	v_mov_b32_e32 v51, v30
	v_pk_add_f32 v[30:31], v[64:65], v[50:51] neg_lo:[0,1] neg_hi:[0,1]
	v_cvt_f32_i32_e32 v48, v55
	v_add_f32_e32 v31, v66, v31
	v_add_f32_e32 v30, v30, v31
	;; [unrolled: 1-line block ×4, first 2 shown]
	v_sub_f32_e32 v31, v49, v69
	v_mul_f32_e32 v30, v68, v30
	v_sub_f32_e32 v31, v37, v31
	v_add_f32_e32 v30, v31, v30
	v_add_f32_e32 v37, v49, v30
	v_mul_f32_e32 v50, v37, v37
	v_mov_b32_e32 v31, 0x3ecc95a3
	v_sub_f32_e32 v49, v37, v49
	v_fmac_f32_e32 v31, 0x3e9b6dac, v50
	v_sub_f32_e32 v30, v30, v49
	v_fmaak_f32 v31, v50, v31, 0x3f2aaada
	v_ldexp_f32 v55, v30, 1
	v_mul_f32_e32 v49, v37, v50
	v_mov_b32_e32 v30, 0x3f317218
	v_pk_mul_f32 v[30:31], v[48:49], v[30:31]
	v_ldexp_f32 v51, v37, 1
	v_fma_f32 v37, v48, s15, -v30
	v_fmamk_f32 v50, v48, 0xb102e308, v37
	v_pk_add_f32 v[48:49], v[30:31], v[50:51]
	v_mov_b32_e32 v64, v30
	v_sub_f32_e32 v37, v49, v51
	v_sub_f32_e32 v37, v31, v37
	v_add_f32_e32 v65, v55, v37
	v_pk_add_f32 v[30:31], v[48:49], v[30:31] neg_lo:[0,1] neg_hi:[0,1]
	v_pk_add_f32 v[66:67], v[48:49], v[64:65]
	v_mov_b32_e32 v51, v48
	v_mov_b32_e32 v31, v67
	v_pk_add_f32 v[68:69], v[50:51], v[30:31] neg_lo:[0,1] neg_hi:[0,1]
	v_pk_add_f32 v[30:31], v[50:51], v[30:31]
	v_mov_b32_e32 v64, v65
	v_mov_b32_e32 v50, v31
	v_pk_add_f32 v[70:71], v[50:51], v[48:49] neg_lo:[0,1] neg_hi:[0,1]
	v_mov_b32_e32 v30, v67
	v_mov_b32_e32 v37, v70
	v_pk_add_f32 v[80:81], v[66:67], v[36:37] neg_lo:[0,1] neg_hi:[0,1]
	v_mov_b32_e32 v66, v49
	v_mov_b32_e32 v67, v70
	;; [unrolled: 1-line block ×3, first 2 shown]
	v_pk_add_f32 v[30:31], v[30:31], v[66:67] neg_lo:[0,1] neg_hi:[0,1]
	v_mov_b32_e32 v65, v48
	v_pk_add_f32 v[30:31], v[64:65], v[30:31] neg_lo:[0,1] neg_hi:[0,1]
	v_mov_b32_e32 v80, v68
	v_pk_add_f32 v[48:49], v[80:81], v[30:31]
	s_mov_b32 s15, 0x33800000
	v_mov_b32_e32 v64, v49
	v_pk_add_f32 v[64:65], v[48:49], v[64:65]
	v_cmp_lt_f32_e64 s[16:17], |v39|, s15
	v_pk_add_f32 v[50:51], v[50:51], v[64:65]
	v_mov_b32_e32 v31, v64
	v_mov_b32_e32 v49, v50
	v_pk_add_f32 v[66:67], v[48:49], v[68:69] neg_lo:[0,1] neg_hi:[0,1]
	s_or_b64 vcc, vcc, s[16:17]
	v_sub_f32_e32 v37, v48, v66
	v_pk_add_f32 v[30:31], v[30:31], v[66:67] neg_lo:[0,1] neg_hi:[0,1]
	v_sub_f32_e32 v37, v68, v37
	v_add_f32_e32 v30, v30, v37
	v_add_f32_e32 v30, v30, v31
	;; [unrolled: 1-line block ×3, first 2 shown]
	v_cndmask_b32_e32 v30, v30, v39, vcc
	v_add_f32_e32 v30, v38, v30
	v_cvt_f16_f32_e32 v31, v30
	v_cvt_f32_f16_e32 v37, v31
	v_mov_b32_e32 v30, v31
.LBB388_61:
	s_or_b64 exec, exec, s[12:13]
	v_cvt_f32_f16_e32 v55, v26
	v_max_f32_e32 v38, v37, v37
	v_cmp_u_f16_e32 vcc, v31, v31
	v_cmp_u_f16_e64 s[12:13], v26, v26
	v_min_f32_e32 v39, v38, v55
	v_max_f32_e32 v38, v38, v55
	v_cndmask_b32_e32 v39, v39, v37, vcc
	v_cndmask_b32_e32 v38, v38, v37, vcc
	v_cndmask_b32_e64 v39, v39, v55, s[12:13]
	v_cndmask_b32_e64 v38, v38, v55, s[12:13]
	v_cmp_neq_f32_e32 vcc, v39, v38
	v_cmp_class_f32_e64 s[14:15], v39, s14
	s_or_b64 s[16:17], vcc, s[14:15]
	s_and_saveexec_b64 s[14:15], s[16:17]
	s_cbranch_execz .LBB388_63
; %bb.62:
	v_sub_f32_e32 v30, v39, v38
	s_mov_b32 s16, 0x3fb8aa3b
	v_mul_f32_e32 v31, 0x3fb8aa3b, v30
	v_fma_f32 v37, v30, s16, -v31
	v_rndne_f32_e32 v39, v31
	v_fmamk_f32 v37, v30, 0x32a5705f, v37
	v_sub_f32_e32 v31, v31, v39
	v_add_f32_e32 v31, v31, v37
	v_exp_f32_e32 v31, v31
	v_cvt_i32_f32_e32 v37, v39
	s_mov_b32 s16, 0xc2ce8ed0
	v_cmp_ngt_f32_e32 vcc, s16, v30
	s_mov_b32 s16, 0x42b17218
	v_ldexp_f32 v31, v31, v37
	v_cndmask_b32_e32 v31, 0, v31, vcc
	v_mov_b32_e32 v37, 0x7f800000
	v_cmp_nlt_f32_e32 vcc, s16, v30
	s_mov_b32 s16, 0x3f2aaaab
	s_mov_b32 s17, 0x7f800000
	v_cndmask_b32_e32 v39, v37, v31, vcc
	v_add_f32_e32 v37, 1.0, v39
	v_add_f32_e32 v30, -1.0, v37
	v_sub_f32_e32 v31, v30, v37
	v_add_f32_e32 v31, 1.0, v31
	v_sub_f32_e32 v30, v39, v30
	v_add_f32_e32 v48, v30, v31
	v_frexp_mant_f32_e32 v49, v37
	v_cvt_f64_f32_e32 v[30:31], v37
	v_frexp_exp_i32_f64_e32 v30, v[30:31]
	v_cmp_gt_f32_e32 vcc, s16, v49
	s_mov_b32 s16, 0x3f317218
	s_nop 0
	v_subbrev_co_u32_e32 v66, vcc, 0, v30, vcc
	v_sub_u32_e32 v30, 0, v66
	v_ldexp_f32 v31, v37, v30
	v_add_f32_e32 v37, -1.0, v31
	v_add_f32_e32 v49, 1.0, v31
	v_ldexp_f32 v30, v48, v30
	v_add_f32_e32 v48, 1.0, v37
	v_add_f32_e32 v50, -1.0, v49
	v_sub_f32_e32 v48, v31, v48
	v_sub_f32_e32 v31, v31, v50
	v_add_f32_e32 v48, v30, v48
	v_add_f32_e32 v30, v30, v31
	;; [unrolled: 1-line block ×3, first 2 shown]
	v_rcp_f32_e32 v69, v67
	v_sub_f32_e32 v31, v49, v67
	v_add_f32_e32 v68, v30, v31
	v_add_f32_e32 v31, v37, v48
	v_sub_f32_e32 v30, v37, v31
	v_mul_f32_e32 v70, v31, v69
	v_add_f32_e32 v37, v48, v30
	v_mul_f32_e32 v48, v67, v70
	v_fma_f32 v50, v70, v67, -v48
	v_fmac_f32_e32 v50, v70, v68
	v_add_f32_e32 v30, v48, v50
	v_sub_f32_e32 v49, v31, v30
	v_pk_add_f32 v[64:65], v[30:31], v[48:49] neg_lo:[0,1] neg_hi:[0,1]
	v_mov_b32_e32 v51, v30
	v_pk_add_f32 v[30:31], v[64:65], v[50:51] neg_lo:[0,1] neg_hi:[0,1]
	v_cmp_eq_f32_e32 vcc, s17, v39
	v_add_f32_e32 v31, v37, v31
	v_add_f32_e32 v30, v30, v31
	;; [unrolled: 1-line block ×3, first 2 shown]
	v_mul_f32_e32 v37, v69, v31
	v_mul_f32_e32 v48, v67, v37
	v_fma_f32 v50, v37, v67, -v48
	v_fmac_f32_e32 v50, v37, v68
	v_sub_f32_e32 v49, v49, v31
	v_add_f32_e32 v67, v30, v49
	v_add_f32_e32 v30, v48, v50
	v_sub_f32_e32 v49, v31, v30
	v_pk_add_f32 v[64:65], v[30:31], v[48:49] neg_lo:[0,1] neg_hi:[0,1]
	v_mov_b32_e32 v51, v30
	v_pk_add_f32 v[30:31], v[64:65], v[50:51] neg_lo:[0,1] neg_hi:[0,1]
	v_cvt_f32_i32_e32 v48, v66
	v_add_f32_e32 v31, v67, v31
	v_add_f32_e32 v30, v30, v31
	;; [unrolled: 1-line block ×4, first 2 shown]
	v_sub_f32_e32 v31, v49, v70
	v_mul_f32_e32 v30, v69, v30
	v_sub_f32_e32 v31, v37, v31
	v_add_f32_e32 v30, v31, v30
	v_add_f32_e32 v37, v49, v30
	v_mul_f32_e32 v50, v37, v37
	v_mov_b32_e32 v31, 0x3ecc95a3
	v_sub_f32_e32 v49, v37, v49
	v_fmac_f32_e32 v31, 0x3e9b6dac, v50
	v_sub_f32_e32 v30, v30, v49
	v_fmaak_f32 v31, v50, v31, 0x3f2aaada
	v_ldexp_f32 v64, v30, 1
	v_mul_f32_e32 v49, v37, v50
	v_mov_b32_e32 v30, 0x3f317218
	v_pk_mul_f32 v[30:31], v[48:49], v[30:31]
	v_ldexp_f32 v51, v37, 1
	v_fma_f32 v37, v48, s16, -v30
	v_fmamk_f32 v50, v48, 0xb102e308, v37
	v_pk_add_f32 v[48:49], v[30:31], v[50:51]
	s_mov_b32 s16, 0x33800000
	v_sub_f32_e32 v37, v49, v51
	v_sub_f32_e32 v37, v31, v37
	v_add_f32_e32 v65, v64, v37
	v_mov_b32_e32 v64, v30
	v_pk_add_f32 v[30:31], v[48:49], v[30:31] neg_lo:[0,1] neg_hi:[0,1]
	v_pk_add_f32 v[66:67], v[48:49], v[64:65]
	v_mov_b32_e32 v51, v48
	v_mov_b32_e32 v31, v67
	v_pk_add_f32 v[68:69], v[50:51], v[30:31] neg_lo:[0,1] neg_hi:[0,1]
	v_pk_add_f32 v[30:31], v[50:51], v[30:31]
	v_mov_b32_e32 v64, v65
	v_mov_b32_e32 v50, v31
	v_pk_add_f32 v[70:71], v[50:51], v[48:49] neg_lo:[0,1] neg_hi:[0,1]
	v_mov_b32_e32 v30, v67
	v_mov_b32_e32 v37, v70
	v_pk_add_f32 v[80:81], v[66:67], v[36:37] neg_lo:[0,1] neg_hi:[0,1]
	v_mov_b32_e32 v66, v49
	v_mov_b32_e32 v67, v70
	;; [unrolled: 1-line block ×3, first 2 shown]
	v_pk_add_f32 v[30:31], v[30:31], v[66:67] neg_lo:[0,1] neg_hi:[0,1]
	v_mov_b32_e32 v65, v48
	v_pk_add_f32 v[30:31], v[64:65], v[30:31] neg_lo:[0,1] neg_hi:[0,1]
	v_mov_b32_e32 v80, v68
	v_pk_add_f32 v[48:49], v[80:81], v[30:31]
	v_cmp_lt_f32_e64 s[16:17], |v39|, s16
	v_mov_b32_e32 v64, v49
	v_pk_add_f32 v[64:65], v[48:49], v[64:65]
	s_or_b64 vcc, vcc, s[16:17]
	v_pk_add_f32 v[50:51], v[50:51], v[64:65]
	v_mov_b32_e32 v31, v64
	v_mov_b32_e32 v49, v50
	v_pk_add_f32 v[66:67], v[48:49], v[68:69] neg_lo:[0,1] neg_hi:[0,1]
	s_nop 0
	v_sub_f32_e32 v37, v48, v66
	v_pk_add_f32 v[30:31], v[30:31], v[66:67] neg_lo:[0,1] neg_hi:[0,1]
	v_sub_f32_e32 v37, v68, v37
	v_add_f32_e32 v30, v30, v37
	v_add_f32_e32 v30, v30, v31
	;; [unrolled: 1-line block ×3, first 2 shown]
	v_cndmask_b32_e32 v30, v30, v39, vcc
	v_add_f32_e32 v30, v38, v30
	v_cvt_f16_f32_e32 v31, v30
	v_cvt_f32_f16_e32 v37, v31
	v_mov_b32_e32 v30, v31
.LBB388_63:
	s_or_b64 exec, exec, s[14:15]
	v_cvt_f32_f16_sdwa v64, v26 dst_sel:DWORD dst_unused:UNUSED_PAD src0_sel:WORD_1
	v_max_f32_e32 v38, v37, v37
	v_cmp_u_f16_e32 vcc, v31, v31
	v_cmp_u_f16_sdwa s[14:15], v26, v26 src0_sel:WORD_1 src1_sel:WORD_1
	v_min_f32_e32 v39, v38, v64
	v_max_f32_e32 v38, v38, v64
	v_cndmask_b32_e32 v39, v39, v37, vcc
	v_cndmask_b32_e32 v38, v38, v37, vcc
	v_cndmask_b32_e64 v39, v39, v64, s[14:15]
	v_cndmask_b32_e64 v38, v38, v64, s[14:15]
	s_movk_i32 s18, 0x1f8
	v_cmp_neq_f32_e32 vcc, v39, v38
	v_cmp_class_f32_e64 s[16:17], v39, s18
	s_or_b64 s[20:21], vcc, s[16:17]
	s_and_saveexec_b64 s[16:17], s[20:21]
	s_cbranch_execz .LBB388_65
; %bb.64:
	v_sub_f32_e32 v30, v39, v38
	s_mov_b32 s19, 0x3fb8aa3b
	v_mul_f32_e32 v31, 0x3fb8aa3b, v30
	v_fma_f32 v37, v30, s19, -v31
	v_rndne_f32_e32 v39, v31
	v_fmamk_f32 v37, v30, 0x32a5705f, v37
	v_sub_f32_e32 v31, v31, v39
	v_add_f32_e32 v31, v31, v37
	v_exp_f32_e32 v31, v31
	v_cvt_i32_f32_e32 v37, v39
	s_mov_b32 s19, 0xc2ce8ed0
	v_cmp_ngt_f32_e32 vcc, s19, v30
	s_mov_b32 s19, 0x42b17218
	v_ldexp_f32 v31, v31, v37
	v_cndmask_b32_e32 v31, 0, v31, vcc
	v_mov_b32_e32 v37, 0x7f800000
	v_cmp_nlt_f32_e32 vcc, s19, v30
	s_mov_b32 s19, 0x3f2aaaab
	s_mov_b32 s20, 0x7f800000
	v_cndmask_b32_e32 v39, v37, v31, vcc
	v_add_f32_e32 v37, 1.0, v39
	v_add_f32_e32 v30, -1.0, v37
	v_sub_f32_e32 v31, v30, v37
	v_add_f32_e32 v31, 1.0, v31
	v_sub_f32_e32 v30, v39, v30
	v_add_f32_e32 v48, v30, v31
	v_frexp_mant_f32_e32 v49, v37
	v_cvt_f64_f32_e32 v[30:31], v37
	v_frexp_exp_i32_f64_e32 v30, v[30:31]
	v_cmp_gt_f32_e32 vcc, s19, v49
	s_mov_b32 s19, 0x3f317218
	s_nop 0
	v_subbrev_co_u32_e32 v65, vcc, 0, v30, vcc
	v_sub_u32_e32 v30, 0, v65
	v_ldexp_f32 v31, v37, v30
	v_add_f32_e32 v37, -1.0, v31
	v_add_f32_e32 v49, 1.0, v31
	v_ldexp_f32 v30, v48, v30
	v_add_f32_e32 v48, 1.0, v37
	v_add_f32_e32 v50, -1.0, v49
	v_sub_f32_e32 v48, v31, v48
	v_sub_f32_e32 v31, v31, v50
	v_add_f32_e32 v48, v30, v48
	v_add_f32_e32 v30, v30, v31
	;; [unrolled: 1-line block ×3, first 2 shown]
	v_rcp_f32_e32 v70, v68
	v_sub_f32_e32 v31, v49, v68
	v_add_f32_e32 v69, v30, v31
	v_add_f32_e32 v31, v37, v48
	v_sub_f32_e32 v30, v37, v31
	v_mul_f32_e32 v71, v31, v70
	v_add_f32_e32 v37, v48, v30
	v_mul_f32_e32 v48, v68, v71
	v_fma_f32 v50, v71, v68, -v48
	v_fmac_f32_e32 v50, v71, v69
	v_add_f32_e32 v30, v48, v50
	v_sub_f32_e32 v49, v31, v30
	v_pk_add_f32 v[66:67], v[30:31], v[48:49] neg_lo:[0,1] neg_hi:[0,1]
	v_mov_b32_e32 v51, v30
	v_pk_add_f32 v[30:31], v[66:67], v[50:51] neg_lo:[0,1] neg_hi:[0,1]
	v_cmp_eq_f32_e32 vcc, s20, v39
	v_add_f32_e32 v31, v37, v31
	v_add_f32_e32 v30, v30, v31
	;; [unrolled: 1-line block ×3, first 2 shown]
	v_mul_f32_e32 v37, v70, v31
	v_mul_f32_e32 v48, v68, v37
	v_fma_f32 v50, v37, v68, -v48
	v_fmac_f32_e32 v50, v37, v69
	v_sub_f32_e32 v49, v49, v31
	v_add_f32_e32 v68, v30, v49
	v_add_f32_e32 v30, v48, v50
	v_sub_f32_e32 v49, v31, v30
	v_pk_add_f32 v[66:67], v[30:31], v[48:49] neg_lo:[0,1] neg_hi:[0,1]
	v_mov_b32_e32 v51, v30
	v_pk_add_f32 v[30:31], v[66:67], v[50:51] neg_lo:[0,1] neg_hi:[0,1]
	v_cvt_f32_i32_e32 v48, v65
	v_add_f32_e32 v31, v68, v31
	v_add_f32_e32 v30, v30, v31
	;; [unrolled: 1-line block ×4, first 2 shown]
	v_sub_f32_e32 v31, v49, v71
	v_mul_f32_e32 v30, v70, v30
	v_sub_f32_e32 v31, v37, v31
	v_add_f32_e32 v30, v31, v30
	v_add_f32_e32 v37, v49, v30
	v_mul_f32_e32 v50, v37, v37
	v_mov_b32_e32 v31, 0x3ecc95a3
	v_sub_f32_e32 v49, v37, v49
	v_fmac_f32_e32 v31, 0x3e9b6dac, v50
	v_sub_f32_e32 v30, v30, v49
	v_fmaak_f32 v31, v50, v31, 0x3f2aaada
	v_ldexp_f32 v65, v30, 1
	v_mul_f32_e32 v49, v37, v50
	v_mov_b32_e32 v30, 0x3f317218
	v_pk_mul_f32 v[30:31], v[48:49], v[30:31]
	v_ldexp_f32 v51, v37, 1
	v_fma_f32 v37, v48, s19, -v30
	v_fmamk_f32 v50, v48, 0xb102e308, v37
	v_pk_add_f32 v[48:49], v[30:31], v[50:51]
	v_mov_b32_e32 v66, v30
	v_sub_f32_e32 v37, v49, v51
	v_sub_f32_e32 v37, v31, v37
	v_add_f32_e32 v67, v65, v37
	v_pk_add_f32 v[30:31], v[48:49], v[30:31] neg_lo:[0,1] neg_hi:[0,1]
	v_pk_add_f32 v[68:69], v[48:49], v[66:67]
	v_mov_b32_e32 v51, v48
	v_mov_b32_e32 v31, v69
	v_pk_add_f32 v[70:71], v[50:51], v[30:31] neg_lo:[0,1] neg_hi:[0,1]
	v_pk_add_f32 v[30:31], v[50:51], v[30:31]
	v_mov_b32_e32 v66, v67
	v_mov_b32_e32 v50, v31
	v_pk_add_f32 v[80:81], v[50:51], v[48:49] neg_lo:[0,1] neg_hi:[0,1]
	v_mov_b32_e32 v30, v69
	v_mov_b32_e32 v37, v80
	v_pk_add_f32 v[82:83], v[68:69], v[36:37] neg_lo:[0,1] neg_hi:[0,1]
	v_mov_b32_e32 v68, v49
	v_mov_b32_e32 v69, v80
	;; [unrolled: 1-line block ×3, first 2 shown]
	v_pk_add_f32 v[30:31], v[30:31], v[68:69] neg_lo:[0,1] neg_hi:[0,1]
	v_mov_b32_e32 v67, v48
	v_pk_add_f32 v[30:31], v[66:67], v[30:31] neg_lo:[0,1] neg_hi:[0,1]
	v_mov_b32_e32 v82, v70
	v_pk_add_f32 v[48:49], v[82:83], v[30:31]
	s_mov_b32 s19, 0x33800000
	v_mov_b32_e32 v66, v49
	v_pk_add_f32 v[66:67], v[48:49], v[66:67]
	v_cmp_lt_f32_e64 s[20:21], |v39|, s19
	v_pk_add_f32 v[50:51], v[50:51], v[66:67]
	v_mov_b32_e32 v31, v66
	v_mov_b32_e32 v49, v50
	v_pk_add_f32 v[68:69], v[48:49], v[70:71] neg_lo:[0,1] neg_hi:[0,1]
	s_or_b64 vcc, vcc, s[20:21]
	v_sub_f32_e32 v37, v48, v68
	v_pk_add_f32 v[30:31], v[30:31], v[68:69] neg_lo:[0,1] neg_hi:[0,1]
	v_sub_f32_e32 v37, v70, v37
	v_add_f32_e32 v30, v30, v37
	v_add_f32_e32 v30, v30, v31
	;; [unrolled: 1-line block ×3, first 2 shown]
	v_cndmask_b32_e32 v30, v30, v39, vcc
	v_add_f32_e32 v30, v38, v30
	v_cvt_f16_f32_e32 v31, v30
	v_cvt_f32_f16_e32 v37, v31
	v_mov_b32_e32 v30, v31
.LBB388_65:
	s_or_b64 exec, exec, s[16:17]
	v_cvt_f32_f16_e32 v65, v27
	v_max_f32_e32 v38, v37, v37
	v_cmp_u_f16_e32 vcc, v31, v31
	v_cmp_u_f16_e64 s[16:17], v27, v27
	v_min_f32_e32 v39, v38, v65
	v_max_f32_e32 v38, v38, v65
	v_cndmask_b32_e32 v39, v39, v37, vcc
	v_cndmask_b32_e32 v38, v38, v37, vcc
	v_cndmask_b32_e64 v39, v39, v65, s[16:17]
	v_cndmask_b32_e64 v38, v38, v65, s[16:17]
	v_cmp_neq_f32_e32 vcc, v39, v38
	v_cmp_class_f32_e64 s[18:19], v39, s18
	s_or_b64 s[20:21], vcc, s[18:19]
	s_and_saveexec_b64 s[18:19], s[20:21]
	s_cbranch_execz .LBB388_67
; %bb.66:
	v_sub_f32_e32 v30, v39, v38
	s_mov_b32 s20, 0x3fb8aa3b
	v_mul_f32_e32 v31, 0x3fb8aa3b, v30
	v_fma_f32 v37, v30, s20, -v31
	v_rndne_f32_e32 v39, v31
	v_fmamk_f32 v37, v30, 0x32a5705f, v37
	v_sub_f32_e32 v31, v31, v39
	v_add_f32_e32 v31, v31, v37
	v_exp_f32_e32 v31, v31
	v_cvt_i32_f32_e32 v37, v39
	s_mov_b32 s20, 0xc2ce8ed0
	v_cmp_ngt_f32_e32 vcc, s20, v30
	s_mov_b32 s20, 0x42b17218
	v_ldexp_f32 v31, v31, v37
	v_cndmask_b32_e32 v31, 0, v31, vcc
	v_mov_b32_e32 v37, 0x7f800000
	v_cmp_nlt_f32_e32 vcc, s20, v30
	s_mov_b32 s20, 0x3f2aaaab
	s_mov_b32 s21, 0x7f800000
	v_cndmask_b32_e32 v39, v37, v31, vcc
	v_add_f32_e32 v37, 1.0, v39
	v_add_f32_e32 v30, -1.0, v37
	v_sub_f32_e32 v31, v30, v37
	v_add_f32_e32 v31, 1.0, v31
	v_sub_f32_e32 v30, v39, v30
	v_add_f32_e32 v48, v30, v31
	v_frexp_mant_f32_e32 v49, v37
	v_cvt_f64_f32_e32 v[30:31], v37
	v_frexp_exp_i32_f64_e32 v30, v[30:31]
	v_cmp_gt_f32_e32 vcc, s20, v49
	s_mov_b32 s20, 0x3f317218
	s_nop 0
	v_subbrev_co_u32_e32 v68, vcc, 0, v30, vcc
	v_sub_u32_e32 v30, 0, v68
	v_ldexp_f32 v31, v37, v30
	v_add_f32_e32 v37, -1.0, v31
	v_add_f32_e32 v49, 1.0, v31
	v_ldexp_f32 v30, v48, v30
	v_add_f32_e32 v48, 1.0, v37
	v_add_f32_e32 v50, -1.0, v49
	v_sub_f32_e32 v48, v31, v48
	v_sub_f32_e32 v31, v31, v50
	v_add_f32_e32 v48, v30, v48
	v_add_f32_e32 v30, v30, v31
	;; [unrolled: 1-line block ×3, first 2 shown]
	v_rcp_f32_e32 v71, v69
	v_sub_f32_e32 v31, v49, v69
	v_add_f32_e32 v70, v30, v31
	v_add_f32_e32 v31, v37, v48
	v_sub_f32_e32 v30, v37, v31
	v_mul_f32_e32 v80, v31, v71
	v_add_f32_e32 v37, v48, v30
	v_mul_f32_e32 v48, v69, v80
	v_fma_f32 v50, v80, v69, -v48
	v_fmac_f32_e32 v50, v80, v70
	v_add_f32_e32 v30, v48, v50
	v_sub_f32_e32 v49, v31, v30
	v_pk_add_f32 v[66:67], v[30:31], v[48:49] neg_lo:[0,1] neg_hi:[0,1]
	v_mov_b32_e32 v51, v30
	v_pk_add_f32 v[30:31], v[66:67], v[50:51] neg_lo:[0,1] neg_hi:[0,1]
	v_cmp_eq_f32_e32 vcc, s21, v39
	v_add_f32_e32 v31, v37, v31
	v_add_f32_e32 v30, v30, v31
	v_add_f32_e32 v31, v49, v30
	v_mul_f32_e32 v37, v71, v31
	v_mul_f32_e32 v48, v69, v37
	v_fma_f32 v50, v37, v69, -v48
	v_fmac_f32_e32 v50, v37, v70
	v_sub_f32_e32 v49, v49, v31
	v_add_f32_e32 v69, v30, v49
	v_add_f32_e32 v30, v48, v50
	v_sub_f32_e32 v49, v31, v30
	v_pk_add_f32 v[66:67], v[30:31], v[48:49] neg_lo:[0,1] neg_hi:[0,1]
	v_mov_b32_e32 v51, v30
	v_pk_add_f32 v[30:31], v[66:67], v[50:51] neg_lo:[0,1] neg_hi:[0,1]
	v_cvt_f32_i32_e32 v48, v68
	v_add_f32_e32 v31, v69, v31
	v_add_f32_e32 v30, v30, v31
	;; [unrolled: 1-line block ×4, first 2 shown]
	v_sub_f32_e32 v31, v49, v80
	v_mul_f32_e32 v30, v71, v30
	v_sub_f32_e32 v31, v37, v31
	v_add_f32_e32 v30, v31, v30
	v_add_f32_e32 v37, v49, v30
	v_mul_f32_e32 v50, v37, v37
	v_mov_b32_e32 v31, 0x3ecc95a3
	v_sub_f32_e32 v49, v37, v49
	v_fmac_f32_e32 v31, 0x3e9b6dac, v50
	v_sub_f32_e32 v30, v30, v49
	v_fmaak_f32 v31, v50, v31, 0x3f2aaada
	v_ldexp_f32 v66, v30, 1
	v_mul_f32_e32 v49, v37, v50
	v_mov_b32_e32 v30, 0x3f317218
	v_pk_mul_f32 v[30:31], v[48:49], v[30:31]
	v_ldexp_f32 v51, v37, 1
	v_fma_f32 v37, v48, s20, -v30
	v_fmamk_f32 v50, v48, 0xb102e308, v37
	v_pk_add_f32 v[48:49], v[30:31], v[50:51]
	s_mov_b32 s20, 0x33800000
	v_sub_f32_e32 v37, v49, v51
	v_sub_f32_e32 v37, v31, v37
	v_add_f32_e32 v67, v66, v37
	v_mov_b32_e32 v66, v30
	v_pk_add_f32 v[30:31], v[48:49], v[30:31] neg_lo:[0,1] neg_hi:[0,1]
	v_pk_add_f32 v[68:69], v[48:49], v[66:67]
	v_mov_b32_e32 v51, v48
	v_mov_b32_e32 v31, v69
	v_pk_add_f32 v[70:71], v[50:51], v[30:31] neg_lo:[0,1] neg_hi:[0,1]
	v_pk_add_f32 v[30:31], v[50:51], v[30:31]
	v_mov_b32_e32 v66, v67
	v_mov_b32_e32 v50, v31
	v_pk_add_f32 v[80:81], v[50:51], v[48:49] neg_lo:[0,1] neg_hi:[0,1]
	v_mov_b32_e32 v30, v69
	v_mov_b32_e32 v37, v80
	v_pk_add_f32 v[82:83], v[68:69], v[36:37] neg_lo:[0,1] neg_hi:[0,1]
	v_mov_b32_e32 v68, v49
	v_mov_b32_e32 v69, v80
	v_mov_b32_e32 v71, v31
	v_pk_add_f32 v[30:31], v[30:31], v[68:69] neg_lo:[0,1] neg_hi:[0,1]
	v_mov_b32_e32 v67, v48
	v_pk_add_f32 v[30:31], v[66:67], v[30:31] neg_lo:[0,1] neg_hi:[0,1]
	v_mov_b32_e32 v82, v70
	v_pk_add_f32 v[48:49], v[82:83], v[30:31]
	v_cmp_lt_f32_e64 s[20:21], |v39|, s20
	v_mov_b32_e32 v66, v49
	v_pk_add_f32 v[66:67], v[48:49], v[66:67]
	s_or_b64 vcc, vcc, s[20:21]
	v_pk_add_f32 v[50:51], v[50:51], v[66:67]
	v_mov_b32_e32 v31, v66
	v_mov_b32_e32 v49, v50
	v_pk_add_f32 v[68:69], v[48:49], v[70:71] neg_lo:[0,1] neg_hi:[0,1]
	s_nop 0
	v_sub_f32_e32 v37, v48, v68
	v_pk_add_f32 v[30:31], v[30:31], v[68:69] neg_lo:[0,1] neg_hi:[0,1]
	v_sub_f32_e32 v37, v70, v37
	v_add_f32_e32 v30, v30, v37
	v_add_f32_e32 v30, v30, v31
	;; [unrolled: 1-line block ×3, first 2 shown]
	v_cndmask_b32_e32 v30, v30, v39, vcc
	v_add_f32_e32 v30, v38, v30
	v_cvt_f16_f32_e32 v31, v30
	v_cvt_f32_f16_e32 v37, v31
	v_mov_b32_e32 v30, v31
.LBB388_67:
	s_or_b64 exec, exec, s[18:19]
	v_cvt_f32_f16_sdwa v66, v27 dst_sel:DWORD dst_unused:UNUSED_PAD src0_sel:WORD_1
	v_max_f32_e32 v38, v37, v37
	v_cmp_u_f16_e32 vcc, v31, v31
	v_cmp_u_f16_sdwa s[18:19], v27, v27 src0_sel:WORD_1 src1_sel:WORD_1
	v_min_f32_e32 v39, v38, v66
	v_max_f32_e32 v38, v38, v66
	v_cndmask_b32_e32 v39, v39, v37, vcc
	v_cndmask_b32_e32 v38, v38, v37, vcc
	v_cndmask_b32_e64 v39, v39, v66, s[18:19]
	v_cndmask_b32_e64 v38, v38, v66, s[18:19]
	s_movk_i32 s22, 0x1f8
	v_cmp_neq_f32_e32 vcc, v39, v38
	v_cmp_class_f32_e64 s[20:21], v39, s22
	s_or_b64 s[24:25], vcc, s[20:21]
	s_and_saveexec_b64 s[20:21], s[24:25]
	s_cbranch_execz .LBB388_69
; %bb.68:
	v_sub_f32_e32 v30, v39, v38
	s_mov_b32 s23, 0x3fb8aa3b
	v_mul_f32_e32 v31, 0x3fb8aa3b, v30
	v_fma_f32 v37, v30, s23, -v31
	v_rndne_f32_e32 v39, v31
	v_fmamk_f32 v37, v30, 0x32a5705f, v37
	v_sub_f32_e32 v31, v31, v39
	v_add_f32_e32 v31, v31, v37
	v_exp_f32_e32 v31, v31
	v_cvt_i32_f32_e32 v37, v39
	s_mov_b32 s23, 0xc2ce8ed0
	v_cmp_ngt_f32_e32 vcc, s23, v30
	s_mov_b32 s23, 0x42b17218
	v_ldexp_f32 v31, v31, v37
	v_cndmask_b32_e32 v31, 0, v31, vcc
	v_mov_b32_e32 v37, 0x7f800000
	v_cmp_nlt_f32_e32 vcc, s23, v30
	s_mov_b32 s23, 0x3f2aaaab
	s_mov_b32 s24, 0x7f800000
	v_cndmask_b32_e32 v39, v37, v31, vcc
	v_add_f32_e32 v37, 1.0, v39
	v_add_f32_e32 v30, -1.0, v37
	v_sub_f32_e32 v31, v30, v37
	v_add_f32_e32 v31, 1.0, v31
	v_sub_f32_e32 v30, v39, v30
	v_add_f32_e32 v48, v30, v31
	v_frexp_mant_f32_e32 v49, v37
	v_cvt_f64_f32_e32 v[30:31], v37
	v_frexp_exp_i32_f64_e32 v30, v[30:31]
	v_cmp_gt_f32_e32 vcc, s23, v49
	s_mov_b32 s23, 0x3f317218
	s_nop 0
	v_subbrev_co_u32_e32 v67, vcc, 0, v30, vcc
	v_sub_u32_e32 v30, 0, v67
	v_ldexp_f32 v31, v37, v30
	v_add_f32_e32 v37, -1.0, v31
	v_add_f32_e32 v49, 1.0, v31
	v_ldexp_f32 v30, v48, v30
	v_add_f32_e32 v48, 1.0, v37
	v_add_f32_e32 v50, -1.0, v49
	v_sub_f32_e32 v48, v31, v48
	v_sub_f32_e32 v31, v31, v50
	v_add_f32_e32 v48, v30, v48
	v_add_f32_e32 v30, v30, v31
	;; [unrolled: 1-line block ×3, first 2 shown]
	v_rcp_f32_e32 v80, v70
	v_sub_f32_e32 v31, v49, v70
	v_add_f32_e32 v71, v30, v31
	v_add_f32_e32 v31, v37, v48
	v_sub_f32_e32 v30, v37, v31
	v_mul_f32_e32 v81, v31, v80
	v_add_f32_e32 v37, v48, v30
	v_mul_f32_e32 v48, v70, v81
	v_fma_f32 v50, v81, v70, -v48
	v_fmac_f32_e32 v50, v81, v71
	v_add_f32_e32 v30, v48, v50
	v_sub_f32_e32 v49, v31, v30
	v_pk_add_f32 v[68:69], v[30:31], v[48:49] neg_lo:[0,1] neg_hi:[0,1]
	v_mov_b32_e32 v51, v30
	v_pk_add_f32 v[30:31], v[68:69], v[50:51] neg_lo:[0,1] neg_hi:[0,1]
	v_cmp_eq_f32_e32 vcc, s24, v39
	v_add_f32_e32 v31, v37, v31
	v_add_f32_e32 v30, v30, v31
	;; [unrolled: 1-line block ×3, first 2 shown]
	v_mul_f32_e32 v37, v80, v31
	v_mul_f32_e32 v48, v70, v37
	v_fma_f32 v50, v37, v70, -v48
	v_fmac_f32_e32 v50, v37, v71
	v_sub_f32_e32 v49, v49, v31
	v_add_f32_e32 v70, v30, v49
	v_add_f32_e32 v30, v48, v50
	v_sub_f32_e32 v49, v31, v30
	v_pk_add_f32 v[68:69], v[30:31], v[48:49] neg_lo:[0,1] neg_hi:[0,1]
	v_mov_b32_e32 v51, v30
	v_pk_add_f32 v[30:31], v[68:69], v[50:51] neg_lo:[0,1] neg_hi:[0,1]
	v_cvt_f32_i32_e32 v48, v67
	v_add_f32_e32 v31, v70, v31
	v_add_f32_e32 v30, v30, v31
	;; [unrolled: 1-line block ×4, first 2 shown]
	v_sub_f32_e32 v31, v49, v81
	v_mul_f32_e32 v30, v80, v30
	v_sub_f32_e32 v31, v37, v31
	v_add_f32_e32 v30, v31, v30
	v_add_f32_e32 v37, v49, v30
	v_mul_f32_e32 v50, v37, v37
	v_mov_b32_e32 v31, 0x3ecc95a3
	v_sub_f32_e32 v49, v37, v49
	v_fmac_f32_e32 v31, 0x3e9b6dac, v50
	v_sub_f32_e32 v30, v30, v49
	v_fmaak_f32 v31, v50, v31, 0x3f2aaada
	v_ldexp_f32 v67, v30, 1
	v_mul_f32_e32 v49, v37, v50
	v_mov_b32_e32 v30, 0x3f317218
	v_pk_mul_f32 v[30:31], v[48:49], v[30:31]
	v_ldexp_f32 v51, v37, 1
	v_fma_f32 v37, v48, s23, -v30
	v_fmamk_f32 v50, v48, 0xb102e308, v37
	v_pk_add_f32 v[48:49], v[30:31], v[50:51]
	v_mov_b32_e32 v68, v30
	v_sub_f32_e32 v37, v49, v51
	v_sub_f32_e32 v37, v31, v37
	v_add_f32_e32 v69, v67, v37
	v_pk_add_f32 v[30:31], v[48:49], v[30:31] neg_lo:[0,1] neg_hi:[0,1]
	v_pk_add_f32 v[70:71], v[48:49], v[68:69]
	v_mov_b32_e32 v51, v48
	v_mov_b32_e32 v31, v71
	v_pk_add_f32 v[80:81], v[50:51], v[30:31] neg_lo:[0,1] neg_hi:[0,1]
	v_pk_add_f32 v[30:31], v[50:51], v[30:31]
	v_mov_b32_e32 v68, v69
	v_mov_b32_e32 v50, v31
	v_pk_add_f32 v[82:83], v[50:51], v[48:49] neg_lo:[0,1] neg_hi:[0,1]
	v_mov_b32_e32 v30, v71
	v_mov_b32_e32 v37, v82
	v_pk_add_f32 v[84:85], v[70:71], v[36:37] neg_lo:[0,1] neg_hi:[0,1]
	v_mov_b32_e32 v70, v49
	v_mov_b32_e32 v71, v82
	;; [unrolled: 1-line block ×3, first 2 shown]
	v_pk_add_f32 v[30:31], v[30:31], v[70:71] neg_lo:[0,1] neg_hi:[0,1]
	v_mov_b32_e32 v69, v48
	v_pk_add_f32 v[30:31], v[68:69], v[30:31] neg_lo:[0,1] neg_hi:[0,1]
	v_mov_b32_e32 v84, v80
	v_pk_add_f32 v[48:49], v[84:85], v[30:31]
	s_mov_b32 s23, 0x33800000
	v_mov_b32_e32 v68, v49
	v_pk_add_f32 v[68:69], v[48:49], v[68:69]
	v_cmp_lt_f32_e64 s[24:25], |v39|, s23
	v_pk_add_f32 v[50:51], v[50:51], v[68:69]
	v_mov_b32_e32 v31, v68
	v_mov_b32_e32 v49, v50
	v_pk_add_f32 v[70:71], v[48:49], v[80:81] neg_lo:[0,1] neg_hi:[0,1]
	s_or_b64 vcc, vcc, s[24:25]
	v_sub_f32_e32 v37, v48, v70
	v_pk_add_f32 v[30:31], v[30:31], v[70:71] neg_lo:[0,1] neg_hi:[0,1]
	v_sub_f32_e32 v37, v80, v37
	v_add_f32_e32 v30, v30, v37
	v_add_f32_e32 v30, v30, v31
	;; [unrolled: 1-line block ×3, first 2 shown]
	v_cndmask_b32_e32 v30, v30, v39, vcc
	v_add_f32_e32 v30, v38, v30
	v_cvt_f16_f32_e32 v31, v30
	v_cvt_f32_f16_e32 v37, v31
	v_mov_b32_e32 v30, v31
.LBB388_69:
	s_or_b64 exec, exec, s[20:21]
	v_cvt_f32_f16_e32 v67, v20
	v_max_f32_e32 v38, v37, v37
	v_cmp_u_f16_e32 vcc, v31, v31
	v_cmp_u_f16_e64 s[20:21], v20, v20
	v_min_f32_e32 v39, v38, v67
	v_max_f32_e32 v38, v38, v67
	v_cndmask_b32_e32 v39, v39, v37, vcc
	v_cndmask_b32_e32 v38, v38, v37, vcc
	v_cndmask_b32_e64 v39, v39, v67, s[20:21]
	v_cndmask_b32_e64 v38, v38, v67, s[20:21]
	v_cmp_neq_f32_e32 vcc, v39, v38
	v_cmp_class_f32_e64 s[22:23], v39, s22
	s_or_b64 s[24:25], vcc, s[22:23]
	s_and_saveexec_b64 s[22:23], s[24:25]
	s_cbranch_execz .LBB388_71
; %bb.70:
	v_sub_f32_e32 v30, v39, v38
	s_mov_b32 s24, 0x3fb8aa3b
	v_mul_f32_e32 v31, 0x3fb8aa3b, v30
	v_fma_f32 v37, v30, s24, -v31
	v_rndne_f32_e32 v39, v31
	v_fmamk_f32 v37, v30, 0x32a5705f, v37
	v_sub_f32_e32 v31, v31, v39
	v_add_f32_e32 v31, v31, v37
	v_exp_f32_e32 v31, v31
	v_cvt_i32_f32_e32 v37, v39
	s_mov_b32 s24, 0xc2ce8ed0
	v_cmp_ngt_f32_e32 vcc, s24, v30
	s_mov_b32 s24, 0x42b17218
	v_ldexp_f32 v31, v31, v37
	v_cndmask_b32_e32 v31, 0, v31, vcc
	v_mov_b32_e32 v37, 0x7f800000
	v_cmp_nlt_f32_e32 vcc, s24, v30
	s_mov_b32 s24, 0x3f2aaaab
	s_mov_b32 s25, 0x7f800000
	v_cndmask_b32_e32 v39, v37, v31, vcc
	v_add_f32_e32 v37, 1.0, v39
	v_add_f32_e32 v30, -1.0, v37
	v_sub_f32_e32 v31, v30, v37
	v_add_f32_e32 v31, 1.0, v31
	v_sub_f32_e32 v30, v39, v30
	v_add_f32_e32 v48, v30, v31
	v_frexp_mant_f32_e32 v49, v37
	v_cvt_f64_f32_e32 v[30:31], v37
	v_frexp_exp_i32_f64_e32 v30, v[30:31]
	v_cmp_gt_f32_e32 vcc, s24, v49
	s_mov_b32 s24, 0x3f317218
	s_nop 0
	v_subbrev_co_u32_e32 v70, vcc, 0, v30, vcc
	v_sub_u32_e32 v30, 0, v70
	v_ldexp_f32 v31, v37, v30
	v_add_f32_e32 v37, -1.0, v31
	v_add_f32_e32 v49, 1.0, v31
	v_ldexp_f32 v30, v48, v30
	v_add_f32_e32 v48, 1.0, v37
	v_add_f32_e32 v50, -1.0, v49
	v_sub_f32_e32 v48, v31, v48
	v_sub_f32_e32 v31, v31, v50
	v_add_f32_e32 v48, v30, v48
	v_add_f32_e32 v30, v30, v31
	;; [unrolled: 1-line block ×3, first 2 shown]
	v_rcp_f32_e32 v81, v71
	v_sub_f32_e32 v31, v49, v71
	v_add_f32_e32 v80, v30, v31
	v_add_f32_e32 v31, v37, v48
	v_sub_f32_e32 v30, v37, v31
	v_mul_f32_e32 v82, v31, v81
	v_add_f32_e32 v37, v48, v30
	v_mul_f32_e32 v48, v71, v82
	v_fma_f32 v50, v82, v71, -v48
	v_fmac_f32_e32 v50, v82, v80
	v_add_f32_e32 v30, v48, v50
	v_sub_f32_e32 v49, v31, v30
	v_pk_add_f32 v[68:69], v[30:31], v[48:49] neg_lo:[0,1] neg_hi:[0,1]
	v_mov_b32_e32 v51, v30
	v_pk_add_f32 v[30:31], v[68:69], v[50:51] neg_lo:[0,1] neg_hi:[0,1]
	v_cmp_eq_f32_e32 vcc, s25, v39
	v_add_f32_e32 v31, v37, v31
	v_add_f32_e32 v30, v30, v31
	;; [unrolled: 1-line block ×3, first 2 shown]
	v_mul_f32_e32 v37, v81, v31
	v_mul_f32_e32 v48, v71, v37
	v_fma_f32 v50, v37, v71, -v48
	v_fmac_f32_e32 v50, v37, v80
	v_sub_f32_e32 v49, v49, v31
	v_add_f32_e32 v71, v30, v49
	v_add_f32_e32 v30, v48, v50
	v_sub_f32_e32 v49, v31, v30
	v_pk_add_f32 v[68:69], v[30:31], v[48:49] neg_lo:[0,1] neg_hi:[0,1]
	v_mov_b32_e32 v51, v30
	v_pk_add_f32 v[30:31], v[68:69], v[50:51] neg_lo:[0,1] neg_hi:[0,1]
	v_cvt_f32_i32_e32 v48, v70
	v_add_f32_e32 v31, v71, v31
	v_add_f32_e32 v30, v30, v31
	;; [unrolled: 1-line block ×4, first 2 shown]
	v_sub_f32_e32 v31, v49, v82
	v_mul_f32_e32 v30, v81, v30
	v_sub_f32_e32 v31, v37, v31
	v_add_f32_e32 v30, v31, v30
	v_add_f32_e32 v37, v49, v30
	v_mul_f32_e32 v50, v37, v37
	v_mov_b32_e32 v31, 0x3ecc95a3
	v_sub_f32_e32 v49, v37, v49
	v_fmac_f32_e32 v31, 0x3e9b6dac, v50
	v_sub_f32_e32 v30, v30, v49
	v_fmaak_f32 v31, v50, v31, 0x3f2aaada
	v_ldexp_f32 v68, v30, 1
	v_mul_f32_e32 v49, v37, v50
	v_mov_b32_e32 v30, 0x3f317218
	v_pk_mul_f32 v[30:31], v[48:49], v[30:31]
	v_ldexp_f32 v51, v37, 1
	v_fma_f32 v37, v48, s24, -v30
	v_fmamk_f32 v50, v48, 0xb102e308, v37
	v_pk_add_f32 v[48:49], v[30:31], v[50:51]
	s_mov_b32 s24, 0x33800000
	v_sub_f32_e32 v37, v49, v51
	v_sub_f32_e32 v37, v31, v37
	v_add_f32_e32 v69, v68, v37
	v_mov_b32_e32 v68, v30
	v_pk_add_f32 v[30:31], v[48:49], v[30:31] neg_lo:[0,1] neg_hi:[0,1]
	v_pk_add_f32 v[70:71], v[48:49], v[68:69]
	v_mov_b32_e32 v51, v48
	v_mov_b32_e32 v31, v71
	v_pk_add_f32 v[80:81], v[50:51], v[30:31] neg_lo:[0,1] neg_hi:[0,1]
	v_pk_add_f32 v[30:31], v[50:51], v[30:31]
	v_mov_b32_e32 v68, v69
	v_mov_b32_e32 v50, v31
	v_pk_add_f32 v[82:83], v[50:51], v[48:49] neg_lo:[0,1] neg_hi:[0,1]
	v_mov_b32_e32 v30, v71
	v_mov_b32_e32 v37, v82
	v_pk_add_f32 v[84:85], v[70:71], v[36:37] neg_lo:[0,1] neg_hi:[0,1]
	v_mov_b32_e32 v70, v49
	v_mov_b32_e32 v71, v82
	;; [unrolled: 1-line block ×3, first 2 shown]
	v_pk_add_f32 v[30:31], v[30:31], v[70:71] neg_lo:[0,1] neg_hi:[0,1]
	v_mov_b32_e32 v69, v48
	v_pk_add_f32 v[30:31], v[68:69], v[30:31] neg_lo:[0,1] neg_hi:[0,1]
	v_mov_b32_e32 v84, v80
	v_pk_add_f32 v[48:49], v[84:85], v[30:31]
	v_cmp_lt_f32_e64 s[24:25], |v39|, s24
	v_mov_b32_e32 v68, v49
	v_pk_add_f32 v[68:69], v[48:49], v[68:69]
	s_or_b64 vcc, vcc, s[24:25]
	v_pk_add_f32 v[50:51], v[50:51], v[68:69]
	v_mov_b32_e32 v31, v68
	v_mov_b32_e32 v49, v50
	v_pk_add_f32 v[70:71], v[48:49], v[80:81] neg_lo:[0,1] neg_hi:[0,1]
	s_nop 0
	v_sub_f32_e32 v37, v48, v70
	v_pk_add_f32 v[30:31], v[30:31], v[70:71] neg_lo:[0,1] neg_hi:[0,1]
	v_sub_f32_e32 v37, v80, v37
	v_add_f32_e32 v30, v30, v37
	v_add_f32_e32 v30, v30, v31
	;; [unrolled: 1-line block ×3, first 2 shown]
	v_cndmask_b32_e32 v30, v30, v39, vcc
	v_add_f32_e32 v30, v38, v30
	v_cvt_f16_f32_e32 v31, v30
	v_cvt_f32_f16_e32 v37, v31
	v_mov_b32_e32 v30, v31
.LBB388_71:
	s_or_b64 exec, exec, s[22:23]
	v_cvt_f32_f16_sdwa v68, v20 dst_sel:DWORD dst_unused:UNUSED_PAD src0_sel:WORD_1
	v_max_f32_e32 v38, v37, v37
	v_cmp_u_f16_e32 vcc, v31, v31
	v_cmp_u_f16_sdwa s[22:23], v20, v20 src0_sel:WORD_1 src1_sel:WORD_1
	v_min_f32_e32 v39, v38, v68
	v_max_f32_e32 v38, v38, v68
	v_cndmask_b32_e32 v39, v39, v37, vcc
	v_cndmask_b32_e32 v38, v38, v37, vcc
	v_cndmask_b32_e64 v39, v39, v68, s[22:23]
	v_cndmask_b32_e64 v38, v38, v68, s[22:23]
	s_movk_i32 s26, 0x1f8
	v_cmp_neq_f32_e32 vcc, v39, v38
	v_cmp_class_f32_e64 s[24:25], v39, s26
	s_or_b64 s[28:29], vcc, s[24:25]
	s_and_saveexec_b64 s[24:25], s[28:29]
	s_cbranch_execz .LBB388_73
; %bb.72:
	v_sub_f32_e32 v30, v39, v38
	s_mov_b32 s27, 0x3fb8aa3b
	v_mul_f32_e32 v31, 0x3fb8aa3b, v30
	v_fma_f32 v37, v30, s27, -v31
	v_rndne_f32_e32 v39, v31
	v_fmamk_f32 v37, v30, 0x32a5705f, v37
	v_sub_f32_e32 v31, v31, v39
	v_add_f32_e32 v31, v31, v37
	v_exp_f32_e32 v31, v31
	v_cvt_i32_f32_e32 v37, v39
	s_mov_b32 s27, 0xc2ce8ed0
	v_cmp_ngt_f32_e32 vcc, s27, v30
	s_mov_b32 s27, 0x42b17218
	v_ldexp_f32 v31, v31, v37
	v_cndmask_b32_e32 v31, 0, v31, vcc
	v_mov_b32_e32 v37, 0x7f800000
	v_cmp_nlt_f32_e32 vcc, s27, v30
	s_mov_b32 s27, 0x3f2aaaab
	s_mov_b32 s28, 0x7f800000
	v_cndmask_b32_e32 v39, v37, v31, vcc
	v_add_f32_e32 v37, 1.0, v39
	v_add_f32_e32 v30, -1.0, v37
	v_sub_f32_e32 v31, v30, v37
	v_add_f32_e32 v31, 1.0, v31
	v_sub_f32_e32 v30, v39, v30
	v_add_f32_e32 v48, v30, v31
	v_frexp_mant_f32_e32 v49, v37
	v_cvt_f64_f32_e32 v[30:31], v37
	v_frexp_exp_i32_f64_e32 v30, v[30:31]
	v_cmp_gt_f32_e32 vcc, s27, v49
	s_mov_b32 s27, 0x3f317218
	s_nop 0
	v_subbrev_co_u32_e32 v69, vcc, 0, v30, vcc
	v_sub_u32_e32 v30, 0, v69
	v_ldexp_f32 v31, v37, v30
	v_add_f32_e32 v37, -1.0, v31
	v_add_f32_e32 v49, 1.0, v31
	v_ldexp_f32 v30, v48, v30
	v_add_f32_e32 v48, 1.0, v37
	v_add_f32_e32 v50, -1.0, v49
	v_sub_f32_e32 v48, v31, v48
	v_sub_f32_e32 v31, v31, v50
	v_add_f32_e32 v48, v30, v48
	v_add_f32_e32 v30, v30, v31
	;; [unrolled: 1-line block ×3, first 2 shown]
	v_rcp_f32_e32 v82, v80
	v_sub_f32_e32 v31, v49, v80
	v_add_f32_e32 v81, v30, v31
	v_add_f32_e32 v31, v37, v48
	v_sub_f32_e32 v30, v37, v31
	v_mul_f32_e32 v83, v31, v82
	v_add_f32_e32 v37, v48, v30
	v_mul_f32_e32 v48, v80, v83
	v_fma_f32 v50, v83, v80, -v48
	v_fmac_f32_e32 v50, v83, v81
	v_add_f32_e32 v30, v48, v50
	v_sub_f32_e32 v49, v31, v30
	v_pk_add_f32 v[70:71], v[30:31], v[48:49] neg_lo:[0,1] neg_hi:[0,1]
	v_mov_b32_e32 v51, v30
	v_pk_add_f32 v[30:31], v[70:71], v[50:51] neg_lo:[0,1] neg_hi:[0,1]
	v_cmp_eq_f32_e32 vcc, s28, v39
	v_add_f32_e32 v31, v37, v31
	v_add_f32_e32 v30, v30, v31
	;; [unrolled: 1-line block ×3, first 2 shown]
	v_mul_f32_e32 v37, v82, v31
	v_mul_f32_e32 v48, v80, v37
	v_fma_f32 v50, v37, v80, -v48
	v_fmac_f32_e32 v50, v37, v81
	v_sub_f32_e32 v49, v49, v31
	v_add_f32_e32 v80, v30, v49
	v_add_f32_e32 v30, v48, v50
	v_sub_f32_e32 v49, v31, v30
	v_pk_add_f32 v[70:71], v[30:31], v[48:49] neg_lo:[0,1] neg_hi:[0,1]
	v_mov_b32_e32 v51, v30
	v_pk_add_f32 v[30:31], v[70:71], v[50:51] neg_lo:[0,1] neg_hi:[0,1]
	v_cvt_f32_i32_e32 v48, v69
	v_add_f32_e32 v31, v80, v31
	v_add_f32_e32 v30, v30, v31
	;; [unrolled: 1-line block ×4, first 2 shown]
	v_sub_f32_e32 v31, v49, v83
	v_mul_f32_e32 v30, v82, v30
	v_sub_f32_e32 v31, v37, v31
	v_add_f32_e32 v30, v31, v30
	v_add_f32_e32 v37, v49, v30
	v_mul_f32_e32 v50, v37, v37
	v_mov_b32_e32 v31, 0x3ecc95a3
	v_sub_f32_e32 v49, v37, v49
	v_fmac_f32_e32 v31, 0x3e9b6dac, v50
	v_sub_f32_e32 v30, v30, v49
	v_fmaak_f32 v31, v50, v31, 0x3f2aaada
	v_ldexp_f32 v69, v30, 1
	v_mul_f32_e32 v49, v37, v50
	v_mov_b32_e32 v30, 0x3f317218
	v_pk_mul_f32 v[30:31], v[48:49], v[30:31]
	v_ldexp_f32 v51, v37, 1
	v_fma_f32 v37, v48, s27, -v30
	v_fmamk_f32 v50, v48, 0xb102e308, v37
	v_pk_add_f32 v[48:49], v[30:31], v[50:51]
	v_mov_b32_e32 v70, v30
	v_sub_f32_e32 v37, v49, v51
	v_sub_f32_e32 v37, v31, v37
	v_add_f32_e32 v71, v69, v37
	v_pk_add_f32 v[30:31], v[48:49], v[30:31] neg_lo:[0,1] neg_hi:[0,1]
	v_pk_add_f32 v[80:81], v[48:49], v[70:71]
	v_mov_b32_e32 v51, v48
	v_mov_b32_e32 v31, v81
	v_pk_add_f32 v[82:83], v[50:51], v[30:31] neg_lo:[0,1] neg_hi:[0,1]
	v_pk_add_f32 v[30:31], v[50:51], v[30:31]
	v_mov_b32_e32 v70, v71
	v_mov_b32_e32 v50, v31
	v_pk_add_f32 v[84:85], v[50:51], v[48:49] neg_lo:[0,1] neg_hi:[0,1]
	v_mov_b32_e32 v30, v81
	v_mov_b32_e32 v37, v84
	v_pk_add_f32 v[86:87], v[80:81], v[36:37] neg_lo:[0,1] neg_hi:[0,1]
	v_mov_b32_e32 v80, v49
	v_mov_b32_e32 v81, v84
	;; [unrolled: 1-line block ×3, first 2 shown]
	v_pk_add_f32 v[30:31], v[30:31], v[80:81] neg_lo:[0,1] neg_hi:[0,1]
	v_mov_b32_e32 v71, v48
	v_pk_add_f32 v[30:31], v[70:71], v[30:31] neg_lo:[0,1] neg_hi:[0,1]
	v_mov_b32_e32 v86, v82
	v_pk_add_f32 v[48:49], v[86:87], v[30:31]
	s_mov_b32 s27, 0x33800000
	v_mov_b32_e32 v70, v49
	v_pk_add_f32 v[70:71], v[48:49], v[70:71]
	v_cmp_lt_f32_e64 s[28:29], |v39|, s27
	v_pk_add_f32 v[50:51], v[50:51], v[70:71]
	v_mov_b32_e32 v31, v70
	v_mov_b32_e32 v49, v50
	v_pk_add_f32 v[80:81], v[48:49], v[82:83] neg_lo:[0,1] neg_hi:[0,1]
	s_or_b64 vcc, vcc, s[28:29]
	v_sub_f32_e32 v37, v48, v80
	v_pk_add_f32 v[30:31], v[30:31], v[80:81] neg_lo:[0,1] neg_hi:[0,1]
	v_sub_f32_e32 v37, v82, v37
	v_add_f32_e32 v30, v30, v37
	v_add_f32_e32 v30, v30, v31
	;; [unrolled: 1-line block ×3, first 2 shown]
	v_cndmask_b32_e32 v30, v30, v39, vcc
	v_add_f32_e32 v30, v38, v30
	v_cvt_f16_f32_e32 v31, v30
	v_cvt_f32_f16_e32 v37, v31
	v_mov_b32_e32 v30, v31
.LBB388_73:
	s_or_b64 exec, exec, s[24:25]
	v_cvt_f32_f16_e32 v69, v21
	v_max_f32_e32 v38, v37, v37
	v_cmp_u_f16_e32 vcc, v31, v31
	v_cmp_u_f16_e64 s[24:25], v21, v21
	v_min_f32_e32 v39, v38, v69
	v_max_f32_e32 v38, v38, v69
	v_cndmask_b32_e32 v39, v39, v37, vcc
	v_cndmask_b32_e32 v38, v38, v37, vcc
	v_cndmask_b32_e64 v39, v39, v69, s[24:25]
	v_cndmask_b32_e64 v38, v38, v69, s[24:25]
	v_cmp_neq_f32_e32 vcc, v39, v38
	v_cmp_class_f32_e64 s[26:27], v39, s26
	s_or_b64 s[28:29], vcc, s[26:27]
	s_and_saveexec_b64 s[26:27], s[28:29]
	s_cbranch_execz .LBB388_75
; %bb.74:
	v_sub_f32_e32 v30, v39, v38
	s_mov_b32 s28, 0x3fb8aa3b
	v_mul_f32_e32 v31, 0x3fb8aa3b, v30
	v_fma_f32 v37, v30, s28, -v31
	v_rndne_f32_e32 v39, v31
	v_fmamk_f32 v37, v30, 0x32a5705f, v37
	v_sub_f32_e32 v31, v31, v39
	v_add_f32_e32 v31, v31, v37
	v_exp_f32_e32 v31, v31
	v_cvt_i32_f32_e32 v37, v39
	s_mov_b32 s28, 0xc2ce8ed0
	v_cmp_ngt_f32_e32 vcc, s28, v30
	s_mov_b32 s28, 0x42b17218
	v_ldexp_f32 v31, v31, v37
	v_cndmask_b32_e32 v31, 0, v31, vcc
	v_mov_b32_e32 v37, 0x7f800000
	v_cmp_nlt_f32_e32 vcc, s28, v30
	s_mov_b32 s28, 0x3f2aaaab
	s_mov_b32 s29, 0x7f800000
	v_cndmask_b32_e32 v39, v37, v31, vcc
	v_add_f32_e32 v37, 1.0, v39
	v_add_f32_e32 v30, -1.0, v37
	v_sub_f32_e32 v31, v30, v37
	v_add_f32_e32 v31, 1.0, v31
	v_sub_f32_e32 v30, v39, v30
	v_add_f32_e32 v48, v30, v31
	v_frexp_mant_f32_e32 v49, v37
	v_cvt_f64_f32_e32 v[30:31], v37
	v_frexp_exp_i32_f64_e32 v30, v[30:31]
	v_cmp_gt_f32_e32 vcc, s28, v49
	s_mov_b32 s28, 0x3f317218
	s_nop 0
	v_subbrev_co_u32_e32 v80, vcc, 0, v30, vcc
	v_sub_u32_e32 v30, 0, v80
	v_ldexp_f32 v31, v37, v30
	v_add_f32_e32 v37, -1.0, v31
	v_add_f32_e32 v49, 1.0, v31
	v_ldexp_f32 v30, v48, v30
	v_add_f32_e32 v48, 1.0, v37
	v_add_f32_e32 v50, -1.0, v49
	v_sub_f32_e32 v48, v31, v48
	v_sub_f32_e32 v31, v31, v50
	v_add_f32_e32 v48, v30, v48
	v_add_f32_e32 v30, v30, v31
	;; [unrolled: 1-line block ×3, first 2 shown]
	v_rcp_f32_e32 v83, v81
	v_sub_f32_e32 v31, v49, v81
	v_add_f32_e32 v82, v30, v31
	v_add_f32_e32 v31, v37, v48
	v_sub_f32_e32 v30, v37, v31
	v_mul_f32_e32 v84, v31, v83
	v_add_f32_e32 v37, v48, v30
	v_mul_f32_e32 v48, v81, v84
	v_fma_f32 v50, v84, v81, -v48
	v_fmac_f32_e32 v50, v84, v82
	v_add_f32_e32 v30, v48, v50
	v_sub_f32_e32 v49, v31, v30
	v_pk_add_f32 v[70:71], v[30:31], v[48:49] neg_lo:[0,1] neg_hi:[0,1]
	v_mov_b32_e32 v51, v30
	v_pk_add_f32 v[30:31], v[70:71], v[50:51] neg_lo:[0,1] neg_hi:[0,1]
	v_cmp_eq_f32_e32 vcc, s29, v39
	v_add_f32_e32 v31, v37, v31
	v_add_f32_e32 v30, v30, v31
	;; [unrolled: 1-line block ×3, first 2 shown]
	v_mul_f32_e32 v37, v83, v31
	v_mul_f32_e32 v48, v81, v37
	v_fma_f32 v50, v37, v81, -v48
	v_fmac_f32_e32 v50, v37, v82
	v_sub_f32_e32 v49, v49, v31
	v_add_f32_e32 v81, v30, v49
	v_add_f32_e32 v30, v48, v50
	v_sub_f32_e32 v49, v31, v30
	v_pk_add_f32 v[70:71], v[30:31], v[48:49] neg_lo:[0,1] neg_hi:[0,1]
	v_mov_b32_e32 v51, v30
	v_pk_add_f32 v[30:31], v[70:71], v[50:51] neg_lo:[0,1] neg_hi:[0,1]
	v_cvt_f32_i32_e32 v48, v80
	v_add_f32_e32 v31, v81, v31
	v_add_f32_e32 v30, v30, v31
	;; [unrolled: 1-line block ×4, first 2 shown]
	v_sub_f32_e32 v31, v49, v84
	v_mul_f32_e32 v30, v83, v30
	v_sub_f32_e32 v31, v37, v31
	v_add_f32_e32 v30, v31, v30
	v_add_f32_e32 v37, v49, v30
	v_mul_f32_e32 v50, v37, v37
	v_mov_b32_e32 v31, 0x3ecc95a3
	v_sub_f32_e32 v49, v37, v49
	v_fmac_f32_e32 v31, 0x3e9b6dac, v50
	v_sub_f32_e32 v30, v30, v49
	v_fmaak_f32 v31, v50, v31, 0x3f2aaada
	v_ldexp_f32 v70, v30, 1
	v_mul_f32_e32 v49, v37, v50
	v_mov_b32_e32 v30, 0x3f317218
	v_pk_mul_f32 v[30:31], v[48:49], v[30:31]
	v_ldexp_f32 v51, v37, 1
	v_fma_f32 v37, v48, s28, -v30
	v_fmamk_f32 v50, v48, 0xb102e308, v37
	v_pk_add_f32 v[48:49], v[30:31], v[50:51]
	s_mov_b32 s28, 0x33800000
	v_sub_f32_e32 v37, v49, v51
	v_sub_f32_e32 v37, v31, v37
	v_add_f32_e32 v71, v70, v37
	v_mov_b32_e32 v70, v30
	v_pk_add_f32 v[30:31], v[48:49], v[30:31] neg_lo:[0,1] neg_hi:[0,1]
	v_pk_add_f32 v[80:81], v[48:49], v[70:71]
	v_mov_b32_e32 v51, v48
	v_mov_b32_e32 v31, v81
	v_pk_add_f32 v[82:83], v[50:51], v[30:31] neg_lo:[0,1] neg_hi:[0,1]
	v_pk_add_f32 v[30:31], v[50:51], v[30:31]
	v_mov_b32_e32 v70, v71
	v_mov_b32_e32 v50, v31
	v_pk_add_f32 v[84:85], v[50:51], v[48:49] neg_lo:[0,1] neg_hi:[0,1]
	v_mov_b32_e32 v30, v81
	v_mov_b32_e32 v37, v84
	v_pk_add_f32 v[86:87], v[80:81], v[36:37] neg_lo:[0,1] neg_hi:[0,1]
	v_mov_b32_e32 v80, v49
	v_mov_b32_e32 v81, v84
	;; [unrolled: 1-line block ×3, first 2 shown]
	v_pk_add_f32 v[30:31], v[30:31], v[80:81] neg_lo:[0,1] neg_hi:[0,1]
	v_mov_b32_e32 v71, v48
	v_pk_add_f32 v[30:31], v[70:71], v[30:31] neg_lo:[0,1] neg_hi:[0,1]
	v_mov_b32_e32 v86, v82
	v_pk_add_f32 v[48:49], v[86:87], v[30:31]
	v_cmp_lt_f32_e64 s[28:29], |v39|, s28
	v_mov_b32_e32 v70, v49
	v_pk_add_f32 v[70:71], v[48:49], v[70:71]
	s_or_b64 vcc, vcc, s[28:29]
	v_pk_add_f32 v[50:51], v[50:51], v[70:71]
	v_mov_b32_e32 v31, v70
	v_mov_b32_e32 v49, v50
	v_pk_add_f32 v[80:81], v[48:49], v[82:83] neg_lo:[0,1] neg_hi:[0,1]
	s_nop 0
	v_sub_f32_e32 v37, v48, v80
	v_pk_add_f32 v[30:31], v[30:31], v[80:81] neg_lo:[0,1] neg_hi:[0,1]
	v_sub_f32_e32 v37, v82, v37
	v_add_f32_e32 v30, v30, v37
	v_add_f32_e32 v30, v30, v31
	;; [unrolled: 1-line block ×3, first 2 shown]
	v_cndmask_b32_e32 v30, v30, v39, vcc
	v_add_f32_e32 v30, v38, v30
	v_cvt_f16_f32_e32 v31, v30
	v_cvt_f32_f16_e32 v37, v31
	v_mov_b32_e32 v30, v31
.LBB388_75:
	s_or_b64 exec, exec, s[26:27]
	v_cvt_f32_f16_sdwa v70, v21 dst_sel:DWORD dst_unused:UNUSED_PAD src0_sel:WORD_1
	v_max_f32_e32 v38, v37, v37
	v_cmp_u_f16_e32 vcc, v31, v31
	v_cmp_u_f16_sdwa s[26:27], v21, v21 src0_sel:WORD_1 src1_sel:WORD_1
	v_min_f32_e32 v39, v38, v70
	v_max_f32_e32 v38, v38, v70
	v_cndmask_b32_e32 v39, v39, v37, vcc
	v_cndmask_b32_e32 v38, v38, v37, vcc
	v_cndmask_b32_e64 v39, v39, v70, s[26:27]
	v_cndmask_b32_e64 v38, v38, v70, s[26:27]
	s_movk_i32 s30, 0x1f8
	v_cmp_neq_f32_e32 vcc, v39, v38
	v_cmp_class_f32_e64 s[28:29], v39, s30
	s_or_b64 vcc, vcc, s[28:29]
	s_and_saveexec_b64 s[28:29], vcc
	s_cbranch_execz .LBB388_77
; %bb.76:
	v_sub_f32_e32 v30, v39, v38
	s_mov_b32 s31, 0x3fb8aa3b
	v_mul_f32_e32 v31, 0x3fb8aa3b, v30
	v_fma_f32 v37, v30, s31, -v31
	v_rndne_f32_e32 v39, v31
	v_fmamk_f32 v37, v30, 0x32a5705f, v37
	v_sub_f32_e32 v31, v31, v39
	v_add_f32_e32 v31, v31, v37
	v_exp_f32_e32 v31, v31
	v_cvt_i32_f32_e32 v37, v39
	s_mov_b32 s31, 0xc2ce8ed0
	v_cmp_ngt_f32_e32 vcc, s31, v30
	s_mov_b32 s31, 0x42b17218
	v_ldexp_f32 v31, v31, v37
	v_cndmask_b32_e32 v31, 0, v31, vcc
	v_mov_b32_e32 v37, 0x7f800000
	v_cmp_nlt_f32_e32 vcc, s31, v30
	s_mov_b32 s31, 0x3f2aaaab
	s_mov_b32 s34, 0x7f800000
	v_cndmask_b32_e32 v39, v37, v31, vcc
	v_add_f32_e32 v37, 1.0, v39
	v_add_f32_e32 v30, -1.0, v37
	v_sub_f32_e32 v31, v30, v37
	v_add_f32_e32 v31, 1.0, v31
	v_sub_f32_e32 v30, v39, v30
	v_add_f32_e32 v48, v30, v31
	v_frexp_mant_f32_e32 v49, v37
	v_cvt_f64_f32_e32 v[30:31], v37
	v_frexp_exp_i32_f64_e32 v30, v[30:31]
	v_cmp_gt_f32_e32 vcc, s31, v49
	s_mov_b32 s31, 0x3f317218
	s_nop 0
	v_subbrev_co_u32_e32 v71, vcc, 0, v30, vcc
	v_sub_u32_e32 v30, 0, v71
	v_ldexp_f32 v31, v37, v30
	v_add_f32_e32 v37, -1.0, v31
	v_add_f32_e32 v49, 1.0, v31
	v_ldexp_f32 v30, v48, v30
	v_add_f32_e32 v48, 1.0, v37
	v_add_f32_e32 v50, -1.0, v49
	v_sub_f32_e32 v48, v31, v48
	v_sub_f32_e32 v31, v31, v50
	v_add_f32_e32 v48, v30, v48
	v_add_f32_e32 v30, v30, v31
	;; [unrolled: 1-line block ×3, first 2 shown]
	v_rcp_f32_e32 v84, v82
	v_sub_f32_e32 v31, v49, v82
	v_add_f32_e32 v83, v30, v31
	v_add_f32_e32 v31, v37, v48
	v_sub_f32_e32 v30, v37, v31
	v_mul_f32_e32 v85, v31, v84
	v_add_f32_e32 v37, v48, v30
	v_mul_f32_e32 v48, v82, v85
	v_fma_f32 v50, v85, v82, -v48
	v_fmac_f32_e32 v50, v85, v83
	v_add_f32_e32 v30, v48, v50
	v_sub_f32_e32 v49, v31, v30
	v_pk_add_f32 v[80:81], v[30:31], v[48:49] neg_lo:[0,1] neg_hi:[0,1]
	v_mov_b32_e32 v51, v30
	v_pk_add_f32 v[30:31], v[80:81], v[50:51] neg_lo:[0,1] neg_hi:[0,1]
	v_cmp_eq_f32_e32 vcc, s34, v39
	v_add_f32_e32 v31, v37, v31
	v_add_f32_e32 v30, v30, v31
	;; [unrolled: 1-line block ×3, first 2 shown]
	v_mul_f32_e32 v37, v84, v31
	v_mul_f32_e32 v48, v82, v37
	v_fma_f32 v50, v37, v82, -v48
	v_fmac_f32_e32 v50, v37, v83
	v_sub_f32_e32 v49, v49, v31
	v_add_f32_e32 v82, v30, v49
	v_add_f32_e32 v30, v48, v50
	v_sub_f32_e32 v49, v31, v30
	v_pk_add_f32 v[80:81], v[30:31], v[48:49] neg_lo:[0,1] neg_hi:[0,1]
	v_mov_b32_e32 v51, v30
	v_pk_add_f32 v[30:31], v[80:81], v[50:51] neg_lo:[0,1] neg_hi:[0,1]
	v_cvt_f32_i32_e32 v48, v71
	v_add_f32_e32 v31, v82, v31
	v_add_f32_e32 v30, v30, v31
	;; [unrolled: 1-line block ×4, first 2 shown]
	v_sub_f32_e32 v31, v49, v85
	v_mul_f32_e32 v30, v84, v30
	v_sub_f32_e32 v31, v37, v31
	v_add_f32_e32 v30, v31, v30
	v_add_f32_e32 v37, v49, v30
	v_mul_f32_e32 v50, v37, v37
	v_mov_b32_e32 v31, 0x3ecc95a3
	v_sub_f32_e32 v49, v37, v49
	v_fmac_f32_e32 v31, 0x3e9b6dac, v50
	v_sub_f32_e32 v30, v30, v49
	v_fmaak_f32 v31, v50, v31, 0x3f2aaada
	v_ldexp_f32 v71, v30, 1
	v_mul_f32_e32 v49, v37, v50
	v_mov_b32_e32 v30, 0x3f317218
	v_pk_mul_f32 v[30:31], v[48:49], v[30:31]
	v_ldexp_f32 v51, v37, 1
	v_fma_f32 v37, v48, s31, -v30
	v_fmamk_f32 v50, v48, 0xb102e308, v37
	v_pk_add_f32 v[48:49], v[30:31], v[50:51]
	v_mov_b32_e32 v80, v30
	v_sub_f32_e32 v37, v49, v51
	v_sub_f32_e32 v37, v31, v37
	v_add_f32_e32 v81, v71, v37
	v_pk_add_f32 v[30:31], v[48:49], v[30:31] neg_lo:[0,1] neg_hi:[0,1]
	v_pk_add_f32 v[82:83], v[48:49], v[80:81]
	v_mov_b32_e32 v51, v48
	v_mov_b32_e32 v31, v83
	v_pk_add_f32 v[84:85], v[50:51], v[30:31] neg_lo:[0,1] neg_hi:[0,1]
	v_pk_add_f32 v[30:31], v[50:51], v[30:31]
	v_mov_b32_e32 v80, v81
	v_mov_b32_e32 v50, v31
	v_pk_add_f32 v[86:87], v[50:51], v[48:49] neg_lo:[0,1] neg_hi:[0,1]
	v_mov_b32_e32 v30, v83
	v_mov_b32_e32 v37, v86
	v_pk_add_f32 v[96:97], v[82:83], v[36:37] neg_lo:[0,1] neg_hi:[0,1]
	v_mov_b32_e32 v82, v49
	v_mov_b32_e32 v83, v86
	;; [unrolled: 1-line block ×3, first 2 shown]
	v_pk_add_f32 v[30:31], v[30:31], v[82:83] neg_lo:[0,1] neg_hi:[0,1]
	v_mov_b32_e32 v81, v48
	v_pk_add_f32 v[30:31], v[80:81], v[30:31] neg_lo:[0,1] neg_hi:[0,1]
	v_mov_b32_e32 v96, v84
	v_pk_add_f32 v[48:49], v[96:97], v[30:31]
	s_mov_b32 s31, 0x33800000
	v_mov_b32_e32 v80, v49
	v_pk_add_f32 v[80:81], v[48:49], v[80:81]
	v_cmp_lt_f32_e64 s[34:35], |v39|, s31
	v_pk_add_f32 v[50:51], v[50:51], v[80:81]
	v_mov_b32_e32 v31, v80
	v_mov_b32_e32 v49, v50
	v_pk_add_f32 v[82:83], v[48:49], v[84:85] neg_lo:[0,1] neg_hi:[0,1]
	s_or_b64 vcc, vcc, s[34:35]
	v_sub_f32_e32 v37, v48, v82
	v_pk_add_f32 v[30:31], v[30:31], v[82:83] neg_lo:[0,1] neg_hi:[0,1]
	v_sub_f32_e32 v37, v84, v37
	v_add_f32_e32 v30, v30, v37
	v_add_f32_e32 v30, v30, v31
	;; [unrolled: 1-line block ×3, first 2 shown]
	v_cndmask_b32_e32 v30, v30, v39, vcc
	v_add_f32_e32 v30, v38, v30
	v_cvt_f16_f32_e32 v31, v30
	v_cvt_f32_f16_e32 v37, v31
	v_mov_b32_e32 v30, v31
.LBB388_77:
	s_or_b64 exec, exec, s[28:29]
	v_cvt_f32_f16_e32 v71, v22
	v_max_f32_e32 v38, v37, v37
	v_cmp_u_f16_e32 vcc, v31, v31
	v_cmp_u_f16_e64 s[28:29], v22, v22
	v_min_f32_e32 v39, v38, v71
	v_max_f32_e32 v38, v38, v71
	v_cndmask_b32_e32 v39, v39, v37, vcc
	v_cndmask_b32_e32 v38, v38, v37, vcc
	v_cndmask_b32_e64 v39, v39, v71, s[28:29]
	v_cndmask_b32_e64 v38, v38, v71, s[28:29]
	v_cmp_neq_f32_e32 vcc, v39, v38
	v_cmp_class_f32_e64 s[30:31], v39, s30
	s_or_b64 vcc, vcc, s[30:31]
	s_and_saveexec_b64 s[30:31], vcc
	s_cbranch_execz .LBB388_79
; %bb.78:
	v_sub_f32_e32 v30, v39, v38
	s_mov_b32 s34, 0x3fb8aa3b
	v_mul_f32_e32 v31, 0x3fb8aa3b, v30
	v_fma_f32 v37, v30, s34, -v31
	v_rndne_f32_e32 v39, v31
	v_fmamk_f32 v37, v30, 0x32a5705f, v37
	v_sub_f32_e32 v31, v31, v39
	v_add_f32_e32 v31, v31, v37
	v_exp_f32_e32 v31, v31
	v_cvt_i32_f32_e32 v37, v39
	s_mov_b32 s34, 0xc2ce8ed0
	v_cmp_ngt_f32_e32 vcc, s34, v30
	s_mov_b32 s34, 0x42b17218
	v_ldexp_f32 v31, v31, v37
	v_cndmask_b32_e32 v31, 0, v31, vcc
	v_mov_b32_e32 v37, 0x7f800000
	v_cmp_nlt_f32_e32 vcc, s34, v30
	s_mov_b32 s34, 0x3f2aaaab
	s_mov_b32 s35, 0x7f800000
	v_cndmask_b32_e32 v39, v37, v31, vcc
	v_add_f32_e32 v37, 1.0, v39
	v_add_f32_e32 v30, -1.0, v37
	v_sub_f32_e32 v31, v30, v37
	v_add_f32_e32 v31, 1.0, v31
	v_sub_f32_e32 v30, v39, v30
	v_add_f32_e32 v48, v30, v31
	v_frexp_mant_f32_e32 v49, v37
	v_cvt_f64_f32_e32 v[30:31], v37
	v_frexp_exp_i32_f64_e32 v30, v[30:31]
	v_cmp_gt_f32_e32 vcc, s34, v49
	s_mov_b32 s34, 0x3f317218
	s_nop 0
	v_subbrev_co_u32_e32 v82, vcc, 0, v30, vcc
	v_sub_u32_e32 v30, 0, v82
	v_ldexp_f32 v31, v37, v30
	v_add_f32_e32 v37, -1.0, v31
	v_add_f32_e32 v49, 1.0, v31
	v_ldexp_f32 v30, v48, v30
	v_add_f32_e32 v48, 1.0, v37
	v_add_f32_e32 v50, -1.0, v49
	v_sub_f32_e32 v48, v31, v48
	v_sub_f32_e32 v31, v31, v50
	v_add_f32_e32 v48, v30, v48
	v_add_f32_e32 v30, v30, v31
	;; [unrolled: 1-line block ×3, first 2 shown]
	v_rcp_f32_e32 v85, v83
	v_sub_f32_e32 v31, v49, v83
	v_add_f32_e32 v84, v30, v31
	v_add_f32_e32 v31, v37, v48
	v_sub_f32_e32 v30, v37, v31
	v_mul_f32_e32 v86, v31, v85
	v_add_f32_e32 v37, v48, v30
	v_mul_f32_e32 v48, v83, v86
	v_fma_f32 v50, v86, v83, -v48
	v_fmac_f32_e32 v50, v86, v84
	v_add_f32_e32 v30, v48, v50
	v_sub_f32_e32 v49, v31, v30
	v_pk_add_f32 v[80:81], v[30:31], v[48:49] neg_lo:[0,1] neg_hi:[0,1]
	v_mov_b32_e32 v51, v30
	v_pk_add_f32 v[30:31], v[80:81], v[50:51] neg_lo:[0,1] neg_hi:[0,1]
	v_cmp_eq_f32_e32 vcc, s35, v39
	v_add_f32_e32 v31, v37, v31
	v_add_f32_e32 v30, v30, v31
	;; [unrolled: 1-line block ×3, first 2 shown]
	v_mul_f32_e32 v37, v85, v31
	v_mul_f32_e32 v48, v83, v37
	v_fma_f32 v50, v37, v83, -v48
	v_fmac_f32_e32 v50, v37, v84
	v_sub_f32_e32 v49, v49, v31
	v_add_f32_e32 v83, v30, v49
	v_add_f32_e32 v30, v48, v50
	v_sub_f32_e32 v49, v31, v30
	v_pk_add_f32 v[80:81], v[30:31], v[48:49] neg_lo:[0,1] neg_hi:[0,1]
	v_mov_b32_e32 v51, v30
	v_pk_add_f32 v[30:31], v[80:81], v[50:51] neg_lo:[0,1] neg_hi:[0,1]
	v_cvt_f32_i32_e32 v48, v82
	v_add_f32_e32 v31, v83, v31
	v_add_f32_e32 v30, v30, v31
	;; [unrolled: 1-line block ×4, first 2 shown]
	v_sub_f32_e32 v31, v49, v86
	v_mul_f32_e32 v30, v85, v30
	v_sub_f32_e32 v31, v37, v31
	v_add_f32_e32 v30, v31, v30
	v_add_f32_e32 v37, v49, v30
	v_mul_f32_e32 v50, v37, v37
	v_mov_b32_e32 v31, 0x3ecc95a3
	v_sub_f32_e32 v49, v37, v49
	v_fmac_f32_e32 v31, 0x3e9b6dac, v50
	v_sub_f32_e32 v30, v30, v49
	v_fmaak_f32 v31, v50, v31, 0x3f2aaada
	v_ldexp_f32 v80, v30, 1
	v_mul_f32_e32 v49, v37, v50
	v_mov_b32_e32 v30, 0x3f317218
	v_pk_mul_f32 v[30:31], v[48:49], v[30:31]
	v_ldexp_f32 v51, v37, 1
	v_fma_f32 v37, v48, s34, -v30
	v_fmamk_f32 v50, v48, 0xb102e308, v37
	v_pk_add_f32 v[48:49], v[30:31], v[50:51]
	s_mov_b32 s34, 0x33800000
	v_sub_f32_e32 v37, v49, v51
	v_sub_f32_e32 v37, v31, v37
	v_add_f32_e32 v81, v80, v37
	v_mov_b32_e32 v80, v30
	v_pk_add_f32 v[30:31], v[48:49], v[30:31] neg_lo:[0,1] neg_hi:[0,1]
	v_pk_add_f32 v[82:83], v[48:49], v[80:81]
	v_mov_b32_e32 v51, v48
	v_mov_b32_e32 v31, v83
	v_pk_add_f32 v[84:85], v[50:51], v[30:31] neg_lo:[0,1] neg_hi:[0,1]
	v_pk_add_f32 v[30:31], v[50:51], v[30:31]
	v_mov_b32_e32 v80, v81
	v_mov_b32_e32 v50, v31
	v_pk_add_f32 v[86:87], v[50:51], v[48:49] neg_lo:[0,1] neg_hi:[0,1]
	v_mov_b32_e32 v30, v83
	v_mov_b32_e32 v37, v86
	v_pk_add_f32 v[96:97], v[82:83], v[36:37] neg_lo:[0,1] neg_hi:[0,1]
	v_mov_b32_e32 v82, v49
	v_mov_b32_e32 v83, v86
	;; [unrolled: 1-line block ×3, first 2 shown]
	v_pk_add_f32 v[30:31], v[30:31], v[82:83] neg_lo:[0,1] neg_hi:[0,1]
	v_mov_b32_e32 v81, v48
	v_pk_add_f32 v[30:31], v[80:81], v[30:31] neg_lo:[0,1] neg_hi:[0,1]
	v_mov_b32_e32 v96, v84
	v_pk_add_f32 v[48:49], v[96:97], v[30:31]
	v_cmp_lt_f32_e64 s[34:35], |v39|, s34
	v_mov_b32_e32 v80, v49
	v_pk_add_f32 v[80:81], v[48:49], v[80:81]
	s_or_b64 vcc, vcc, s[34:35]
	v_pk_add_f32 v[50:51], v[50:51], v[80:81]
	v_mov_b32_e32 v31, v80
	v_mov_b32_e32 v49, v50
	v_pk_add_f32 v[82:83], v[48:49], v[84:85] neg_lo:[0,1] neg_hi:[0,1]
	s_nop 0
	v_sub_f32_e32 v37, v48, v82
	v_pk_add_f32 v[30:31], v[30:31], v[82:83] neg_lo:[0,1] neg_hi:[0,1]
	v_sub_f32_e32 v37, v84, v37
	v_add_f32_e32 v30, v30, v37
	v_add_f32_e32 v30, v30, v31
	;; [unrolled: 1-line block ×3, first 2 shown]
	v_cndmask_b32_e32 v30, v30, v39, vcc
	v_add_f32_e32 v30, v38, v30
	v_cvt_f16_f32_e32 v31, v30
	v_cvt_f32_f16_e32 v37, v31
	v_mov_b32_e32 v30, v31
.LBB388_79:
	s_or_b64 exec, exec, s[30:31]
	v_cvt_f32_f16_sdwa v80, v22 dst_sel:DWORD dst_unused:UNUSED_PAD src0_sel:WORD_1
	v_max_f32_e32 v38, v37, v37
	v_cmp_u_f16_e32 vcc, v31, v31
	v_cmp_u_f16_sdwa s[30:31], v22, v22 src0_sel:WORD_1 src1_sel:WORD_1
	v_min_f32_e32 v39, v38, v80
	v_max_f32_e32 v38, v38, v80
	v_cndmask_b32_e32 v39, v39, v37, vcc
	v_cndmask_b32_e32 v38, v38, v37, vcc
	v_cndmask_b32_e64 v39, v39, v80, s[30:31]
	v_cndmask_b32_e64 v38, v38, v80, s[30:31]
	s_movk_i32 s36, 0x1f8
	v_cmp_neq_f32_e32 vcc, v39, v38
	v_cmp_class_f32_e64 s[34:35], v39, s36
	s_or_b64 vcc, vcc, s[34:35]
	s_and_saveexec_b64 s[34:35], vcc
	s_cbranch_execz .LBB388_81
; %bb.80:
	v_sub_f32_e32 v30, v39, v38
	s_mov_b32 s37, 0x3fb8aa3b
	v_mul_f32_e32 v31, 0x3fb8aa3b, v30
	v_fma_f32 v37, v30, s37, -v31
	v_rndne_f32_e32 v39, v31
	v_fmamk_f32 v37, v30, 0x32a5705f, v37
	v_sub_f32_e32 v31, v31, v39
	v_add_f32_e32 v31, v31, v37
	v_exp_f32_e32 v31, v31
	v_cvt_i32_f32_e32 v37, v39
	s_mov_b32 s37, 0xc2ce8ed0
	v_cmp_ngt_f32_e32 vcc, s37, v30
	s_mov_b32 s37, 0x42b17218
	v_ldexp_f32 v31, v31, v37
	v_cndmask_b32_e32 v31, 0, v31, vcc
	v_mov_b32_e32 v37, 0x7f800000
	v_cmp_nlt_f32_e32 vcc, s37, v30
	s_mov_b32 s37, 0x3f2aaaab
	s_mov_b32 s38, 0x7f800000
	v_cndmask_b32_e32 v39, v37, v31, vcc
	v_add_f32_e32 v37, 1.0, v39
	v_add_f32_e32 v30, -1.0, v37
	v_sub_f32_e32 v31, v30, v37
	v_add_f32_e32 v31, 1.0, v31
	v_sub_f32_e32 v30, v39, v30
	v_add_f32_e32 v48, v30, v31
	v_frexp_mant_f32_e32 v49, v37
	v_cvt_f64_f32_e32 v[30:31], v37
	v_frexp_exp_i32_f64_e32 v30, v[30:31]
	v_cmp_gt_f32_e32 vcc, s37, v49
	s_mov_b32 s37, 0x3f317218
	s_nop 0
	v_subbrev_co_u32_e32 v81, vcc, 0, v30, vcc
	v_sub_u32_e32 v30, 0, v81
	v_ldexp_f32 v31, v37, v30
	v_add_f32_e32 v37, -1.0, v31
	v_add_f32_e32 v49, 1.0, v31
	v_ldexp_f32 v30, v48, v30
	v_add_f32_e32 v48, 1.0, v37
	v_add_f32_e32 v50, -1.0, v49
	v_sub_f32_e32 v48, v31, v48
	v_sub_f32_e32 v31, v31, v50
	v_add_f32_e32 v48, v30, v48
	v_add_f32_e32 v30, v30, v31
	;; [unrolled: 1-line block ×3, first 2 shown]
	v_rcp_f32_e32 v86, v84
	v_sub_f32_e32 v31, v49, v84
	v_add_f32_e32 v85, v30, v31
	v_add_f32_e32 v31, v37, v48
	v_sub_f32_e32 v30, v37, v31
	v_mul_f32_e32 v87, v31, v86
	v_add_f32_e32 v37, v48, v30
	v_mul_f32_e32 v48, v84, v87
	v_fma_f32 v50, v87, v84, -v48
	v_fmac_f32_e32 v50, v87, v85
	v_add_f32_e32 v30, v48, v50
	v_sub_f32_e32 v49, v31, v30
	v_pk_add_f32 v[82:83], v[30:31], v[48:49] neg_lo:[0,1] neg_hi:[0,1]
	v_mov_b32_e32 v51, v30
	v_pk_add_f32 v[30:31], v[82:83], v[50:51] neg_lo:[0,1] neg_hi:[0,1]
	v_cmp_eq_f32_e32 vcc, s38, v39
	v_add_f32_e32 v31, v37, v31
	v_add_f32_e32 v30, v30, v31
	;; [unrolled: 1-line block ×3, first 2 shown]
	v_mul_f32_e32 v37, v86, v31
	v_mul_f32_e32 v48, v84, v37
	v_fma_f32 v50, v37, v84, -v48
	v_fmac_f32_e32 v50, v37, v85
	v_sub_f32_e32 v49, v49, v31
	v_add_f32_e32 v84, v30, v49
	v_add_f32_e32 v30, v48, v50
	v_sub_f32_e32 v49, v31, v30
	v_pk_add_f32 v[82:83], v[30:31], v[48:49] neg_lo:[0,1] neg_hi:[0,1]
	v_mov_b32_e32 v51, v30
	v_pk_add_f32 v[30:31], v[82:83], v[50:51] neg_lo:[0,1] neg_hi:[0,1]
	v_cvt_f32_i32_e32 v48, v81
	v_add_f32_e32 v31, v84, v31
	v_add_f32_e32 v30, v30, v31
	;; [unrolled: 1-line block ×4, first 2 shown]
	v_sub_f32_e32 v31, v49, v87
	v_mul_f32_e32 v30, v86, v30
	v_sub_f32_e32 v31, v37, v31
	v_add_f32_e32 v30, v31, v30
	v_add_f32_e32 v37, v49, v30
	v_mul_f32_e32 v50, v37, v37
	v_mov_b32_e32 v31, 0x3ecc95a3
	v_sub_f32_e32 v49, v37, v49
	v_fmac_f32_e32 v31, 0x3e9b6dac, v50
	v_sub_f32_e32 v30, v30, v49
	v_fmaak_f32 v31, v50, v31, 0x3f2aaada
	v_ldexp_f32 v81, v30, 1
	v_mul_f32_e32 v49, v37, v50
	v_mov_b32_e32 v30, 0x3f317218
	v_pk_mul_f32 v[30:31], v[48:49], v[30:31]
	v_ldexp_f32 v51, v37, 1
	v_fma_f32 v37, v48, s37, -v30
	v_fmamk_f32 v50, v48, 0xb102e308, v37
	v_pk_add_f32 v[48:49], v[30:31], v[50:51]
	v_mov_b32_e32 v82, v30
	v_sub_f32_e32 v37, v49, v51
	v_sub_f32_e32 v37, v31, v37
	v_add_f32_e32 v83, v81, v37
	v_pk_add_f32 v[30:31], v[48:49], v[30:31] neg_lo:[0,1] neg_hi:[0,1]
	v_pk_add_f32 v[84:85], v[48:49], v[82:83]
	v_mov_b32_e32 v51, v48
	v_mov_b32_e32 v31, v85
	v_pk_add_f32 v[86:87], v[50:51], v[30:31] neg_lo:[0,1] neg_hi:[0,1]
	v_pk_add_f32 v[30:31], v[50:51], v[30:31]
	v_mov_b32_e32 v82, v83
	v_mov_b32_e32 v50, v31
	v_pk_add_f32 v[96:97], v[50:51], v[48:49] neg_lo:[0,1] neg_hi:[0,1]
	v_mov_b32_e32 v30, v85
	v_mov_b32_e32 v37, v96
	v_pk_add_f32 v[100:101], v[84:85], v[36:37] neg_lo:[0,1] neg_hi:[0,1]
	v_mov_b32_e32 v84, v49
	v_mov_b32_e32 v85, v96
	;; [unrolled: 1-line block ×3, first 2 shown]
	v_pk_add_f32 v[30:31], v[30:31], v[84:85] neg_lo:[0,1] neg_hi:[0,1]
	v_mov_b32_e32 v83, v48
	v_pk_add_f32 v[30:31], v[82:83], v[30:31] neg_lo:[0,1] neg_hi:[0,1]
	v_mov_b32_e32 v100, v86
	v_pk_add_f32 v[48:49], v[100:101], v[30:31]
	s_mov_b32 s37, 0x33800000
	v_mov_b32_e32 v82, v49
	v_pk_add_f32 v[82:83], v[48:49], v[82:83]
	v_cmp_lt_f32_e64 s[38:39], |v39|, s37
	v_pk_add_f32 v[50:51], v[50:51], v[82:83]
	v_mov_b32_e32 v31, v82
	v_mov_b32_e32 v49, v50
	v_pk_add_f32 v[84:85], v[48:49], v[86:87] neg_lo:[0,1] neg_hi:[0,1]
	s_or_b64 vcc, vcc, s[38:39]
	v_sub_f32_e32 v37, v48, v84
	v_pk_add_f32 v[30:31], v[30:31], v[84:85] neg_lo:[0,1] neg_hi:[0,1]
	v_sub_f32_e32 v37, v86, v37
	v_add_f32_e32 v30, v30, v37
	v_add_f32_e32 v30, v30, v31
	;; [unrolled: 1-line block ×3, first 2 shown]
	v_cndmask_b32_e32 v30, v30, v39, vcc
	v_add_f32_e32 v30, v38, v30
	v_cvt_f16_f32_e32 v31, v30
	v_cvt_f32_f16_e32 v37, v31
	v_mov_b32_e32 v30, v31
.LBB388_81:
	s_or_b64 exec, exec, s[34:35]
	v_cvt_f32_f16_e32 v81, v23
	v_max_f32_e32 v38, v37, v37
	v_cmp_u_f16_e32 vcc, v31, v31
	v_cmp_u_f16_e64 s[34:35], v23, v23
	v_min_f32_e32 v39, v38, v81
	v_max_f32_e32 v38, v38, v81
	v_cndmask_b32_e32 v39, v39, v37, vcc
	v_cndmask_b32_e32 v38, v38, v37, vcc
	v_cndmask_b32_e64 v39, v39, v81, s[34:35]
	v_cndmask_b32_e64 v38, v38, v81, s[34:35]
	v_cmp_neq_f32_e32 vcc, v39, v38
	v_cmp_class_f32_e64 s[36:37], v39, s36
	s_or_b64 vcc, vcc, s[36:37]
	s_and_saveexec_b64 s[36:37], vcc
	s_cbranch_execz .LBB388_83
; %bb.82:
	v_sub_f32_e32 v30, v39, v38
	s_mov_b32 s38, 0x3fb8aa3b
	v_mul_f32_e32 v31, 0x3fb8aa3b, v30
	v_fma_f32 v37, v30, s38, -v31
	v_rndne_f32_e32 v39, v31
	v_fmamk_f32 v37, v30, 0x32a5705f, v37
	v_sub_f32_e32 v31, v31, v39
	v_add_f32_e32 v31, v31, v37
	v_exp_f32_e32 v31, v31
	v_cvt_i32_f32_e32 v37, v39
	s_mov_b32 s38, 0xc2ce8ed0
	v_cmp_ngt_f32_e32 vcc, s38, v30
	s_mov_b32 s38, 0x42b17218
	v_ldexp_f32 v31, v31, v37
	v_cndmask_b32_e32 v31, 0, v31, vcc
	v_mov_b32_e32 v37, 0x7f800000
	v_cmp_nlt_f32_e32 vcc, s38, v30
	s_mov_b32 s38, 0x3f2aaaab
	s_mov_b32 s39, 0x7f800000
	v_cndmask_b32_e32 v39, v37, v31, vcc
	v_add_f32_e32 v37, 1.0, v39
	v_add_f32_e32 v30, -1.0, v37
	v_sub_f32_e32 v31, v30, v37
	v_add_f32_e32 v31, 1.0, v31
	v_sub_f32_e32 v30, v39, v30
	v_add_f32_e32 v48, v30, v31
	v_frexp_mant_f32_e32 v49, v37
	v_cvt_f64_f32_e32 v[30:31], v37
	v_frexp_exp_i32_f64_e32 v30, v[30:31]
	v_cmp_gt_f32_e32 vcc, s38, v49
	s_mov_b32 s38, 0x3f317218
	s_nop 0
	v_subbrev_co_u32_e32 v84, vcc, 0, v30, vcc
	v_sub_u32_e32 v30, 0, v84
	v_ldexp_f32 v31, v37, v30
	v_add_f32_e32 v37, -1.0, v31
	v_add_f32_e32 v49, 1.0, v31
	v_ldexp_f32 v30, v48, v30
	v_add_f32_e32 v48, 1.0, v37
	v_add_f32_e32 v50, -1.0, v49
	v_sub_f32_e32 v48, v31, v48
	v_sub_f32_e32 v31, v31, v50
	v_add_f32_e32 v48, v30, v48
	v_add_f32_e32 v30, v30, v31
	;; [unrolled: 1-line block ×3, first 2 shown]
	v_rcp_f32_e32 v87, v85
	v_sub_f32_e32 v31, v49, v85
	v_add_f32_e32 v86, v30, v31
	v_add_f32_e32 v31, v37, v48
	v_sub_f32_e32 v30, v37, v31
	v_mul_f32_e32 v96, v31, v87
	v_add_f32_e32 v37, v48, v30
	v_mul_f32_e32 v48, v85, v96
	v_fma_f32 v50, v96, v85, -v48
	v_fmac_f32_e32 v50, v96, v86
	v_add_f32_e32 v30, v48, v50
	v_sub_f32_e32 v49, v31, v30
	v_pk_add_f32 v[82:83], v[30:31], v[48:49] neg_lo:[0,1] neg_hi:[0,1]
	v_mov_b32_e32 v51, v30
	v_pk_add_f32 v[30:31], v[82:83], v[50:51] neg_lo:[0,1] neg_hi:[0,1]
	v_cmp_eq_f32_e32 vcc, s39, v39
	v_add_f32_e32 v31, v37, v31
	v_add_f32_e32 v30, v30, v31
	;; [unrolled: 1-line block ×3, first 2 shown]
	v_mul_f32_e32 v37, v87, v31
	v_mul_f32_e32 v48, v85, v37
	v_fma_f32 v50, v37, v85, -v48
	v_fmac_f32_e32 v50, v37, v86
	v_sub_f32_e32 v49, v49, v31
	v_add_f32_e32 v85, v30, v49
	v_add_f32_e32 v30, v48, v50
	v_sub_f32_e32 v49, v31, v30
	v_pk_add_f32 v[82:83], v[30:31], v[48:49] neg_lo:[0,1] neg_hi:[0,1]
	v_mov_b32_e32 v51, v30
	v_pk_add_f32 v[30:31], v[82:83], v[50:51] neg_lo:[0,1] neg_hi:[0,1]
	v_cvt_f32_i32_e32 v48, v84
	v_add_f32_e32 v31, v85, v31
	v_add_f32_e32 v30, v30, v31
	;; [unrolled: 1-line block ×4, first 2 shown]
	v_sub_f32_e32 v31, v49, v96
	v_mul_f32_e32 v30, v87, v30
	v_sub_f32_e32 v31, v37, v31
	v_add_f32_e32 v30, v31, v30
	v_add_f32_e32 v37, v49, v30
	v_mul_f32_e32 v50, v37, v37
	v_mov_b32_e32 v31, 0x3ecc95a3
	v_sub_f32_e32 v49, v37, v49
	v_fmac_f32_e32 v31, 0x3e9b6dac, v50
	v_sub_f32_e32 v30, v30, v49
	v_fmaak_f32 v31, v50, v31, 0x3f2aaada
	v_ldexp_f32 v82, v30, 1
	v_mul_f32_e32 v49, v37, v50
	v_mov_b32_e32 v30, 0x3f317218
	v_pk_mul_f32 v[30:31], v[48:49], v[30:31]
	v_ldexp_f32 v51, v37, 1
	v_fma_f32 v37, v48, s38, -v30
	v_fmamk_f32 v50, v48, 0xb102e308, v37
	v_pk_add_f32 v[48:49], v[30:31], v[50:51]
	s_mov_b32 s38, 0x33800000
	v_sub_f32_e32 v37, v49, v51
	v_sub_f32_e32 v37, v31, v37
	v_add_f32_e32 v83, v82, v37
	v_mov_b32_e32 v82, v30
	v_pk_add_f32 v[30:31], v[48:49], v[30:31] neg_lo:[0,1] neg_hi:[0,1]
	v_pk_add_f32 v[84:85], v[48:49], v[82:83]
	v_mov_b32_e32 v51, v48
	v_mov_b32_e32 v31, v85
	v_pk_add_f32 v[86:87], v[50:51], v[30:31] neg_lo:[0,1] neg_hi:[0,1]
	v_pk_add_f32 v[30:31], v[50:51], v[30:31]
	v_mov_b32_e32 v82, v83
	v_mov_b32_e32 v50, v31
	v_pk_add_f32 v[96:97], v[50:51], v[48:49] neg_lo:[0,1] neg_hi:[0,1]
	v_mov_b32_e32 v30, v85
	v_mov_b32_e32 v37, v96
	v_pk_add_f32 v[100:101], v[84:85], v[36:37] neg_lo:[0,1] neg_hi:[0,1]
	v_mov_b32_e32 v84, v49
	v_mov_b32_e32 v85, v96
	;; [unrolled: 1-line block ×3, first 2 shown]
	v_pk_add_f32 v[30:31], v[30:31], v[84:85] neg_lo:[0,1] neg_hi:[0,1]
	v_mov_b32_e32 v83, v48
	v_pk_add_f32 v[30:31], v[82:83], v[30:31] neg_lo:[0,1] neg_hi:[0,1]
	v_mov_b32_e32 v100, v86
	v_pk_add_f32 v[48:49], v[100:101], v[30:31]
	v_cmp_lt_f32_e64 s[38:39], |v39|, s38
	v_mov_b32_e32 v82, v49
	v_pk_add_f32 v[82:83], v[48:49], v[82:83]
	s_or_b64 vcc, vcc, s[38:39]
	v_pk_add_f32 v[50:51], v[50:51], v[82:83]
	v_mov_b32_e32 v31, v82
	v_mov_b32_e32 v49, v50
	v_pk_add_f32 v[84:85], v[48:49], v[86:87] neg_lo:[0,1] neg_hi:[0,1]
	s_nop 0
	v_sub_f32_e32 v37, v48, v84
	v_pk_add_f32 v[30:31], v[30:31], v[84:85] neg_lo:[0,1] neg_hi:[0,1]
	v_sub_f32_e32 v37, v86, v37
	v_add_f32_e32 v30, v30, v37
	v_add_f32_e32 v30, v30, v31
	;; [unrolled: 1-line block ×3, first 2 shown]
	v_cndmask_b32_e32 v30, v30, v39, vcc
	v_add_f32_e32 v30, v38, v30
	v_cvt_f16_f32_e32 v31, v30
	v_cvt_f32_f16_e32 v37, v31
	v_mov_b32_e32 v30, v31
.LBB388_83:
	s_or_b64 exec, exec, s[36:37]
	v_cvt_f32_f16_sdwa v82, v23 dst_sel:DWORD dst_unused:UNUSED_PAD src0_sel:WORD_1
	v_max_f32_e32 v38, v37, v37
	v_cmp_u_f16_e32 vcc, v31, v31
	v_cmp_u_f16_sdwa s[36:37], v23, v23 src0_sel:WORD_1 src1_sel:WORD_1
	v_min_f32_e32 v39, v38, v82
	v_max_f32_e32 v38, v38, v82
	v_cndmask_b32_e32 v39, v39, v37, vcc
	v_cndmask_b32_e32 v38, v38, v37, vcc
	v_cndmask_b32_e64 v39, v39, v82, s[36:37]
	v_cndmask_b32_e64 v38, v38, v82, s[36:37]
	s_movk_i32 s40, 0x1f8
	v_cmp_neq_f32_e32 vcc, v39, v38
	v_cmp_class_f32_e64 s[38:39], v39, s40
	s_or_b64 vcc, vcc, s[38:39]
	s_and_saveexec_b64 s[38:39], vcc
	s_cbranch_execz .LBB388_85
; %bb.84:
	v_sub_f32_e32 v30, v39, v38
	s_mov_b32 s41, 0x3fb8aa3b
	v_mul_f32_e32 v31, 0x3fb8aa3b, v30
	v_fma_f32 v37, v30, s41, -v31
	v_rndne_f32_e32 v39, v31
	v_fmamk_f32 v37, v30, 0x32a5705f, v37
	v_sub_f32_e32 v31, v31, v39
	v_add_f32_e32 v31, v31, v37
	v_exp_f32_e32 v31, v31
	v_cvt_i32_f32_e32 v37, v39
	s_mov_b32 s41, 0xc2ce8ed0
	v_cmp_ngt_f32_e32 vcc, s41, v30
	s_mov_b32 s41, 0x42b17218
	v_ldexp_f32 v31, v31, v37
	v_cndmask_b32_e32 v31, 0, v31, vcc
	v_mov_b32_e32 v37, 0x7f800000
	v_cmp_nlt_f32_e32 vcc, s41, v30
	s_mov_b32 s41, 0x3f2aaaab
	s_mov_b32 s42, 0x7f800000
	v_cndmask_b32_e32 v39, v37, v31, vcc
	v_add_f32_e32 v37, 1.0, v39
	v_add_f32_e32 v30, -1.0, v37
	v_sub_f32_e32 v31, v30, v37
	v_add_f32_e32 v31, 1.0, v31
	v_sub_f32_e32 v30, v39, v30
	v_add_f32_e32 v48, v30, v31
	v_frexp_mant_f32_e32 v49, v37
	v_cvt_f64_f32_e32 v[30:31], v37
	v_frexp_exp_i32_f64_e32 v30, v[30:31]
	v_cmp_gt_f32_e32 vcc, s41, v49
	s_mov_b32 s41, 0x3f317218
	s_nop 0
	v_subbrev_co_u32_e32 v83, vcc, 0, v30, vcc
	v_sub_u32_e32 v30, 0, v83
	v_ldexp_f32 v31, v37, v30
	v_add_f32_e32 v37, -1.0, v31
	v_add_f32_e32 v49, 1.0, v31
	v_ldexp_f32 v30, v48, v30
	v_add_f32_e32 v48, 1.0, v37
	v_add_f32_e32 v50, -1.0, v49
	v_sub_f32_e32 v48, v31, v48
	v_sub_f32_e32 v31, v31, v50
	v_add_f32_e32 v48, v30, v48
	v_add_f32_e32 v30, v30, v31
	;; [unrolled: 1-line block ×3, first 2 shown]
	v_rcp_f32_e32 v96, v86
	v_sub_f32_e32 v31, v49, v86
	v_add_f32_e32 v87, v30, v31
	v_add_f32_e32 v31, v37, v48
	v_sub_f32_e32 v30, v37, v31
	v_mul_f32_e32 v97, v31, v96
	v_add_f32_e32 v37, v48, v30
	v_mul_f32_e32 v48, v86, v97
	v_fma_f32 v50, v97, v86, -v48
	v_fmac_f32_e32 v50, v97, v87
	v_add_f32_e32 v30, v48, v50
	v_sub_f32_e32 v49, v31, v30
	v_pk_add_f32 v[84:85], v[30:31], v[48:49] neg_lo:[0,1] neg_hi:[0,1]
	v_mov_b32_e32 v51, v30
	v_pk_add_f32 v[30:31], v[84:85], v[50:51] neg_lo:[0,1] neg_hi:[0,1]
	v_cmp_eq_f32_e32 vcc, s42, v39
	v_add_f32_e32 v31, v37, v31
	v_add_f32_e32 v30, v30, v31
	;; [unrolled: 1-line block ×3, first 2 shown]
	v_mul_f32_e32 v37, v96, v31
	v_mul_f32_e32 v48, v86, v37
	v_fma_f32 v50, v37, v86, -v48
	v_fmac_f32_e32 v50, v37, v87
	v_sub_f32_e32 v49, v49, v31
	v_add_f32_e32 v86, v30, v49
	v_add_f32_e32 v30, v48, v50
	v_sub_f32_e32 v49, v31, v30
	v_pk_add_f32 v[84:85], v[30:31], v[48:49] neg_lo:[0,1] neg_hi:[0,1]
	v_mov_b32_e32 v51, v30
	v_pk_add_f32 v[30:31], v[84:85], v[50:51] neg_lo:[0,1] neg_hi:[0,1]
	v_cvt_f32_i32_e32 v48, v83
	v_add_f32_e32 v31, v86, v31
	v_add_f32_e32 v30, v30, v31
	v_add_f32_e32 v30, v49, v30
	v_add_f32_e32 v49, v97, v37
	v_sub_f32_e32 v31, v49, v97
	v_mul_f32_e32 v30, v96, v30
	v_sub_f32_e32 v31, v37, v31
	v_add_f32_e32 v30, v31, v30
	v_add_f32_e32 v37, v49, v30
	v_mul_f32_e32 v50, v37, v37
	v_mov_b32_e32 v31, 0x3ecc95a3
	v_sub_f32_e32 v49, v37, v49
	v_fmac_f32_e32 v31, 0x3e9b6dac, v50
	v_sub_f32_e32 v30, v30, v49
	v_fmaak_f32 v31, v50, v31, 0x3f2aaada
	v_ldexp_f32 v83, v30, 1
	v_mul_f32_e32 v49, v37, v50
	v_mov_b32_e32 v30, 0x3f317218
	v_pk_mul_f32 v[30:31], v[48:49], v[30:31]
	v_ldexp_f32 v51, v37, 1
	v_fma_f32 v37, v48, s41, -v30
	v_fmamk_f32 v50, v48, 0xb102e308, v37
	v_pk_add_f32 v[48:49], v[30:31], v[50:51]
	v_mov_b32_e32 v84, v30
	v_sub_f32_e32 v37, v49, v51
	v_sub_f32_e32 v37, v31, v37
	v_add_f32_e32 v85, v83, v37
	v_pk_add_f32 v[30:31], v[48:49], v[30:31] neg_lo:[0,1] neg_hi:[0,1]
	v_pk_add_f32 v[86:87], v[48:49], v[84:85]
	v_mov_b32_e32 v51, v48
	v_mov_b32_e32 v31, v87
	v_pk_add_f32 v[96:97], v[50:51], v[30:31] neg_lo:[0,1] neg_hi:[0,1]
	v_pk_add_f32 v[30:31], v[50:51], v[30:31]
	v_mov_b32_e32 v84, v85
	v_mov_b32_e32 v50, v31
	v_pk_add_f32 v[100:101], v[50:51], v[48:49] neg_lo:[0,1] neg_hi:[0,1]
	v_mov_b32_e32 v30, v87
	v_mov_b32_e32 v37, v100
	v_pk_add_f32 v[102:103], v[86:87], v[36:37] neg_lo:[0,1] neg_hi:[0,1]
	v_mov_b32_e32 v86, v49
	v_mov_b32_e32 v87, v100
	;; [unrolled: 1-line block ×3, first 2 shown]
	v_pk_add_f32 v[30:31], v[30:31], v[86:87] neg_lo:[0,1] neg_hi:[0,1]
	v_mov_b32_e32 v85, v48
	v_pk_add_f32 v[30:31], v[84:85], v[30:31] neg_lo:[0,1] neg_hi:[0,1]
	v_mov_b32_e32 v102, v96
	v_pk_add_f32 v[48:49], v[102:103], v[30:31]
	s_mov_b32 s41, 0x33800000
	v_mov_b32_e32 v84, v49
	v_pk_add_f32 v[84:85], v[48:49], v[84:85]
	v_cmp_lt_f32_e64 s[42:43], |v39|, s41
	v_pk_add_f32 v[50:51], v[50:51], v[84:85]
	v_mov_b32_e32 v31, v84
	v_mov_b32_e32 v49, v50
	v_pk_add_f32 v[86:87], v[48:49], v[96:97] neg_lo:[0,1] neg_hi:[0,1]
	s_or_b64 vcc, vcc, s[42:43]
	v_sub_f32_e32 v37, v48, v86
	v_pk_add_f32 v[30:31], v[30:31], v[86:87] neg_lo:[0,1] neg_hi:[0,1]
	v_sub_f32_e32 v37, v96, v37
	v_add_f32_e32 v30, v30, v37
	v_add_f32_e32 v30, v30, v31
	;; [unrolled: 1-line block ×3, first 2 shown]
	v_cndmask_b32_e32 v30, v30, v39, vcc
	v_add_f32_e32 v30, v38, v30
	v_cvt_f16_f32_e32 v31, v30
	v_cvt_f32_f16_e32 v37, v31
	v_mov_b32_e32 v30, v31
.LBB388_85:
	s_or_b64 exec, exec, s[38:39]
	v_cvt_f32_f16_e32 v83, v16
	v_max_f32_e32 v38, v37, v37
	v_cmp_u_f16_e32 vcc, v31, v31
	v_cmp_u_f16_e64 s[38:39], v16, v16
	v_min_f32_e32 v39, v38, v83
	v_max_f32_e32 v38, v38, v83
	v_cndmask_b32_e32 v39, v39, v37, vcc
	v_cndmask_b32_e32 v38, v38, v37, vcc
	v_cndmask_b32_e64 v39, v39, v83, s[38:39]
	v_cndmask_b32_e64 v38, v38, v83, s[38:39]
	v_cmp_neq_f32_e32 vcc, v39, v38
	v_cmp_class_f32_e64 s[40:41], v39, s40
	s_or_b64 vcc, vcc, s[40:41]
	s_and_saveexec_b64 s[40:41], vcc
	s_cbranch_execz .LBB388_87
; %bb.86:
	v_sub_f32_e32 v30, v39, v38
	s_mov_b32 s42, 0x3fb8aa3b
	v_mul_f32_e32 v31, 0x3fb8aa3b, v30
	v_fma_f32 v37, v30, s42, -v31
	v_rndne_f32_e32 v39, v31
	v_fmamk_f32 v37, v30, 0x32a5705f, v37
	v_sub_f32_e32 v31, v31, v39
	v_add_f32_e32 v31, v31, v37
	v_exp_f32_e32 v31, v31
	v_cvt_i32_f32_e32 v37, v39
	s_mov_b32 s42, 0xc2ce8ed0
	v_cmp_ngt_f32_e32 vcc, s42, v30
	s_mov_b32 s42, 0x42b17218
	v_ldexp_f32 v31, v31, v37
	v_cndmask_b32_e32 v31, 0, v31, vcc
	v_mov_b32_e32 v37, 0x7f800000
	v_cmp_nlt_f32_e32 vcc, s42, v30
	s_mov_b32 s42, 0x3f2aaaab
	s_mov_b32 s43, 0x7f800000
	v_cndmask_b32_e32 v39, v37, v31, vcc
	v_add_f32_e32 v37, 1.0, v39
	v_add_f32_e32 v30, -1.0, v37
	v_sub_f32_e32 v31, v30, v37
	v_add_f32_e32 v31, 1.0, v31
	v_sub_f32_e32 v30, v39, v30
	v_add_f32_e32 v48, v30, v31
	v_frexp_mant_f32_e32 v49, v37
	v_cvt_f64_f32_e32 v[30:31], v37
	v_frexp_exp_i32_f64_e32 v30, v[30:31]
	v_cmp_gt_f32_e32 vcc, s42, v49
	s_mov_b32 s42, 0x3f317218
	s_nop 0
	v_subbrev_co_u32_e32 v86, vcc, 0, v30, vcc
	v_sub_u32_e32 v30, 0, v86
	v_ldexp_f32 v31, v37, v30
	v_add_f32_e32 v37, -1.0, v31
	v_add_f32_e32 v49, 1.0, v31
	v_ldexp_f32 v30, v48, v30
	v_add_f32_e32 v48, 1.0, v37
	v_add_f32_e32 v50, -1.0, v49
	v_sub_f32_e32 v48, v31, v48
	v_sub_f32_e32 v31, v31, v50
	v_add_f32_e32 v48, v30, v48
	v_add_f32_e32 v30, v30, v31
	;; [unrolled: 1-line block ×3, first 2 shown]
	v_rcp_f32_e32 v97, v87
	v_sub_f32_e32 v31, v49, v87
	v_add_f32_e32 v96, v30, v31
	v_add_f32_e32 v31, v37, v48
	v_sub_f32_e32 v30, v37, v31
	v_mul_f32_e32 v98, v31, v97
	v_add_f32_e32 v37, v48, v30
	v_mul_f32_e32 v48, v87, v98
	v_fma_f32 v50, v98, v87, -v48
	v_fmac_f32_e32 v50, v98, v96
	v_add_f32_e32 v30, v48, v50
	v_sub_f32_e32 v49, v31, v30
	v_pk_add_f32 v[84:85], v[30:31], v[48:49] neg_lo:[0,1] neg_hi:[0,1]
	v_mov_b32_e32 v51, v30
	v_pk_add_f32 v[30:31], v[84:85], v[50:51] neg_lo:[0,1] neg_hi:[0,1]
	v_cmp_eq_f32_e32 vcc, s43, v39
	v_add_f32_e32 v31, v37, v31
	v_add_f32_e32 v30, v30, v31
	;; [unrolled: 1-line block ×3, first 2 shown]
	v_mul_f32_e32 v37, v97, v31
	v_mul_f32_e32 v48, v87, v37
	v_fma_f32 v50, v37, v87, -v48
	v_fmac_f32_e32 v50, v37, v96
	v_sub_f32_e32 v49, v49, v31
	v_add_f32_e32 v87, v30, v49
	v_add_f32_e32 v30, v48, v50
	v_sub_f32_e32 v49, v31, v30
	v_pk_add_f32 v[84:85], v[30:31], v[48:49] neg_lo:[0,1] neg_hi:[0,1]
	v_mov_b32_e32 v51, v30
	v_pk_add_f32 v[30:31], v[84:85], v[50:51] neg_lo:[0,1] neg_hi:[0,1]
	v_cvt_f32_i32_e32 v48, v86
	v_add_f32_e32 v31, v87, v31
	v_add_f32_e32 v30, v30, v31
	;; [unrolled: 1-line block ×4, first 2 shown]
	v_sub_f32_e32 v31, v49, v98
	v_mul_f32_e32 v30, v97, v30
	v_sub_f32_e32 v31, v37, v31
	v_add_f32_e32 v30, v31, v30
	v_add_f32_e32 v37, v49, v30
	v_mul_f32_e32 v50, v37, v37
	v_mov_b32_e32 v31, 0x3ecc95a3
	v_sub_f32_e32 v49, v37, v49
	v_fmac_f32_e32 v31, 0x3e9b6dac, v50
	v_sub_f32_e32 v30, v30, v49
	v_fmaak_f32 v31, v50, v31, 0x3f2aaada
	v_ldexp_f32 v84, v30, 1
	v_mul_f32_e32 v49, v37, v50
	v_mov_b32_e32 v30, 0x3f317218
	v_pk_mul_f32 v[30:31], v[48:49], v[30:31]
	v_ldexp_f32 v51, v37, 1
	v_fma_f32 v37, v48, s42, -v30
	v_fmamk_f32 v50, v48, 0xb102e308, v37
	v_pk_add_f32 v[48:49], v[30:31], v[50:51]
	s_mov_b32 s42, 0x33800000
	v_sub_f32_e32 v37, v49, v51
	v_sub_f32_e32 v37, v31, v37
	v_add_f32_e32 v85, v84, v37
	v_mov_b32_e32 v84, v30
	v_pk_add_f32 v[30:31], v[48:49], v[30:31] neg_lo:[0,1] neg_hi:[0,1]
	v_pk_add_f32 v[86:87], v[48:49], v[84:85]
	v_mov_b32_e32 v51, v48
	v_mov_b32_e32 v31, v87
	v_pk_add_f32 v[96:97], v[50:51], v[30:31] neg_lo:[0,1] neg_hi:[0,1]
	v_pk_add_f32 v[30:31], v[50:51], v[30:31]
	v_mov_b32_e32 v84, v85
	v_mov_b32_e32 v50, v31
	v_pk_add_f32 v[100:101], v[50:51], v[48:49] neg_lo:[0,1] neg_hi:[0,1]
	v_mov_b32_e32 v30, v87
	v_mov_b32_e32 v37, v100
	v_pk_add_f32 v[102:103], v[86:87], v[36:37] neg_lo:[0,1] neg_hi:[0,1]
	v_mov_b32_e32 v86, v49
	v_mov_b32_e32 v87, v100
	;; [unrolled: 1-line block ×3, first 2 shown]
	v_pk_add_f32 v[30:31], v[30:31], v[86:87] neg_lo:[0,1] neg_hi:[0,1]
	v_mov_b32_e32 v85, v48
	v_pk_add_f32 v[30:31], v[84:85], v[30:31] neg_lo:[0,1] neg_hi:[0,1]
	v_mov_b32_e32 v102, v96
	v_pk_add_f32 v[48:49], v[102:103], v[30:31]
	v_cmp_lt_f32_e64 s[42:43], |v39|, s42
	v_mov_b32_e32 v84, v49
	v_pk_add_f32 v[84:85], v[48:49], v[84:85]
	s_or_b64 vcc, vcc, s[42:43]
	v_pk_add_f32 v[50:51], v[50:51], v[84:85]
	v_mov_b32_e32 v31, v84
	v_mov_b32_e32 v49, v50
	v_pk_add_f32 v[86:87], v[48:49], v[96:97] neg_lo:[0,1] neg_hi:[0,1]
	s_nop 0
	v_sub_f32_e32 v37, v48, v86
	v_pk_add_f32 v[30:31], v[30:31], v[86:87] neg_lo:[0,1] neg_hi:[0,1]
	v_sub_f32_e32 v37, v96, v37
	v_add_f32_e32 v30, v30, v37
	v_add_f32_e32 v30, v30, v31
	v_add_f32_e32 v30, v50, v30
	v_cndmask_b32_e32 v30, v30, v39, vcc
	v_add_f32_e32 v30, v38, v30
	v_cvt_f16_f32_e32 v31, v30
	v_cvt_f32_f16_e32 v37, v31
	v_mov_b32_e32 v30, v31
.LBB388_87:
	s_or_b64 exec, exec, s[40:41]
	v_cvt_f32_f16_sdwa v84, v16 dst_sel:DWORD dst_unused:UNUSED_PAD src0_sel:WORD_1
	v_max_f32_e32 v38, v37, v37
	v_cmp_u_f16_e32 vcc, v31, v31
	v_cmp_u_f16_sdwa s[40:41], v16, v16 src0_sel:WORD_1 src1_sel:WORD_1
	v_min_f32_e32 v39, v38, v84
	v_max_f32_e32 v38, v38, v84
	v_cndmask_b32_e32 v39, v39, v37, vcc
	v_cndmask_b32_e32 v38, v38, v37, vcc
	v_cndmask_b32_e64 v39, v39, v84, s[40:41]
	v_cndmask_b32_e64 v38, v38, v84, s[40:41]
	s_movk_i32 s44, 0x1f8
	v_cmp_neq_f32_e32 vcc, v39, v38
	v_cmp_class_f32_e64 s[42:43], v39, s44
	s_or_b64 vcc, vcc, s[42:43]
	s_and_saveexec_b64 s[42:43], vcc
	s_cbranch_execz .LBB388_89
; %bb.88:
	v_sub_f32_e32 v30, v39, v38
	s_mov_b32 s45, 0x3fb8aa3b
	v_mul_f32_e32 v31, 0x3fb8aa3b, v30
	v_fma_f32 v37, v30, s45, -v31
	v_rndne_f32_e32 v39, v31
	v_fmamk_f32 v37, v30, 0x32a5705f, v37
	v_sub_f32_e32 v31, v31, v39
	v_add_f32_e32 v31, v31, v37
	v_exp_f32_e32 v31, v31
	v_cvt_i32_f32_e32 v37, v39
	s_mov_b32 s45, 0xc2ce8ed0
	v_cmp_ngt_f32_e32 vcc, s45, v30
	s_mov_b32 s45, 0x42b17218
	v_ldexp_f32 v31, v31, v37
	v_cndmask_b32_e32 v31, 0, v31, vcc
	v_mov_b32_e32 v37, 0x7f800000
	v_cmp_nlt_f32_e32 vcc, s45, v30
	s_mov_b32 s45, 0x3f2aaaab
	s_mov_b32 s46, 0x7f800000
	v_cndmask_b32_e32 v39, v37, v31, vcc
	v_add_f32_e32 v37, 1.0, v39
	v_add_f32_e32 v30, -1.0, v37
	v_sub_f32_e32 v31, v30, v37
	v_add_f32_e32 v31, 1.0, v31
	v_sub_f32_e32 v30, v39, v30
	v_add_f32_e32 v48, v30, v31
	v_frexp_mant_f32_e32 v49, v37
	v_cvt_f64_f32_e32 v[30:31], v37
	v_frexp_exp_i32_f64_e32 v30, v[30:31]
	v_cmp_gt_f32_e32 vcc, s45, v49
	s_mov_b32 s45, 0x3f317218
	s_nop 0
	v_subbrev_co_u32_e32 v85, vcc, 0, v30, vcc
	v_sub_u32_e32 v30, 0, v85
	v_ldexp_f32 v31, v37, v30
	v_add_f32_e32 v37, -1.0, v31
	v_add_f32_e32 v49, 1.0, v31
	v_ldexp_f32 v30, v48, v30
	v_add_f32_e32 v48, 1.0, v37
	v_add_f32_e32 v50, -1.0, v49
	v_sub_f32_e32 v48, v31, v48
	v_sub_f32_e32 v31, v31, v50
	v_add_f32_e32 v48, v30, v48
	v_add_f32_e32 v30, v30, v31
	;; [unrolled: 1-line block ×3, first 2 shown]
	v_rcp_f32_e32 v98, v96
	v_sub_f32_e32 v31, v49, v96
	v_add_f32_e32 v97, v30, v31
	v_add_f32_e32 v31, v37, v48
	v_sub_f32_e32 v30, v37, v31
	v_mul_f32_e32 v100, v31, v98
	v_add_f32_e32 v37, v48, v30
	v_mul_f32_e32 v48, v96, v100
	v_fma_f32 v50, v100, v96, -v48
	v_fmac_f32_e32 v50, v100, v97
	v_add_f32_e32 v30, v48, v50
	v_sub_f32_e32 v49, v31, v30
	v_pk_add_f32 v[86:87], v[30:31], v[48:49] neg_lo:[0,1] neg_hi:[0,1]
	v_mov_b32_e32 v51, v30
	v_pk_add_f32 v[30:31], v[86:87], v[50:51] neg_lo:[0,1] neg_hi:[0,1]
	v_cmp_eq_f32_e32 vcc, s46, v39
	v_add_f32_e32 v31, v37, v31
	v_add_f32_e32 v30, v30, v31
	;; [unrolled: 1-line block ×3, first 2 shown]
	v_mul_f32_e32 v37, v98, v31
	v_mul_f32_e32 v48, v96, v37
	v_fma_f32 v50, v37, v96, -v48
	v_fmac_f32_e32 v50, v37, v97
	v_sub_f32_e32 v49, v49, v31
	v_add_f32_e32 v96, v30, v49
	v_add_f32_e32 v30, v48, v50
	v_sub_f32_e32 v49, v31, v30
	v_pk_add_f32 v[86:87], v[30:31], v[48:49] neg_lo:[0,1] neg_hi:[0,1]
	v_mov_b32_e32 v51, v30
	v_pk_add_f32 v[30:31], v[86:87], v[50:51] neg_lo:[0,1] neg_hi:[0,1]
	v_cvt_f32_i32_e32 v48, v85
	v_add_f32_e32 v31, v96, v31
	v_add_f32_e32 v30, v30, v31
	;; [unrolled: 1-line block ×4, first 2 shown]
	v_sub_f32_e32 v31, v49, v100
	v_mul_f32_e32 v30, v98, v30
	v_sub_f32_e32 v31, v37, v31
	v_add_f32_e32 v30, v31, v30
	v_add_f32_e32 v37, v49, v30
	v_mul_f32_e32 v50, v37, v37
	v_mov_b32_e32 v31, 0x3ecc95a3
	v_sub_f32_e32 v49, v37, v49
	v_fmac_f32_e32 v31, 0x3e9b6dac, v50
	v_sub_f32_e32 v30, v30, v49
	v_fmaak_f32 v31, v50, v31, 0x3f2aaada
	v_ldexp_f32 v85, v30, 1
	v_mul_f32_e32 v49, v37, v50
	v_mov_b32_e32 v30, 0x3f317218
	v_pk_mul_f32 v[30:31], v[48:49], v[30:31]
	v_ldexp_f32 v51, v37, 1
	v_fma_f32 v37, v48, s45, -v30
	v_fmamk_f32 v50, v48, 0xb102e308, v37
	v_pk_add_f32 v[48:49], v[30:31], v[50:51]
	v_mov_b32_e32 v86, v30
	v_sub_f32_e32 v37, v49, v51
	v_sub_f32_e32 v37, v31, v37
	v_add_f32_e32 v87, v85, v37
	v_pk_add_f32 v[30:31], v[48:49], v[30:31] neg_lo:[0,1] neg_hi:[0,1]
	v_pk_add_f32 v[96:97], v[48:49], v[86:87]
	v_mov_b32_e32 v51, v48
	v_mov_b32_e32 v31, v97
	v_pk_add_f32 v[100:101], v[50:51], v[30:31] neg_lo:[0,1] neg_hi:[0,1]
	v_pk_add_f32 v[30:31], v[50:51], v[30:31]
	v_mov_b32_e32 v86, v87
	v_mov_b32_e32 v50, v31
	v_pk_add_f32 v[102:103], v[50:51], v[48:49] neg_lo:[0,1] neg_hi:[0,1]
	v_mov_b32_e32 v30, v97
	v_mov_b32_e32 v37, v102
	v_pk_add_f32 v[112:113], v[96:97], v[36:37] neg_lo:[0,1] neg_hi:[0,1]
	v_mov_b32_e32 v96, v49
	v_mov_b32_e32 v97, v102
	;; [unrolled: 1-line block ×3, first 2 shown]
	v_pk_add_f32 v[30:31], v[30:31], v[96:97] neg_lo:[0,1] neg_hi:[0,1]
	v_mov_b32_e32 v87, v48
	v_pk_add_f32 v[30:31], v[86:87], v[30:31] neg_lo:[0,1] neg_hi:[0,1]
	v_mov_b32_e32 v112, v100
	v_pk_add_f32 v[48:49], v[112:113], v[30:31]
	s_mov_b32 s45, 0x33800000
	v_mov_b32_e32 v86, v49
	v_pk_add_f32 v[86:87], v[48:49], v[86:87]
	v_cmp_lt_f32_e64 s[46:47], |v39|, s45
	v_pk_add_f32 v[50:51], v[50:51], v[86:87]
	v_mov_b32_e32 v31, v86
	v_mov_b32_e32 v49, v50
	v_pk_add_f32 v[96:97], v[48:49], v[100:101] neg_lo:[0,1] neg_hi:[0,1]
	s_or_b64 vcc, vcc, s[46:47]
	v_sub_f32_e32 v37, v48, v96
	v_pk_add_f32 v[30:31], v[30:31], v[96:97] neg_lo:[0,1] neg_hi:[0,1]
	v_sub_f32_e32 v37, v100, v37
	v_add_f32_e32 v30, v30, v37
	v_add_f32_e32 v30, v30, v31
	;; [unrolled: 1-line block ×3, first 2 shown]
	v_cndmask_b32_e32 v30, v30, v39, vcc
	v_add_f32_e32 v30, v38, v30
	v_cvt_f16_f32_e32 v31, v30
	v_cvt_f32_f16_e32 v37, v31
	v_mov_b32_e32 v30, v31
.LBB388_89:
	s_or_b64 exec, exec, s[42:43]
	v_cvt_f32_f16_e32 v85, v17
	v_max_f32_e32 v38, v37, v37
	v_cmp_u_f16_e32 vcc, v31, v31
	v_cmp_u_f16_e64 s[42:43], v17, v17
	v_min_f32_e32 v39, v38, v85
	v_max_f32_e32 v38, v38, v85
	v_cndmask_b32_e32 v39, v39, v37, vcc
	v_cndmask_b32_e32 v38, v38, v37, vcc
	v_cndmask_b32_e64 v39, v39, v85, s[42:43]
	v_cndmask_b32_e64 v38, v38, v85, s[42:43]
	v_cmp_neq_f32_e32 vcc, v39, v38
	v_cmp_class_f32_e64 s[44:45], v39, s44
	s_or_b64 vcc, vcc, s[44:45]
	s_and_saveexec_b64 s[44:45], vcc
	s_cbranch_execz .LBB388_91
; %bb.90:
	v_sub_f32_e32 v30, v39, v38
	s_mov_b32 s46, 0x3fb8aa3b
	v_mul_f32_e32 v31, 0x3fb8aa3b, v30
	v_fma_f32 v37, v30, s46, -v31
	v_rndne_f32_e32 v39, v31
	v_fmamk_f32 v37, v30, 0x32a5705f, v37
	v_sub_f32_e32 v31, v31, v39
	v_add_f32_e32 v31, v31, v37
	v_exp_f32_e32 v31, v31
	v_cvt_i32_f32_e32 v37, v39
	s_mov_b32 s46, 0xc2ce8ed0
	v_cmp_ngt_f32_e32 vcc, s46, v30
	s_mov_b32 s46, 0x42b17218
	v_ldexp_f32 v31, v31, v37
	v_cndmask_b32_e32 v31, 0, v31, vcc
	v_mov_b32_e32 v37, 0x7f800000
	v_cmp_nlt_f32_e32 vcc, s46, v30
	s_mov_b32 s46, 0x3f2aaaab
	s_mov_b32 s47, 0x7f800000
	v_cndmask_b32_e32 v39, v37, v31, vcc
	v_add_f32_e32 v37, 1.0, v39
	v_add_f32_e32 v30, -1.0, v37
	v_sub_f32_e32 v31, v30, v37
	v_add_f32_e32 v31, 1.0, v31
	v_sub_f32_e32 v30, v39, v30
	v_add_f32_e32 v48, v30, v31
	v_frexp_mant_f32_e32 v49, v37
	v_cvt_f64_f32_e32 v[30:31], v37
	v_frexp_exp_i32_f64_e32 v30, v[30:31]
	v_cmp_gt_f32_e32 vcc, s46, v49
	s_mov_b32 s46, 0x3f317218
	s_nop 0
	v_subbrev_co_u32_e32 v96, vcc, 0, v30, vcc
	v_sub_u32_e32 v30, 0, v96
	v_ldexp_f32 v31, v37, v30
	v_add_f32_e32 v37, -1.0, v31
	v_add_f32_e32 v49, 1.0, v31
	v_ldexp_f32 v30, v48, v30
	v_add_f32_e32 v48, 1.0, v37
	v_add_f32_e32 v50, -1.0, v49
	v_sub_f32_e32 v48, v31, v48
	v_sub_f32_e32 v31, v31, v50
	v_add_f32_e32 v48, v30, v48
	v_add_f32_e32 v30, v30, v31
	;; [unrolled: 1-line block ×3, first 2 shown]
	v_rcp_f32_e32 v100, v97
	v_sub_f32_e32 v31, v49, v97
	v_add_f32_e32 v98, v30, v31
	v_add_f32_e32 v31, v37, v48
	v_sub_f32_e32 v30, v37, v31
	v_mul_f32_e32 v101, v31, v100
	v_add_f32_e32 v37, v48, v30
	v_mul_f32_e32 v48, v97, v101
	v_fma_f32 v50, v101, v97, -v48
	v_fmac_f32_e32 v50, v101, v98
	v_add_f32_e32 v30, v48, v50
	v_sub_f32_e32 v49, v31, v30
	v_pk_add_f32 v[86:87], v[30:31], v[48:49] neg_lo:[0,1] neg_hi:[0,1]
	v_mov_b32_e32 v51, v30
	v_pk_add_f32 v[30:31], v[86:87], v[50:51] neg_lo:[0,1] neg_hi:[0,1]
	v_cmp_eq_f32_e32 vcc, s47, v39
	v_add_f32_e32 v31, v37, v31
	v_add_f32_e32 v30, v30, v31
	;; [unrolled: 1-line block ×3, first 2 shown]
	v_mul_f32_e32 v37, v100, v31
	v_mul_f32_e32 v48, v97, v37
	v_fma_f32 v50, v37, v97, -v48
	v_fmac_f32_e32 v50, v37, v98
	v_sub_f32_e32 v49, v49, v31
	v_add_f32_e32 v97, v30, v49
	v_add_f32_e32 v30, v48, v50
	v_sub_f32_e32 v49, v31, v30
	v_pk_add_f32 v[86:87], v[30:31], v[48:49] neg_lo:[0,1] neg_hi:[0,1]
	v_mov_b32_e32 v51, v30
	v_pk_add_f32 v[30:31], v[86:87], v[50:51] neg_lo:[0,1] neg_hi:[0,1]
	v_cvt_f32_i32_e32 v48, v96
	v_add_f32_e32 v31, v97, v31
	v_add_f32_e32 v30, v30, v31
	;; [unrolled: 1-line block ×4, first 2 shown]
	v_sub_f32_e32 v31, v49, v101
	v_mul_f32_e32 v30, v100, v30
	v_sub_f32_e32 v31, v37, v31
	v_add_f32_e32 v30, v31, v30
	v_add_f32_e32 v37, v49, v30
	v_mul_f32_e32 v50, v37, v37
	v_mov_b32_e32 v31, 0x3ecc95a3
	v_sub_f32_e32 v49, v37, v49
	v_fmac_f32_e32 v31, 0x3e9b6dac, v50
	v_sub_f32_e32 v30, v30, v49
	v_fmaak_f32 v31, v50, v31, 0x3f2aaada
	v_ldexp_f32 v86, v30, 1
	v_mul_f32_e32 v49, v37, v50
	v_mov_b32_e32 v30, 0x3f317218
	v_pk_mul_f32 v[30:31], v[48:49], v[30:31]
	v_ldexp_f32 v51, v37, 1
	v_fma_f32 v37, v48, s46, -v30
	v_fmamk_f32 v50, v48, 0xb102e308, v37
	v_pk_add_f32 v[48:49], v[30:31], v[50:51]
	s_mov_b32 s46, 0x33800000
	v_sub_f32_e32 v37, v49, v51
	v_sub_f32_e32 v37, v31, v37
	v_add_f32_e32 v87, v86, v37
	v_mov_b32_e32 v86, v30
	v_pk_add_f32 v[30:31], v[48:49], v[30:31] neg_lo:[0,1] neg_hi:[0,1]
	v_pk_add_f32 v[96:97], v[48:49], v[86:87]
	v_mov_b32_e32 v51, v48
	v_mov_b32_e32 v31, v97
	v_pk_add_f32 v[100:101], v[50:51], v[30:31] neg_lo:[0,1] neg_hi:[0,1]
	v_pk_add_f32 v[30:31], v[50:51], v[30:31]
	v_mov_b32_e32 v86, v87
	v_mov_b32_e32 v50, v31
	v_pk_add_f32 v[102:103], v[50:51], v[48:49] neg_lo:[0,1] neg_hi:[0,1]
	v_mov_b32_e32 v30, v97
	v_mov_b32_e32 v37, v102
	v_pk_add_f32 v[112:113], v[96:97], v[36:37] neg_lo:[0,1] neg_hi:[0,1]
	v_mov_b32_e32 v96, v49
	v_mov_b32_e32 v97, v102
	;; [unrolled: 1-line block ×3, first 2 shown]
	v_pk_add_f32 v[30:31], v[30:31], v[96:97] neg_lo:[0,1] neg_hi:[0,1]
	v_mov_b32_e32 v87, v48
	v_pk_add_f32 v[30:31], v[86:87], v[30:31] neg_lo:[0,1] neg_hi:[0,1]
	v_mov_b32_e32 v112, v100
	v_pk_add_f32 v[48:49], v[112:113], v[30:31]
	v_cmp_lt_f32_e64 s[46:47], |v39|, s46
	v_mov_b32_e32 v86, v49
	v_pk_add_f32 v[86:87], v[48:49], v[86:87]
	s_or_b64 vcc, vcc, s[46:47]
	v_pk_add_f32 v[50:51], v[50:51], v[86:87]
	v_mov_b32_e32 v31, v86
	v_mov_b32_e32 v49, v50
	v_pk_add_f32 v[96:97], v[48:49], v[100:101] neg_lo:[0,1] neg_hi:[0,1]
	s_nop 0
	v_sub_f32_e32 v37, v48, v96
	v_pk_add_f32 v[30:31], v[30:31], v[96:97] neg_lo:[0,1] neg_hi:[0,1]
	v_sub_f32_e32 v37, v100, v37
	v_add_f32_e32 v30, v30, v37
	v_add_f32_e32 v30, v30, v31
	;; [unrolled: 1-line block ×3, first 2 shown]
	v_cndmask_b32_e32 v30, v30, v39, vcc
	v_add_f32_e32 v30, v38, v30
	v_cvt_f16_f32_e32 v31, v30
	v_cvt_f32_f16_e32 v37, v31
	v_mov_b32_e32 v30, v31
.LBB388_91:
	s_or_b64 exec, exec, s[44:45]
	v_cvt_f32_f16_sdwa v86, v17 dst_sel:DWORD dst_unused:UNUSED_PAD src0_sel:WORD_1
	v_max_f32_e32 v38, v37, v37
	v_cmp_u_f16_e32 vcc, v31, v31
	v_cmp_u_f16_sdwa s[44:45], v17, v17 src0_sel:WORD_1 src1_sel:WORD_1
	v_min_f32_e32 v39, v38, v86
	v_max_f32_e32 v38, v38, v86
	v_cndmask_b32_e32 v39, v39, v37, vcc
	v_cndmask_b32_e32 v38, v38, v37, vcc
	v_cndmask_b32_e64 v39, v39, v86, s[44:45]
	v_cndmask_b32_e64 v38, v38, v86, s[44:45]
	s_movk_i32 s48, 0x1f8
	v_cmp_neq_f32_e32 vcc, v39, v38
	v_cmp_class_f32_e64 s[46:47], v39, s48
	s_or_b64 vcc, vcc, s[46:47]
	s_and_saveexec_b64 s[46:47], vcc
	s_cbranch_execz .LBB388_93
; %bb.92:
	v_sub_f32_e32 v30, v39, v38
	s_mov_b32 s49, 0x3fb8aa3b
	v_mul_f32_e32 v31, 0x3fb8aa3b, v30
	v_fma_f32 v37, v30, s49, -v31
	v_rndne_f32_e32 v39, v31
	v_fmamk_f32 v37, v30, 0x32a5705f, v37
	v_sub_f32_e32 v31, v31, v39
	v_add_f32_e32 v31, v31, v37
	v_exp_f32_e32 v31, v31
	v_cvt_i32_f32_e32 v37, v39
	s_mov_b32 s49, 0xc2ce8ed0
	v_cmp_ngt_f32_e32 vcc, s49, v30
	s_mov_b32 s49, 0x42b17218
	v_ldexp_f32 v31, v31, v37
	v_cndmask_b32_e32 v31, 0, v31, vcc
	v_mov_b32_e32 v37, 0x7f800000
	v_cmp_nlt_f32_e32 vcc, s49, v30
	s_mov_b32 s49, 0x3f2aaaab
	s_mov_b32 s50, 0x7f800000
	v_cndmask_b32_e32 v39, v37, v31, vcc
	v_add_f32_e32 v37, 1.0, v39
	v_add_f32_e32 v30, -1.0, v37
	v_sub_f32_e32 v31, v30, v37
	v_add_f32_e32 v31, 1.0, v31
	v_sub_f32_e32 v30, v39, v30
	v_add_f32_e32 v48, v30, v31
	v_frexp_mant_f32_e32 v49, v37
	v_cvt_f64_f32_e32 v[30:31], v37
	v_frexp_exp_i32_f64_e32 v30, v[30:31]
	v_cmp_gt_f32_e32 vcc, s49, v49
	s_mov_b32 s49, 0x3f317218
	s_nop 0
	v_subbrev_co_u32_e32 v87, vcc, 0, v30, vcc
	v_sub_u32_e32 v30, 0, v87
	v_ldexp_f32 v31, v37, v30
	v_add_f32_e32 v37, -1.0, v31
	v_add_f32_e32 v49, 1.0, v31
	v_ldexp_f32 v30, v48, v30
	v_add_f32_e32 v48, 1.0, v37
	v_add_f32_e32 v50, -1.0, v49
	v_sub_f32_e32 v48, v31, v48
	v_sub_f32_e32 v31, v31, v50
	v_add_f32_e32 v48, v30, v48
	v_add_f32_e32 v30, v30, v31
	;; [unrolled: 1-line block ×3, first 2 shown]
	v_rcp_f32_e32 v101, v98
	v_sub_f32_e32 v31, v49, v98
	v_add_f32_e32 v100, v30, v31
	v_add_f32_e32 v31, v37, v48
	v_sub_f32_e32 v30, v37, v31
	v_mul_f32_e32 v102, v31, v101
	v_add_f32_e32 v37, v48, v30
	v_mul_f32_e32 v48, v98, v102
	v_fma_f32 v50, v102, v98, -v48
	v_fmac_f32_e32 v50, v102, v100
	v_add_f32_e32 v30, v48, v50
	v_sub_f32_e32 v49, v31, v30
	v_pk_add_f32 v[96:97], v[30:31], v[48:49] neg_lo:[0,1] neg_hi:[0,1]
	v_mov_b32_e32 v51, v30
	v_pk_add_f32 v[30:31], v[96:97], v[50:51] neg_lo:[0,1] neg_hi:[0,1]
	v_cmp_eq_f32_e32 vcc, s50, v39
	v_add_f32_e32 v31, v37, v31
	v_add_f32_e32 v30, v30, v31
	;; [unrolled: 1-line block ×3, first 2 shown]
	v_mul_f32_e32 v37, v101, v31
	v_mul_f32_e32 v48, v98, v37
	v_fma_f32 v50, v37, v98, -v48
	v_fmac_f32_e32 v50, v37, v100
	v_sub_f32_e32 v49, v49, v31
	v_add_f32_e32 v98, v30, v49
	v_add_f32_e32 v30, v48, v50
	v_sub_f32_e32 v49, v31, v30
	v_pk_add_f32 v[96:97], v[30:31], v[48:49] neg_lo:[0,1] neg_hi:[0,1]
	v_mov_b32_e32 v51, v30
	v_pk_add_f32 v[30:31], v[96:97], v[50:51] neg_lo:[0,1] neg_hi:[0,1]
	v_cvt_f32_i32_e32 v48, v87
	v_add_f32_e32 v31, v98, v31
	v_add_f32_e32 v30, v30, v31
	v_add_f32_e32 v30, v49, v30
	v_add_f32_e32 v49, v102, v37
	v_sub_f32_e32 v31, v49, v102
	v_mul_f32_e32 v30, v101, v30
	v_sub_f32_e32 v31, v37, v31
	v_add_f32_e32 v30, v31, v30
	v_add_f32_e32 v37, v49, v30
	v_mul_f32_e32 v50, v37, v37
	v_mov_b32_e32 v31, 0x3ecc95a3
	v_sub_f32_e32 v49, v37, v49
	v_fmac_f32_e32 v31, 0x3e9b6dac, v50
	v_sub_f32_e32 v30, v30, v49
	v_fmaak_f32 v31, v50, v31, 0x3f2aaada
	v_ldexp_f32 v87, v30, 1
	v_mul_f32_e32 v49, v37, v50
	v_mov_b32_e32 v30, 0x3f317218
	v_pk_mul_f32 v[30:31], v[48:49], v[30:31]
	v_ldexp_f32 v51, v37, 1
	v_fma_f32 v37, v48, s49, -v30
	v_fmamk_f32 v50, v48, 0xb102e308, v37
	v_pk_add_f32 v[48:49], v[30:31], v[50:51]
	v_mov_b32_e32 v96, v30
	v_sub_f32_e32 v37, v49, v51
	v_sub_f32_e32 v37, v31, v37
	v_add_f32_e32 v97, v87, v37
	v_pk_add_f32 v[30:31], v[48:49], v[30:31] neg_lo:[0,1] neg_hi:[0,1]
	v_pk_add_f32 v[100:101], v[48:49], v[96:97]
	v_mov_b32_e32 v51, v48
	v_mov_b32_e32 v31, v101
	v_pk_add_f32 v[102:103], v[50:51], v[30:31] neg_lo:[0,1] neg_hi:[0,1]
	v_pk_add_f32 v[30:31], v[50:51], v[30:31]
	v_mov_b32_e32 v96, v97
	v_mov_b32_e32 v50, v31
	v_pk_add_f32 v[112:113], v[50:51], v[48:49] neg_lo:[0,1] neg_hi:[0,1]
	v_mov_b32_e32 v30, v101
	v_mov_b32_e32 v37, v112
	v_pk_add_f32 v[114:115], v[100:101], v[36:37] neg_lo:[0,1] neg_hi:[0,1]
	v_mov_b32_e32 v100, v49
	v_mov_b32_e32 v101, v112
	;; [unrolled: 1-line block ×3, first 2 shown]
	v_pk_add_f32 v[30:31], v[30:31], v[100:101] neg_lo:[0,1] neg_hi:[0,1]
	v_mov_b32_e32 v97, v48
	v_pk_add_f32 v[30:31], v[96:97], v[30:31] neg_lo:[0,1] neg_hi:[0,1]
	v_mov_b32_e32 v114, v102
	v_pk_add_f32 v[48:49], v[114:115], v[30:31]
	s_mov_b32 s49, 0x33800000
	v_mov_b32_e32 v96, v49
	v_pk_add_f32 v[96:97], v[48:49], v[96:97]
	v_cmp_lt_f32_e64 s[50:51], |v39|, s49
	v_pk_add_f32 v[50:51], v[50:51], v[96:97]
	v_mov_b32_e32 v31, v96
	v_mov_b32_e32 v49, v50
	v_pk_add_f32 v[100:101], v[48:49], v[102:103] neg_lo:[0,1] neg_hi:[0,1]
	s_or_b64 vcc, vcc, s[50:51]
	v_sub_f32_e32 v37, v48, v100
	v_pk_add_f32 v[30:31], v[30:31], v[100:101] neg_lo:[0,1] neg_hi:[0,1]
	v_sub_f32_e32 v37, v102, v37
	v_add_f32_e32 v30, v30, v37
	v_add_f32_e32 v30, v30, v31
	;; [unrolled: 1-line block ×3, first 2 shown]
	v_cndmask_b32_e32 v30, v30, v39, vcc
	v_add_f32_e32 v30, v38, v30
	v_cvt_f16_f32_e32 v31, v30
	v_cvt_f32_f16_e32 v37, v31
	v_mov_b32_e32 v30, v31
.LBB388_93:
	s_or_b64 exec, exec, s[46:47]
	v_cvt_f32_f16_e32 v87, v18
	v_max_f32_e32 v38, v37, v37
	v_cmp_u_f16_e32 vcc, v31, v31
	v_cmp_u_f16_e64 s[46:47], v18, v18
	v_min_f32_e32 v39, v38, v87
	v_max_f32_e32 v38, v38, v87
	v_cndmask_b32_e32 v39, v39, v37, vcc
	v_cndmask_b32_e32 v38, v38, v37, vcc
	v_cndmask_b32_e64 v39, v39, v87, s[46:47]
	v_cndmask_b32_e64 v38, v38, v87, s[46:47]
	v_cmp_neq_f32_e32 vcc, v39, v38
	v_cmp_class_f32_e64 s[48:49], v39, s48
	s_or_b64 vcc, vcc, s[48:49]
	s_and_saveexec_b64 s[48:49], vcc
	s_cbranch_execz .LBB388_95
; %bb.94:
	v_sub_f32_e32 v30, v39, v38
	s_mov_b32 s50, 0x3fb8aa3b
	v_mul_f32_e32 v31, 0x3fb8aa3b, v30
	v_fma_f32 v37, v30, s50, -v31
	v_rndne_f32_e32 v39, v31
	v_fmamk_f32 v37, v30, 0x32a5705f, v37
	v_sub_f32_e32 v31, v31, v39
	v_add_f32_e32 v31, v31, v37
	v_exp_f32_e32 v31, v31
	v_cvt_i32_f32_e32 v37, v39
	s_mov_b32 s50, 0xc2ce8ed0
	v_cmp_ngt_f32_e32 vcc, s50, v30
	s_mov_b32 s50, 0x42b17218
	v_ldexp_f32 v31, v31, v37
	v_cndmask_b32_e32 v31, 0, v31, vcc
	v_mov_b32_e32 v37, 0x7f800000
	v_cmp_nlt_f32_e32 vcc, s50, v30
	s_mov_b32 s50, 0x3f2aaaab
	s_mov_b32 s51, 0x7f800000
	v_cndmask_b32_e32 v39, v37, v31, vcc
	v_add_f32_e32 v37, 1.0, v39
	v_add_f32_e32 v30, -1.0, v37
	v_sub_f32_e32 v31, v30, v37
	v_add_f32_e32 v31, 1.0, v31
	v_sub_f32_e32 v30, v39, v30
	v_add_f32_e32 v48, v30, v31
	v_frexp_mant_f32_e32 v49, v37
	v_cvt_f64_f32_e32 v[30:31], v37
	v_frexp_exp_i32_f64_e32 v30, v[30:31]
	v_cmp_gt_f32_e32 vcc, s50, v49
	s_mov_b32 s50, 0x3f317218
	s_nop 0
	v_subbrev_co_u32_e32 v98, vcc, 0, v30, vcc
	v_sub_u32_e32 v30, 0, v98
	v_ldexp_f32 v31, v37, v30
	v_add_f32_e32 v37, -1.0, v31
	v_add_f32_e32 v49, 1.0, v31
	v_ldexp_f32 v30, v48, v30
	v_add_f32_e32 v48, 1.0, v37
	v_add_f32_e32 v50, -1.0, v49
	v_sub_f32_e32 v48, v31, v48
	v_sub_f32_e32 v31, v31, v50
	v_add_f32_e32 v48, v30, v48
	v_add_f32_e32 v30, v30, v31
	;; [unrolled: 1-line block ×3, first 2 shown]
	v_rcp_f32_e32 v102, v100
	v_sub_f32_e32 v31, v49, v100
	v_add_f32_e32 v101, v30, v31
	v_add_f32_e32 v31, v37, v48
	v_sub_f32_e32 v30, v37, v31
	v_mul_f32_e32 v103, v31, v102
	v_add_f32_e32 v37, v48, v30
	v_mul_f32_e32 v48, v100, v103
	v_fma_f32 v50, v103, v100, -v48
	v_fmac_f32_e32 v50, v103, v101
	v_add_f32_e32 v30, v48, v50
	v_sub_f32_e32 v49, v31, v30
	v_pk_add_f32 v[96:97], v[30:31], v[48:49] neg_lo:[0,1] neg_hi:[0,1]
	v_mov_b32_e32 v51, v30
	v_pk_add_f32 v[30:31], v[96:97], v[50:51] neg_lo:[0,1] neg_hi:[0,1]
	v_cmp_eq_f32_e32 vcc, s51, v39
	v_add_f32_e32 v31, v37, v31
	v_add_f32_e32 v30, v30, v31
	;; [unrolled: 1-line block ×3, first 2 shown]
	v_mul_f32_e32 v37, v102, v31
	v_mul_f32_e32 v48, v100, v37
	v_fma_f32 v50, v37, v100, -v48
	v_fmac_f32_e32 v50, v37, v101
	v_sub_f32_e32 v49, v49, v31
	v_add_f32_e32 v100, v30, v49
	v_add_f32_e32 v30, v48, v50
	v_sub_f32_e32 v49, v31, v30
	v_pk_add_f32 v[96:97], v[30:31], v[48:49] neg_lo:[0,1] neg_hi:[0,1]
	v_mov_b32_e32 v51, v30
	v_pk_add_f32 v[30:31], v[96:97], v[50:51] neg_lo:[0,1] neg_hi:[0,1]
	v_cvt_f32_i32_e32 v48, v98
	v_add_f32_e32 v31, v100, v31
	v_add_f32_e32 v30, v30, v31
	;; [unrolled: 1-line block ×4, first 2 shown]
	v_sub_f32_e32 v31, v49, v103
	v_mul_f32_e32 v30, v102, v30
	v_sub_f32_e32 v31, v37, v31
	v_add_f32_e32 v30, v31, v30
	v_add_f32_e32 v37, v49, v30
	v_mul_f32_e32 v50, v37, v37
	v_mov_b32_e32 v31, 0x3ecc95a3
	v_sub_f32_e32 v49, v37, v49
	v_fmac_f32_e32 v31, 0x3e9b6dac, v50
	v_sub_f32_e32 v30, v30, v49
	v_fmaak_f32 v31, v50, v31, 0x3f2aaada
	v_ldexp_f32 v96, v30, 1
	v_mul_f32_e32 v49, v37, v50
	v_mov_b32_e32 v30, 0x3f317218
	v_pk_mul_f32 v[30:31], v[48:49], v[30:31]
	v_ldexp_f32 v51, v37, 1
	v_fma_f32 v37, v48, s50, -v30
	v_fmamk_f32 v50, v48, 0xb102e308, v37
	v_pk_add_f32 v[48:49], v[30:31], v[50:51]
	s_mov_b32 s50, 0x33800000
	v_sub_f32_e32 v37, v49, v51
	v_sub_f32_e32 v37, v31, v37
	v_add_f32_e32 v97, v96, v37
	v_mov_b32_e32 v96, v30
	v_pk_add_f32 v[30:31], v[48:49], v[30:31] neg_lo:[0,1] neg_hi:[0,1]
	v_pk_add_f32 v[100:101], v[48:49], v[96:97]
	v_mov_b32_e32 v51, v48
	v_mov_b32_e32 v31, v101
	v_pk_add_f32 v[102:103], v[50:51], v[30:31] neg_lo:[0,1] neg_hi:[0,1]
	v_pk_add_f32 v[30:31], v[50:51], v[30:31]
	v_mov_b32_e32 v96, v97
	v_mov_b32_e32 v50, v31
	v_pk_add_f32 v[112:113], v[50:51], v[48:49] neg_lo:[0,1] neg_hi:[0,1]
	v_mov_b32_e32 v30, v101
	v_mov_b32_e32 v37, v112
	v_pk_add_f32 v[114:115], v[100:101], v[36:37] neg_lo:[0,1] neg_hi:[0,1]
	v_mov_b32_e32 v100, v49
	v_mov_b32_e32 v101, v112
	;; [unrolled: 1-line block ×3, first 2 shown]
	v_pk_add_f32 v[30:31], v[30:31], v[100:101] neg_lo:[0,1] neg_hi:[0,1]
	v_mov_b32_e32 v97, v48
	v_pk_add_f32 v[30:31], v[96:97], v[30:31] neg_lo:[0,1] neg_hi:[0,1]
	v_mov_b32_e32 v114, v102
	v_pk_add_f32 v[48:49], v[114:115], v[30:31]
	v_cmp_lt_f32_e64 s[50:51], |v39|, s50
	v_mov_b32_e32 v96, v49
	v_pk_add_f32 v[96:97], v[48:49], v[96:97]
	s_or_b64 vcc, vcc, s[50:51]
	v_pk_add_f32 v[50:51], v[50:51], v[96:97]
	v_mov_b32_e32 v31, v96
	v_mov_b32_e32 v49, v50
	v_pk_add_f32 v[100:101], v[48:49], v[102:103] neg_lo:[0,1] neg_hi:[0,1]
	s_nop 0
	v_sub_f32_e32 v37, v48, v100
	v_pk_add_f32 v[30:31], v[30:31], v[100:101] neg_lo:[0,1] neg_hi:[0,1]
	v_sub_f32_e32 v37, v102, v37
	v_add_f32_e32 v30, v30, v37
	v_add_f32_e32 v30, v30, v31
	;; [unrolled: 1-line block ×3, first 2 shown]
	v_cndmask_b32_e32 v30, v30, v39, vcc
	v_add_f32_e32 v30, v38, v30
	v_cvt_f16_f32_e32 v31, v30
	v_cvt_f32_f16_e32 v37, v31
	v_mov_b32_e32 v30, v31
.LBB388_95:
	s_or_b64 exec, exec, s[48:49]
	v_cvt_f32_f16_sdwa v96, v18 dst_sel:DWORD dst_unused:UNUSED_PAD src0_sel:WORD_1
	v_max_f32_e32 v38, v37, v37
	v_cmp_u_f16_e32 vcc, v31, v31
	v_cmp_u_f16_sdwa s[48:49], v18, v18 src0_sel:WORD_1 src1_sel:WORD_1
	v_min_f32_e32 v39, v38, v96
	v_max_f32_e32 v38, v38, v96
	v_cndmask_b32_e32 v39, v39, v37, vcc
	v_cndmask_b32_e32 v38, v38, v37, vcc
	v_cndmask_b32_e64 v39, v39, v96, s[48:49]
	v_cndmask_b32_e64 v38, v38, v96, s[48:49]
	s_movk_i32 s52, 0x1f8
	v_cmp_neq_f32_e32 vcc, v39, v38
	v_cmp_class_f32_e64 s[50:51], v39, s52
	s_or_b64 vcc, vcc, s[50:51]
	s_and_saveexec_b64 s[50:51], vcc
	s_cbranch_execz .LBB388_97
; %bb.96:
	v_sub_f32_e32 v30, v39, v38
	s_mov_b32 s53, 0x3fb8aa3b
	v_mul_f32_e32 v31, 0x3fb8aa3b, v30
	v_fma_f32 v37, v30, s53, -v31
	v_rndne_f32_e32 v39, v31
	v_fmamk_f32 v37, v30, 0x32a5705f, v37
	v_sub_f32_e32 v31, v31, v39
	v_add_f32_e32 v31, v31, v37
	v_exp_f32_e32 v31, v31
	v_cvt_i32_f32_e32 v37, v39
	s_mov_b32 s53, 0xc2ce8ed0
	v_cmp_ngt_f32_e32 vcc, s53, v30
	s_mov_b32 s53, 0x42b17218
	v_ldexp_f32 v31, v31, v37
	v_cndmask_b32_e32 v31, 0, v31, vcc
	v_mov_b32_e32 v37, 0x7f800000
	v_cmp_nlt_f32_e32 vcc, s53, v30
	s_mov_b32 s53, 0x3f2aaaab
	s_mov_b32 s56, 0x7f800000
	v_cndmask_b32_e32 v39, v37, v31, vcc
	v_add_f32_e32 v37, 1.0, v39
	v_add_f32_e32 v30, -1.0, v37
	v_sub_f32_e32 v31, v30, v37
	v_add_f32_e32 v31, 1.0, v31
	v_sub_f32_e32 v30, v39, v30
	v_add_f32_e32 v48, v30, v31
	v_frexp_mant_f32_e32 v49, v37
	v_cvt_f64_f32_e32 v[30:31], v37
	v_frexp_exp_i32_f64_e32 v30, v[30:31]
	v_cmp_gt_f32_e32 vcc, s53, v49
	s_mov_b32 s53, 0x3f317218
	s_nop 0
	v_subbrev_co_u32_e32 v97, vcc, 0, v30, vcc
	v_sub_u32_e32 v30, 0, v97
	v_ldexp_f32 v31, v37, v30
	v_add_f32_e32 v37, -1.0, v31
	v_add_f32_e32 v49, 1.0, v31
	v_ldexp_f32 v30, v48, v30
	v_add_f32_e32 v48, 1.0, v37
	v_add_f32_e32 v50, -1.0, v49
	v_sub_f32_e32 v48, v31, v48
	v_sub_f32_e32 v31, v31, v50
	v_add_f32_e32 v48, v30, v48
	v_add_f32_e32 v30, v30, v31
	;; [unrolled: 1-line block ×3, first 2 shown]
	v_rcp_f32_e32 v103, v98
	v_sub_f32_e32 v31, v49, v98
	v_add_f32_e32 v102, v30, v31
	v_add_f32_e32 v31, v37, v48
	v_sub_f32_e32 v30, v37, v31
	v_mul_f32_e32 v112, v31, v103
	v_add_f32_e32 v37, v48, v30
	v_mul_f32_e32 v48, v98, v112
	v_fma_f32 v50, v112, v98, -v48
	v_fmac_f32_e32 v50, v112, v102
	v_add_f32_e32 v30, v48, v50
	v_sub_f32_e32 v49, v31, v30
	v_pk_add_f32 v[100:101], v[30:31], v[48:49] neg_lo:[0,1] neg_hi:[0,1]
	v_mov_b32_e32 v51, v30
	v_pk_add_f32 v[30:31], v[100:101], v[50:51] neg_lo:[0,1] neg_hi:[0,1]
	v_cmp_eq_f32_e32 vcc, s56, v39
	v_add_f32_e32 v31, v37, v31
	v_add_f32_e32 v30, v30, v31
	;; [unrolled: 1-line block ×3, first 2 shown]
	v_mul_f32_e32 v37, v103, v31
	v_mul_f32_e32 v48, v98, v37
	v_fma_f32 v50, v37, v98, -v48
	v_fmac_f32_e32 v50, v37, v102
	v_sub_f32_e32 v49, v49, v31
	v_add_f32_e32 v98, v30, v49
	v_add_f32_e32 v30, v48, v50
	v_sub_f32_e32 v49, v31, v30
	v_pk_add_f32 v[100:101], v[30:31], v[48:49] neg_lo:[0,1] neg_hi:[0,1]
	v_mov_b32_e32 v51, v30
	v_pk_add_f32 v[30:31], v[100:101], v[50:51] neg_lo:[0,1] neg_hi:[0,1]
	v_cvt_f32_i32_e32 v48, v97
	v_add_f32_e32 v31, v98, v31
	v_add_f32_e32 v30, v30, v31
	;; [unrolled: 1-line block ×4, first 2 shown]
	v_sub_f32_e32 v31, v49, v112
	v_mul_f32_e32 v30, v103, v30
	v_sub_f32_e32 v31, v37, v31
	v_add_f32_e32 v30, v31, v30
	v_add_f32_e32 v37, v49, v30
	v_mul_f32_e32 v50, v37, v37
	v_mov_b32_e32 v31, 0x3ecc95a3
	v_sub_f32_e32 v49, v37, v49
	v_fmac_f32_e32 v31, 0x3e9b6dac, v50
	v_sub_f32_e32 v30, v30, v49
	v_fmaak_f32 v31, v50, v31, 0x3f2aaada
	v_ldexp_f32 v97, v30, 1
	v_mul_f32_e32 v49, v37, v50
	v_mov_b32_e32 v30, 0x3f317218
	v_pk_mul_f32 v[30:31], v[48:49], v[30:31]
	v_ldexp_f32 v51, v37, 1
	v_fma_f32 v37, v48, s53, -v30
	v_fmamk_f32 v50, v48, 0xb102e308, v37
	v_pk_add_f32 v[48:49], v[30:31], v[50:51]
	v_mov_b32_e32 v100, v30
	v_sub_f32_e32 v37, v49, v51
	v_sub_f32_e32 v37, v31, v37
	v_add_f32_e32 v101, v97, v37
	v_pk_add_f32 v[30:31], v[48:49], v[30:31] neg_lo:[0,1] neg_hi:[0,1]
	v_pk_add_f32 v[102:103], v[48:49], v[100:101]
	v_mov_b32_e32 v51, v48
	v_mov_b32_e32 v31, v103
	v_pk_add_f32 v[112:113], v[50:51], v[30:31] neg_lo:[0,1] neg_hi:[0,1]
	v_pk_add_f32 v[30:31], v[50:51], v[30:31]
	v_mov_b32_e32 v100, v101
	v_mov_b32_e32 v50, v31
	v_pk_add_f32 v[114:115], v[50:51], v[48:49] neg_lo:[0,1] neg_hi:[0,1]
	v_mov_b32_e32 v30, v103
	v_mov_b32_e32 v37, v114
	v_pk_add_f32 v[116:117], v[102:103], v[36:37] neg_lo:[0,1] neg_hi:[0,1]
	v_mov_b32_e32 v102, v49
	v_mov_b32_e32 v103, v114
	;; [unrolled: 1-line block ×3, first 2 shown]
	v_pk_add_f32 v[30:31], v[30:31], v[102:103] neg_lo:[0,1] neg_hi:[0,1]
	v_mov_b32_e32 v101, v48
	v_pk_add_f32 v[30:31], v[100:101], v[30:31] neg_lo:[0,1] neg_hi:[0,1]
	v_mov_b32_e32 v116, v112
	v_pk_add_f32 v[48:49], v[116:117], v[30:31]
	s_mov_b32 s53, 0x33800000
	v_mov_b32_e32 v98, v49
	v_pk_add_f32 v[100:101], v[48:49], v[98:99]
	v_cmp_lt_f32_e64 s[56:57], |v39|, s53
	v_pk_add_f32 v[50:51], v[50:51], v[100:101]
	v_mov_b32_e32 v31, v100
	v_mov_b32_e32 v49, v50
	v_pk_add_f32 v[102:103], v[48:49], v[112:113] neg_lo:[0,1] neg_hi:[0,1]
	s_or_b64 vcc, vcc, s[56:57]
	v_sub_f32_e32 v37, v48, v102
	v_pk_add_f32 v[30:31], v[30:31], v[102:103] neg_lo:[0,1] neg_hi:[0,1]
	v_sub_f32_e32 v37, v112, v37
	v_add_f32_e32 v30, v30, v37
	v_add_f32_e32 v30, v30, v31
	;; [unrolled: 1-line block ×3, first 2 shown]
	v_cndmask_b32_e32 v30, v30, v39, vcc
	v_add_f32_e32 v30, v38, v30
	v_cvt_f16_f32_e32 v31, v30
	v_cvt_f32_f16_e32 v37, v31
	v_mov_b32_e32 v30, v31
.LBB388_97:
	s_or_b64 exec, exec, s[50:51]
	v_cvt_f32_f16_e32 v97, v19
	v_max_f32_e32 v38, v37, v37
	v_cmp_u_f16_e32 vcc, v31, v31
	v_cmp_u_f16_e64 s[50:51], v19, v19
	v_min_f32_e32 v39, v38, v97
	v_max_f32_e32 v38, v38, v97
	v_cndmask_b32_e32 v39, v39, v37, vcc
	v_cndmask_b32_e32 v38, v38, v37, vcc
	v_cndmask_b32_e64 v39, v39, v97, s[50:51]
	v_cndmask_b32_e64 v38, v38, v97, s[50:51]
	v_cmp_neq_f32_e32 vcc, v39, v38
	v_cmp_class_f32_e64 s[52:53], v39, s52
	s_or_b64 vcc, vcc, s[52:53]
	s_and_saveexec_b64 s[52:53], vcc
	s_cbranch_execz .LBB388_99
; %bb.98:
	v_sub_f32_e32 v30, v39, v38
	s_mov_b32 s56, 0x3fb8aa3b
	v_mul_f32_e32 v31, 0x3fb8aa3b, v30
	v_fma_f32 v37, v30, s56, -v31
	v_rndne_f32_e32 v39, v31
	v_fmamk_f32 v37, v30, 0x32a5705f, v37
	v_sub_f32_e32 v31, v31, v39
	v_add_f32_e32 v31, v31, v37
	v_exp_f32_e32 v31, v31
	v_cvt_i32_f32_e32 v37, v39
	s_mov_b32 s56, 0xc2ce8ed0
	v_cmp_ngt_f32_e32 vcc, s56, v30
	s_mov_b32 s56, 0x42b17218
	v_ldexp_f32 v31, v31, v37
	v_cndmask_b32_e32 v31, 0, v31, vcc
	v_mov_b32_e32 v37, 0x7f800000
	v_cmp_nlt_f32_e32 vcc, s56, v30
	s_mov_b32 s56, 0x3f2aaaab
	s_mov_b32 s57, 0x7f800000
	v_cndmask_b32_e32 v39, v37, v31, vcc
	v_add_f32_e32 v37, 1.0, v39
	v_add_f32_e32 v30, -1.0, v37
	v_sub_f32_e32 v31, v30, v37
	v_add_f32_e32 v31, 1.0, v31
	v_sub_f32_e32 v30, v39, v30
	v_add_f32_e32 v48, v30, v31
	v_frexp_mant_f32_e32 v49, v37
	v_cvt_f64_f32_e32 v[30:31], v37
	v_frexp_exp_i32_f64_e32 v30, v[30:31]
	v_cmp_gt_f32_e32 vcc, s56, v49
	s_mov_b32 s56, 0x3f317218
	s_nop 0
	v_subbrev_co_u32_e32 v98, vcc, 0, v30, vcc
	v_sub_u32_e32 v30, 0, v98
	v_ldexp_f32 v31, v37, v30
	v_add_f32_e32 v37, -1.0, v31
	v_add_f32_e32 v49, 1.0, v31
	v_ldexp_f32 v30, v48, v30
	v_add_f32_e32 v48, 1.0, v37
	v_add_f32_e32 v50, -1.0, v49
	v_sub_f32_e32 v48, v31, v48
	v_sub_f32_e32 v31, v31, v50
	v_add_f32_e32 v48, v30, v48
	v_add_f32_e32 v30, v30, v31
	;; [unrolled: 1-line block ×3, first 2 shown]
	v_rcp_f32_e32 v112, v102
	v_sub_f32_e32 v31, v49, v102
	v_add_f32_e32 v103, v30, v31
	v_add_f32_e32 v31, v37, v48
	v_sub_f32_e32 v30, v37, v31
	v_mul_f32_e32 v113, v31, v112
	v_add_f32_e32 v37, v48, v30
	v_mul_f32_e32 v48, v102, v113
	v_fma_f32 v50, v113, v102, -v48
	v_fmac_f32_e32 v50, v113, v103
	v_add_f32_e32 v30, v48, v50
	v_sub_f32_e32 v49, v31, v30
	v_pk_add_f32 v[100:101], v[30:31], v[48:49] neg_lo:[0,1] neg_hi:[0,1]
	v_mov_b32_e32 v51, v30
	v_pk_add_f32 v[30:31], v[100:101], v[50:51] neg_lo:[0,1] neg_hi:[0,1]
	v_cmp_eq_f32_e32 vcc, s57, v39
	v_add_f32_e32 v31, v37, v31
	v_add_f32_e32 v30, v30, v31
	;; [unrolled: 1-line block ×3, first 2 shown]
	v_mul_f32_e32 v37, v112, v31
	v_mul_f32_e32 v48, v102, v37
	v_fma_f32 v50, v37, v102, -v48
	v_fmac_f32_e32 v50, v37, v103
	v_sub_f32_e32 v49, v49, v31
	v_add_f32_e32 v102, v30, v49
	v_add_f32_e32 v30, v48, v50
	v_sub_f32_e32 v49, v31, v30
	v_pk_add_f32 v[100:101], v[30:31], v[48:49] neg_lo:[0,1] neg_hi:[0,1]
	v_mov_b32_e32 v51, v30
	v_pk_add_f32 v[30:31], v[100:101], v[50:51] neg_lo:[0,1] neg_hi:[0,1]
	v_cvt_f32_i32_e32 v48, v98
	v_add_f32_e32 v31, v102, v31
	v_add_f32_e32 v30, v30, v31
	;; [unrolled: 1-line block ×4, first 2 shown]
	v_sub_f32_e32 v31, v49, v113
	v_mul_f32_e32 v30, v112, v30
	v_sub_f32_e32 v31, v37, v31
	v_add_f32_e32 v30, v31, v30
	v_add_f32_e32 v37, v49, v30
	v_mul_f32_e32 v50, v37, v37
	v_mov_b32_e32 v31, 0x3ecc95a3
	v_sub_f32_e32 v49, v37, v49
	v_fmac_f32_e32 v31, 0x3e9b6dac, v50
	v_sub_f32_e32 v30, v30, v49
	v_fmaak_f32 v31, v50, v31, 0x3f2aaada
	v_ldexp_f32 v98, v30, 1
	v_mul_f32_e32 v49, v37, v50
	v_mov_b32_e32 v30, 0x3f317218
	v_pk_mul_f32 v[30:31], v[48:49], v[30:31]
	v_ldexp_f32 v51, v37, 1
	v_fma_f32 v37, v48, s56, -v30
	v_fmamk_f32 v50, v48, 0xb102e308, v37
	v_pk_add_f32 v[48:49], v[30:31], v[50:51]
	v_mov_b32_e32 v100, v30
	v_sub_f32_e32 v37, v49, v51
	v_sub_f32_e32 v37, v31, v37
	v_add_f32_e32 v101, v98, v37
	v_pk_add_f32 v[30:31], v[48:49], v[30:31] neg_lo:[0,1] neg_hi:[0,1]
	v_pk_add_f32 v[102:103], v[48:49], v[100:101]
	v_mov_b32_e32 v51, v48
	v_mov_b32_e32 v31, v103
	v_pk_add_f32 v[112:113], v[50:51], v[30:31] neg_lo:[0,1] neg_hi:[0,1]
	v_pk_add_f32 v[30:31], v[50:51], v[30:31]
	v_mov_b32_e32 v100, v101
	v_mov_b32_e32 v50, v31
	v_pk_add_f32 v[114:115], v[50:51], v[48:49] neg_lo:[0,1] neg_hi:[0,1]
	v_mov_b32_e32 v30, v103
	v_mov_b32_e32 v37, v114
	v_pk_add_f32 v[116:117], v[102:103], v[36:37] neg_lo:[0,1] neg_hi:[0,1]
	v_mov_b32_e32 v102, v49
	v_mov_b32_e32 v103, v114
	;; [unrolled: 1-line block ×3, first 2 shown]
	v_pk_add_f32 v[30:31], v[30:31], v[102:103] neg_lo:[0,1] neg_hi:[0,1]
	v_mov_b32_e32 v101, v48
	v_pk_add_f32 v[30:31], v[100:101], v[30:31] neg_lo:[0,1] neg_hi:[0,1]
	v_mov_b32_e32 v116, v112
	v_pk_add_f32 v[48:49], v[116:117], v[30:31]
	s_mov_b32 s56, 0x33800000
	v_mov_b32_e32 v98, v49
	v_pk_add_f32 v[100:101], v[48:49], v[98:99]
	v_cmp_lt_f32_e64 s[56:57], |v39|, s56
	v_pk_add_f32 v[50:51], v[50:51], v[100:101]
	v_mov_b32_e32 v31, v100
	v_mov_b32_e32 v49, v50
	v_pk_add_f32 v[102:103], v[48:49], v[112:113] neg_lo:[0,1] neg_hi:[0,1]
	s_or_b64 vcc, vcc, s[56:57]
	v_sub_f32_e32 v37, v48, v102
	v_pk_add_f32 v[30:31], v[30:31], v[102:103] neg_lo:[0,1] neg_hi:[0,1]
	v_sub_f32_e32 v37, v112, v37
	v_add_f32_e32 v30, v30, v37
	v_add_f32_e32 v30, v30, v31
	;; [unrolled: 1-line block ×3, first 2 shown]
	v_cndmask_b32_e32 v30, v30, v39, vcc
	v_add_f32_e32 v30, v38, v30
	v_cvt_f16_f32_e32 v31, v30
	v_cvt_f32_f16_e32 v37, v31
	v_mov_b32_e32 v30, v31
.LBB388_99:
	s_or_b64 exec, exec, s[52:53]
	v_cvt_f32_f16_sdwa v98, v19 dst_sel:DWORD dst_unused:UNUSED_PAD src0_sel:WORD_1
	v_max_f32_e32 v39, v37, v37
	v_cmp_u_f16_e32 vcc, v31, v31
	v_cmp_u_f16_sdwa s[52:53], v19, v19 src0_sel:WORD_1 src1_sel:WORD_1
	v_min_f32_e32 v38, v39, v98
	v_cndmask_b32_e32 v31, v38, v37, vcc
	v_cndmask_b32_e64 v38, v31, v98, s[52:53]
	v_max_f32_e32 v31, v39, v98
	v_cndmask_b32_e32 v31, v31, v37, vcc
	v_cndmask_b32_e64 v31, v31, v98, s[52:53]
	s_movk_i32 s56, 0x1f8
	v_cmp_neq_f32_e32 vcc, v38, v31
	v_cmp_class_f32_e64 s[56:57], v38, s56
	s_or_b64 vcc, vcc, s[56:57]
	s_and_saveexec_b64 s[56:57], vcc
	s_cbranch_execz .LBB388_101
; %bb.100:
	v_sub_f32_e32 v30, v38, v31
	s_mov_b32 s58, 0x3fb8aa3b
	v_mul_f32_e32 v37, 0x3fb8aa3b, v30
	v_fma_f32 v38, v30, s58, -v37
	v_rndne_f32_e32 v39, v37
	v_fmamk_f32 v38, v30, 0x32a5705f, v38
	v_sub_f32_e32 v37, v37, v39
	v_add_f32_e32 v37, v37, v38
	v_exp_f32_e32 v37, v37
	v_cvt_i32_f32_e32 v38, v39
	s_mov_b32 s58, 0xc2ce8ed0
	v_cmp_ngt_f32_e32 vcc, s58, v30
	s_mov_b32 s58, 0x42b17218
	v_ldexp_f32 v37, v37, v38
	v_cndmask_b32_e32 v37, 0, v37, vcc
	v_mov_b32_e32 v38, 0x7f800000
	v_cmp_nlt_f32_e32 vcc, s58, v30
	s_mov_b32 s58, 0x3f2aaaab
	s_mov_b32 s59, 0x7f800000
	v_cndmask_b32_e32 v116, v38, v37, vcc
	v_add_f32_e32 v30, 1.0, v116
	v_add_f32_e32 v37, -1.0, v30
	v_sub_f32_e32 v38, v37, v30
	v_add_f32_e32 v38, 1.0, v38
	v_sub_f32_e32 v37, v116, v37
	v_add_f32_e32 v37, v37, v38
	v_frexp_mant_f32_e32 v48, v30
	v_cvt_f64_f32_e32 v[38:39], v30
	v_frexp_exp_i32_f64_e32 v38, v[38:39]
	v_cmp_gt_f32_e32 vcc, s58, v48
	s_mov_b32 s58, 0x3f317218
	s_nop 0
	v_subbrev_co_u32_e32 v102, vcc, 0, v38, vcc
	v_sub_u32_e32 v38, 0, v102
	v_ldexp_f32 v30, v30, v38
	v_ldexp_f32 v37, v37, v38
	v_add_f32_e32 v38, -1.0, v30
	v_add_f32_e32 v39, 1.0, v38
	v_sub_f32_e32 v39, v30, v39
	v_add_f32_e32 v48, v37, v39
	v_add_f32_e32 v39, 1.0, v30
	v_add_f32_e32 v49, -1.0, v39
	v_sub_f32_e32 v30, v30, v49
	v_add_f32_e32 v30, v37, v30
	v_add_f32_e32 v37, v39, v30
	v_rcp_f32_e32 v103, v37
	v_sub_f32_e32 v39, v39, v37
	v_add_f32_e32 v30, v30, v39
	v_add_f32_e32 v39, v38, v48
	v_sub_f32_e32 v38, v38, v39
	v_mul_f32_e32 v113, v39, v103
	v_add_f32_e32 v112, v48, v38
	v_mul_f32_e32 v48, v37, v113
	v_fma_f32 v50, v113, v37, -v48
	v_fmac_f32_e32 v50, v113, v30
	v_add_f32_e32 v38, v48, v50
	v_sub_f32_e32 v49, v39, v38
	v_pk_add_f32 v[100:101], v[38:39], v[48:49] neg_lo:[0,1] neg_hi:[0,1]
	v_mov_b32_e32 v51, v38
	v_pk_add_f32 v[38:39], v[100:101], v[50:51] neg_lo:[0,1] neg_hi:[0,1]
	v_cmp_eq_f32_e32 vcc, s59, v116
	v_add_f32_e32 v39, v112, v39
	v_add_f32_e32 v38, v38, v39
	v_add_f32_e32 v39, v49, v38
	v_mul_f32_e32 v112, v103, v39
	v_mul_f32_e32 v48, v37, v112
	v_fma_f32 v50, v112, v37, -v48
	v_fmac_f32_e32 v50, v112, v30
	v_sub_f32_e32 v30, v49, v39
	v_add_f32_e32 v30, v38, v30
	v_add_f32_e32 v38, v48, v50
	v_sub_f32_e32 v49, v39, v38
	v_pk_add_f32 v[100:101], v[38:39], v[48:49] neg_lo:[0,1] neg_hi:[0,1]
	v_mov_b32_e32 v51, v38
	v_pk_add_f32 v[38:39], v[100:101], v[50:51] neg_lo:[0,1] neg_hi:[0,1]
	v_add_f32_e32 v37, v113, v112
	v_add_f32_e32 v30, v30, v39
	;; [unrolled: 1-line block ×4, first 2 shown]
	v_sub_f32_e32 v38, v37, v113
	v_mul_f32_e32 v30, v103, v30
	v_sub_f32_e32 v38, v112, v38
	v_add_f32_e32 v30, v38, v30
	v_add_f32_e32 v38, v37, v30
	v_cvt_f32_i32_e32 v48, v102
	v_mul_f32_e32 v49, v38, v38
	v_mov_b32_e32 v39, 0x3ecc95a3
	v_fmac_f32_e32 v39, 0x3e9b6dac, v49
	v_fmaak_f32 v39, v49, v39, 0x3f2aaada
	v_sub_f32_e32 v37, v38, v37
	v_ldexp_f32 v51, v38, 1
	v_mul_f32_e32 v49, v38, v49
	v_mov_b32_e32 v38, 0x3f317218
	v_pk_mul_f32 v[38:39], v[48:49], v[38:39]
	v_sub_f32_e32 v30, v30, v37
	v_fma_f32 v37, v48, s58, -v38
	v_fmamk_f32 v50, v48, 0xb102e308, v37
	v_pk_add_f32 v[48:49], v[38:39], v[50:51]
	v_ldexp_f32 v30, v30, 1
	v_sub_f32_e32 v37, v49, v51
	v_sub_f32_e32 v37, v39, v37
	v_add_f32_e32 v101, v30, v37
	v_mov_b32_e32 v100, v38
	v_pk_add_f32 v[38:39], v[48:49], v[38:39] neg_lo:[0,1] neg_hi:[0,1]
	v_pk_add_f32 v[102:103], v[48:49], v[100:101]
	v_mov_b32_e32 v51, v48
	v_mov_b32_e32 v39, v103
	v_pk_add_f32 v[112:113], v[50:51], v[38:39] neg_lo:[0,1] neg_hi:[0,1]
	v_pk_add_f32 v[38:39], v[50:51], v[38:39]
	s_mov_b32 s58, 0x33800000
	v_mov_b32_e32 v30, v39
	v_pk_add_f32 v[50:51], v[30:31], v[48:49] neg_lo:[0,1] neg_hi:[0,1]
	v_mov_b32_e32 v38, v103
	v_mov_b32_e32 v37, v50
	v_pk_add_f32 v[114:115], v[102:103], v[36:37] neg_lo:[0,1] neg_hi:[0,1]
	v_mov_b32_e32 v102, v49
	v_mov_b32_e32 v103, v50
	;; [unrolled: 1-line block ×3, first 2 shown]
	v_pk_add_f32 v[38:39], v[38:39], v[102:103] neg_lo:[0,1] neg_hi:[0,1]
	v_mov_b32_e32 v50, v101
	v_mov_b32_e32 v51, v48
	v_pk_add_f32 v[38:39], v[50:51], v[38:39] neg_lo:[0,1] neg_hi:[0,1]
	v_mov_b32_e32 v114, v112
	v_pk_add_f32 v[48:49], v[114:115], v[38:39]
	v_cmp_lt_f32_e64 s[58:59], |v116|, s58
	v_mov_b32_e32 v50, v49
	v_pk_add_f32 v[50:51], v[48:49], v[50:51]
	s_or_b64 vcc, vcc, s[58:59]
	v_pk_add_f32 v[100:101], v[30:31], v[50:51]
	v_mov_b32_e32 v39, v50
	v_mov_b32_e32 v49, v100
	v_pk_add_f32 v[102:103], v[48:49], v[112:113] neg_lo:[0,1] neg_hi:[0,1]
	s_nop 0
	v_sub_f32_e32 v30, v48, v102
	v_pk_add_f32 v[38:39], v[38:39], v[102:103] neg_lo:[0,1] neg_hi:[0,1]
	v_sub_f32_e32 v30, v112, v30
	v_add_f32_e32 v30, v38, v30
	v_add_f32_e32 v30, v30, v39
	;; [unrolled: 1-line block ×3, first 2 shown]
	v_cndmask_b32_e32 v30, v30, v116, vcc
	v_add_f32_e32 v30, v31, v30
	v_cvt_f16_f32_e32 v30, v30
.LBB388_101:
	s_or_b64 exec, exec, s[56:57]
	v_mbcnt_lo_u32_b32 v31, -1, 0
	v_mbcnt_hi_u32_b32 v37, -1, v31
	v_and_b32_e32 v31, 15, v37
	v_and_b32_e32 v38, 0xffff, v30
	v_cmp_ne_u32_e32 vcc, 0, v31
	s_nop 0
	v_mov_b32_dpp v39, v38 row_shr:1 row_mask:0xf bank_mask:0xf
	s_and_saveexec_b64 s[58:59], vcc
	s_cbranch_execz .LBB388_105
; %bb.102:
	v_cvt_f32_f16_e32 v48, v39
	v_cvt_f32_f16_e32 v49, v30
	v_cmp_u_f16_e32 vcc, v39, v39
	v_cmp_u_f16_e64 s[56:57], v30, v30
	v_min_f32_e32 v38, v48, v49
	v_max_f32_e32 v30, v48, v49
	v_cndmask_b32_e32 v38, v38, v48, vcc
	v_cndmask_b32_e32 v30, v30, v48, vcc
	v_cndmask_b32_e64 v38, v38, v49, s[56:57]
	v_cndmask_b32_e64 v30, v30, v49, s[56:57]
	s_movk_i32 s56, 0x1f8
	v_cmp_neq_f32_e32 vcc, v38, v30
	v_cmp_class_f32_e64 s[56:57], v38, s56
	s_or_b64 vcc, vcc, s[56:57]
	s_and_saveexec_b64 s[56:57], vcc
	s_cbranch_execz .LBB388_104
; %bb.103:
	v_sub_f32_e32 v38, v38, v30
	s_mov_b32 s60, 0x3fb8aa3b
	v_mul_f32_e32 v39, 0x3fb8aa3b, v38
	v_fma_f32 v48, v38, s60, -v39
	v_rndne_f32_e32 v49, v39
	v_fmamk_f32 v48, v38, 0x32a5705f, v48
	v_sub_f32_e32 v39, v39, v49
	v_add_f32_e32 v39, v39, v48
	v_exp_f32_e32 v39, v39
	v_cvt_i32_f32_e32 v48, v49
	s_mov_b32 s60, 0xc2ce8ed0
	v_cmp_ngt_f32_e32 vcc, s60, v38
	s_mov_b32 s60, 0x42b17218
	v_ldexp_f32 v39, v39, v48
	v_cndmask_b32_e32 v39, 0, v39, vcc
	v_mov_b32_e32 v48, 0x7f800000
	v_cmp_nlt_f32_e32 vcc, s60, v38
	s_mov_b32 s60, 0x3f2aaaab
	s_mov_b32 s61, 0x7f800000
	v_cndmask_b32_e32 v118, v48, v39, vcc
	v_add_f32_e32 v48, 1.0, v118
	v_add_f32_e32 v38, -1.0, v48
	v_sub_f32_e32 v39, v38, v48
	v_add_f32_e32 v39, 1.0, v39
	v_sub_f32_e32 v38, v118, v38
	v_add_f32_e32 v49, v38, v39
	v_frexp_mant_f32_e32 v50, v48
	v_cvt_f64_f32_e32 v[38:39], v48
	v_frexp_exp_i32_f64_e32 v38, v[38:39]
	v_cmp_gt_f32_e32 vcc, s60, v50
	s_mov_b32 s60, 0x3f317218
	s_nop 0
	v_subbrev_co_u32_e32 v102, vcc, 0, v38, vcc
	v_sub_u32_e32 v38, 0, v102
	v_ldexp_f32 v39, v48, v38
	v_add_f32_e32 v48, -1.0, v39
	v_add_f32_e32 v50, 1.0, v39
	v_ldexp_f32 v38, v49, v38
	v_add_f32_e32 v49, 1.0, v48
	v_add_f32_e32 v51, -1.0, v50
	v_sub_f32_e32 v49, v39, v49
	v_sub_f32_e32 v39, v39, v51
	v_add_f32_e32 v49, v38, v49
	v_add_f32_e32 v38, v38, v39
	;; [unrolled: 1-line block ×3, first 2 shown]
	v_rcp_f32_e32 v113, v103
	v_sub_f32_e32 v39, v50, v103
	v_add_f32_e32 v112, v38, v39
	v_add_f32_e32 v39, v48, v49
	v_mul_f32_e32 v115, v39, v113
	v_sub_f32_e32 v38, v48, v39
	v_mul_f32_e32 v48, v103, v115
	v_fma_f32 v50, v115, v103, -v48
	v_fmac_f32_e32 v50, v115, v112
	v_add_f32_e32 v114, v49, v38
	v_add_f32_e32 v38, v48, v50
	v_sub_f32_e32 v49, v39, v38
	v_pk_add_f32 v[100:101], v[38:39], v[48:49] neg_lo:[0,1] neg_hi:[0,1]
	v_mov_b32_e32 v51, v38
	v_pk_add_f32 v[38:39], v[100:101], v[50:51] neg_lo:[0,1] neg_hi:[0,1]
	v_cmp_eq_f32_e32 vcc, s61, v118
	v_add_f32_e32 v39, v114, v39
	v_add_f32_e32 v38, v38, v39
	;; [unrolled: 1-line block ×3, first 2 shown]
	v_mul_f32_e32 v114, v113, v39
	v_mul_f32_e32 v48, v103, v114
	v_fma_f32 v50, v114, v103, -v48
	v_fmac_f32_e32 v50, v114, v112
	v_sub_f32_e32 v49, v49, v39
	v_add_f32_e32 v103, v38, v49
	v_add_f32_e32 v38, v48, v50
	v_sub_f32_e32 v49, v39, v38
	v_pk_add_f32 v[100:101], v[38:39], v[48:49] neg_lo:[0,1] neg_hi:[0,1]
	v_mov_b32_e32 v51, v38
	v_pk_add_f32 v[38:39], v[100:101], v[50:51] neg_lo:[0,1] neg_hi:[0,1]
	v_cvt_f32_i32_e32 v48, v102
	v_add_f32_e32 v39, v103, v39
	v_add_f32_e32 v38, v38, v39
	;; [unrolled: 1-line block ×4, first 2 shown]
	v_sub_f32_e32 v39, v49, v115
	v_mul_f32_e32 v38, v113, v38
	v_sub_f32_e32 v39, v114, v39
	v_add_f32_e32 v38, v39, v38
	v_add_f32_e32 v50, v49, v38
	v_mul_f32_e32 v100, v50, v50
	v_mov_b32_e32 v39, 0x3ecc95a3
	v_sub_f32_e32 v49, v50, v49
	v_fmac_f32_e32 v39, 0x3e9b6dac, v100
	v_sub_f32_e32 v38, v38, v49
	v_fmaak_f32 v39, v100, v39, 0x3f2aaada
	v_ldexp_f32 v101, v38, 1
	v_mul_f32_e32 v49, v50, v100
	v_mov_b32_e32 v38, 0x3f317218
	v_pk_mul_f32 v[38:39], v[48:49], v[38:39]
	v_ldexp_f32 v51, v50, 1
	v_fma_f32 v49, v48, s60, -v38
	v_fmamk_f32 v50, v48, 0xb102e308, v49
	v_pk_add_f32 v[48:49], v[38:39], v[50:51]
	v_mov_b32_e32 v100, v38
	v_sub_f32_e32 v51, v49, v51
	v_sub_f32_e32 v51, v39, v51
	v_add_f32_e32 v101, v101, v51
	v_pk_add_f32 v[38:39], v[48:49], v[38:39] neg_lo:[0,1] neg_hi:[0,1]
	v_pk_add_f32 v[102:103], v[48:49], v[100:101]
	v_mov_b32_e32 v51, v48
	v_mov_b32_e32 v39, v103
	v_pk_add_f32 v[112:113], v[50:51], v[38:39] neg_lo:[0,1] neg_hi:[0,1]
	v_pk_add_f32 v[38:39], v[50:51], v[38:39]
	v_mov_b32_e32 v100, v101
	v_mov_b32_e32 v50, v39
	v_pk_add_f32 v[114:115], v[50:51], v[48:49] neg_lo:[0,1] neg_hi:[0,1]
	v_mov_b32_e32 v38, v103
	v_mov_b32_e32 v51, v114
	v_pk_add_f32 v[116:117], v[102:103], v[50:51] neg_lo:[0,1] neg_hi:[0,1]
	v_mov_b32_e32 v102, v49
	v_mov_b32_e32 v103, v114
	;; [unrolled: 1-line block ×3, first 2 shown]
	v_pk_add_f32 v[38:39], v[38:39], v[102:103] neg_lo:[0,1] neg_hi:[0,1]
	v_mov_b32_e32 v101, v48
	v_pk_add_f32 v[38:39], v[100:101], v[38:39] neg_lo:[0,1] neg_hi:[0,1]
	v_mov_b32_e32 v116, v112
	v_pk_add_f32 v[48:49], v[116:117], v[38:39]
	s_mov_b32 s60, 0x33800000
	v_mov_b32_e32 v100, v49
	v_pk_add_f32 v[100:101], v[48:49], v[100:101]
	v_cmp_lt_f32_e64 s[60:61], |v118|, s60
	v_pk_add_f32 v[50:51], v[50:51], v[100:101]
	v_mov_b32_e32 v39, v100
	v_mov_b32_e32 v49, v50
	v_pk_add_f32 v[102:103], v[48:49], v[112:113] neg_lo:[0,1] neg_hi:[0,1]
	s_or_b64 vcc, vcc, s[60:61]
	v_sub_f32_e32 v48, v48, v102
	v_pk_add_f32 v[38:39], v[38:39], v[102:103] neg_lo:[0,1] neg_hi:[0,1]
	v_sub_f32_e32 v48, v112, v48
	v_add_f32_e32 v38, v38, v48
	v_add_f32_e32 v38, v38, v39
	;; [unrolled: 1-line block ×3, first 2 shown]
	v_cndmask_b32_e32 v38, v38, v118, vcc
	v_add_f32_e32 v30, v30, v38
	v_cvt_f16_f32_e32 v39, v30
.LBB388_104:
	s_or_b64 exec, exec, s[56:57]
	v_and_b32_e32 v38, 0xffff, v39
	v_mov_b32_e32 v30, v39
.LBB388_105:
	s_or_b64 exec, exec, s[58:59]
	v_mov_b32_dpp v39, v38 row_shr:2 row_mask:0xf bank_mask:0xf
	v_cmp_lt_u32_e32 vcc, 1, v31
	s_and_saveexec_b64 s[58:59], vcc
	s_cbranch_execz .LBB388_109
; %bb.106:
	v_cvt_f32_f16_e32 v48, v39
	v_cvt_f32_f16_e32 v49, v30
	v_cmp_u_f16_e32 vcc, v39, v39
	v_cmp_u_f16_e64 s[56:57], v30, v30
	v_min_f32_e32 v38, v48, v49
	v_max_f32_e32 v30, v48, v49
	v_cndmask_b32_e32 v38, v38, v48, vcc
	v_cndmask_b32_e32 v30, v30, v48, vcc
	v_cndmask_b32_e64 v38, v38, v49, s[56:57]
	v_cndmask_b32_e64 v30, v30, v49, s[56:57]
	s_movk_i32 s56, 0x1f8
	v_cmp_neq_f32_e32 vcc, v38, v30
	v_cmp_class_f32_e64 s[56:57], v38, s56
	s_or_b64 vcc, vcc, s[56:57]
	s_and_saveexec_b64 s[56:57], vcc
	s_cbranch_execz .LBB388_108
; %bb.107:
	v_sub_f32_e32 v38, v38, v30
	s_mov_b32 s60, 0x3fb8aa3b
	v_mul_f32_e32 v39, 0x3fb8aa3b, v38
	v_fma_f32 v48, v38, s60, -v39
	v_rndne_f32_e32 v49, v39
	v_fmamk_f32 v48, v38, 0x32a5705f, v48
	v_sub_f32_e32 v39, v39, v49
	v_add_f32_e32 v39, v39, v48
	v_exp_f32_e32 v39, v39
	v_cvt_i32_f32_e32 v48, v49
	s_mov_b32 s60, 0xc2ce8ed0
	v_cmp_ngt_f32_e32 vcc, s60, v38
	s_mov_b32 s60, 0x42b17218
	v_ldexp_f32 v39, v39, v48
	v_cndmask_b32_e32 v39, 0, v39, vcc
	v_mov_b32_e32 v48, 0x7f800000
	v_cmp_nlt_f32_e32 vcc, s60, v38
	s_mov_b32 s60, 0x3f2aaaab
	s_mov_b32 s61, 0x7f800000
	v_cndmask_b32_e32 v118, v48, v39, vcc
	v_add_f32_e32 v48, 1.0, v118
	v_add_f32_e32 v38, -1.0, v48
	v_sub_f32_e32 v39, v38, v48
	v_add_f32_e32 v39, 1.0, v39
	v_sub_f32_e32 v38, v118, v38
	v_add_f32_e32 v49, v38, v39
	v_frexp_mant_f32_e32 v50, v48
	v_cvt_f64_f32_e32 v[38:39], v48
	v_frexp_exp_i32_f64_e32 v38, v[38:39]
	v_cmp_gt_f32_e32 vcc, s60, v50
	s_mov_b32 s60, 0x3f317218
	s_nop 0
	v_subbrev_co_u32_e32 v102, vcc, 0, v38, vcc
	v_sub_u32_e32 v38, 0, v102
	v_ldexp_f32 v39, v48, v38
	v_add_f32_e32 v48, -1.0, v39
	v_add_f32_e32 v50, 1.0, v39
	v_ldexp_f32 v38, v49, v38
	v_add_f32_e32 v49, 1.0, v48
	v_add_f32_e32 v51, -1.0, v50
	v_sub_f32_e32 v49, v39, v49
	v_sub_f32_e32 v39, v39, v51
	v_add_f32_e32 v49, v38, v49
	v_add_f32_e32 v38, v38, v39
	;; [unrolled: 1-line block ×3, first 2 shown]
	v_rcp_f32_e32 v113, v103
	v_sub_f32_e32 v39, v50, v103
	v_add_f32_e32 v112, v38, v39
	v_add_f32_e32 v39, v48, v49
	v_mul_f32_e32 v115, v39, v113
	v_sub_f32_e32 v38, v48, v39
	v_mul_f32_e32 v48, v103, v115
	v_fma_f32 v50, v115, v103, -v48
	v_fmac_f32_e32 v50, v115, v112
	v_add_f32_e32 v114, v49, v38
	v_add_f32_e32 v38, v48, v50
	v_sub_f32_e32 v49, v39, v38
	v_pk_add_f32 v[100:101], v[38:39], v[48:49] neg_lo:[0,1] neg_hi:[0,1]
	v_mov_b32_e32 v51, v38
	v_pk_add_f32 v[38:39], v[100:101], v[50:51] neg_lo:[0,1] neg_hi:[0,1]
	v_cmp_eq_f32_e32 vcc, s61, v118
	v_add_f32_e32 v39, v114, v39
	v_add_f32_e32 v38, v38, v39
	;; [unrolled: 1-line block ×3, first 2 shown]
	v_mul_f32_e32 v114, v113, v39
	v_mul_f32_e32 v48, v103, v114
	v_fma_f32 v50, v114, v103, -v48
	v_fmac_f32_e32 v50, v114, v112
	v_sub_f32_e32 v49, v49, v39
	v_add_f32_e32 v103, v38, v49
	v_add_f32_e32 v38, v48, v50
	v_sub_f32_e32 v49, v39, v38
	v_pk_add_f32 v[100:101], v[38:39], v[48:49] neg_lo:[0,1] neg_hi:[0,1]
	v_mov_b32_e32 v51, v38
	v_pk_add_f32 v[38:39], v[100:101], v[50:51] neg_lo:[0,1] neg_hi:[0,1]
	v_cvt_f32_i32_e32 v48, v102
	v_add_f32_e32 v39, v103, v39
	v_add_f32_e32 v38, v38, v39
	;; [unrolled: 1-line block ×4, first 2 shown]
	v_sub_f32_e32 v39, v49, v115
	v_mul_f32_e32 v38, v113, v38
	v_sub_f32_e32 v39, v114, v39
	v_add_f32_e32 v38, v39, v38
	v_add_f32_e32 v50, v49, v38
	v_mul_f32_e32 v100, v50, v50
	v_mov_b32_e32 v39, 0x3ecc95a3
	v_sub_f32_e32 v49, v50, v49
	v_fmac_f32_e32 v39, 0x3e9b6dac, v100
	v_sub_f32_e32 v38, v38, v49
	v_fmaak_f32 v39, v100, v39, 0x3f2aaada
	v_ldexp_f32 v101, v38, 1
	v_mul_f32_e32 v49, v50, v100
	v_mov_b32_e32 v38, 0x3f317218
	v_pk_mul_f32 v[38:39], v[48:49], v[38:39]
	v_ldexp_f32 v51, v50, 1
	v_fma_f32 v49, v48, s60, -v38
	v_fmamk_f32 v50, v48, 0xb102e308, v49
	v_pk_add_f32 v[48:49], v[38:39], v[50:51]
	v_mov_b32_e32 v100, v38
	v_sub_f32_e32 v51, v49, v51
	v_sub_f32_e32 v51, v39, v51
	v_add_f32_e32 v101, v101, v51
	v_pk_add_f32 v[38:39], v[48:49], v[38:39] neg_lo:[0,1] neg_hi:[0,1]
	v_pk_add_f32 v[102:103], v[48:49], v[100:101]
	v_mov_b32_e32 v51, v48
	v_mov_b32_e32 v39, v103
	v_pk_add_f32 v[112:113], v[50:51], v[38:39] neg_lo:[0,1] neg_hi:[0,1]
	v_pk_add_f32 v[38:39], v[50:51], v[38:39]
	v_mov_b32_e32 v100, v101
	v_mov_b32_e32 v50, v39
	v_pk_add_f32 v[114:115], v[50:51], v[48:49] neg_lo:[0,1] neg_hi:[0,1]
	v_mov_b32_e32 v38, v103
	v_mov_b32_e32 v51, v114
	v_pk_add_f32 v[116:117], v[102:103], v[50:51] neg_lo:[0,1] neg_hi:[0,1]
	v_mov_b32_e32 v102, v49
	v_mov_b32_e32 v103, v114
	;; [unrolled: 1-line block ×3, first 2 shown]
	v_pk_add_f32 v[38:39], v[38:39], v[102:103] neg_lo:[0,1] neg_hi:[0,1]
	v_mov_b32_e32 v101, v48
	v_pk_add_f32 v[38:39], v[100:101], v[38:39] neg_lo:[0,1] neg_hi:[0,1]
	v_mov_b32_e32 v116, v112
	v_pk_add_f32 v[48:49], v[116:117], v[38:39]
	s_mov_b32 s60, 0x33800000
	v_mov_b32_e32 v100, v49
	v_pk_add_f32 v[100:101], v[48:49], v[100:101]
	v_cmp_lt_f32_e64 s[60:61], |v118|, s60
	v_pk_add_f32 v[50:51], v[50:51], v[100:101]
	v_mov_b32_e32 v39, v100
	v_mov_b32_e32 v49, v50
	v_pk_add_f32 v[102:103], v[48:49], v[112:113] neg_lo:[0,1] neg_hi:[0,1]
	s_or_b64 vcc, vcc, s[60:61]
	v_sub_f32_e32 v48, v48, v102
	v_pk_add_f32 v[38:39], v[38:39], v[102:103] neg_lo:[0,1] neg_hi:[0,1]
	v_sub_f32_e32 v48, v112, v48
	v_add_f32_e32 v38, v38, v48
	v_add_f32_e32 v38, v38, v39
	;; [unrolled: 1-line block ×3, first 2 shown]
	v_cndmask_b32_e32 v38, v38, v118, vcc
	v_add_f32_e32 v30, v30, v38
	v_cvt_f16_f32_e32 v39, v30
.LBB388_108:
	s_or_b64 exec, exec, s[56:57]
	v_and_b32_e32 v38, 0xffff, v39
	v_mov_b32_e32 v30, v39
.LBB388_109:
	s_or_b64 exec, exec, s[58:59]
	v_mov_b32_dpp v39, v38 row_shr:4 row_mask:0xf bank_mask:0xf
	v_cmp_lt_u32_e32 vcc, 3, v31
	s_and_saveexec_b64 s[58:59], vcc
	s_cbranch_execz .LBB388_113
; %bb.110:
	v_cvt_f32_f16_e32 v48, v39
	v_cvt_f32_f16_e32 v49, v30
	v_cmp_u_f16_e32 vcc, v39, v39
	v_cmp_u_f16_e64 s[56:57], v30, v30
	v_min_f32_e32 v38, v48, v49
	v_max_f32_e32 v30, v48, v49
	v_cndmask_b32_e32 v38, v38, v48, vcc
	v_cndmask_b32_e32 v30, v30, v48, vcc
	v_cndmask_b32_e64 v38, v38, v49, s[56:57]
	v_cndmask_b32_e64 v30, v30, v49, s[56:57]
	s_movk_i32 s56, 0x1f8
	v_cmp_neq_f32_e32 vcc, v38, v30
	v_cmp_class_f32_e64 s[56:57], v38, s56
	s_or_b64 vcc, vcc, s[56:57]
	s_and_saveexec_b64 s[56:57], vcc
	s_cbranch_execz .LBB388_112
; %bb.111:
	v_sub_f32_e32 v38, v38, v30
	s_mov_b32 s60, 0x3fb8aa3b
	v_mul_f32_e32 v39, 0x3fb8aa3b, v38
	v_fma_f32 v48, v38, s60, -v39
	v_rndne_f32_e32 v49, v39
	v_fmamk_f32 v48, v38, 0x32a5705f, v48
	v_sub_f32_e32 v39, v39, v49
	v_add_f32_e32 v39, v39, v48
	v_exp_f32_e32 v39, v39
	v_cvt_i32_f32_e32 v48, v49
	s_mov_b32 s60, 0xc2ce8ed0
	v_cmp_ngt_f32_e32 vcc, s60, v38
	s_mov_b32 s60, 0x42b17218
	v_ldexp_f32 v39, v39, v48
	v_cndmask_b32_e32 v39, 0, v39, vcc
	v_mov_b32_e32 v48, 0x7f800000
	v_cmp_nlt_f32_e32 vcc, s60, v38
	s_mov_b32 s60, 0x3f2aaaab
	s_mov_b32 s61, 0x7f800000
	v_cndmask_b32_e32 v118, v48, v39, vcc
	v_add_f32_e32 v48, 1.0, v118
	v_add_f32_e32 v38, -1.0, v48
	v_sub_f32_e32 v39, v38, v48
	v_add_f32_e32 v39, 1.0, v39
	v_sub_f32_e32 v38, v118, v38
	v_add_f32_e32 v49, v38, v39
	v_frexp_mant_f32_e32 v50, v48
	v_cvt_f64_f32_e32 v[38:39], v48
	v_frexp_exp_i32_f64_e32 v38, v[38:39]
	v_cmp_gt_f32_e32 vcc, s60, v50
	s_mov_b32 s60, 0x3f317218
	s_nop 0
	v_subbrev_co_u32_e32 v102, vcc, 0, v38, vcc
	v_sub_u32_e32 v38, 0, v102
	v_ldexp_f32 v39, v48, v38
	v_add_f32_e32 v48, -1.0, v39
	v_add_f32_e32 v50, 1.0, v39
	v_ldexp_f32 v38, v49, v38
	v_add_f32_e32 v49, 1.0, v48
	v_add_f32_e32 v51, -1.0, v50
	v_sub_f32_e32 v49, v39, v49
	v_sub_f32_e32 v39, v39, v51
	v_add_f32_e32 v49, v38, v49
	v_add_f32_e32 v38, v38, v39
	;; [unrolled: 1-line block ×3, first 2 shown]
	v_rcp_f32_e32 v113, v103
	v_sub_f32_e32 v39, v50, v103
	v_add_f32_e32 v112, v38, v39
	v_add_f32_e32 v39, v48, v49
	v_mul_f32_e32 v115, v39, v113
	v_sub_f32_e32 v38, v48, v39
	v_mul_f32_e32 v48, v103, v115
	v_fma_f32 v50, v115, v103, -v48
	v_fmac_f32_e32 v50, v115, v112
	v_add_f32_e32 v114, v49, v38
	v_add_f32_e32 v38, v48, v50
	v_sub_f32_e32 v49, v39, v38
	v_pk_add_f32 v[100:101], v[38:39], v[48:49] neg_lo:[0,1] neg_hi:[0,1]
	v_mov_b32_e32 v51, v38
	v_pk_add_f32 v[38:39], v[100:101], v[50:51] neg_lo:[0,1] neg_hi:[0,1]
	v_cmp_eq_f32_e32 vcc, s61, v118
	v_add_f32_e32 v39, v114, v39
	v_add_f32_e32 v38, v38, v39
	;; [unrolled: 1-line block ×3, first 2 shown]
	v_mul_f32_e32 v114, v113, v39
	v_mul_f32_e32 v48, v103, v114
	v_fma_f32 v50, v114, v103, -v48
	v_fmac_f32_e32 v50, v114, v112
	v_sub_f32_e32 v49, v49, v39
	v_add_f32_e32 v103, v38, v49
	v_add_f32_e32 v38, v48, v50
	v_sub_f32_e32 v49, v39, v38
	v_pk_add_f32 v[100:101], v[38:39], v[48:49] neg_lo:[0,1] neg_hi:[0,1]
	v_mov_b32_e32 v51, v38
	v_pk_add_f32 v[38:39], v[100:101], v[50:51] neg_lo:[0,1] neg_hi:[0,1]
	v_cvt_f32_i32_e32 v48, v102
	v_add_f32_e32 v39, v103, v39
	v_add_f32_e32 v38, v38, v39
	;; [unrolled: 1-line block ×4, first 2 shown]
	v_sub_f32_e32 v39, v49, v115
	v_mul_f32_e32 v38, v113, v38
	v_sub_f32_e32 v39, v114, v39
	v_add_f32_e32 v38, v39, v38
	v_add_f32_e32 v50, v49, v38
	v_mul_f32_e32 v100, v50, v50
	v_mov_b32_e32 v39, 0x3ecc95a3
	v_sub_f32_e32 v49, v50, v49
	v_fmac_f32_e32 v39, 0x3e9b6dac, v100
	v_sub_f32_e32 v38, v38, v49
	v_fmaak_f32 v39, v100, v39, 0x3f2aaada
	v_ldexp_f32 v101, v38, 1
	v_mul_f32_e32 v49, v50, v100
	v_mov_b32_e32 v38, 0x3f317218
	v_pk_mul_f32 v[38:39], v[48:49], v[38:39]
	v_ldexp_f32 v51, v50, 1
	v_fma_f32 v49, v48, s60, -v38
	v_fmamk_f32 v50, v48, 0xb102e308, v49
	v_pk_add_f32 v[48:49], v[38:39], v[50:51]
	v_mov_b32_e32 v100, v38
	v_sub_f32_e32 v51, v49, v51
	v_sub_f32_e32 v51, v39, v51
	v_add_f32_e32 v101, v101, v51
	v_pk_add_f32 v[38:39], v[48:49], v[38:39] neg_lo:[0,1] neg_hi:[0,1]
	v_pk_add_f32 v[102:103], v[48:49], v[100:101]
	v_mov_b32_e32 v51, v48
	v_mov_b32_e32 v39, v103
	v_pk_add_f32 v[112:113], v[50:51], v[38:39] neg_lo:[0,1] neg_hi:[0,1]
	v_pk_add_f32 v[38:39], v[50:51], v[38:39]
	v_mov_b32_e32 v100, v101
	v_mov_b32_e32 v50, v39
	v_pk_add_f32 v[114:115], v[50:51], v[48:49] neg_lo:[0,1] neg_hi:[0,1]
	v_mov_b32_e32 v38, v103
	v_mov_b32_e32 v51, v114
	v_pk_add_f32 v[116:117], v[102:103], v[50:51] neg_lo:[0,1] neg_hi:[0,1]
	v_mov_b32_e32 v102, v49
	v_mov_b32_e32 v103, v114
	;; [unrolled: 1-line block ×3, first 2 shown]
	v_pk_add_f32 v[38:39], v[38:39], v[102:103] neg_lo:[0,1] neg_hi:[0,1]
	v_mov_b32_e32 v101, v48
	v_pk_add_f32 v[38:39], v[100:101], v[38:39] neg_lo:[0,1] neg_hi:[0,1]
	v_mov_b32_e32 v116, v112
	v_pk_add_f32 v[48:49], v[116:117], v[38:39]
	s_mov_b32 s60, 0x33800000
	v_mov_b32_e32 v100, v49
	v_pk_add_f32 v[100:101], v[48:49], v[100:101]
	v_cmp_lt_f32_e64 s[60:61], |v118|, s60
	v_pk_add_f32 v[50:51], v[50:51], v[100:101]
	v_mov_b32_e32 v39, v100
	v_mov_b32_e32 v49, v50
	v_pk_add_f32 v[102:103], v[48:49], v[112:113] neg_lo:[0,1] neg_hi:[0,1]
	s_or_b64 vcc, vcc, s[60:61]
	v_sub_f32_e32 v48, v48, v102
	v_pk_add_f32 v[38:39], v[38:39], v[102:103] neg_lo:[0,1] neg_hi:[0,1]
	v_sub_f32_e32 v48, v112, v48
	v_add_f32_e32 v38, v38, v48
	v_add_f32_e32 v38, v38, v39
	;; [unrolled: 1-line block ×3, first 2 shown]
	v_cndmask_b32_e32 v38, v38, v118, vcc
	v_add_f32_e32 v30, v30, v38
	v_cvt_f16_f32_e32 v39, v30
.LBB388_112:
	s_or_b64 exec, exec, s[56:57]
	v_and_b32_e32 v38, 0xffff, v39
	v_mov_b32_e32 v30, v39
.LBB388_113:
	s_or_b64 exec, exec, s[58:59]
	v_mov_b32_dpp v39, v38 row_shr:8 row_mask:0xf bank_mask:0xf
	v_cmp_lt_u32_e32 vcc, 7, v31
	s_and_saveexec_b64 s[58:59], vcc
	s_cbranch_execz .LBB388_117
; %bb.114:
	v_cvt_f32_f16_e32 v38, v39
	v_cvt_f32_f16_e32 v48, v30
	v_cmp_u_f16_e32 vcc, v39, v39
	v_cmp_u_f16_e64 s[56:57], v30, v30
	v_min_f32_e32 v31, v38, v48
	v_max_f32_e32 v30, v38, v48
	v_cndmask_b32_e32 v31, v31, v38, vcc
	v_cndmask_b32_e32 v30, v30, v38, vcc
	v_cndmask_b32_e64 v31, v31, v48, s[56:57]
	v_cndmask_b32_e64 v30, v30, v48, s[56:57]
	s_movk_i32 s56, 0x1f8
	v_cmp_neq_f32_e32 vcc, v31, v30
	v_cmp_class_f32_e64 s[56:57], v31, s56
	s_or_b64 vcc, vcc, s[56:57]
	s_and_saveexec_b64 s[56:57], vcc
	s_cbranch_execz .LBB388_116
; %bb.115:
	v_sub_f32_e32 v31, v31, v30
	s_mov_b32 s60, 0x3fb8aa3b
	v_mul_f32_e32 v38, 0x3fb8aa3b, v31
	v_fma_f32 v39, v31, s60, -v38
	v_rndne_f32_e32 v48, v38
	v_fmamk_f32 v39, v31, 0x32a5705f, v39
	v_sub_f32_e32 v38, v38, v48
	v_add_f32_e32 v38, v38, v39
	v_exp_f32_e32 v38, v38
	v_cvt_i32_f32_e32 v39, v48
	s_mov_b32 s60, 0xc2ce8ed0
	v_cmp_ngt_f32_e32 vcc, s60, v31
	s_mov_b32 s60, 0x42b17218
	v_ldexp_f32 v38, v38, v39
	v_cndmask_b32_e32 v38, 0, v38, vcc
	v_mov_b32_e32 v39, 0x7f800000
	v_cmp_nlt_f32_e32 vcc, s60, v31
	s_mov_b32 s60, 0x3f2aaaab
	s_mov_b32 s61, 0x7f800000
	v_cndmask_b32_e32 v118, v39, v38, vcc
	v_add_f32_e32 v31, 1.0, v118
	v_add_f32_e32 v38, -1.0, v31
	v_sub_f32_e32 v39, v38, v31
	v_add_f32_e32 v39, 1.0, v39
	v_sub_f32_e32 v38, v118, v38
	v_add_f32_e32 v48, v38, v39
	v_frexp_mant_f32_e32 v49, v31
	v_cvt_f64_f32_e32 v[38:39], v31
	v_frexp_exp_i32_f64_e32 v38, v[38:39]
	v_cmp_gt_f32_e32 vcc, s60, v49
	s_mov_b32 s60, 0x3f317218
	s_nop 0
	v_subbrev_co_u32_e32 v102, vcc, 0, v38, vcc
	v_sub_u32_e32 v38, 0, v102
	v_ldexp_f32 v31, v31, v38
	v_ldexp_f32 v38, v48, v38
	v_add_f32_e32 v48, -1.0, v31
	v_add_f32_e32 v39, 1.0, v48
	v_sub_f32_e32 v39, v31, v39
	v_add_f32_e32 v49, v38, v39
	v_add_f32_e32 v39, 1.0, v31
	v_add_f32_e32 v50, -1.0, v39
	v_sub_f32_e32 v31, v31, v50
	v_add_f32_e32 v31, v38, v31
	v_add_f32_e32 v103, v39, v31
	v_rcp_f32_e32 v112, v103
	v_sub_f32_e32 v38, v39, v103
	v_add_f32_e32 v39, v48, v49
	v_add_f32_e32 v31, v31, v38
	v_mul_f32_e32 v114, v39, v112
	v_sub_f32_e32 v38, v48, v39
	v_mul_f32_e32 v48, v103, v114
	v_fma_f32 v50, v114, v103, -v48
	v_fmac_f32_e32 v50, v114, v31
	v_add_f32_e32 v113, v49, v38
	v_add_f32_e32 v38, v48, v50
	v_sub_f32_e32 v49, v39, v38
	v_pk_add_f32 v[100:101], v[38:39], v[48:49] neg_lo:[0,1] neg_hi:[0,1]
	v_mov_b32_e32 v51, v38
	v_pk_add_f32 v[38:39], v[100:101], v[50:51] neg_lo:[0,1] neg_hi:[0,1]
	v_cmp_eq_f32_e32 vcc, s61, v118
	v_add_f32_e32 v39, v113, v39
	v_add_f32_e32 v38, v38, v39
	;; [unrolled: 1-line block ×3, first 2 shown]
	v_mul_f32_e32 v113, v112, v39
	v_mul_f32_e32 v48, v103, v113
	v_fma_f32 v50, v113, v103, -v48
	v_fmac_f32_e32 v50, v113, v31
	v_sub_f32_e32 v31, v49, v39
	v_add_f32_e32 v31, v38, v31
	v_add_f32_e32 v38, v48, v50
	v_sub_f32_e32 v49, v39, v38
	v_pk_add_f32 v[100:101], v[38:39], v[48:49] neg_lo:[0,1] neg_hi:[0,1]
	v_mov_b32_e32 v51, v38
	v_pk_add_f32 v[38:39], v[100:101], v[50:51] neg_lo:[0,1] neg_hi:[0,1]
	v_cvt_f32_i32_e32 v48, v102
	v_add_f32_e32 v31, v31, v39
	v_add_f32_e32 v31, v38, v31
	;; [unrolled: 1-line block ×4, first 2 shown]
	v_sub_f32_e32 v39, v38, v114
	v_mul_f32_e32 v31, v112, v31
	v_sub_f32_e32 v39, v113, v39
	v_add_f32_e32 v31, v39, v31
	v_add_f32_e32 v49, v38, v31
	v_mul_f32_e32 v50, v49, v49
	v_mov_b32_e32 v39, 0x3ecc95a3
	v_fmac_f32_e32 v39, 0x3e9b6dac, v50
	v_sub_f32_e32 v38, v49, v38
	v_fmaak_f32 v39, v50, v39, 0x3f2aaada
	v_sub_f32_e32 v31, v31, v38
	v_ldexp_f32 v51, v49, 1
	v_mul_f32_e32 v49, v49, v50
	v_mov_b32_e32 v38, 0x3f317218
	v_pk_mul_f32 v[38:39], v[48:49], v[38:39]
	v_ldexp_f32 v31, v31, 1
	v_fma_f32 v49, v48, s60, -v38
	v_fmamk_f32 v50, v48, 0xb102e308, v49
	v_pk_add_f32 v[48:49], v[38:39], v[50:51]
	v_mov_b32_e32 v100, v38
	v_sub_f32_e32 v51, v49, v51
	v_sub_f32_e32 v51, v39, v51
	v_add_f32_e32 v101, v31, v51
	v_pk_add_f32 v[38:39], v[48:49], v[38:39] neg_lo:[0,1] neg_hi:[0,1]
	v_pk_add_f32 v[102:103], v[48:49], v[100:101]
	v_mov_b32_e32 v51, v48
	v_mov_b32_e32 v39, v103
	v_pk_add_f32 v[112:113], v[50:51], v[38:39] neg_lo:[0,1] neg_hi:[0,1]
	v_pk_add_f32 v[38:39], v[50:51], v[38:39]
	v_mov_b32_e32 v100, v101
	v_mov_b32_e32 v50, v39
	v_pk_add_f32 v[114:115], v[50:51], v[48:49] neg_lo:[0,1] neg_hi:[0,1]
	v_mov_b32_e32 v38, v103
	v_mov_b32_e32 v31, v114
	v_pk_add_f32 v[116:117], v[102:103], v[30:31] neg_lo:[0,1] neg_hi:[0,1]
	v_mov_b32_e32 v102, v49
	v_mov_b32_e32 v103, v114
	;; [unrolled: 1-line block ×3, first 2 shown]
	v_pk_add_f32 v[38:39], v[38:39], v[102:103] neg_lo:[0,1] neg_hi:[0,1]
	v_mov_b32_e32 v101, v48
	v_pk_add_f32 v[38:39], v[100:101], v[38:39] neg_lo:[0,1] neg_hi:[0,1]
	v_mov_b32_e32 v116, v112
	v_pk_add_f32 v[48:49], v[116:117], v[38:39]
	s_mov_b32 s60, 0x33800000
	v_mov_b32_e32 v100, v49
	v_pk_add_f32 v[100:101], v[48:49], v[100:101]
	v_cmp_lt_f32_e64 s[60:61], |v118|, s60
	v_pk_add_f32 v[50:51], v[50:51], v[100:101]
	v_mov_b32_e32 v39, v100
	v_mov_b32_e32 v49, v50
	v_pk_add_f32 v[102:103], v[48:49], v[112:113] neg_lo:[0,1] neg_hi:[0,1]
	s_or_b64 vcc, vcc, s[60:61]
	v_sub_f32_e32 v31, v48, v102
	v_pk_add_f32 v[38:39], v[38:39], v[102:103] neg_lo:[0,1] neg_hi:[0,1]
	v_sub_f32_e32 v31, v112, v31
	v_add_f32_e32 v31, v38, v31
	v_add_f32_e32 v31, v31, v39
	;; [unrolled: 1-line block ×3, first 2 shown]
	v_cndmask_b32_e32 v31, v31, v118, vcc
	v_add_f32_e32 v30, v30, v31
	v_cvt_f16_f32_e32 v39, v30
.LBB388_116:
	s_or_b64 exec, exec, s[56:57]
	v_and_b32_e32 v38, 0xffff, v39
	v_mov_b32_e32 v30, v39
.LBB388_117:
	s_or_b64 exec, exec, s[58:59]
	v_and_b32_e32 v39, 16, v37
	v_mov_b32_dpp v31, v38 row_bcast:15 row_mask:0xf bank_mask:0xf
	v_cmp_ne_u32_e32 vcc, 0, v39
	s_and_saveexec_b64 s[58:59], vcc
	s_cbranch_execz .LBB388_121
; %bb.118:
	v_cvt_f32_f16_e32 v39, v31
	v_cvt_f32_f16_e32 v48, v30
	v_cmp_u_f16_e32 vcc, v31, v31
	v_cmp_u_f16_e64 s[56:57], v30, v30
	v_min_f32_e32 v38, v39, v48
	v_max_f32_e32 v30, v39, v48
	v_cndmask_b32_e32 v38, v38, v39, vcc
	v_cndmask_b32_e32 v30, v30, v39, vcc
	v_cndmask_b32_e64 v38, v38, v48, s[56:57]
	v_cndmask_b32_e64 v30, v30, v48, s[56:57]
	s_movk_i32 s56, 0x1f8
	v_cmp_neq_f32_e32 vcc, v38, v30
	v_cmp_class_f32_e64 s[56:57], v38, s56
	s_or_b64 vcc, vcc, s[56:57]
	s_and_saveexec_b64 s[56:57], vcc
	s_cbranch_execz .LBB388_120
; %bb.119:
	v_sub_f32_e32 v31, v38, v30
	s_mov_b32 s60, 0x3fb8aa3b
	v_mul_f32_e32 v38, 0x3fb8aa3b, v31
	v_fma_f32 v39, v31, s60, -v38
	v_rndne_f32_e32 v48, v38
	v_fmamk_f32 v39, v31, 0x32a5705f, v39
	v_sub_f32_e32 v38, v38, v48
	v_add_f32_e32 v38, v38, v39
	v_exp_f32_e32 v38, v38
	v_cvt_i32_f32_e32 v39, v48
	s_mov_b32 s60, 0xc2ce8ed0
	v_cmp_ngt_f32_e32 vcc, s60, v31
	s_mov_b32 s60, 0x42b17218
	v_ldexp_f32 v38, v38, v39
	v_cndmask_b32_e32 v38, 0, v38, vcc
	v_mov_b32_e32 v39, 0x7f800000
	v_cmp_nlt_f32_e32 vcc, s60, v31
	s_mov_b32 s60, 0x3f2aaaab
	s_mov_b32 s61, 0x7f800000
	v_cndmask_b32_e32 v118, v39, v38, vcc
	v_add_f32_e32 v31, 1.0, v118
	v_add_f32_e32 v38, -1.0, v31
	v_sub_f32_e32 v39, v38, v31
	v_add_f32_e32 v39, 1.0, v39
	v_sub_f32_e32 v38, v118, v38
	v_add_f32_e32 v48, v38, v39
	v_frexp_mant_f32_e32 v49, v31
	v_cvt_f64_f32_e32 v[38:39], v31
	v_frexp_exp_i32_f64_e32 v38, v[38:39]
	v_cmp_gt_f32_e32 vcc, s60, v49
	s_mov_b32 s60, 0x3f317218
	s_nop 0
	v_subbrev_co_u32_e32 v102, vcc, 0, v38, vcc
	v_sub_u32_e32 v38, 0, v102
	v_ldexp_f32 v31, v31, v38
	v_ldexp_f32 v38, v48, v38
	v_add_f32_e32 v48, -1.0, v31
	v_add_f32_e32 v39, 1.0, v48
	v_sub_f32_e32 v39, v31, v39
	v_add_f32_e32 v49, v38, v39
	v_add_f32_e32 v39, 1.0, v31
	v_add_f32_e32 v50, -1.0, v39
	v_sub_f32_e32 v31, v31, v50
	v_add_f32_e32 v31, v38, v31
	v_add_f32_e32 v103, v39, v31
	v_rcp_f32_e32 v112, v103
	v_sub_f32_e32 v38, v39, v103
	v_add_f32_e32 v39, v48, v49
	v_add_f32_e32 v31, v31, v38
	v_mul_f32_e32 v114, v39, v112
	v_sub_f32_e32 v38, v48, v39
	v_mul_f32_e32 v48, v103, v114
	v_fma_f32 v50, v114, v103, -v48
	v_fmac_f32_e32 v50, v114, v31
	v_add_f32_e32 v113, v49, v38
	v_add_f32_e32 v38, v48, v50
	v_sub_f32_e32 v49, v39, v38
	v_pk_add_f32 v[100:101], v[38:39], v[48:49] neg_lo:[0,1] neg_hi:[0,1]
	v_mov_b32_e32 v51, v38
	v_pk_add_f32 v[38:39], v[100:101], v[50:51] neg_lo:[0,1] neg_hi:[0,1]
	v_cmp_eq_f32_e32 vcc, s61, v118
	v_add_f32_e32 v39, v113, v39
	v_add_f32_e32 v38, v38, v39
	;; [unrolled: 1-line block ×3, first 2 shown]
	v_mul_f32_e32 v113, v112, v39
	v_mul_f32_e32 v48, v103, v113
	v_fma_f32 v50, v113, v103, -v48
	v_fmac_f32_e32 v50, v113, v31
	v_sub_f32_e32 v31, v49, v39
	v_add_f32_e32 v31, v38, v31
	v_add_f32_e32 v38, v48, v50
	v_sub_f32_e32 v49, v39, v38
	v_pk_add_f32 v[100:101], v[38:39], v[48:49] neg_lo:[0,1] neg_hi:[0,1]
	v_mov_b32_e32 v51, v38
	v_pk_add_f32 v[38:39], v[100:101], v[50:51] neg_lo:[0,1] neg_hi:[0,1]
	v_cvt_f32_i32_e32 v48, v102
	v_add_f32_e32 v31, v31, v39
	v_add_f32_e32 v31, v38, v31
	;; [unrolled: 1-line block ×4, first 2 shown]
	v_sub_f32_e32 v39, v38, v114
	v_mul_f32_e32 v31, v112, v31
	v_sub_f32_e32 v39, v113, v39
	v_add_f32_e32 v31, v39, v31
	v_add_f32_e32 v49, v38, v31
	v_mul_f32_e32 v50, v49, v49
	v_mov_b32_e32 v39, 0x3ecc95a3
	v_fmac_f32_e32 v39, 0x3e9b6dac, v50
	v_sub_f32_e32 v38, v49, v38
	v_fmaak_f32 v39, v50, v39, 0x3f2aaada
	v_sub_f32_e32 v31, v31, v38
	v_ldexp_f32 v51, v49, 1
	v_mul_f32_e32 v49, v49, v50
	v_mov_b32_e32 v38, 0x3f317218
	v_pk_mul_f32 v[38:39], v[48:49], v[38:39]
	v_ldexp_f32 v31, v31, 1
	v_fma_f32 v49, v48, s60, -v38
	v_fmamk_f32 v50, v48, 0xb102e308, v49
	v_pk_add_f32 v[48:49], v[38:39], v[50:51]
	v_mov_b32_e32 v100, v38
	v_sub_f32_e32 v51, v49, v51
	v_sub_f32_e32 v51, v39, v51
	v_add_f32_e32 v101, v31, v51
	v_pk_add_f32 v[38:39], v[48:49], v[38:39] neg_lo:[0,1] neg_hi:[0,1]
	v_pk_add_f32 v[102:103], v[48:49], v[100:101]
	v_mov_b32_e32 v51, v48
	v_mov_b32_e32 v39, v103
	v_pk_add_f32 v[112:113], v[50:51], v[38:39] neg_lo:[0,1] neg_hi:[0,1]
	v_pk_add_f32 v[38:39], v[50:51], v[38:39]
	v_mov_b32_e32 v100, v101
	v_mov_b32_e32 v50, v39
	v_pk_add_f32 v[114:115], v[50:51], v[48:49] neg_lo:[0,1] neg_hi:[0,1]
	v_mov_b32_e32 v38, v103
	v_mov_b32_e32 v31, v114
	v_pk_add_f32 v[116:117], v[102:103], v[30:31] neg_lo:[0,1] neg_hi:[0,1]
	v_mov_b32_e32 v102, v49
	v_mov_b32_e32 v103, v114
	;; [unrolled: 1-line block ×3, first 2 shown]
	v_pk_add_f32 v[38:39], v[38:39], v[102:103] neg_lo:[0,1] neg_hi:[0,1]
	v_mov_b32_e32 v101, v48
	v_pk_add_f32 v[38:39], v[100:101], v[38:39] neg_lo:[0,1] neg_hi:[0,1]
	v_mov_b32_e32 v116, v112
	v_pk_add_f32 v[48:49], v[116:117], v[38:39]
	s_mov_b32 s60, 0x33800000
	v_mov_b32_e32 v100, v49
	v_pk_add_f32 v[100:101], v[48:49], v[100:101]
	v_cmp_lt_f32_e64 s[60:61], |v118|, s60
	v_pk_add_f32 v[50:51], v[50:51], v[100:101]
	v_mov_b32_e32 v39, v100
	v_mov_b32_e32 v49, v50
	v_pk_add_f32 v[102:103], v[48:49], v[112:113] neg_lo:[0,1] neg_hi:[0,1]
	s_or_b64 vcc, vcc, s[60:61]
	v_sub_f32_e32 v31, v48, v102
	v_pk_add_f32 v[38:39], v[38:39], v[102:103] neg_lo:[0,1] neg_hi:[0,1]
	v_sub_f32_e32 v31, v112, v31
	v_add_f32_e32 v31, v38, v31
	v_add_f32_e32 v31, v31, v39
	;; [unrolled: 1-line block ×3, first 2 shown]
	v_cndmask_b32_e32 v31, v31, v118, vcc
	v_add_f32_e32 v30, v30, v31
	v_cvt_f16_f32_e32 v31, v30
.LBB388_120:
	s_or_b64 exec, exec, s[56:57]
	v_and_b32_e32 v38, 0xffff, v31
	v_mov_b32_e32 v30, v31
.LBB388_121:
	s_or_b64 exec, exec, s[58:59]
	v_mov_b32_dpp v31, v38 row_bcast:31 row_mask:0xf bank_mask:0xf
	v_cmp_lt_u32_e32 vcc, 31, v37
	s_and_saveexec_b64 s[58:59], vcc
	s_cbranch_execz .LBB388_125
; %bb.122:
	v_cvt_f32_f16_e32 v39, v31
	v_cvt_f32_f16_e32 v48, v30
	v_cmp_u_f16_e32 vcc, v31, v31
	v_cmp_u_f16_e64 s[56:57], v30, v30
	v_min_f32_e32 v38, v39, v48
	v_max_f32_e32 v30, v39, v48
	v_cndmask_b32_e32 v38, v38, v39, vcc
	v_cndmask_b32_e32 v30, v30, v39, vcc
	v_cndmask_b32_e64 v38, v38, v48, s[56:57]
	v_cndmask_b32_e64 v30, v30, v48, s[56:57]
	s_movk_i32 s56, 0x1f8
	v_cmp_neq_f32_e32 vcc, v38, v30
	v_cmp_class_f32_e64 s[56:57], v38, s56
	s_or_b64 vcc, vcc, s[56:57]
	s_and_saveexec_b64 s[56:57], vcc
	s_cbranch_execz .LBB388_124
; %bb.123:
	v_sub_f32_e32 v31, v38, v30
	s_mov_b32 s60, 0x3fb8aa3b
	v_mul_f32_e32 v38, 0x3fb8aa3b, v31
	v_fma_f32 v39, v31, s60, -v38
	v_rndne_f32_e32 v48, v38
	v_fmamk_f32 v39, v31, 0x32a5705f, v39
	v_sub_f32_e32 v38, v38, v48
	v_add_f32_e32 v38, v38, v39
	v_exp_f32_e32 v38, v38
	v_cvt_i32_f32_e32 v39, v48
	s_mov_b32 s60, 0xc2ce8ed0
	v_cmp_ngt_f32_e32 vcc, s60, v31
	s_mov_b32 s60, 0x42b17218
	v_ldexp_f32 v38, v38, v39
	v_cndmask_b32_e32 v38, 0, v38, vcc
	v_mov_b32_e32 v39, 0x7f800000
	v_cmp_nlt_f32_e32 vcc, s60, v31
	s_mov_b32 s60, 0x3f2aaaab
	s_mov_b32 s61, 0x7f800000
	v_cndmask_b32_e32 v118, v39, v38, vcc
	v_add_f32_e32 v31, 1.0, v118
	v_add_f32_e32 v38, -1.0, v31
	v_sub_f32_e32 v39, v38, v31
	v_add_f32_e32 v39, 1.0, v39
	v_sub_f32_e32 v38, v118, v38
	v_add_f32_e32 v48, v38, v39
	v_frexp_mant_f32_e32 v49, v31
	v_cvt_f64_f32_e32 v[38:39], v31
	v_frexp_exp_i32_f64_e32 v38, v[38:39]
	v_cmp_gt_f32_e32 vcc, s60, v49
	s_mov_b32 s60, 0x3f317218
	s_nop 0
	v_subbrev_co_u32_e32 v102, vcc, 0, v38, vcc
	v_sub_u32_e32 v38, 0, v102
	v_ldexp_f32 v31, v31, v38
	v_ldexp_f32 v38, v48, v38
	v_add_f32_e32 v48, -1.0, v31
	v_add_f32_e32 v39, 1.0, v48
	v_sub_f32_e32 v39, v31, v39
	v_add_f32_e32 v49, v38, v39
	v_add_f32_e32 v39, 1.0, v31
	v_add_f32_e32 v50, -1.0, v39
	v_sub_f32_e32 v31, v31, v50
	v_add_f32_e32 v31, v38, v31
	v_add_f32_e32 v103, v39, v31
	v_rcp_f32_e32 v112, v103
	v_sub_f32_e32 v38, v39, v103
	v_add_f32_e32 v39, v48, v49
	v_add_f32_e32 v31, v31, v38
	v_mul_f32_e32 v114, v39, v112
	v_sub_f32_e32 v38, v48, v39
	v_mul_f32_e32 v48, v103, v114
	v_fma_f32 v50, v114, v103, -v48
	v_fmac_f32_e32 v50, v114, v31
	v_add_f32_e32 v113, v49, v38
	v_add_f32_e32 v38, v48, v50
	v_sub_f32_e32 v49, v39, v38
	v_pk_add_f32 v[100:101], v[38:39], v[48:49] neg_lo:[0,1] neg_hi:[0,1]
	v_mov_b32_e32 v51, v38
	v_pk_add_f32 v[38:39], v[100:101], v[50:51] neg_lo:[0,1] neg_hi:[0,1]
	v_cmp_eq_f32_e32 vcc, s61, v118
	v_add_f32_e32 v39, v113, v39
	v_add_f32_e32 v38, v38, v39
	;; [unrolled: 1-line block ×3, first 2 shown]
	v_mul_f32_e32 v113, v112, v39
	v_mul_f32_e32 v48, v103, v113
	v_fma_f32 v50, v113, v103, -v48
	v_fmac_f32_e32 v50, v113, v31
	v_sub_f32_e32 v31, v49, v39
	v_add_f32_e32 v31, v38, v31
	v_add_f32_e32 v38, v48, v50
	v_sub_f32_e32 v49, v39, v38
	v_pk_add_f32 v[100:101], v[38:39], v[48:49] neg_lo:[0,1] neg_hi:[0,1]
	v_mov_b32_e32 v51, v38
	v_pk_add_f32 v[38:39], v[100:101], v[50:51] neg_lo:[0,1] neg_hi:[0,1]
	v_cvt_f32_i32_e32 v48, v102
	v_add_f32_e32 v31, v31, v39
	v_add_f32_e32 v31, v38, v31
	;; [unrolled: 1-line block ×4, first 2 shown]
	v_sub_f32_e32 v39, v38, v114
	v_mul_f32_e32 v31, v112, v31
	v_sub_f32_e32 v39, v113, v39
	v_add_f32_e32 v31, v39, v31
	v_add_f32_e32 v49, v38, v31
	v_mul_f32_e32 v50, v49, v49
	v_mov_b32_e32 v39, 0x3ecc95a3
	v_fmac_f32_e32 v39, 0x3e9b6dac, v50
	v_sub_f32_e32 v38, v49, v38
	v_fmaak_f32 v39, v50, v39, 0x3f2aaada
	v_sub_f32_e32 v31, v31, v38
	v_ldexp_f32 v51, v49, 1
	v_mul_f32_e32 v49, v49, v50
	v_mov_b32_e32 v38, 0x3f317218
	v_pk_mul_f32 v[38:39], v[48:49], v[38:39]
	v_ldexp_f32 v31, v31, 1
	v_fma_f32 v49, v48, s60, -v38
	v_fmamk_f32 v50, v48, 0xb102e308, v49
	v_pk_add_f32 v[48:49], v[38:39], v[50:51]
	v_mov_b32_e32 v100, v38
	v_sub_f32_e32 v51, v49, v51
	v_sub_f32_e32 v51, v39, v51
	v_add_f32_e32 v101, v31, v51
	v_pk_add_f32 v[38:39], v[48:49], v[38:39] neg_lo:[0,1] neg_hi:[0,1]
	v_pk_add_f32 v[102:103], v[48:49], v[100:101]
	v_mov_b32_e32 v51, v48
	v_mov_b32_e32 v39, v103
	v_pk_add_f32 v[112:113], v[50:51], v[38:39] neg_lo:[0,1] neg_hi:[0,1]
	v_pk_add_f32 v[38:39], v[50:51], v[38:39]
	v_mov_b32_e32 v100, v101
	v_mov_b32_e32 v50, v39
	v_pk_add_f32 v[114:115], v[50:51], v[48:49] neg_lo:[0,1] neg_hi:[0,1]
	v_mov_b32_e32 v38, v103
	v_mov_b32_e32 v31, v114
	v_pk_add_f32 v[116:117], v[102:103], v[30:31] neg_lo:[0,1] neg_hi:[0,1]
	v_mov_b32_e32 v102, v49
	v_mov_b32_e32 v103, v114
	;; [unrolled: 1-line block ×3, first 2 shown]
	v_pk_add_f32 v[38:39], v[38:39], v[102:103] neg_lo:[0,1] neg_hi:[0,1]
	v_mov_b32_e32 v101, v48
	v_pk_add_f32 v[38:39], v[100:101], v[38:39] neg_lo:[0,1] neg_hi:[0,1]
	v_mov_b32_e32 v116, v112
	v_pk_add_f32 v[48:49], v[116:117], v[38:39]
	s_mov_b32 s60, 0x33800000
	v_mov_b32_e32 v100, v49
	v_pk_add_f32 v[100:101], v[48:49], v[100:101]
	v_cmp_lt_f32_e64 s[60:61], |v118|, s60
	v_pk_add_f32 v[50:51], v[50:51], v[100:101]
	v_mov_b32_e32 v39, v100
	v_mov_b32_e32 v49, v50
	v_pk_add_f32 v[102:103], v[48:49], v[112:113] neg_lo:[0,1] neg_hi:[0,1]
	s_or_b64 vcc, vcc, s[60:61]
	v_sub_f32_e32 v31, v48, v102
	v_pk_add_f32 v[38:39], v[38:39], v[102:103] neg_lo:[0,1] neg_hi:[0,1]
	v_sub_f32_e32 v31, v112, v31
	v_add_f32_e32 v31, v38, v31
	v_add_f32_e32 v31, v31, v39
	;; [unrolled: 1-line block ×3, first 2 shown]
	v_cndmask_b32_e32 v31, v31, v118, vcc
	v_add_f32_e32 v30, v30, v31
	v_cvt_f16_f32_e32 v31, v30
.LBB388_124:
	s_or_b64 exec, exec, s[56:57]
	v_mov_b32_e32 v30, v31
.LBB388_125:
	s_or_b64 exec, exec, s[58:59]
	v_and_b32_e32 v38, 0x3c0, v32
	v_min_u32_e32 v38, 0xc0, v38
	v_or_b32_e32 v38, 63, v38
	v_lshrrev_b32_e32 v31, 6, v32
	v_cmp_eq_u32_e32 vcc, v38, v32
	s_and_saveexec_b64 s[56:57], vcc
	s_cbranch_execz .LBB388_127
; %bb.126:
	v_lshlrev_b32_e32 v38, 1, v31
	ds_write_b16 v38, v30
.LBB388_127:
	s_or_b64 exec, exec, s[56:57]
	v_cmp_gt_u32_e32 vcc, 4, v32
	s_waitcnt lgkmcnt(0)
	s_barrier
	s_and_saveexec_b64 s[58:59], vcc
	s_cbranch_execz .LBB388_137
; %bb.128:
	ds_read_u16 v39, v0
	v_and_b32_e32 v38, 3, v37
	v_cmp_ne_u32_e32 vcc, 0, v38
	s_waitcnt lgkmcnt(0)
	v_and_b32_e32 v49, 0xffff, v39
	s_nop 1
	v_mov_b32_dpp v48, v49 row_shr:1 row_mask:0xf bank_mask:0xf
	s_and_saveexec_b64 s[60:61], vcc
	s_cbranch_execz .LBB388_132
; %bb.129:
	v_cvt_f32_f16_e32 v50, v48
	v_cvt_f32_f16_e32 v51, v39
	v_cmp_u_f16_e32 vcc, v48, v48
	v_cmp_u_f16_e64 s[56:57], v39, v39
	v_min_f32_e32 v49, v50, v51
	v_max_f32_e32 v39, v50, v51
	v_cndmask_b32_e32 v49, v49, v50, vcc
	v_cndmask_b32_e32 v39, v39, v50, vcc
	v_cndmask_b32_e64 v49, v49, v51, s[56:57]
	v_cndmask_b32_e64 v39, v39, v51, s[56:57]
	s_movk_i32 s56, 0x1f8
	v_cmp_neq_f32_e32 vcc, v49, v39
	v_cmp_class_f32_e64 s[56:57], v49, s56
	s_or_b64 vcc, vcc, s[56:57]
	s_and_saveexec_b64 s[56:57], vcc
	s_cbranch_execz .LBB388_131
; %bb.130:
	v_sub_f32_e32 v48, v49, v39
	s_mov_b32 s62, 0x3fb8aa3b
	v_mul_f32_e32 v49, 0x3fb8aa3b, v48
	v_fma_f32 v50, v48, s62, -v49
	v_rndne_f32_e32 v51, v49
	v_fmamk_f32 v50, v48, 0x32a5705f, v50
	v_sub_f32_e32 v49, v49, v51
	v_add_f32_e32 v49, v49, v50
	v_exp_f32_e32 v49, v49
	v_cvt_i32_f32_e32 v50, v51
	s_mov_b32 s62, 0xc2ce8ed0
	v_cmp_ngt_f32_e32 vcc, s62, v48
	s_mov_b32 s62, 0x42b17218
	v_ldexp_f32 v49, v49, v50
	v_cndmask_b32_e32 v49, 0, v49, vcc
	v_mov_b32_e32 v50, 0x7f800000
	v_cmp_nlt_f32_e32 vcc, s62, v48
	s_mov_b32 s62, 0x3f2aaaab
	s_mov_b32 s63, 0x7f800000
	v_cndmask_b32_e32 v128, v50, v49, vcc
	v_add_f32_e32 v50, 1.0, v128
	v_add_f32_e32 v48, -1.0, v50
	v_sub_f32_e32 v49, v48, v50
	v_add_f32_e32 v49, 1.0, v49
	v_sub_f32_e32 v48, v128, v48
	v_add_f32_e32 v51, v48, v49
	v_frexp_mant_f32_e32 v100, v50
	v_cvt_f64_f32_e32 v[48:49], v50
	v_frexp_exp_i32_f64_e32 v48, v[48:49]
	v_cmp_gt_f32_e32 vcc, s62, v100
	s_mov_b32 s62, 0x3f317218
	s_nop 0
	v_subbrev_co_u32_e32 v112, vcc, 0, v48, vcc
	v_sub_u32_e32 v48, 0, v112
	v_ldexp_f32 v49, v50, v48
	v_add_f32_e32 v50, -1.0, v49
	v_add_f32_e32 v100, 1.0, v49
	v_ldexp_f32 v48, v51, v48
	v_add_f32_e32 v51, 1.0, v50
	v_add_f32_e32 v101, -1.0, v100
	v_sub_f32_e32 v51, v49, v51
	v_sub_f32_e32 v49, v49, v101
	v_add_f32_e32 v51, v48, v51
	v_add_f32_e32 v48, v48, v49
	;; [unrolled: 1-line block ×3, first 2 shown]
	v_rcp_f32_e32 v115, v113
	v_sub_f32_e32 v49, v100, v113
	v_add_f32_e32 v114, v48, v49
	v_add_f32_e32 v49, v50, v51
	v_mul_f32_e32 v117, v49, v115
	v_sub_f32_e32 v48, v50, v49
	v_mul_f32_e32 v50, v113, v117
	v_fma_f32 v100, v117, v113, -v50
	v_fmac_f32_e32 v100, v117, v114
	v_add_f32_e32 v116, v51, v48
	v_add_f32_e32 v48, v50, v100
	v_sub_f32_e32 v51, v49, v48
	v_pk_add_f32 v[102:103], v[48:49], v[50:51] neg_lo:[0,1] neg_hi:[0,1]
	v_mov_b32_e32 v101, v48
	v_pk_add_f32 v[48:49], v[102:103], v[100:101] neg_lo:[0,1] neg_hi:[0,1]
	v_cmp_eq_f32_e32 vcc, s63, v128
	v_add_f32_e32 v49, v116, v49
	v_add_f32_e32 v48, v48, v49
	;; [unrolled: 1-line block ×3, first 2 shown]
	v_mul_f32_e32 v116, v115, v49
	v_mul_f32_e32 v50, v113, v116
	v_fma_f32 v100, v116, v113, -v50
	v_fmac_f32_e32 v100, v116, v114
	v_sub_f32_e32 v51, v51, v49
	v_add_f32_e32 v113, v48, v51
	v_add_f32_e32 v48, v50, v100
	v_sub_f32_e32 v51, v49, v48
	v_pk_add_f32 v[102:103], v[48:49], v[50:51] neg_lo:[0,1] neg_hi:[0,1]
	v_mov_b32_e32 v101, v48
	v_pk_add_f32 v[48:49], v[102:103], v[100:101] neg_lo:[0,1] neg_hi:[0,1]
	v_cvt_f32_i32_e32 v50, v112
	v_add_f32_e32 v49, v113, v49
	v_add_f32_e32 v48, v48, v49
	;; [unrolled: 1-line block ×4, first 2 shown]
	v_sub_f32_e32 v49, v51, v117
	v_mul_f32_e32 v48, v115, v48
	v_sub_f32_e32 v49, v116, v49
	v_add_f32_e32 v48, v49, v48
	v_add_f32_e32 v100, v51, v48
	v_mul_f32_e32 v102, v100, v100
	v_mov_b32_e32 v49, 0x3ecc95a3
	v_sub_f32_e32 v51, v100, v51
	v_fmac_f32_e32 v49, 0x3e9b6dac, v102
	v_sub_f32_e32 v48, v48, v51
	v_fmaak_f32 v49, v102, v49, 0x3f2aaada
	v_ldexp_f32 v103, v48, 1
	v_mul_f32_e32 v51, v100, v102
	v_mov_b32_e32 v48, 0x3f317218
	v_pk_mul_f32 v[48:49], v[50:51], v[48:49]
	v_ldexp_f32 v101, v100, 1
	v_fma_f32 v51, v50, s62, -v48
	v_fmamk_f32 v100, v50, 0xb102e308, v51
	v_pk_add_f32 v[50:51], v[48:49], v[100:101]
	v_mov_b32_e32 v102, v48
	v_sub_f32_e32 v101, v51, v101
	v_sub_f32_e32 v101, v49, v101
	v_add_f32_e32 v103, v103, v101
	v_pk_add_f32 v[48:49], v[50:51], v[48:49] neg_lo:[0,1] neg_hi:[0,1]
	v_pk_add_f32 v[112:113], v[50:51], v[102:103]
	v_mov_b32_e32 v101, v50
	v_mov_b32_e32 v49, v113
	v_pk_add_f32 v[114:115], v[100:101], v[48:49] neg_lo:[0,1] neg_hi:[0,1]
	v_pk_add_f32 v[48:49], v[100:101], v[48:49]
	v_mov_b32_e32 v102, v103
	v_mov_b32_e32 v100, v49
	v_pk_add_f32 v[116:117], v[100:101], v[50:51] neg_lo:[0,1] neg_hi:[0,1]
	v_mov_b32_e32 v48, v113
	v_mov_b32_e32 v101, v116
	v_pk_add_f32 v[118:119], v[112:113], v[100:101] neg_lo:[0,1] neg_hi:[0,1]
	v_mov_b32_e32 v112, v51
	v_mov_b32_e32 v113, v116
	;; [unrolled: 1-line block ×3, first 2 shown]
	v_pk_add_f32 v[48:49], v[48:49], v[112:113] neg_lo:[0,1] neg_hi:[0,1]
	v_mov_b32_e32 v103, v50
	v_pk_add_f32 v[48:49], v[102:103], v[48:49] neg_lo:[0,1] neg_hi:[0,1]
	v_mov_b32_e32 v118, v114
	v_pk_add_f32 v[50:51], v[118:119], v[48:49]
	s_mov_b32 s62, 0x33800000
	v_mov_b32_e32 v102, v51
	v_pk_add_f32 v[102:103], v[50:51], v[102:103]
	v_cmp_lt_f32_e64 s[62:63], |v128|, s62
	v_pk_add_f32 v[100:101], v[100:101], v[102:103]
	v_mov_b32_e32 v49, v102
	v_mov_b32_e32 v51, v100
	v_pk_add_f32 v[112:113], v[50:51], v[114:115] neg_lo:[0,1] neg_hi:[0,1]
	s_or_b64 vcc, vcc, s[62:63]
	v_sub_f32_e32 v50, v50, v112
	v_pk_add_f32 v[48:49], v[48:49], v[112:113] neg_lo:[0,1] neg_hi:[0,1]
	v_sub_f32_e32 v50, v114, v50
	v_add_f32_e32 v48, v48, v50
	v_add_f32_e32 v48, v48, v49
	;; [unrolled: 1-line block ×3, first 2 shown]
	v_cndmask_b32_e32 v48, v48, v128, vcc
	v_add_f32_e32 v39, v39, v48
	v_cvt_f16_f32_e32 v48, v39
.LBB388_131:
	s_or_b64 exec, exec, s[56:57]
	v_and_b32_e32 v49, 0xffff, v48
	v_mov_b32_e32 v39, v48
.LBB388_132:
	s_or_b64 exec, exec, s[60:61]
	v_mov_b32_dpp v48, v49 row_shr:2 row_mask:0xf bank_mask:0xf
	v_cmp_lt_u32_e32 vcc, 1, v38
	s_and_saveexec_b64 s[60:61], vcc
	s_cbranch_execz .LBB388_136
; %bb.133:
	v_cvt_f32_f16_e32 v38, v48
	v_cvt_f32_f16_e32 v49, v39
	v_cmp_u_f16_e32 vcc, v48, v48
	v_cmp_u_f16_e64 s[56:57], v39, v39
	v_min_f32_e32 v50, v38, v49
	v_cndmask_b32_e32 v50, v50, v38, vcc
	v_cndmask_b32_e64 v39, v50, v49, s[56:57]
	v_max_f32_e32 v50, v38, v49
	v_cndmask_b32_e32 v38, v50, v38, vcc
	v_cndmask_b32_e64 v38, v38, v49, s[56:57]
	s_movk_i32 s56, 0x1f8
	v_cmp_neq_f32_e32 vcc, v39, v38
	v_cmp_class_f32_e64 s[56:57], v39, s56
	s_or_b64 vcc, vcc, s[56:57]
	s_and_saveexec_b64 s[56:57], vcc
	s_cbranch_execz .LBB388_135
; %bb.134:
	v_sub_f32_e32 v39, v39, v38
	s_mov_b32 s62, 0x3fb8aa3b
	v_mul_f32_e32 v48, 0x3fb8aa3b, v39
	v_fma_f32 v49, v39, s62, -v48
	v_rndne_f32_e32 v50, v48
	v_fmamk_f32 v49, v39, 0x32a5705f, v49
	v_sub_f32_e32 v48, v48, v50
	v_add_f32_e32 v48, v48, v49
	v_exp_f32_e32 v48, v48
	v_cvt_i32_f32_e32 v49, v50
	s_mov_b32 s62, 0xc2ce8ed0
	v_cmp_ngt_f32_e32 vcc, s62, v39
	s_mov_b32 s62, 0x42b17218
	v_ldexp_f32 v48, v48, v49
	v_cndmask_b32_e32 v48, 0, v48, vcc
	v_mov_b32_e32 v49, 0x7f800000
	v_cmp_nlt_f32_e32 vcc, s62, v39
	s_mov_b32 s62, 0x3f2aaaab
	s_mov_b32 s63, 0x7f800000
	v_cndmask_b32_e32 v128, v49, v48, vcc
	v_add_f32_e32 v39, 1.0, v128
	v_add_f32_e32 v48, -1.0, v39
	v_sub_f32_e32 v49, v48, v39
	v_add_f32_e32 v49, 1.0, v49
	v_sub_f32_e32 v48, v128, v48
	v_add_f32_e32 v50, v48, v49
	v_frexp_mant_f32_e32 v51, v39
	v_cvt_f64_f32_e32 v[48:49], v39
	v_frexp_exp_i32_f64_e32 v48, v[48:49]
	v_cmp_gt_f32_e32 vcc, s62, v51
	s_mov_b32 s62, 0x3f317218
	s_nop 0
	v_subbrev_co_u32_e32 v112, vcc, 0, v48, vcc
	v_sub_u32_e32 v48, 0, v112
	v_ldexp_f32 v39, v39, v48
	v_ldexp_f32 v48, v50, v48
	v_add_f32_e32 v50, -1.0, v39
	v_add_f32_e32 v49, 1.0, v50
	v_sub_f32_e32 v49, v39, v49
	v_add_f32_e32 v51, v48, v49
	v_add_f32_e32 v49, 1.0, v39
	v_add_f32_e32 v100, -1.0, v49
	v_sub_f32_e32 v39, v39, v100
	v_add_f32_e32 v39, v48, v39
	v_add_f32_e32 v113, v49, v39
	v_rcp_f32_e32 v114, v113
	v_sub_f32_e32 v48, v49, v113
	v_add_f32_e32 v49, v50, v51
	v_add_f32_e32 v39, v39, v48
	v_mul_f32_e32 v116, v49, v114
	v_sub_f32_e32 v48, v50, v49
	v_mul_f32_e32 v50, v113, v116
	v_fma_f32 v100, v116, v113, -v50
	v_fmac_f32_e32 v100, v116, v39
	v_add_f32_e32 v115, v51, v48
	v_add_f32_e32 v48, v50, v100
	v_sub_f32_e32 v51, v49, v48
	v_pk_add_f32 v[102:103], v[48:49], v[50:51] neg_lo:[0,1] neg_hi:[0,1]
	v_mov_b32_e32 v101, v48
	v_pk_add_f32 v[48:49], v[102:103], v[100:101] neg_lo:[0,1] neg_hi:[0,1]
	v_cmp_eq_f32_e32 vcc, s63, v128
	v_add_f32_e32 v49, v115, v49
	v_add_f32_e32 v48, v48, v49
	;; [unrolled: 1-line block ×3, first 2 shown]
	v_mul_f32_e32 v115, v114, v49
	v_mul_f32_e32 v50, v113, v115
	v_fma_f32 v100, v115, v113, -v50
	v_fmac_f32_e32 v100, v115, v39
	v_sub_f32_e32 v39, v51, v49
	v_add_f32_e32 v39, v48, v39
	v_add_f32_e32 v48, v50, v100
	v_sub_f32_e32 v51, v49, v48
	v_pk_add_f32 v[102:103], v[48:49], v[50:51] neg_lo:[0,1] neg_hi:[0,1]
	v_mov_b32_e32 v101, v48
	v_pk_add_f32 v[48:49], v[102:103], v[100:101] neg_lo:[0,1] neg_hi:[0,1]
	v_cvt_f32_i32_e32 v50, v112
	v_add_f32_e32 v39, v39, v49
	v_add_f32_e32 v39, v48, v39
	;; [unrolled: 1-line block ×4, first 2 shown]
	v_sub_f32_e32 v49, v48, v116
	v_mul_f32_e32 v39, v114, v39
	v_sub_f32_e32 v49, v115, v49
	v_add_f32_e32 v39, v49, v39
	v_add_f32_e32 v51, v48, v39
	v_mul_f32_e32 v100, v51, v51
	v_mov_b32_e32 v49, 0x3ecc95a3
	v_fmac_f32_e32 v49, 0x3e9b6dac, v100
	v_sub_f32_e32 v48, v51, v48
	v_fmaak_f32 v49, v100, v49, 0x3f2aaada
	v_sub_f32_e32 v39, v39, v48
	v_ldexp_f32 v101, v51, 1
	v_mul_f32_e32 v51, v51, v100
	v_mov_b32_e32 v48, 0x3f317218
	v_pk_mul_f32 v[48:49], v[50:51], v[48:49]
	v_ldexp_f32 v39, v39, 1
	v_fma_f32 v51, v50, s62, -v48
	v_fmamk_f32 v100, v50, 0xb102e308, v51
	v_pk_add_f32 v[50:51], v[48:49], v[100:101]
	v_mov_b32_e32 v102, v48
	v_sub_f32_e32 v101, v51, v101
	v_sub_f32_e32 v101, v49, v101
	v_add_f32_e32 v103, v39, v101
	v_pk_add_f32 v[48:49], v[50:51], v[48:49] neg_lo:[0,1] neg_hi:[0,1]
	v_pk_add_f32 v[112:113], v[50:51], v[102:103]
	v_mov_b32_e32 v101, v50
	v_mov_b32_e32 v49, v113
	v_pk_add_f32 v[114:115], v[100:101], v[48:49] neg_lo:[0,1] neg_hi:[0,1]
	v_pk_add_f32 v[48:49], v[100:101], v[48:49]
	v_mov_b32_e32 v102, v103
	v_mov_b32_e32 v100, v49
	v_pk_add_f32 v[116:117], v[100:101], v[50:51] neg_lo:[0,1] neg_hi:[0,1]
	v_mov_b32_e32 v48, v113
	v_mov_b32_e32 v39, v116
	v_pk_add_f32 v[118:119], v[112:113], v[38:39] neg_lo:[0,1] neg_hi:[0,1]
	v_mov_b32_e32 v112, v51
	v_mov_b32_e32 v113, v116
	;; [unrolled: 1-line block ×3, first 2 shown]
	v_pk_add_f32 v[48:49], v[48:49], v[112:113] neg_lo:[0,1] neg_hi:[0,1]
	v_mov_b32_e32 v103, v50
	v_pk_add_f32 v[48:49], v[102:103], v[48:49] neg_lo:[0,1] neg_hi:[0,1]
	v_mov_b32_e32 v118, v114
	v_pk_add_f32 v[50:51], v[118:119], v[48:49]
	s_mov_b32 s62, 0x33800000
	v_mov_b32_e32 v102, v51
	v_pk_add_f32 v[102:103], v[50:51], v[102:103]
	v_cmp_lt_f32_e64 s[62:63], |v128|, s62
	v_pk_add_f32 v[100:101], v[100:101], v[102:103]
	v_mov_b32_e32 v49, v102
	v_mov_b32_e32 v51, v100
	v_pk_add_f32 v[112:113], v[50:51], v[114:115] neg_lo:[0,1] neg_hi:[0,1]
	s_or_b64 vcc, vcc, s[62:63]
	v_sub_f32_e32 v39, v50, v112
	v_pk_add_f32 v[48:49], v[48:49], v[112:113] neg_lo:[0,1] neg_hi:[0,1]
	v_sub_f32_e32 v39, v114, v39
	v_add_f32_e32 v39, v48, v39
	v_add_f32_e32 v39, v39, v49
	;; [unrolled: 1-line block ×3, first 2 shown]
	v_cndmask_b32_e32 v39, v39, v128, vcc
	v_add_f32_e32 v38, v38, v39
	v_cvt_f16_f32_e32 v48, v38
.LBB388_135:
	s_or_b64 exec, exec, s[56:57]
	v_mov_b32_e32 v39, v48
.LBB388_136:
	s_or_b64 exec, exec, s[60:61]
	ds_write_b16 v0, v39
.LBB388_137:
	s_or_b64 exec, exec, s[58:59]
	v_cmp_gt_u32_e32 vcc, 64, v32
	v_cmp_lt_u32_e64 s[56:57], 63, v32
	s_waitcnt lgkmcnt(0)
	s_barrier
	s_waitcnt lgkmcnt(0)
                                        ; implicit-def: $vgpr100
	s_and_saveexec_b64 s[58:59], s[56:57]
	s_cbranch_execz .LBB388_141
; %bb.138:
	v_lshl_add_u32 v31, v31, 1, -2
	ds_read_u16 v100, v31
	v_cvt_f32_f16_e32 v31, v30
	s_movk_i32 s60, 0x1f8
	s_waitcnt lgkmcnt(0)
	v_cvt_f32_f16_e32 v38, v100
	v_cmp_u_f16_e64 s[56:57], v100, v100
	v_min_f32_e32 v39, v38, v31
	v_max_f32_e32 v48, v38, v31
	v_cndmask_b32_e64 v39, v39, v38, s[56:57]
	v_cndmask_b32_e64 v48, v48, v38, s[56:57]
	v_cmp_u_f16_e64 s[56:57], v30, v30
	v_mov_b32_e32 v30, v100
	s_nop 0
	v_cndmask_b32_e64 v38, v39, v31, s[56:57]
	v_cndmask_b32_e64 v31, v48, v31, s[56:57]
	v_cmp_neq_f32_e64 s[56:57], v38, v31
	v_cmp_class_f32_e64 s[60:61], v38, s60
	s_or_b64 s[56:57], s[56:57], s[60:61]
	s_and_saveexec_b64 s[60:61], s[56:57]
	s_cbranch_execz .LBB388_140
; %bb.139:
	v_sub_f32_e32 v30, v38, v31
	s_mov_b32 s56, 0x3fb8aa3b
	v_mul_f32_e32 v38, 0x3fb8aa3b, v30
	v_fma_f32 v39, v30, s56, -v38
	v_rndne_f32_e32 v48, v38
	v_fmamk_f32 v39, v30, 0x32a5705f, v39
	v_sub_f32_e32 v38, v38, v48
	v_add_f32_e32 v38, v38, v39
	v_exp_f32_e32 v38, v38
	v_cvt_i32_f32_e32 v39, v48
	s_mov_b32 s56, 0xc2ce8ed0
	v_cmp_ngt_f32_e64 s[56:57], s56, v30
	s_mov_b32 s62, 0x7f800000
	v_ldexp_f32 v38, v38, v39
	v_cndmask_b32_e64 v38, 0, v38, s[56:57]
	s_mov_b32 s56, 0x42b17218
	v_mov_b32_e32 v39, 0x7f800000
	v_cmp_nlt_f32_e64 s[56:57], s56, v30
	s_nop 1
	v_cndmask_b32_e64 v101, v39, v38, s[56:57]
	v_add_f32_e32 v30, 1.0, v101
	v_add_f32_e32 v38, -1.0, v30
	v_sub_f32_e32 v39, v38, v30
	v_add_f32_e32 v39, 1.0, v39
	v_sub_f32_e32 v38, v101, v38
	v_add_f32_e32 v48, v38, v39
	v_frexp_mant_f32_e32 v49, v30
	s_mov_b32 s56, 0x3f2aaaab
	v_cvt_f64_f32_e32 v[38:39], v30
	v_frexp_exp_i32_f64_e32 v38, v[38:39]
	v_cmp_gt_f32_e64 s[56:57], s56, v49
	s_nop 1
	v_subbrev_co_u32_e64 v112, s[56:57], 0, v38, s[56:57]
	v_sub_u32_e32 v38, 0, v112
	v_ldexp_f32 v30, v30, v38
	v_ldexp_f32 v38, v48, v38
	v_add_f32_e32 v48, -1.0, v30
	v_add_f32_e32 v39, 1.0, v48
	v_sub_f32_e32 v39, v30, v39
	v_add_f32_e32 v49, v38, v39
	v_add_f32_e32 v39, 1.0, v30
	v_add_f32_e32 v50, -1.0, v39
	v_sub_f32_e32 v30, v30, v50
	v_add_f32_e32 v30, v38, v30
	v_add_f32_e32 v113, v39, v30
	v_rcp_f32_e32 v114, v113
	v_sub_f32_e32 v38, v39, v113
	v_add_f32_e32 v39, v48, v49
	v_add_f32_e32 v30, v30, v38
	v_mul_f32_e32 v116, v39, v114
	v_sub_f32_e32 v38, v48, v39
	v_mul_f32_e32 v48, v113, v116
	v_fma_f32 v50, v116, v113, -v48
	v_fmac_f32_e32 v50, v116, v30
	v_add_f32_e32 v115, v49, v38
	v_add_f32_e32 v38, v48, v50
	v_sub_f32_e32 v49, v39, v38
	v_pk_add_f32 v[102:103], v[38:39], v[48:49] neg_lo:[0,1] neg_hi:[0,1]
	v_mov_b32_e32 v51, v38
	v_pk_add_f32 v[38:39], v[102:103], v[50:51] neg_lo:[0,1] neg_hi:[0,1]
	s_mov_b32 s56, 0x3f317218
	v_add_f32_e32 v39, v115, v39
	v_add_f32_e32 v38, v38, v39
	;; [unrolled: 1-line block ×3, first 2 shown]
	v_mul_f32_e32 v115, v114, v39
	v_mul_f32_e32 v48, v113, v115
	v_fma_f32 v50, v115, v113, -v48
	v_fmac_f32_e32 v50, v115, v30
	v_sub_f32_e32 v30, v49, v39
	v_add_f32_e32 v30, v38, v30
	v_add_f32_e32 v38, v48, v50
	v_sub_f32_e32 v49, v39, v38
	v_pk_add_f32 v[102:103], v[38:39], v[48:49] neg_lo:[0,1] neg_hi:[0,1]
	v_mov_b32_e32 v51, v38
	v_pk_add_f32 v[38:39], v[102:103], v[50:51] neg_lo:[0,1] neg_hi:[0,1]
	v_cvt_f32_i32_e32 v48, v112
	v_add_f32_e32 v30, v30, v39
	v_add_f32_e32 v30, v38, v30
	;; [unrolled: 1-line block ×4, first 2 shown]
	v_sub_f32_e32 v39, v38, v116
	v_mul_f32_e32 v30, v114, v30
	v_sub_f32_e32 v39, v115, v39
	v_add_f32_e32 v30, v39, v30
	v_add_f32_e32 v49, v38, v30
	v_mul_f32_e32 v50, v49, v49
	v_mov_b32_e32 v39, 0x3ecc95a3
	v_fmac_f32_e32 v39, 0x3e9b6dac, v50
	v_sub_f32_e32 v38, v49, v38
	v_fmaak_f32 v39, v50, v39, 0x3f2aaada
	v_sub_f32_e32 v30, v30, v38
	v_ldexp_f32 v51, v49, 1
	v_mul_f32_e32 v49, v49, v50
	v_mov_b32_e32 v38, 0x3f317218
	v_pk_mul_f32 v[38:39], v[48:49], v[38:39]
	v_ldexp_f32 v30, v30, 1
	v_fma_f32 v49, v48, s56, -v38
	v_fmamk_f32 v50, v48, 0xb102e308, v49
	v_pk_add_f32 v[48:49], v[38:39], v[50:51]
	v_mov_b32_e32 v102, v38
	v_sub_f32_e32 v51, v49, v51
	v_sub_f32_e32 v51, v39, v51
	v_add_f32_e32 v103, v30, v51
	v_pk_add_f32 v[38:39], v[48:49], v[38:39] neg_lo:[0,1] neg_hi:[0,1]
	v_pk_add_f32 v[112:113], v[48:49], v[102:103]
	v_mov_b32_e32 v51, v48
	v_mov_b32_e32 v39, v113
	v_pk_add_f32 v[114:115], v[50:51], v[38:39] neg_lo:[0,1] neg_hi:[0,1]
	v_pk_add_f32 v[38:39], v[50:51], v[38:39]
	v_cmp_eq_f32_e64 s[56:57], s62, v101
	v_mov_b32_e32 v30, v39
	v_pk_add_f32 v[50:51], v[30:31], v[48:49] neg_lo:[0,1] neg_hi:[0,1]
	v_mov_b32_e32 v38, v113
	v_mov_b32_e32 v51, v50
	v_pk_add_f32 v[116:117], v[112:113], v[50:51] neg_lo:[0,1] neg_hi:[0,1]
	v_mov_b32_e32 v112, v49
	v_mov_b32_e32 v113, v50
	;; [unrolled: 1-line block ×3, first 2 shown]
	v_pk_add_f32 v[38:39], v[38:39], v[112:113] neg_lo:[0,1] neg_hi:[0,1]
	v_mov_b32_e32 v50, v103
	v_mov_b32_e32 v51, v48
	v_pk_add_f32 v[38:39], v[50:51], v[38:39] neg_lo:[0,1] neg_hi:[0,1]
	v_mov_b32_e32 v116, v114
	v_pk_add_f32 v[48:49], v[116:117], v[38:39]
	s_mov_b32 s62, 0x33800000
	v_mov_b32_e32 v50, v49
	v_pk_add_f32 v[50:51], v[48:49], v[50:51]
	v_cmp_lt_f32_e64 s[62:63], |v101|, s62
	v_pk_add_f32 v[102:103], v[30:31], v[50:51]
	v_mov_b32_e32 v39, v50
	v_mov_b32_e32 v49, v102
	v_pk_add_f32 v[112:113], v[48:49], v[114:115] neg_lo:[0,1] neg_hi:[0,1]
	s_or_b64 s[56:57], s[56:57], s[62:63]
	v_sub_f32_e32 v30, v48, v112
	v_pk_add_f32 v[38:39], v[38:39], v[112:113] neg_lo:[0,1] neg_hi:[0,1]
	v_sub_f32_e32 v30, v114, v30
	v_add_f32_e32 v30, v38, v30
	v_add_f32_e32 v30, v30, v39
	;; [unrolled: 1-line block ×3, first 2 shown]
	v_cndmask_b32_e64 v30, v30, v101, s[56:57]
	v_add_f32_e32 v30, v31, v30
	v_cvt_f16_f32_e32 v30, v30
.LBB388_140:
	s_or_b64 exec, exec, s[60:61]
.LBB388_141:
	s_or_b64 exec, exec, s[58:59]
	v_add_u32_e32 v31, -1, v37
	v_and_b32_e32 v38, 64, v37
	v_cmp_lt_i32_e64 s[56:57], v31, v38
	v_and_b32_e32 v30, 0xffff, v30
	s_nop 0
	v_cndmask_b32_e64 v31, v31, v37, s[56:57]
	v_lshlrev_b32_e32 v31, 2, v31
	ds_bpermute_b32 v101, v31, v30
	v_cmp_eq_u32_e64 s[56:57], 0, v37
	s_and_saveexec_b64 s[60:61], vcc
	s_cbranch_execz .LBB388_216
; %bb.142:
	v_mov_b32_e32 v49, 0
	ds_read_u16 v102, v49 offset:6
	v_add_u32_e32 v30, 64, v36
	s_and_saveexec_b64 vcc, s[56:57]
	s_cbranch_execz .LBB388_144
; %bb.143:
	v_mov_b32_e32 v31, v49
	v_lshl_add_u64 v[38:39], v[30:31], 2, v[28:29]
	s_waitcnt lgkmcnt(0)
	v_or_b32_e32 v31, 0x10000, v102
	flat_store_dword v[38:39], v31 sc1
.LBB388_144:
	s_or_b64 exec, exec, vcc
	v_xad_u32 v36, v37, -1, v36
	v_add_u32_e32 v48, 64, v36
	v_lshl_add_u64 v[38:39], v[48:49], 2, v[28:29]
	flat_load_dword v135, v[38:39] sc1
	s_waitcnt vmcnt(0) lgkmcnt(0)
	v_lshrrev_b32_e32 v112, 16, v135
	v_cmp_eq_u16_sdwa s[58:59], v112, v49 src0_sel:BYTE_0 src1_sel:DWORD
	s_and_saveexec_b64 vcc, s[58:59]
	s_cbranch_execz .LBB388_150
; %bb.145:
	s_mov_b32 s62, 1
	s_mov_b64 s[58:59], 0
	v_mov_b32_e32 v31, 0
.LBB388_146:                            ; =>This Loop Header: Depth=1
                                        ;     Child Loop BB388_147 Depth 2
	s_max_u32 s63, s62, 1
.LBB388_147:                            ;   Parent Loop BB388_146 Depth=1
                                        ; =>  This Inner Loop Header: Depth=2
	s_add_i32 s63, s63, -1
	s_cmp_eq_u32 s63, 0
	s_sleep 1
	s_cbranch_scc0 .LBB388_147
; %bb.148:                              ;   in Loop: Header=BB388_146 Depth=1
	flat_load_dword v135, v[38:39] sc1
	s_cmp_lt_u32 s62, 32
	s_cselect_b64 s[64:65], -1, 0
	s_cmp_lg_u64 s[64:65], 0
	s_addc_u32 s62, s62, 0
	s_waitcnt vmcnt(0) lgkmcnt(0)
	v_lshrrev_b32_e32 v112, 16, v135
	v_cmp_ne_u16_sdwa s[64:65], v112, v31 src0_sel:BYTE_0 src1_sel:DWORD
	s_or_b64 s[58:59], s[64:65], s[58:59]
	s_andn2_b64 exec, exec, s[58:59]
	s_cbranch_execnz .LBB388_146
; %bb.149:
	s_or_b64 exec, exec, s[58:59]
.LBB388_150:
	s_or_b64 exec, exec, vcc
	v_mov_b32_e32 v31, 2
	v_cmp_eq_u16_sdwa vcc, v112, v31 src0_sel:BYTE_0 src1_sel:DWORD
	v_lshlrev_b64 v[38:39], v37, -1
	v_and_b32_e32 v49, 0xffff, v135
	v_and_b32_e32 v31, vcc_hi, v39
	v_or_b32_e32 v31, 0x80000000, v31
	v_ffbl_b32_e32 v51, v31
	v_and_b32_e32 v31, 63, v37
	v_and_b32_e32 v48, vcc_lo, v38
	v_cmp_ne_u32_e32 vcc, 63, v31
	v_add_u32_e32 v51, 32, v51
	v_ffbl_b32_e32 v48, v48
	v_addc_co_u32_e32 v50, vcc, 0, v37, vcc
	v_lshlrev_b32_e32 v103, 2, v50
	ds_bpermute_b32 v50, v103, v49
	v_min_u32_e32 v48, v48, v51
	v_cmp_lt_u32_e32 vcc, v31, v48
	s_and_saveexec_b64 s[62:63], vcc
	s_cbranch_execz .LBB388_154
; %bb.151:
	s_waitcnt lgkmcnt(0)
	v_cvt_f32_f16_e32 v49, v50
	v_cvt_f32_f16_e32 v113, v135
	v_cmp_u_f16_e32 vcc, v50, v50
	v_cmp_u_f16_e64 s[58:59], v135, v135
	v_min_f32_e32 v51, v49, v113
	v_max_f32_e32 v114, v49, v113
	v_cndmask_b32_e32 v51, v51, v49, vcc
	v_cndmask_b32_e32 v49, v114, v49, vcc
	v_cndmask_b32_e64 v51, v51, v113, s[58:59]
	v_cndmask_b32_e64 v49, v49, v113, s[58:59]
	s_movk_i32 s58, 0x1f8
	v_cmp_neq_f32_e32 vcc, v51, v49
	v_cmp_class_f32_e64 s[58:59], v51, s58
	s_or_b64 vcc, vcc, s[58:59]
	s_and_saveexec_b64 s[58:59], vcc
	s_cbranch_execz .LBB388_153
; %bb.152:
	v_sub_f32_e32 v50, v51, v49
	s_mov_b32 s64, 0x3fb8aa3b
	v_mul_f32_e32 v51, 0x3fb8aa3b, v50
	v_fma_f32 v113, v50, s64, -v51
	v_rndne_f32_e32 v114, v51
	v_fmamk_f32 v113, v50, 0x32a5705f, v113
	v_sub_f32_e32 v51, v51, v114
	v_add_f32_e32 v51, v51, v113
	v_exp_f32_e32 v51, v51
	v_cvt_i32_f32_e32 v113, v114
	s_mov_b32 s64, 0xc2ce8ed0
	v_cmp_ngt_f32_e32 vcc, s64, v50
	s_mov_b32 s64, 0x42b17218
	v_ldexp_f32 v51, v51, v113
	v_cndmask_b32_e32 v51, 0, v51, vcc
	v_mov_b32_e32 v113, 0x7f800000
	v_cmp_nlt_f32_e32 vcc, s64, v50
	s_mov_b32 s64, 0x3f2aaaab
	s_mov_b32 s65, 0x7f800000
	v_cndmask_b32_e32 v144, v113, v51, vcc
	v_add_f32_e32 v113, 1.0, v144
	v_add_f32_e32 v50, -1.0, v113
	v_sub_f32_e32 v51, v50, v113
	v_add_f32_e32 v51, 1.0, v51
	v_sub_f32_e32 v50, v144, v50
	v_add_f32_e32 v114, v50, v51
	v_frexp_mant_f32_e32 v115, v113
	v_cvt_f64_f32_e32 v[50:51], v113
	v_frexp_exp_i32_f64_e32 v50, v[50:51]
	v_cmp_gt_f32_e32 vcc, s64, v115
	s_mov_b32 s64, 0x3f317218
	s_nop 0
	v_subbrev_co_u32_e32 v128, vcc, 0, v50, vcc
	v_sub_u32_e32 v50, 0, v128
	v_ldexp_f32 v51, v113, v50
	v_add_f32_e32 v113, -1.0, v51
	v_add_f32_e32 v115, 1.0, v51
	v_ldexp_f32 v50, v114, v50
	v_add_f32_e32 v114, 1.0, v113
	v_add_f32_e32 v116, -1.0, v115
	v_sub_f32_e32 v114, v51, v114
	v_sub_f32_e32 v51, v51, v116
	v_add_f32_e32 v114, v50, v114
	v_add_f32_e32 v50, v50, v51
	;; [unrolled: 1-line block ×3, first 2 shown]
	v_rcp_f32_e32 v131, v129
	v_sub_f32_e32 v51, v115, v129
	v_add_f32_e32 v130, v50, v51
	v_add_f32_e32 v51, v113, v114
	v_sub_f32_e32 v50, v113, v51
	v_mul_f32_e32 v132, v51, v131
	v_add_f32_e32 v113, v114, v50
	v_mul_f32_e32 v114, v129, v132
	v_fma_f32 v116, v132, v129, -v114
	v_fmac_f32_e32 v116, v132, v130
	v_add_f32_e32 v50, v114, v116
	v_sub_f32_e32 v115, v51, v50
	v_pk_add_f32 v[118:119], v[50:51], v[114:115] neg_lo:[0,1] neg_hi:[0,1]
	v_mov_b32_e32 v117, v50
	v_pk_add_f32 v[50:51], v[118:119], v[116:117] neg_lo:[0,1] neg_hi:[0,1]
	v_cmp_eq_f32_e32 vcc, s65, v144
	v_add_f32_e32 v51, v113, v51
	v_add_f32_e32 v50, v50, v51
	;; [unrolled: 1-line block ×3, first 2 shown]
	v_mul_f32_e32 v113, v131, v51
	v_mul_f32_e32 v114, v129, v113
	v_fma_f32 v116, v113, v129, -v114
	v_fmac_f32_e32 v116, v113, v130
	v_sub_f32_e32 v115, v115, v51
	v_add_f32_e32 v129, v50, v115
	v_add_f32_e32 v50, v114, v116
	v_sub_f32_e32 v115, v51, v50
	v_pk_add_f32 v[118:119], v[50:51], v[114:115] neg_lo:[0,1] neg_hi:[0,1]
	v_mov_b32_e32 v117, v50
	v_pk_add_f32 v[50:51], v[118:119], v[116:117] neg_lo:[0,1] neg_hi:[0,1]
	v_cvt_f32_i32_e32 v114, v128
	v_add_f32_e32 v51, v129, v51
	v_add_f32_e32 v50, v50, v51
	;; [unrolled: 1-line block ×4, first 2 shown]
	v_sub_f32_e32 v51, v115, v132
	v_mul_f32_e32 v50, v131, v50
	v_sub_f32_e32 v51, v113, v51
	v_add_f32_e32 v50, v51, v50
	v_add_f32_e32 v113, v115, v50
	v_mul_f32_e32 v116, v113, v113
	v_mov_b32_e32 v51, 0x3ecc95a3
	v_sub_f32_e32 v115, v113, v115
	v_fmac_f32_e32 v51, 0x3e9b6dac, v116
	v_sub_f32_e32 v50, v50, v115
	v_fmaak_f32 v51, v116, v51, 0x3f2aaada
	v_ldexp_f32 v118, v50, 1
	v_mul_f32_e32 v115, v113, v116
	v_mov_b32_e32 v50, 0x3f317218
	v_pk_mul_f32 v[50:51], v[114:115], v[50:51]
	v_ldexp_f32 v117, v113, 1
	v_fma_f32 v113, v114, s64, -v50
	v_fmamk_f32 v116, v114, 0xb102e308, v113
	v_pk_add_f32 v[114:115], v[50:51], v[116:117]
	s_mov_b32 s64, 0x33800000
	v_sub_f32_e32 v113, v115, v117
	v_sub_f32_e32 v113, v51, v113
	v_add_f32_e32 v119, v118, v113
	v_mov_b32_e32 v118, v50
	v_pk_add_f32 v[50:51], v[114:115], v[50:51] neg_lo:[0,1] neg_hi:[0,1]
	v_pk_add_f32 v[128:129], v[114:115], v[118:119]
	v_mov_b32_e32 v117, v114
	v_mov_b32_e32 v51, v129
	v_pk_add_f32 v[130:131], v[116:117], v[50:51] neg_lo:[0,1] neg_hi:[0,1]
	v_pk_add_f32 v[50:51], v[116:117], v[50:51]
	v_mov_b32_e32 v118, v119
	v_mov_b32_e32 v116, v51
	v_pk_add_f32 v[132:133], v[116:117], v[114:115] neg_lo:[0,1] neg_hi:[0,1]
	v_mov_b32_e32 v50, v129
	v_mov_b32_e32 v113, v132
	v_pk_add_f32 v[134:135], v[128:129], v[112:113] neg_lo:[0,1] neg_hi:[0,1]
	v_mov_b32_e32 v128, v115
	v_mov_b32_e32 v129, v132
	;; [unrolled: 1-line block ×3, first 2 shown]
	v_pk_add_f32 v[50:51], v[50:51], v[128:129] neg_lo:[0,1] neg_hi:[0,1]
	v_mov_b32_e32 v119, v114
	v_pk_add_f32 v[50:51], v[118:119], v[50:51] neg_lo:[0,1] neg_hi:[0,1]
	v_mov_b32_e32 v134, v130
	v_pk_add_f32 v[114:115], v[134:135], v[50:51]
	v_cmp_lt_f32_e64 s[64:65], |v144|, s64
	v_mov_b32_e32 v118, v115
	v_pk_add_f32 v[118:119], v[114:115], v[118:119]
	s_or_b64 vcc, vcc, s[64:65]
	v_pk_add_f32 v[116:117], v[116:117], v[118:119]
	v_mov_b32_e32 v51, v118
	v_mov_b32_e32 v115, v116
	v_pk_add_f32 v[128:129], v[114:115], v[130:131] neg_lo:[0,1] neg_hi:[0,1]
	s_nop 0
	v_sub_f32_e32 v113, v114, v128
	v_pk_add_f32 v[50:51], v[50:51], v[128:129] neg_lo:[0,1] neg_hi:[0,1]
	v_sub_f32_e32 v113, v130, v113
	v_add_f32_e32 v50, v50, v113
	v_add_f32_e32 v50, v50, v51
	;; [unrolled: 1-line block ×3, first 2 shown]
	v_cndmask_b32_e32 v50, v50, v144, vcc
	v_add_f32_e32 v49, v49, v50
	v_cvt_f16_f32_e32 v50, v49
.LBB388_153:
	s_or_b64 exec, exec, s[58:59]
	v_and_b32_e32 v49, 0xffff, v50
	v_mov_b32_e32 v135, v50
.LBB388_154:
	s_or_b64 exec, exec, s[62:63]
	v_cmp_gt_u32_e32 vcc, 62, v31
	v_add_u32_e32 v114, 2, v31
	s_waitcnt lgkmcnt(0)
	v_cndmask_b32_e64 v50, 0, 1, vcc
	v_lshlrev_b32_e32 v50, 1, v50
	v_add_lshl_u32 v113, v50, v37, 2
	ds_bpermute_b32 v50, v113, v49
	v_cmp_le_u32_e32 vcc, v114, v48
	s_and_saveexec_b64 s[62:63], vcc
	s_cbranch_execz .LBB388_158
; %bb.155:
	s_waitcnt lgkmcnt(0)
	v_cvt_f32_f16_e32 v49, v50
	v_cvt_f32_f16_e32 v115, v135
	v_cmp_u_f16_e32 vcc, v50, v50
	v_cmp_u_f16_e64 s[58:59], v135, v135
	v_min_f32_e32 v51, v49, v115
	v_max_f32_e32 v116, v49, v115
	v_cndmask_b32_e32 v51, v51, v49, vcc
	v_cndmask_b32_e32 v49, v116, v49, vcc
	v_cndmask_b32_e64 v51, v51, v115, s[58:59]
	v_cndmask_b32_e64 v49, v49, v115, s[58:59]
	s_movk_i32 s58, 0x1f8
	v_cmp_neq_f32_e32 vcc, v51, v49
	v_cmp_class_f32_e64 s[58:59], v51, s58
	s_or_b64 vcc, vcc, s[58:59]
	s_and_saveexec_b64 s[58:59], vcc
	s_cbranch_execz .LBB388_157
; %bb.156:
	v_sub_f32_e32 v50, v51, v49
	s_mov_b32 s64, 0x3fb8aa3b
	v_mul_f32_e32 v51, 0x3fb8aa3b, v50
	v_fma_f32 v115, v50, s64, -v51
	v_rndne_f32_e32 v116, v51
	v_fmamk_f32 v115, v50, 0x32a5705f, v115
	v_sub_f32_e32 v51, v51, v116
	v_add_f32_e32 v51, v51, v115
	v_exp_f32_e32 v51, v51
	v_cvt_i32_f32_e32 v115, v116
	s_mov_b32 s64, 0xc2ce8ed0
	v_cmp_ngt_f32_e32 vcc, s64, v50
	s_mov_b32 s64, 0x42b17218
	v_ldexp_f32 v51, v51, v115
	v_cndmask_b32_e32 v51, 0, v51, vcc
	v_mov_b32_e32 v115, 0x7f800000
	v_cmp_nlt_f32_e32 vcc, s64, v50
	s_mov_b32 s64, 0x3f2aaaab
	s_mov_b32 s65, 0x7f800000
	v_cndmask_b32_e32 v146, v115, v51, vcc
	v_add_f32_e32 v115, 1.0, v146
	v_add_f32_e32 v50, -1.0, v115
	v_sub_f32_e32 v51, v50, v115
	v_add_f32_e32 v51, 1.0, v51
	v_sub_f32_e32 v50, v146, v50
	v_add_f32_e32 v116, v50, v51
	v_frexp_mant_f32_e32 v117, v115
	v_cvt_f64_f32_e32 v[50:51], v115
	v_frexp_exp_i32_f64_e32 v50, v[50:51]
	v_cmp_gt_f32_e32 vcc, s64, v117
	s_mov_b32 s64, 0x3f317218
	s_nop 0
	v_subbrev_co_u32_e32 v130, vcc, 0, v50, vcc
	v_sub_u32_e32 v50, 0, v130
	v_ldexp_f32 v51, v115, v50
	v_add_f32_e32 v115, -1.0, v51
	v_add_f32_e32 v117, 1.0, v51
	v_ldexp_f32 v50, v116, v50
	v_add_f32_e32 v116, 1.0, v115
	v_add_f32_e32 v118, -1.0, v117
	v_sub_f32_e32 v116, v51, v116
	v_sub_f32_e32 v51, v51, v118
	v_add_f32_e32 v116, v50, v116
	v_add_f32_e32 v50, v50, v51
	;; [unrolled: 1-line block ×3, first 2 shown]
	v_rcp_f32_e32 v133, v131
	v_sub_f32_e32 v51, v117, v131
	v_add_f32_e32 v132, v50, v51
	v_add_f32_e32 v51, v115, v116
	v_sub_f32_e32 v50, v115, v51
	v_mul_f32_e32 v134, v51, v133
	v_add_f32_e32 v115, v116, v50
	v_mul_f32_e32 v116, v131, v134
	v_fma_f32 v118, v134, v131, -v116
	v_fmac_f32_e32 v118, v134, v132
	v_add_f32_e32 v50, v116, v118
	v_sub_f32_e32 v117, v51, v50
	v_pk_add_f32 v[128:129], v[50:51], v[116:117] neg_lo:[0,1] neg_hi:[0,1]
	v_mov_b32_e32 v119, v50
	v_pk_add_f32 v[50:51], v[128:129], v[118:119] neg_lo:[0,1] neg_hi:[0,1]
	v_cmp_eq_f32_e32 vcc, s65, v146
	v_add_f32_e32 v51, v115, v51
	v_add_f32_e32 v50, v50, v51
	v_add_f32_e32 v51, v117, v50
	v_mul_f32_e32 v115, v133, v51
	v_mul_f32_e32 v116, v131, v115
	v_fma_f32 v118, v115, v131, -v116
	v_fmac_f32_e32 v118, v115, v132
	v_sub_f32_e32 v117, v117, v51
	v_add_f32_e32 v131, v50, v117
	v_add_f32_e32 v50, v116, v118
	v_sub_f32_e32 v117, v51, v50
	v_pk_add_f32 v[128:129], v[50:51], v[116:117] neg_lo:[0,1] neg_hi:[0,1]
	v_mov_b32_e32 v119, v50
	v_pk_add_f32 v[50:51], v[128:129], v[118:119] neg_lo:[0,1] neg_hi:[0,1]
	v_cvt_f32_i32_e32 v116, v130
	v_add_f32_e32 v51, v131, v51
	v_add_f32_e32 v50, v50, v51
	;; [unrolled: 1-line block ×4, first 2 shown]
	v_sub_f32_e32 v51, v117, v134
	v_mul_f32_e32 v50, v133, v50
	v_sub_f32_e32 v51, v115, v51
	v_add_f32_e32 v50, v51, v50
	v_add_f32_e32 v115, v117, v50
	v_mul_f32_e32 v118, v115, v115
	v_mov_b32_e32 v51, 0x3ecc95a3
	v_sub_f32_e32 v117, v115, v117
	v_fmac_f32_e32 v51, 0x3e9b6dac, v118
	v_sub_f32_e32 v50, v50, v117
	v_fmaak_f32 v51, v118, v51, 0x3f2aaada
	v_ldexp_f32 v128, v50, 1
	v_mul_f32_e32 v117, v115, v118
	v_mov_b32_e32 v50, 0x3f317218
	v_pk_mul_f32 v[50:51], v[116:117], v[50:51]
	v_ldexp_f32 v119, v115, 1
	v_fma_f32 v115, v116, s64, -v50
	v_fmamk_f32 v118, v116, 0xb102e308, v115
	v_pk_add_f32 v[116:117], v[50:51], v[118:119]
	s_mov_b32 s64, 0x33800000
	v_sub_f32_e32 v115, v117, v119
	v_sub_f32_e32 v115, v51, v115
	v_add_f32_e32 v129, v128, v115
	v_mov_b32_e32 v128, v50
	v_pk_add_f32 v[50:51], v[116:117], v[50:51] neg_lo:[0,1] neg_hi:[0,1]
	v_pk_add_f32 v[130:131], v[116:117], v[128:129]
	v_mov_b32_e32 v119, v116
	v_mov_b32_e32 v51, v131
	v_pk_add_f32 v[132:133], v[118:119], v[50:51] neg_lo:[0,1] neg_hi:[0,1]
	v_pk_add_f32 v[50:51], v[118:119], v[50:51]
	v_mov_b32_e32 v128, v129
	v_mov_b32_e32 v118, v51
	v_pk_add_f32 v[134:135], v[118:119], v[116:117] neg_lo:[0,1] neg_hi:[0,1]
	v_mov_b32_e32 v50, v131
	v_mov_b32_e32 v115, v134
	v_pk_add_f32 v[144:145], v[130:131], v[114:115] neg_lo:[0,1] neg_hi:[0,1]
	v_mov_b32_e32 v130, v117
	v_mov_b32_e32 v131, v134
	;; [unrolled: 1-line block ×3, first 2 shown]
	v_pk_add_f32 v[50:51], v[50:51], v[130:131] neg_lo:[0,1] neg_hi:[0,1]
	v_mov_b32_e32 v129, v116
	v_pk_add_f32 v[50:51], v[128:129], v[50:51] neg_lo:[0,1] neg_hi:[0,1]
	v_mov_b32_e32 v144, v132
	v_pk_add_f32 v[116:117], v[144:145], v[50:51]
	v_cmp_lt_f32_e64 s[64:65], |v146|, s64
	v_mov_b32_e32 v128, v117
	v_pk_add_f32 v[128:129], v[116:117], v[128:129]
	s_or_b64 vcc, vcc, s[64:65]
	v_pk_add_f32 v[118:119], v[118:119], v[128:129]
	v_mov_b32_e32 v51, v128
	v_mov_b32_e32 v117, v118
	v_pk_add_f32 v[130:131], v[116:117], v[132:133] neg_lo:[0,1] neg_hi:[0,1]
	s_nop 0
	v_sub_f32_e32 v115, v116, v130
	v_pk_add_f32 v[50:51], v[50:51], v[130:131] neg_lo:[0,1] neg_hi:[0,1]
	v_sub_f32_e32 v115, v132, v115
	v_add_f32_e32 v50, v50, v115
	v_add_f32_e32 v50, v50, v51
	;; [unrolled: 1-line block ×3, first 2 shown]
	v_cndmask_b32_e32 v50, v50, v146, vcc
	v_add_f32_e32 v49, v49, v50
	v_cvt_f16_f32_e32 v50, v49
.LBB388_157:
	s_or_b64 exec, exec, s[58:59]
	v_and_b32_e32 v49, 0xffff, v50
	v_mov_b32_e32 v135, v50
.LBB388_158:
	s_or_b64 exec, exec, s[62:63]
	v_cmp_gt_u32_e32 vcc, 60, v31
	v_add_u32_e32 v116, 4, v31
	s_waitcnt lgkmcnt(0)
	v_cndmask_b32_e64 v50, 0, 1, vcc
	v_lshlrev_b32_e32 v50, 2, v50
	v_add_lshl_u32 v115, v50, v37, 2
	ds_bpermute_b32 v50, v115, v49
	v_cmp_le_u32_e32 vcc, v116, v48
	s_and_saveexec_b64 s[62:63], vcc
	s_cbranch_execz .LBB388_162
; %bb.159:
	s_waitcnt lgkmcnt(0)
	v_cvt_f32_f16_e32 v49, v50
	v_cvt_f32_f16_e32 v117, v135
	v_cmp_u_f16_e32 vcc, v50, v50
	v_cmp_u_f16_e64 s[58:59], v135, v135
	v_min_f32_e32 v51, v49, v117
	v_max_f32_e32 v118, v49, v117
	v_cndmask_b32_e32 v51, v51, v49, vcc
	v_cndmask_b32_e32 v49, v118, v49, vcc
	v_cndmask_b32_e64 v51, v51, v117, s[58:59]
	v_cndmask_b32_e64 v49, v49, v117, s[58:59]
	s_movk_i32 s58, 0x1f8
	v_cmp_neq_f32_e32 vcc, v51, v49
	v_cmp_class_f32_e64 s[58:59], v51, s58
	s_or_b64 vcc, vcc, s[58:59]
	s_and_saveexec_b64 s[58:59], vcc
	s_cbranch_execz .LBB388_161
; %bb.160:
	v_sub_f32_e32 v50, v51, v49
	s_mov_b32 s64, 0x3fb8aa3b
	v_mul_f32_e32 v51, 0x3fb8aa3b, v50
	v_fma_f32 v117, v50, s64, -v51
	v_rndne_f32_e32 v118, v51
	v_fmamk_f32 v117, v50, 0x32a5705f, v117
	v_sub_f32_e32 v51, v51, v118
	v_add_f32_e32 v51, v51, v117
	v_exp_f32_e32 v51, v51
	v_cvt_i32_f32_e32 v117, v118
	s_mov_b32 s64, 0xc2ce8ed0
	v_cmp_ngt_f32_e32 vcc, s64, v50
	s_mov_b32 s64, 0x42b17218
	v_ldexp_f32 v51, v51, v117
	v_cndmask_b32_e32 v51, 0, v51, vcc
	v_mov_b32_e32 v117, 0x7f800000
	v_cmp_nlt_f32_e32 vcc, s64, v50
	s_mov_b32 s64, 0x3f2aaaab
	s_mov_b32 s65, 0x7f800000
	v_cndmask_b32_e32 v148, v117, v51, vcc
	v_add_f32_e32 v117, 1.0, v148
	v_add_f32_e32 v50, -1.0, v117
	v_sub_f32_e32 v51, v50, v117
	v_add_f32_e32 v51, 1.0, v51
	v_sub_f32_e32 v50, v148, v50
	v_add_f32_e32 v118, v50, v51
	v_frexp_mant_f32_e32 v119, v117
	v_cvt_f64_f32_e32 v[50:51], v117
	v_frexp_exp_i32_f64_e32 v50, v[50:51]
	v_cmp_gt_f32_e32 vcc, s64, v119
	s_mov_b32 s64, 0x3f317218
	s_nop 0
	v_subbrev_co_u32_e32 v132, vcc, 0, v50, vcc
	v_sub_u32_e32 v50, 0, v132
	v_ldexp_f32 v51, v117, v50
	v_add_f32_e32 v117, -1.0, v51
	v_add_f32_e32 v119, 1.0, v51
	v_ldexp_f32 v50, v118, v50
	v_add_f32_e32 v118, 1.0, v117
	v_add_f32_e32 v128, -1.0, v119
	v_sub_f32_e32 v118, v51, v118
	v_sub_f32_e32 v51, v51, v128
	v_add_f32_e32 v118, v50, v118
	v_add_f32_e32 v50, v50, v51
	;; [unrolled: 1-line block ×3, first 2 shown]
	v_rcp_f32_e32 v135, v133
	v_sub_f32_e32 v51, v119, v133
	v_add_f32_e32 v134, v50, v51
	v_add_f32_e32 v51, v117, v118
	v_sub_f32_e32 v50, v117, v51
	v_mul_f32_e32 v144, v51, v135
	v_add_f32_e32 v117, v118, v50
	v_mul_f32_e32 v118, v133, v144
	v_fma_f32 v128, v144, v133, -v118
	v_fmac_f32_e32 v128, v144, v134
	v_add_f32_e32 v50, v118, v128
	v_sub_f32_e32 v119, v51, v50
	v_pk_add_f32 v[130:131], v[50:51], v[118:119] neg_lo:[0,1] neg_hi:[0,1]
	v_mov_b32_e32 v129, v50
	v_pk_add_f32 v[50:51], v[130:131], v[128:129] neg_lo:[0,1] neg_hi:[0,1]
	v_cmp_eq_f32_e32 vcc, s65, v148
	v_add_f32_e32 v51, v117, v51
	v_add_f32_e32 v50, v50, v51
	;; [unrolled: 1-line block ×3, first 2 shown]
	v_mul_f32_e32 v117, v135, v51
	v_mul_f32_e32 v118, v133, v117
	v_fma_f32 v128, v117, v133, -v118
	v_fmac_f32_e32 v128, v117, v134
	v_sub_f32_e32 v119, v119, v51
	v_add_f32_e32 v133, v50, v119
	v_add_f32_e32 v50, v118, v128
	v_sub_f32_e32 v119, v51, v50
	v_pk_add_f32 v[130:131], v[50:51], v[118:119] neg_lo:[0,1] neg_hi:[0,1]
	v_mov_b32_e32 v129, v50
	v_pk_add_f32 v[50:51], v[130:131], v[128:129] neg_lo:[0,1] neg_hi:[0,1]
	v_cvt_f32_i32_e32 v118, v132
	v_add_f32_e32 v51, v133, v51
	v_add_f32_e32 v50, v50, v51
	;; [unrolled: 1-line block ×4, first 2 shown]
	v_sub_f32_e32 v51, v119, v144
	v_mul_f32_e32 v50, v135, v50
	v_sub_f32_e32 v51, v117, v51
	v_add_f32_e32 v50, v51, v50
	v_add_f32_e32 v117, v119, v50
	v_mul_f32_e32 v128, v117, v117
	v_mov_b32_e32 v51, 0x3ecc95a3
	v_sub_f32_e32 v119, v117, v119
	v_fmac_f32_e32 v51, 0x3e9b6dac, v128
	v_sub_f32_e32 v50, v50, v119
	v_fmaak_f32 v51, v128, v51, 0x3f2aaada
	v_ldexp_f32 v130, v50, 1
	v_mul_f32_e32 v119, v117, v128
	v_mov_b32_e32 v50, 0x3f317218
	v_pk_mul_f32 v[50:51], v[118:119], v[50:51]
	v_ldexp_f32 v129, v117, 1
	v_fma_f32 v117, v118, s64, -v50
	v_fmamk_f32 v128, v118, 0xb102e308, v117
	v_pk_add_f32 v[118:119], v[50:51], v[128:129]
	s_mov_b32 s64, 0x33800000
	v_sub_f32_e32 v117, v119, v129
	v_sub_f32_e32 v117, v51, v117
	v_add_f32_e32 v131, v130, v117
	v_mov_b32_e32 v130, v50
	v_pk_add_f32 v[50:51], v[118:119], v[50:51] neg_lo:[0,1] neg_hi:[0,1]
	v_pk_add_f32 v[132:133], v[118:119], v[130:131]
	v_mov_b32_e32 v129, v118
	v_mov_b32_e32 v51, v133
	v_pk_add_f32 v[134:135], v[128:129], v[50:51] neg_lo:[0,1] neg_hi:[0,1]
	v_pk_add_f32 v[50:51], v[128:129], v[50:51]
	v_mov_b32_e32 v130, v131
	v_mov_b32_e32 v128, v51
	v_pk_add_f32 v[144:145], v[128:129], v[118:119] neg_lo:[0,1] neg_hi:[0,1]
	v_mov_b32_e32 v50, v133
	v_mov_b32_e32 v117, v144
	v_pk_add_f32 v[146:147], v[132:133], v[116:117] neg_lo:[0,1] neg_hi:[0,1]
	v_mov_b32_e32 v132, v119
	v_mov_b32_e32 v133, v144
	;; [unrolled: 1-line block ×3, first 2 shown]
	v_pk_add_f32 v[50:51], v[50:51], v[132:133] neg_lo:[0,1] neg_hi:[0,1]
	v_mov_b32_e32 v131, v118
	v_pk_add_f32 v[50:51], v[130:131], v[50:51] neg_lo:[0,1] neg_hi:[0,1]
	v_mov_b32_e32 v146, v134
	v_pk_add_f32 v[118:119], v[146:147], v[50:51]
	v_cmp_lt_f32_e64 s[64:65], |v148|, s64
	v_mov_b32_e32 v130, v119
	v_pk_add_f32 v[130:131], v[118:119], v[130:131]
	s_or_b64 vcc, vcc, s[64:65]
	v_pk_add_f32 v[128:129], v[128:129], v[130:131]
	v_mov_b32_e32 v51, v130
	v_mov_b32_e32 v119, v128
	v_pk_add_f32 v[132:133], v[118:119], v[134:135] neg_lo:[0,1] neg_hi:[0,1]
	s_nop 0
	v_sub_f32_e32 v117, v118, v132
	v_pk_add_f32 v[50:51], v[50:51], v[132:133] neg_lo:[0,1] neg_hi:[0,1]
	v_sub_f32_e32 v117, v134, v117
	v_add_f32_e32 v50, v50, v117
	v_add_f32_e32 v50, v50, v51
	;; [unrolled: 1-line block ×3, first 2 shown]
	v_cndmask_b32_e32 v50, v50, v148, vcc
	v_add_f32_e32 v49, v49, v50
	v_cvt_f16_f32_e32 v50, v49
.LBB388_161:
	s_or_b64 exec, exec, s[58:59]
	v_and_b32_e32 v49, 0xffff, v50
	v_mov_b32_e32 v135, v50
.LBB388_162:
	s_or_b64 exec, exec, s[62:63]
	v_cmp_gt_u32_e32 vcc, 56, v31
	v_add_u32_e32 v118, 8, v31
	s_waitcnt lgkmcnt(0)
	v_cndmask_b32_e64 v50, 0, 1, vcc
	v_lshlrev_b32_e32 v50, 3, v50
	v_add_lshl_u32 v117, v50, v37, 2
	ds_bpermute_b32 v50, v117, v49
	v_cmp_le_u32_e32 vcc, v118, v48
	s_and_saveexec_b64 s[62:63], vcc
	s_cbranch_execz .LBB388_166
; %bb.163:
	s_waitcnt lgkmcnt(0)
	v_cvt_f32_f16_e32 v49, v50
	v_cvt_f32_f16_e32 v119, v135
	v_cmp_u_f16_e32 vcc, v50, v50
	v_cmp_u_f16_e64 s[58:59], v135, v135
	v_min_f32_e32 v51, v49, v119
	v_max_f32_e32 v128, v49, v119
	v_cndmask_b32_e32 v51, v51, v49, vcc
	v_cndmask_b32_e32 v49, v128, v49, vcc
	v_cndmask_b32_e64 v51, v51, v119, s[58:59]
	v_cndmask_b32_e64 v49, v49, v119, s[58:59]
	s_movk_i32 s58, 0x1f8
	v_cmp_neq_f32_e32 vcc, v51, v49
	v_cmp_class_f32_e64 s[58:59], v51, s58
	s_or_b64 vcc, vcc, s[58:59]
	s_and_saveexec_b64 s[58:59], vcc
	s_cbranch_execz .LBB388_165
; %bb.164:
	v_sub_f32_e32 v50, v51, v49
	s_mov_b32 s64, 0x3fb8aa3b
	v_mul_f32_e32 v51, 0x3fb8aa3b, v50
	v_fma_f32 v119, v50, s64, -v51
	v_rndne_f32_e32 v128, v51
	v_fmamk_f32 v119, v50, 0x32a5705f, v119
	v_sub_f32_e32 v51, v51, v128
	v_add_f32_e32 v51, v51, v119
	v_exp_f32_e32 v51, v51
	v_cvt_i32_f32_e32 v119, v128
	s_mov_b32 s64, 0xc2ce8ed0
	v_cmp_ngt_f32_e32 vcc, s64, v50
	s_mov_b32 s64, 0x42b17218
	v_ldexp_f32 v51, v51, v119
	v_cndmask_b32_e32 v51, 0, v51, vcc
	v_mov_b32_e32 v119, 0x7f800000
	v_cmp_nlt_f32_e32 vcc, s64, v50
	s_mov_b32 s64, 0x3f2aaaab
	s_mov_b32 s65, 0x7f800000
	v_cndmask_b32_e32 v150, v119, v51, vcc
	v_add_f32_e32 v119, 1.0, v150
	v_add_f32_e32 v50, -1.0, v119
	v_sub_f32_e32 v51, v50, v119
	v_add_f32_e32 v51, 1.0, v51
	v_sub_f32_e32 v50, v150, v50
	v_add_f32_e32 v128, v50, v51
	v_frexp_mant_f32_e32 v129, v119
	v_cvt_f64_f32_e32 v[50:51], v119
	v_frexp_exp_i32_f64_e32 v50, v[50:51]
	v_cmp_gt_f32_e32 vcc, s64, v129
	s_mov_b32 s64, 0x3f317218
	s_nop 0
	v_subbrev_co_u32_e32 v134, vcc, 0, v50, vcc
	v_sub_u32_e32 v50, 0, v134
	v_ldexp_f32 v51, v119, v50
	v_add_f32_e32 v119, -1.0, v51
	v_add_f32_e32 v129, 1.0, v51
	v_ldexp_f32 v50, v128, v50
	v_add_f32_e32 v128, 1.0, v119
	v_add_f32_e32 v130, -1.0, v129
	v_sub_f32_e32 v128, v51, v128
	v_sub_f32_e32 v51, v51, v130
	v_add_f32_e32 v128, v50, v128
	v_add_f32_e32 v50, v50, v51
	;; [unrolled: 1-line block ×3, first 2 shown]
	v_rcp_f32_e32 v145, v135
	v_sub_f32_e32 v51, v129, v135
	v_add_f32_e32 v144, v50, v51
	v_add_f32_e32 v51, v119, v128
	v_sub_f32_e32 v50, v119, v51
	v_mul_f32_e32 v146, v51, v145
	v_add_f32_e32 v119, v128, v50
	v_mul_f32_e32 v128, v135, v146
	v_fma_f32 v130, v146, v135, -v128
	v_fmac_f32_e32 v130, v146, v144
	v_add_f32_e32 v50, v128, v130
	v_sub_f32_e32 v129, v51, v50
	v_pk_add_f32 v[132:133], v[50:51], v[128:129] neg_lo:[0,1] neg_hi:[0,1]
	v_mov_b32_e32 v131, v50
	v_pk_add_f32 v[50:51], v[132:133], v[130:131] neg_lo:[0,1] neg_hi:[0,1]
	v_cmp_eq_f32_e32 vcc, s65, v150
	v_add_f32_e32 v51, v119, v51
	v_add_f32_e32 v50, v50, v51
	;; [unrolled: 1-line block ×3, first 2 shown]
	v_mul_f32_e32 v119, v145, v51
	v_mul_f32_e32 v128, v135, v119
	v_fma_f32 v130, v119, v135, -v128
	v_fmac_f32_e32 v130, v119, v144
	v_sub_f32_e32 v129, v129, v51
	v_add_f32_e32 v135, v50, v129
	v_add_f32_e32 v50, v128, v130
	v_sub_f32_e32 v129, v51, v50
	v_pk_add_f32 v[132:133], v[50:51], v[128:129] neg_lo:[0,1] neg_hi:[0,1]
	v_mov_b32_e32 v131, v50
	v_pk_add_f32 v[50:51], v[132:133], v[130:131] neg_lo:[0,1] neg_hi:[0,1]
	v_cvt_f32_i32_e32 v128, v134
	v_add_f32_e32 v51, v135, v51
	v_add_f32_e32 v50, v50, v51
	;; [unrolled: 1-line block ×4, first 2 shown]
	v_sub_f32_e32 v51, v129, v146
	v_mul_f32_e32 v50, v145, v50
	v_sub_f32_e32 v51, v119, v51
	v_add_f32_e32 v50, v51, v50
	v_add_f32_e32 v119, v129, v50
	v_mul_f32_e32 v130, v119, v119
	v_mov_b32_e32 v51, 0x3ecc95a3
	v_sub_f32_e32 v129, v119, v129
	v_fmac_f32_e32 v51, 0x3e9b6dac, v130
	v_sub_f32_e32 v50, v50, v129
	v_fmaak_f32 v51, v130, v51, 0x3f2aaada
	v_ldexp_f32 v132, v50, 1
	v_mul_f32_e32 v129, v119, v130
	v_mov_b32_e32 v50, 0x3f317218
	v_pk_mul_f32 v[50:51], v[128:129], v[50:51]
	v_ldexp_f32 v131, v119, 1
	v_fma_f32 v119, v128, s64, -v50
	v_fmamk_f32 v130, v128, 0xb102e308, v119
	v_pk_add_f32 v[128:129], v[50:51], v[130:131]
	s_mov_b32 s64, 0x33800000
	v_sub_f32_e32 v119, v129, v131
	v_sub_f32_e32 v119, v51, v119
	v_add_f32_e32 v133, v132, v119
	v_mov_b32_e32 v132, v50
	v_pk_add_f32 v[50:51], v[128:129], v[50:51] neg_lo:[0,1] neg_hi:[0,1]
	v_pk_add_f32 v[134:135], v[128:129], v[132:133]
	v_mov_b32_e32 v131, v128
	v_mov_b32_e32 v51, v135
	v_pk_add_f32 v[144:145], v[130:131], v[50:51] neg_lo:[0,1] neg_hi:[0,1]
	v_pk_add_f32 v[50:51], v[130:131], v[50:51]
	v_mov_b32_e32 v132, v133
	v_mov_b32_e32 v130, v51
	v_pk_add_f32 v[146:147], v[130:131], v[128:129] neg_lo:[0,1] neg_hi:[0,1]
	v_mov_b32_e32 v50, v135
	v_mov_b32_e32 v119, v146
	v_pk_add_f32 v[148:149], v[134:135], v[118:119] neg_lo:[0,1] neg_hi:[0,1]
	v_mov_b32_e32 v134, v129
	v_mov_b32_e32 v135, v146
	;; [unrolled: 1-line block ×3, first 2 shown]
	v_pk_add_f32 v[50:51], v[50:51], v[134:135] neg_lo:[0,1] neg_hi:[0,1]
	v_mov_b32_e32 v133, v128
	v_pk_add_f32 v[50:51], v[132:133], v[50:51] neg_lo:[0,1] neg_hi:[0,1]
	v_mov_b32_e32 v148, v144
	v_pk_add_f32 v[128:129], v[148:149], v[50:51]
	v_cmp_lt_f32_e64 s[64:65], |v150|, s64
	v_mov_b32_e32 v132, v129
	v_pk_add_f32 v[132:133], v[128:129], v[132:133]
	s_or_b64 vcc, vcc, s[64:65]
	v_pk_add_f32 v[130:131], v[130:131], v[132:133]
	v_mov_b32_e32 v51, v132
	v_mov_b32_e32 v129, v130
	v_pk_add_f32 v[134:135], v[128:129], v[144:145] neg_lo:[0,1] neg_hi:[0,1]
	s_nop 0
	v_sub_f32_e32 v119, v128, v134
	v_pk_add_f32 v[50:51], v[50:51], v[134:135] neg_lo:[0,1] neg_hi:[0,1]
	v_sub_f32_e32 v119, v144, v119
	v_add_f32_e32 v50, v50, v119
	v_add_f32_e32 v50, v50, v51
	;; [unrolled: 1-line block ×3, first 2 shown]
	v_cndmask_b32_e32 v50, v50, v150, vcc
	v_add_f32_e32 v49, v49, v50
	v_cvt_f16_f32_e32 v50, v49
.LBB388_165:
	s_or_b64 exec, exec, s[58:59]
	v_and_b32_e32 v49, 0xffff, v50
	v_mov_b32_e32 v135, v50
.LBB388_166:
	s_or_b64 exec, exec, s[62:63]
	v_cmp_gt_u32_e32 vcc, 48, v31
	v_add_u32_e32 v128, 16, v31
	s_waitcnt lgkmcnt(0)
	v_cndmask_b32_e64 v50, 0, 1, vcc
	v_lshlrev_b32_e32 v50, 4, v50
	v_add_lshl_u32 v119, v50, v37, 2
	ds_bpermute_b32 v50, v119, v49
	v_cmp_le_u32_e32 vcc, v128, v48
	s_and_saveexec_b64 s[62:63], vcc
	s_cbranch_execz .LBB388_170
; %bb.167:
	s_waitcnt lgkmcnt(0)
	v_cvt_f32_f16_e32 v49, v50
	v_cvt_f32_f16_e32 v129, v135
	v_cmp_u_f16_e32 vcc, v50, v50
	v_cmp_u_f16_e64 s[58:59], v135, v135
	v_min_f32_e32 v51, v49, v129
	v_max_f32_e32 v130, v49, v129
	v_cndmask_b32_e32 v51, v51, v49, vcc
	v_cndmask_b32_e32 v49, v130, v49, vcc
	v_cndmask_b32_e64 v51, v51, v129, s[58:59]
	v_cndmask_b32_e64 v49, v49, v129, s[58:59]
	s_movk_i32 s58, 0x1f8
	v_cmp_neq_f32_e32 vcc, v51, v49
	v_cmp_class_f32_e64 s[58:59], v51, s58
	s_or_b64 vcc, vcc, s[58:59]
	s_and_saveexec_b64 s[58:59], vcc
	s_cbranch_execz .LBB388_169
; %bb.168:
	v_sub_f32_e32 v50, v51, v49
	s_mov_b32 s64, 0x3fb8aa3b
	v_mul_f32_e32 v51, 0x3fb8aa3b, v50
	v_fma_f32 v129, v50, s64, -v51
	v_rndne_f32_e32 v130, v51
	v_fmamk_f32 v129, v50, 0x32a5705f, v129
	v_sub_f32_e32 v51, v51, v130
	v_add_f32_e32 v51, v51, v129
	v_exp_f32_e32 v51, v51
	v_cvt_i32_f32_e32 v129, v130
	s_mov_b32 s64, 0xc2ce8ed0
	v_cmp_ngt_f32_e32 vcc, s64, v50
	s_mov_b32 s64, 0x42b17218
	v_ldexp_f32 v51, v51, v129
	v_cndmask_b32_e32 v51, 0, v51, vcc
	v_mov_b32_e32 v129, 0x7f800000
	v_cmp_nlt_f32_e32 vcc, s64, v50
	s_mov_b32 s64, 0x3f2aaaab
	s_mov_b32 s65, 0x7f800000
	v_cndmask_b32_e32 v160, v129, v51, vcc
	v_add_f32_e32 v129, 1.0, v160
	v_add_f32_e32 v50, -1.0, v129
	v_sub_f32_e32 v51, v50, v129
	v_add_f32_e32 v51, 1.0, v51
	v_sub_f32_e32 v50, v160, v50
	v_add_f32_e32 v130, v50, v51
	v_frexp_mant_f32_e32 v131, v129
	v_cvt_f64_f32_e32 v[50:51], v129
	v_frexp_exp_i32_f64_e32 v50, v[50:51]
	v_cmp_gt_f32_e32 vcc, s64, v131
	s_mov_b32 s64, 0x3f317218
	s_nop 0
	v_subbrev_co_u32_e32 v144, vcc, 0, v50, vcc
	v_sub_u32_e32 v50, 0, v144
	v_ldexp_f32 v51, v129, v50
	v_add_f32_e32 v129, -1.0, v51
	v_add_f32_e32 v131, 1.0, v51
	v_ldexp_f32 v50, v130, v50
	v_add_f32_e32 v130, 1.0, v129
	v_add_f32_e32 v132, -1.0, v131
	v_sub_f32_e32 v130, v51, v130
	v_sub_f32_e32 v51, v51, v132
	v_add_f32_e32 v130, v50, v130
	v_add_f32_e32 v50, v50, v51
	;; [unrolled: 1-line block ×3, first 2 shown]
	v_rcp_f32_e32 v147, v145
	v_sub_f32_e32 v51, v131, v145
	v_add_f32_e32 v146, v50, v51
	v_add_f32_e32 v51, v129, v130
	v_sub_f32_e32 v50, v129, v51
	v_mul_f32_e32 v148, v51, v147
	v_add_f32_e32 v129, v130, v50
	v_mul_f32_e32 v130, v145, v148
	v_fma_f32 v132, v148, v145, -v130
	v_fmac_f32_e32 v132, v148, v146
	v_add_f32_e32 v50, v130, v132
	v_sub_f32_e32 v131, v51, v50
	v_pk_add_f32 v[134:135], v[50:51], v[130:131] neg_lo:[0,1] neg_hi:[0,1]
	v_mov_b32_e32 v133, v50
	v_pk_add_f32 v[50:51], v[134:135], v[132:133] neg_lo:[0,1] neg_hi:[0,1]
	v_cmp_eq_f32_e32 vcc, s65, v160
	v_add_f32_e32 v51, v129, v51
	v_add_f32_e32 v50, v50, v51
	;; [unrolled: 1-line block ×3, first 2 shown]
	v_mul_f32_e32 v129, v147, v51
	v_mul_f32_e32 v130, v145, v129
	v_fma_f32 v132, v129, v145, -v130
	v_fmac_f32_e32 v132, v129, v146
	v_sub_f32_e32 v131, v131, v51
	v_add_f32_e32 v145, v50, v131
	v_add_f32_e32 v50, v130, v132
	v_sub_f32_e32 v131, v51, v50
	v_pk_add_f32 v[134:135], v[50:51], v[130:131] neg_lo:[0,1] neg_hi:[0,1]
	v_mov_b32_e32 v133, v50
	v_pk_add_f32 v[50:51], v[134:135], v[132:133] neg_lo:[0,1] neg_hi:[0,1]
	v_cvt_f32_i32_e32 v130, v144
	v_add_f32_e32 v51, v145, v51
	v_add_f32_e32 v50, v50, v51
	v_add_f32_e32 v50, v131, v50
	v_add_f32_e32 v131, v148, v129
	v_sub_f32_e32 v51, v131, v148
	v_mul_f32_e32 v50, v147, v50
	v_sub_f32_e32 v51, v129, v51
	v_add_f32_e32 v50, v51, v50
	v_add_f32_e32 v129, v131, v50
	v_mul_f32_e32 v132, v129, v129
	v_mov_b32_e32 v51, 0x3ecc95a3
	v_sub_f32_e32 v131, v129, v131
	v_fmac_f32_e32 v51, 0x3e9b6dac, v132
	v_sub_f32_e32 v50, v50, v131
	v_fmaak_f32 v51, v132, v51, 0x3f2aaada
	v_ldexp_f32 v134, v50, 1
	v_mul_f32_e32 v131, v129, v132
	v_mov_b32_e32 v50, 0x3f317218
	v_pk_mul_f32 v[50:51], v[130:131], v[50:51]
	v_ldexp_f32 v133, v129, 1
	v_fma_f32 v129, v130, s64, -v50
	v_fmamk_f32 v132, v130, 0xb102e308, v129
	v_pk_add_f32 v[130:131], v[50:51], v[132:133]
	s_mov_b32 s64, 0x33800000
	v_sub_f32_e32 v129, v131, v133
	v_sub_f32_e32 v129, v51, v129
	v_add_f32_e32 v135, v134, v129
	v_mov_b32_e32 v134, v50
	v_pk_add_f32 v[50:51], v[130:131], v[50:51] neg_lo:[0,1] neg_hi:[0,1]
	v_pk_add_f32 v[144:145], v[130:131], v[134:135]
	v_mov_b32_e32 v133, v130
	v_mov_b32_e32 v51, v145
	v_pk_add_f32 v[146:147], v[132:133], v[50:51] neg_lo:[0,1] neg_hi:[0,1]
	v_pk_add_f32 v[50:51], v[132:133], v[50:51]
	v_mov_b32_e32 v134, v135
	v_mov_b32_e32 v132, v51
	v_pk_add_f32 v[148:149], v[132:133], v[130:131] neg_lo:[0,1] neg_hi:[0,1]
	v_mov_b32_e32 v50, v145
	v_mov_b32_e32 v129, v148
	v_pk_add_f32 v[150:151], v[144:145], v[128:129] neg_lo:[0,1] neg_hi:[0,1]
	v_mov_b32_e32 v144, v131
	v_mov_b32_e32 v145, v148
	;; [unrolled: 1-line block ×3, first 2 shown]
	v_pk_add_f32 v[50:51], v[50:51], v[144:145] neg_lo:[0,1] neg_hi:[0,1]
	v_mov_b32_e32 v135, v130
	v_pk_add_f32 v[50:51], v[134:135], v[50:51] neg_lo:[0,1] neg_hi:[0,1]
	v_mov_b32_e32 v150, v146
	v_pk_add_f32 v[130:131], v[150:151], v[50:51]
	v_cmp_lt_f32_e64 s[64:65], |v160|, s64
	v_mov_b32_e32 v134, v131
	v_pk_add_f32 v[134:135], v[130:131], v[134:135]
	s_or_b64 vcc, vcc, s[64:65]
	v_pk_add_f32 v[132:133], v[132:133], v[134:135]
	v_mov_b32_e32 v51, v134
	v_mov_b32_e32 v131, v132
	v_pk_add_f32 v[144:145], v[130:131], v[146:147] neg_lo:[0,1] neg_hi:[0,1]
	s_nop 0
	v_sub_f32_e32 v129, v130, v144
	v_pk_add_f32 v[50:51], v[50:51], v[144:145] neg_lo:[0,1] neg_hi:[0,1]
	v_sub_f32_e32 v129, v146, v129
	v_add_f32_e32 v50, v50, v129
	v_add_f32_e32 v50, v50, v51
	;; [unrolled: 1-line block ×3, first 2 shown]
	v_cndmask_b32_e32 v50, v50, v160, vcc
	v_add_f32_e32 v49, v49, v50
	v_cvt_f16_f32_e32 v50, v49
.LBB388_169:
	s_or_b64 exec, exec, s[58:59]
	v_and_b32_e32 v49, 0xffff, v50
	v_mov_b32_e32 v135, v50
.LBB388_170:
	s_or_b64 exec, exec, s[62:63]
	v_cmp_gt_u32_e32 vcc, 32, v31
	v_add_u32_e32 v130, 32, v31
	s_waitcnt lgkmcnt(0)
	v_cndmask_b32_e64 v50, 0, 1, vcc
	v_lshlrev_b32_e32 v50, 5, v50
	v_add_lshl_u32 v129, v50, v37, 2
	ds_bpermute_b32 v49, v129, v49
	v_cmp_le_u32_e32 vcc, v130, v48
	s_and_saveexec_b64 s[62:63], vcc
	s_cbranch_execz .LBB388_174
; %bb.171:
	s_waitcnt lgkmcnt(0)
	v_cvt_f32_f16_e32 v37, v49
	v_cvt_f32_f16_e32 v50, v135
	v_cmp_u_f16_e32 vcc, v49, v49
	v_cmp_u_f16_e64 s[58:59], v135, v135
	v_min_f32_e32 v48, v37, v50
	v_max_f32_e32 v51, v37, v50
	v_cndmask_b32_e32 v48, v48, v37, vcc
	v_cndmask_b32_e32 v37, v51, v37, vcc
	v_cndmask_b32_e64 v48, v48, v50, s[58:59]
	v_cndmask_b32_e64 v37, v37, v50, s[58:59]
	s_movk_i32 s58, 0x1f8
	v_cmp_neq_f32_e32 vcc, v48, v37
	v_cmp_class_f32_e64 s[58:59], v48, s58
	s_or_b64 vcc, vcc, s[58:59]
	s_and_saveexec_b64 s[58:59], vcc
	s_cbranch_execz .LBB388_173
; %bb.172:
	v_sub_f32_e32 v48, v48, v37
	s_mov_b32 s64, 0x3fb8aa3b
	v_mul_f32_e32 v49, 0x3fb8aa3b, v48
	v_fma_f32 v50, v48, s64, -v49
	v_rndne_f32_e32 v51, v49
	v_fmamk_f32 v50, v48, 0x32a5705f, v50
	v_sub_f32_e32 v49, v49, v51
	v_add_f32_e32 v49, v49, v50
	v_exp_f32_e32 v49, v49
	v_cvt_i32_f32_e32 v50, v51
	s_mov_b32 s64, 0xc2ce8ed0
	v_cmp_ngt_f32_e32 vcc, s64, v48
	s_mov_b32 s64, 0x42b17218
	v_ldexp_f32 v49, v49, v50
	v_cndmask_b32_e32 v49, 0, v49, vcc
	v_mov_b32_e32 v50, 0x7f800000
	v_cmp_nlt_f32_e32 vcc, s64, v48
	s_mov_b32 s64, 0x3f2aaaab
	s_mov_b32 s65, 0x7f800000
	v_cndmask_b32_e32 v160, v50, v49, vcc
	v_add_f32_e32 v50, 1.0, v160
	v_add_f32_e32 v48, -1.0, v50
	v_sub_f32_e32 v49, v48, v50
	v_add_f32_e32 v49, 1.0, v49
	v_sub_f32_e32 v48, v160, v48
	v_add_f32_e32 v51, v48, v49
	v_frexp_mant_f32_e32 v131, v50
	v_cvt_f64_f32_e32 v[48:49], v50
	v_frexp_exp_i32_f64_e32 v48, v[48:49]
	v_cmp_gt_f32_e32 vcc, s64, v131
	s_mov_b32 s64, 0x3f317218
	s_nop 0
	v_subbrev_co_u32_e32 v131, vcc, 0, v48, vcc
	v_sub_u32_e32 v48, 0, v131
	v_ldexp_f32 v49, v50, v48
	v_add_f32_e32 v50, -1.0, v49
	v_add_f32_e32 v132, 1.0, v49
	v_ldexp_f32 v48, v51, v48
	v_add_f32_e32 v51, 1.0, v50
	v_add_f32_e32 v133, -1.0, v132
	v_sub_f32_e32 v51, v49, v51
	v_sub_f32_e32 v49, v49, v133
	v_add_f32_e32 v51, v48, v51
	v_add_f32_e32 v48, v48, v49
	;; [unrolled: 1-line block ×3, first 2 shown]
	v_rcp_f32_e32 v146, v144
	v_sub_f32_e32 v49, v132, v144
	v_add_f32_e32 v145, v48, v49
	v_add_f32_e32 v49, v50, v51
	v_mul_f32_e32 v148, v49, v146
	v_sub_f32_e32 v48, v50, v49
	v_mul_f32_e32 v50, v144, v148
	v_fma_f32 v132, v148, v144, -v50
	v_fmac_f32_e32 v132, v148, v145
	v_add_f32_e32 v147, v51, v48
	v_add_f32_e32 v48, v50, v132
	v_sub_f32_e32 v51, v49, v48
	v_pk_add_f32 v[134:135], v[48:49], v[50:51] neg_lo:[0,1] neg_hi:[0,1]
	v_mov_b32_e32 v133, v48
	v_pk_add_f32 v[48:49], v[134:135], v[132:133] neg_lo:[0,1] neg_hi:[0,1]
	v_cmp_eq_f32_e32 vcc, s65, v160
	v_add_f32_e32 v49, v147, v49
	v_add_f32_e32 v48, v48, v49
	;; [unrolled: 1-line block ×3, first 2 shown]
	v_mul_f32_e32 v147, v146, v49
	v_mul_f32_e32 v50, v144, v147
	v_fma_f32 v132, v147, v144, -v50
	v_fmac_f32_e32 v132, v147, v145
	v_sub_f32_e32 v51, v51, v49
	v_add_f32_e32 v144, v48, v51
	v_add_f32_e32 v48, v50, v132
	v_sub_f32_e32 v51, v49, v48
	v_pk_add_f32 v[134:135], v[48:49], v[50:51] neg_lo:[0,1] neg_hi:[0,1]
	v_mov_b32_e32 v133, v48
	v_pk_add_f32 v[48:49], v[134:135], v[132:133] neg_lo:[0,1] neg_hi:[0,1]
	v_cvt_f32_i32_e32 v50, v131
	v_add_f32_e32 v49, v144, v49
	v_add_f32_e32 v48, v48, v49
	;; [unrolled: 1-line block ×4, first 2 shown]
	v_sub_f32_e32 v49, v51, v148
	v_mul_f32_e32 v48, v146, v48
	v_sub_f32_e32 v49, v147, v49
	v_add_f32_e32 v48, v49, v48
	v_add_f32_e32 v132, v51, v48
	v_mul_f32_e32 v134, v132, v132
	v_mov_b32_e32 v49, 0x3ecc95a3
	v_sub_f32_e32 v51, v132, v51
	v_fmac_f32_e32 v49, 0x3e9b6dac, v134
	v_sub_f32_e32 v48, v48, v51
	v_fmaak_f32 v49, v134, v49, 0x3f2aaada
	v_ldexp_f32 v131, v48, 1
	v_mul_f32_e32 v51, v132, v134
	v_mov_b32_e32 v48, 0x3f317218
	v_pk_mul_f32 v[48:49], v[50:51], v[48:49]
	v_ldexp_f32 v133, v132, 1
	v_fma_f32 v51, v50, s64, -v48
	v_fmamk_f32 v132, v50, 0xb102e308, v51
	v_pk_add_f32 v[50:51], v[48:49], v[132:133]
	v_mov_b32_e32 v134, v48
	v_sub_f32_e32 v133, v51, v133
	v_sub_f32_e32 v133, v49, v133
	v_add_f32_e32 v135, v131, v133
	v_pk_add_f32 v[48:49], v[50:51], v[48:49] neg_lo:[0,1] neg_hi:[0,1]
	v_pk_add_f32 v[144:145], v[50:51], v[134:135]
	v_mov_b32_e32 v133, v50
	v_mov_b32_e32 v49, v145
	v_pk_add_f32 v[146:147], v[132:133], v[48:49] neg_lo:[0,1] neg_hi:[0,1]
	v_pk_add_f32 v[48:49], v[132:133], v[48:49]
	v_mov_b32_e32 v134, v135
	v_mov_b32_e32 v132, v49
	v_pk_add_f32 v[148:149], v[132:133], v[50:51] neg_lo:[0,1] neg_hi:[0,1]
	v_mov_b32_e32 v48, v145
	v_mov_b32_e32 v131, v148
	v_pk_add_f32 v[150:151], v[144:145], v[130:131] neg_lo:[0,1] neg_hi:[0,1]
	v_mov_b32_e32 v144, v51
	v_mov_b32_e32 v145, v148
	;; [unrolled: 1-line block ×3, first 2 shown]
	v_pk_add_f32 v[48:49], v[48:49], v[144:145] neg_lo:[0,1] neg_hi:[0,1]
	v_mov_b32_e32 v135, v50
	v_pk_add_f32 v[48:49], v[134:135], v[48:49] neg_lo:[0,1] neg_hi:[0,1]
	v_mov_b32_e32 v150, v146
	v_pk_add_f32 v[50:51], v[150:151], v[48:49]
	s_mov_b32 s64, 0x33800000
	v_mov_b32_e32 v134, v51
	v_pk_add_f32 v[134:135], v[50:51], v[134:135]
	v_cmp_lt_f32_e64 s[64:65], |v160|, s64
	v_pk_add_f32 v[132:133], v[132:133], v[134:135]
	v_mov_b32_e32 v49, v134
	v_mov_b32_e32 v51, v132
	v_pk_add_f32 v[144:145], v[50:51], v[146:147] neg_lo:[0,1] neg_hi:[0,1]
	s_or_b64 vcc, vcc, s[64:65]
	v_sub_f32_e32 v50, v50, v144
	v_pk_add_f32 v[48:49], v[48:49], v[144:145] neg_lo:[0,1] neg_hi:[0,1]
	v_sub_f32_e32 v50, v146, v50
	v_add_f32_e32 v48, v48, v50
	v_add_f32_e32 v48, v48, v49
	;; [unrolled: 1-line block ×3, first 2 shown]
	v_cndmask_b32_e32 v48, v48, v160, vcc
	v_add_f32_e32 v37, v37, v48
	v_cvt_f16_f32_e32 v49, v37
.LBB388_173:
	s_or_b64 exec, exec, s[58:59]
	v_mov_b32_e32 v135, v49
.LBB388_174:
	s_or_b64 exec, exec, s[62:63]
                                        ; implicit-def: $vgpr48
	v_mov_b32_e32 v37, 0
	s_movk_i32 s64, 0x1f8
	s_mov_b32 s65, 0x3fb8aa3b
	s_mov_b32 s66, 0xc2ce8ed0
	;; [unrolled: 1-line block ×5, first 2 shown]
	v_mov_b32_e32 v132, 0x3ecc95a3
	s_mov_b32 s70, 0x3f317218
	s_mov_b32 s71, 0x33800000
	v_mov_b32_e32 v133, 2
	v_mov_b32_e32 v134, 0x7f800000
	v_mov_b32_e32 v48, 0x3f317218
	s_branch .LBB388_176
.LBB388_175:                            ;   in Loop: Header=BB388_176 Depth=1
	s_or_b64 exec, exec, s[58:59]
	v_subrev_u32_e32 v36, 64, v36
.LBB388_176:                            ; =>This Loop Header: Depth=1
                                        ;     Child Loop BB388_179 Depth 2
                                        ;       Child Loop BB388_180 Depth 3
	v_cmp_ne_u16_sdwa vcc, v112, v133 src0_sel:BYTE_0 src1_sel:DWORD
	v_mov_b32_e32 v131, v135
	s_waitcnt lgkmcnt(0)
	v_cndmask_b32_e64 v49, 0, 1, vcc
	;;#ASMSTART
	;;#ASMEND
	s_nop 0
	v_cmp_ne_u32_e32 vcc, 0, v49
	s_cmp_lg_u64 vcc, exec
	s_cbranch_scc1 .LBB388_209
; %bb.177:                              ;   in Loop: Header=BB388_176 Depth=1
	v_lshl_add_u64 v[50:51], v[36:37], 2, v[28:29]
	flat_load_dword v135, v[50:51] sc1
	s_waitcnt vmcnt(0) lgkmcnt(0)
	v_lshrrev_b32_e32 v112, 16, v135
	v_cmp_eq_u16_sdwa s[58:59], v112, v37 src0_sel:BYTE_0 src1_sel:DWORD
	s_and_saveexec_b64 vcc, s[58:59]
	s_cbranch_execz .LBB388_183
; %bb.178:                              ;   in Loop: Header=BB388_176 Depth=1
	s_mov_b32 s62, 1
	s_mov_b64 s[58:59], 0
.LBB388_179:                            ;   Parent Loop BB388_176 Depth=1
                                        ; =>  This Loop Header: Depth=2
                                        ;       Child Loop BB388_180 Depth 3
	s_max_u32 s63, s62, 1
.LBB388_180:                            ;   Parent Loop BB388_176 Depth=1
                                        ;     Parent Loop BB388_179 Depth=2
                                        ; =>    This Inner Loop Header: Depth=3
	s_add_i32 s63, s63, -1
	s_cmp_eq_u32 s63, 0
	s_sleep 1
	s_cbranch_scc0 .LBB388_180
; %bb.181:                              ;   in Loop: Header=BB388_179 Depth=2
	flat_load_dword v135, v[50:51] sc1
	s_cmp_lt_u32 s62, 32
	s_cselect_b64 s[72:73], -1, 0
	s_cmp_lg_u64 s[72:73], 0
	s_addc_u32 s62, s62, 0
	s_waitcnt vmcnt(0) lgkmcnt(0)
	v_lshrrev_b32_e32 v112, 16, v135
	v_cmp_ne_u16_sdwa s[72:73], v112, v37 src0_sel:BYTE_0 src1_sel:DWORD
	s_or_b64 s[58:59], s[72:73], s[58:59]
	s_andn2_b64 exec, exec, s[58:59]
	s_cbranch_execnz .LBB388_179
; %bb.182:                              ;   in Loop: Header=BB388_176 Depth=1
	s_or_b64 exec, exec, s[58:59]
.LBB388_183:                            ;   in Loop: Header=BB388_176 Depth=1
	s_or_b64 exec, exec, vcc
	v_cmp_eq_u16_sdwa vcc, v112, v133 src0_sel:BYTE_0 src1_sel:DWORD
	s_nop 1
	v_and_b32_e32 v49, vcc_hi, v39
	v_or_b32_e32 v49, 0x80000000, v49
	v_ffbl_b32_e32 v51, v49
	v_and_b32_e32 v49, 0xffff, v135
	ds_bpermute_b32 v144, v103, v49
	v_and_b32_e32 v50, vcc_lo, v38
	v_add_u32_e32 v51, 32, v51
	v_ffbl_b32_e32 v50, v50
	v_min_u32_e32 v50, v50, v51
	v_cmp_lt_u32_e32 vcc, v31, v50
	s_and_saveexec_b64 s[62:63], vcc
	s_cbranch_execz .LBB388_187
; %bb.184:                              ;   in Loop: Header=BB388_176 Depth=1
	s_waitcnt lgkmcnt(0)
	v_cvt_f32_f16_e32 v51, v144
	v_cvt_f32_f16_e32 v145, v135
	v_cmp_u_f16_e32 vcc, v144, v144
	v_cmp_u_f16_e64 s[58:59], v135, v135
	v_min_f32_e32 v49, v51, v145
	v_max_f32_e32 v135, v51, v145
	v_cndmask_b32_e32 v49, v49, v51, vcc
	v_cndmask_b32_e32 v51, v135, v51, vcc
	v_cndmask_b32_e64 v49, v49, v145, s[58:59]
	v_cndmask_b32_e64 v51, v51, v145, s[58:59]
	v_cmp_neq_f32_e32 vcc, v49, v51
	v_cmp_class_f32_e64 s[58:59], v49, s64
	s_or_b64 vcc, vcc, s[58:59]
	s_and_saveexec_b64 s[58:59], vcc
	s_cbranch_execz .LBB388_186
; %bb.185:                              ;   in Loop: Header=BB388_176 Depth=1
	v_sub_f32_e32 v49, v49, v51
	v_mul_f32_e32 v135, 0x3fb8aa3b, v49
	v_fma_f32 v144, v49, s65, -v135
	v_rndne_f32_e32 v145, v135
	v_fmac_f32_e32 v144, 0x32a5705f, v49
	v_sub_f32_e32 v135, v135, v145
	v_add_f32_e32 v135, v135, v144
	v_cvt_i32_f32_e32 v144, v145
	v_exp_f32_e32 v135, v135
	v_cmp_ngt_f32_e32 vcc, s66, v49
	v_ldexp_f32 v135, v135, v144
	s_nop 0
	v_cndmask_b32_e32 v135, 0, v135, vcc
	v_cmp_nlt_f32_e32 vcc, s67, v49
	s_nop 1
	v_cndmask_b32_e32 v135, v134, v135, vcc
	v_add_f32_e32 v49, 1.0, v135
	v_add_f32_e32 v144, -1.0, v49
	v_sub_f32_e32 v145, v144, v49
	v_add_f32_e32 v145, 1.0, v145
	v_sub_f32_e32 v144, v135, v144
	v_add_f32_e32 v146, v144, v145
	v_frexp_mant_f32_e32 v147, v49
	v_cvt_f64_f32_e32 v[144:145], v49
	v_frexp_exp_i32_f64_e32 v144, v[144:145]
	v_cmp_gt_f32_e32 vcc, s69, v147
	v_cmp_lt_f32_e64 s[72:73], |v135|, s71
	s_nop 0
	v_subbrev_co_u32_e32 v160, vcc, 0, v144, vcc
	v_sub_u32_e32 v144, 0, v160
	v_ldexp_f32 v49, v49, v144
	v_ldexp_f32 v144, v146, v144
	v_add_f32_e32 v146, -1.0, v49
	v_add_f32_e32 v145, 1.0, v146
	v_sub_f32_e32 v145, v49, v145
	v_add_f32_e32 v147, v144, v145
	v_add_f32_e32 v145, 1.0, v49
	v_add_f32_e32 v148, -1.0, v145
	v_sub_f32_e32 v49, v49, v148
	v_add_f32_e32 v49, v144, v49
	v_add_f32_e32 v161, v145, v49
	v_rcp_f32_e32 v162, v161
	v_sub_f32_e32 v144, v145, v161
	v_add_f32_e32 v145, v146, v147
	v_add_f32_e32 v49, v49, v144
	v_mul_f32_e32 v164, v145, v162
	v_sub_f32_e32 v144, v146, v145
	v_mul_f32_e32 v146, v161, v164
	v_fma_f32 v148, v164, v161, -v146
	v_fmac_f32_e32 v148, v164, v49
	v_add_f32_e32 v163, v147, v144
	v_add_f32_e32 v144, v146, v148
	v_sub_f32_e32 v147, v145, v144
	v_pk_add_f32 v[150:151], v[144:145], v[146:147] neg_lo:[0,1] neg_hi:[0,1]
	v_mov_b32_e32 v149, v144
	v_pk_add_f32 v[144:145], v[150:151], v[148:149] neg_lo:[0,1] neg_hi:[0,1]
	v_cmp_eq_f32_e32 vcc, s68, v135
	v_add_f32_e32 v145, v163, v145
	v_add_f32_e32 v144, v144, v145
	v_add_f32_e32 v145, v147, v144
	v_mul_f32_e32 v163, v162, v145
	v_mul_f32_e32 v146, v161, v163
	v_fma_f32 v148, v163, v161, -v146
	v_fmac_f32_e32 v148, v163, v49
	v_sub_f32_e32 v49, v147, v145
	v_add_f32_e32 v49, v144, v49
	v_add_f32_e32 v144, v146, v148
	v_sub_f32_e32 v147, v145, v144
	v_pk_add_f32 v[150:151], v[144:145], v[146:147] neg_lo:[0,1] neg_hi:[0,1]
	v_mov_b32_e32 v149, v144
	v_pk_add_f32 v[144:145], v[150:151], v[148:149] neg_lo:[0,1] neg_hi:[0,1]
	s_or_b64 vcc, vcc, s[72:73]
	v_add_f32_e32 v49, v49, v145
	v_add_f32_e32 v49, v144, v49
	;; [unrolled: 1-line block ×4, first 2 shown]
	v_sub_f32_e32 v144, v145, v164
	v_mul_f32_e32 v49, v162, v49
	v_sub_f32_e32 v144, v163, v144
	v_add_f32_e32 v146, v144, v49
	v_add_f32_e32 v148, v145, v146
	v_cvt_f32_i32_e32 v144, v160
	v_mul_f32_e32 v149, v148, v148
	v_sub_f32_e32 v145, v148, v145
	v_fmamk_f32 v49, v149, 0x3e9b6dac, v132
	v_sub_f32_e32 v145, v146, v145
	v_fmaak_f32 v49, v149, v49, 0x3f2aaada
	v_ldexp_f32 v150, v145, 1
	v_mul_f32_e32 v145, v148, v149
	v_ldexp_f32 v147, v148, 1
	v_pk_mul_f32 v[148:149], v[144:145], v[48:49]
	s_nop 0
	v_fma_f32 v146, v144, s70, -v148
	v_fmac_f32_e32 v146, 0xb102e308, v144
	v_pk_add_f32 v[144:145], v[148:149], v[146:147]
	s_nop 0
	v_sub_f32_e32 v49, v145, v147
	v_sub_f32_e32 v49, v149, v49
	v_add_f32_e32 v151, v150, v49
	v_mov_b32_e32 v150, v148
	v_pk_add_f32 v[148:149], v[144:145], v[148:149] neg_lo:[0,1] neg_hi:[0,1]
	v_pk_add_f32 v[160:161], v[144:145], v[150:151]
	v_mov_b32_e32 v147, v144
	v_mov_b32_e32 v149, v161
	v_pk_add_f32 v[162:163], v[146:147], v[148:149] neg_lo:[0,1] neg_hi:[0,1]
	v_pk_add_f32 v[146:147], v[146:147], v[148:149]
	v_mov_b32_e32 v150, v151
	v_mov_b32_e32 v148, v147
	v_pk_add_f32 v[164:165], v[148:149], v[144:145] neg_lo:[0,1] neg_hi:[0,1]
	v_mov_b32_e32 v146, v161
	v_mov_b32_e32 v49, v164
	v_pk_add_f32 v[166:167], v[160:161], v[48:49] neg_lo:[0,1] neg_hi:[0,1]
	v_mov_b32_e32 v160, v145
	v_mov_b32_e32 v161, v164
	;; [unrolled: 1-line block ×3, first 2 shown]
	v_pk_add_f32 v[146:147], v[146:147], v[160:161] neg_lo:[0,1] neg_hi:[0,1]
	v_mov_b32_e32 v151, v144
	v_pk_add_f32 v[144:145], v[150:151], v[146:147] neg_lo:[0,1] neg_hi:[0,1]
	v_mov_b32_e32 v166, v162
	v_pk_add_f32 v[146:147], v[166:167], v[144:145]
	s_nop 0
	v_mov_b32_e32 v150, v147
	v_pk_add_f32 v[150:151], v[146:147], v[150:151]
	s_nop 0
	v_pk_add_f32 v[148:149], v[148:149], v[150:151]
	v_mov_b32_e32 v145, v150
	v_mov_b32_e32 v147, v148
	v_pk_add_f32 v[160:161], v[146:147], v[162:163] neg_lo:[0,1] neg_hi:[0,1]
	s_nop 0
	v_sub_f32_e32 v49, v146, v160
	v_pk_add_f32 v[144:145], v[144:145], v[160:161] neg_lo:[0,1] neg_hi:[0,1]
	v_sub_f32_e32 v49, v162, v49
	v_add_f32_e32 v49, v144, v49
	v_add_f32_e32 v49, v49, v145
	;; [unrolled: 1-line block ×3, first 2 shown]
	v_cndmask_b32_e32 v49, v49, v135, vcc
	v_add_f32_e32 v49, v51, v49
	v_cvt_f16_f32_e32 v144, v49
.LBB388_186:                            ;   in Loop: Header=BB388_176 Depth=1
	s_or_b64 exec, exec, s[58:59]
	v_and_b32_e32 v49, 0xffff, v144
	v_mov_b32_e32 v135, v144
.LBB388_187:                            ;   in Loop: Header=BB388_176 Depth=1
	s_or_b64 exec, exec, s[62:63]
	s_waitcnt lgkmcnt(0)
	ds_bpermute_b32 v144, v113, v49
	v_cmp_le_u32_e32 vcc, v114, v50
	s_and_saveexec_b64 s[62:63], vcc
	s_cbranch_execz .LBB388_191
; %bb.188:                              ;   in Loop: Header=BB388_176 Depth=1
	s_waitcnt lgkmcnt(0)
	v_cvt_f32_f16_e32 v51, v144
	v_cvt_f32_f16_e32 v145, v135
	v_cmp_u_f16_e32 vcc, v144, v144
	v_cmp_u_f16_e64 s[58:59], v135, v135
	v_min_f32_e32 v49, v51, v145
	v_max_f32_e32 v135, v51, v145
	v_cndmask_b32_e32 v49, v49, v51, vcc
	v_cndmask_b32_e32 v51, v135, v51, vcc
	v_cndmask_b32_e64 v49, v49, v145, s[58:59]
	v_cndmask_b32_e64 v51, v51, v145, s[58:59]
	v_cmp_neq_f32_e32 vcc, v49, v51
	v_cmp_class_f32_e64 s[58:59], v49, s64
	s_or_b64 vcc, vcc, s[58:59]
	s_and_saveexec_b64 s[58:59], vcc
	s_cbranch_execz .LBB388_190
; %bb.189:                              ;   in Loop: Header=BB388_176 Depth=1
	v_sub_f32_e32 v49, v49, v51
	v_mul_f32_e32 v135, 0x3fb8aa3b, v49
	v_fma_f32 v144, v49, s65, -v135
	v_rndne_f32_e32 v145, v135
	v_fmac_f32_e32 v144, 0x32a5705f, v49
	v_sub_f32_e32 v135, v135, v145
	v_add_f32_e32 v135, v135, v144
	v_cvt_i32_f32_e32 v144, v145
	v_exp_f32_e32 v135, v135
	v_cmp_ngt_f32_e32 vcc, s66, v49
	v_ldexp_f32 v135, v135, v144
	s_nop 0
	v_cndmask_b32_e32 v135, 0, v135, vcc
	v_cmp_nlt_f32_e32 vcc, s67, v49
	s_nop 1
	v_cndmask_b32_e32 v135, v134, v135, vcc
	v_add_f32_e32 v49, 1.0, v135
	v_add_f32_e32 v144, -1.0, v49
	v_sub_f32_e32 v145, v144, v49
	v_add_f32_e32 v145, 1.0, v145
	v_sub_f32_e32 v144, v135, v144
	v_add_f32_e32 v146, v144, v145
	v_frexp_mant_f32_e32 v147, v49
	v_cvt_f64_f32_e32 v[144:145], v49
	v_frexp_exp_i32_f64_e32 v144, v[144:145]
	v_cmp_gt_f32_e32 vcc, s69, v147
	v_cmp_lt_f32_e64 s[72:73], |v135|, s71
	s_nop 0
	v_subbrev_co_u32_e32 v160, vcc, 0, v144, vcc
	v_sub_u32_e32 v144, 0, v160
	v_ldexp_f32 v49, v49, v144
	v_ldexp_f32 v144, v146, v144
	v_add_f32_e32 v146, -1.0, v49
	v_add_f32_e32 v145, 1.0, v146
	v_sub_f32_e32 v145, v49, v145
	v_add_f32_e32 v147, v144, v145
	v_add_f32_e32 v145, 1.0, v49
	v_add_f32_e32 v148, -1.0, v145
	v_sub_f32_e32 v49, v49, v148
	v_add_f32_e32 v49, v144, v49
	v_add_f32_e32 v161, v145, v49
	v_rcp_f32_e32 v162, v161
	v_sub_f32_e32 v144, v145, v161
	v_add_f32_e32 v145, v146, v147
	v_add_f32_e32 v49, v49, v144
	v_mul_f32_e32 v164, v145, v162
	v_sub_f32_e32 v144, v146, v145
	v_mul_f32_e32 v146, v161, v164
	v_fma_f32 v148, v164, v161, -v146
	v_fmac_f32_e32 v148, v164, v49
	v_add_f32_e32 v163, v147, v144
	v_add_f32_e32 v144, v146, v148
	v_sub_f32_e32 v147, v145, v144
	v_pk_add_f32 v[150:151], v[144:145], v[146:147] neg_lo:[0,1] neg_hi:[0,1]
	v_mov_b32_e32 v149, v144
	v_pk_add_f32 v[144:145], v[150:151], v[148:149] neg_lo:[0,1] neg_hi:[0,1]
	v_cmp_eq_f32_e32 vcc, s68, v135
	v_add_f32_e32 v145, v163, v145
	v_add_f32_e32 v144, v144, v145
	;; [unrolled: 1-line block ×3, first 2 shown]
	v_mul_f32_e32 v163, v162, v145
	v_mul_f32_e32 v146, v161, v163
	v_fma_f32 v148, v163, v161, -v146
	v_fmac_f32_e32 v148, v163, v49
	v_sub_f32_e32 v49, v147, v145
	v_add_f32_e32 v49, v144, v49
	v_add_f32_e32 v144, v146, v148
	v_sub_f32_e32 v147, v145, v144
	v_pk_add_f32 v[150:151], v[144:145], v[146:147] neg_lo:[0,1] neg_hi:[0,1]
	v_mov_b32_e32 v149, v144
	v_pk_add_f32 v[144:145], v[150:151], v[148:149] neg_lo:[0,1] neg_hi:[0,1]
	s_or_b64 vcc, vcc, s[72:73]
	v_add_f32_e32 v49, v49, v145
	v_add_f32_e32 v49, v144, v49
	;; [unrolled: 1-line block ×4, first 2 shown]
	v_sub_f32_e32 v144, v145, v164
	v_mul_f32_e32 v49, v162, v49
	v_sub_f32_e32 v144, v163, v144
	v_add_f32_e32 v146, v144, v49
	v_add_f32_e32 v148, v145, v146
	v_cvt_f32_i32_e32 v144, v160
	v_mul_f32_e32 v149, v148, v148
	v_sub_f32_e32 v145, v148, v145
	v_fmamk_f32 v49, v149, 0x3e9b6dac, v132
	v_sub_f32_e32 v145, v146, v145
	v_fmaak_f32 v49, v149, v49, 0x3f2aaada
	v_ldexp_f32 v150, v145, 1
	v_mul_f32_e32 v145, v148, v149
	v_ldexp_f32 v147, v148, 1
	v_pk_mul_f32 v[148:149], v[144:145], v[48:49]
	s_nop 0
	v_fma_f32 v146, v144, s70, -v148
	v_fmac_f32_e32 v146, 0xb102e308, v144
	v_pk_add_f32 v[144:145], v[148:149], v[146:147]
	s_nop 0
	v_sub_f32_e32 v49, v145, v147
	v_sub_f32_e32 v49, v149, v49
	v_add_f32_e32 v151, v150, v49
	v_mov_b32_e32 v150, v148
	v_pk_add_f32 v[148:149], v[144:145], v[148:149] neg_lo:[0,1] neg_hi:[0,1]
	v_pk_add_f32 v[160:161], v[144:145], v[150:151]
	v_mov_b32_e32 v147, v144
	v_mov_b32_e32 v149, v161
	v_pk_add_f32 v[162:163], v[146:147], v[148:149] neg_lo:[0,1] neg_hi:[0,1]
	v_pk_add_f32 v[146:147], v[146:147], v[148:149]
	v_mov_b32_e32 v150, v151
	v_mov_b32_e32 v148, v147
	v_pk_add_f32 v[164:165], v[148:149], v[144:145] neg_lo:[0,1] neg_hi:[0,1]
	v_mov_b32_e32 v146, v161
	v_mov_b32_e32 v49, v164
	v_pk_add_f32 v[166:167], v[160:161], v[48:49] neg_lo:[0,1] neg_hi:[0,1]
	v_mov_b32_e32 v160, v145
	v_mov_b32_e32 v161, v164
	;; [unrolled: 1-line block ×3, first 2 shown]
	v_pk_add_f32 v[146:147], v[146:147], v[160:161] neg_lo:[0,1] neg_hi:[0,1]
	v_mov_b32_e32 v151, v144
	v_pk_add_f32 v[144:145], v[150:151], v[146:147] neg_lo:[0,1] neg_hi:[0,1]
	v_mov_b32_e32 v166, v162
	v_pk_add_f32 v[146:147], v[166:167], v[144:145]
	s_nop 0
	v_mov_b32_e32 v150, v147
	v_pk_add_f32 v[150:151], v[146:147], v[150:151]
	s_nop 0
	v_pk_add_f32 v[148:149], v[148:149], v[150:151]
	v_mov_b32_e32 v145, v150
	v_mov_b32_e32 v147, v148
	v_pk_add_f32 v[160:161], v[146:147], v[162:163] neg_lo:[0,1] neg_hi:[0,1]
	s_nop 0
	v_sub_f32_e32 v49, v146, v160
	v_pk_add_f32 v[144:145], v[144:145], v[160:161] neg_lo:[0,1] neg_hi:[0,1]
	v_sub_f32_e32 v49, v162, v49
	v_add_f32_e32 v49, v144, v49
	v_add_f32_e32 v49, v49, v145
	;; [unrolled: 1-line block ×3, first 2 shown]
	v_cndmask_b32_e32 v49, v49, v135, vcc
	v_add_f32_e32 v49, v51, v49
	v_cvt_f16_f32_e32 v144, v49
.LBB388_190:                            ;   in Loop: Header=BB388_176 Depth=1
	s_or_b64 exec, exec, s[58:59]
	v_and_b32_e32 v49, 0xffff, v144
	v_mov_b32_e32 v135, v144
.LBB388_191:                            ;   in Loop: Header=BB388_176 Depth=1
	s_or_b64 exec, exec, s[62:63]
	s_waitcnt lgkmcnt(0)
	ds_bpermute_b32 v144, v115, v49
	v_cmp_le_u32_e32 vcc, v116, v50
	s_and_saveexec_b64 s[62:63], vcc
	s_cbranch_execz .LBB388_195
; %bb.192:                              ;   in Loop: Header=BB388_176 Depth=1
	s_waitcnt lgkmcnt(0)
	v_cvt_f32_f16_e32 v51, v144
	v_cvt_f32_f16_e32 v145, v135
	v_cmp_u_f16_e32 vcc, v144, v144
	v_cmp_u_f16_e64 s[58:59], v135, v135
	v_min_f32_e32 v49, v51, v145
	v_max_f32_e32 v135, v51, v145
	v_cndmask_b32_e32 v49, v49, v51, vcc
	v_cndmask_b32_e32 v51, v135, v51, vcc
	v_cndmask_b32_e64 v49, v49, v145, s[58:59]
	v_cndmask_b32_e64 v51, v51, v145, s[58:59]
	v_cmp_neq_f32_e32 vcc, v49, v51
	v_cmp_class_f32_e64 s[58:59], v49, s64
	s_or_b64 vcc, vcc, s[58:59]
	s_and_saveexec_b64 s[58:59], vcc
	s_cbranch_execz .LBB388_194
; %bb.193:                              ;   in Loop: Header=BB388_176 Depth=1
	v_sub_f32_e32 v49, v49, v51
	v_mul_f32_e32 v135, 0x3fb8aa3b, v49
	v_fma_f32 v144, v49, s65, -v135
	v_rndne_f32_e32 v145, v135
	v_fmac_f32_e32 v144, 0x32a5705f, v49
	v_sub_f32_e32 v135, v135, v145
	v_add_f32_e32 v135, v135, v144
	v_cvt_i32_f32_e32 v144, v145
	v_exp_f32_e32 v135, v135
	v_cmp_ngt_f32_e32 vcc, s66, v49
	v_ldexp_f32 v135, v135, v144
	s_nop 0
	v_cndmask_b32_e32 v135, 0, v135, vcc
	v_cmp_nlt_f32_e32 vcc, s67, v49
	s_nop 1
	v_cndmask_b32_e32 v135, v134, v135, vcc
	v_add_f32_e32 v49, 1.0, v135
	v_add_f32_e32 v144, -1.0, v49
	v_sub_f32_e32 v145, v144, v49
	v_add_f32_e32 v145, 1.0, v145
	v_sub_f32_e32 v144, v135, v144
	v_add_f32_e32 v146, v144, v145
	v_frexp_mant_f32_e32 v147, v49
	v_cvt_f64_f32_e32 v[144:145], v49
	v_frexp_exp_i32_f64_e32 v144, v[144:145]
	v_cmp_gt_f32_e32 vcc, s69, v147
	v_cmp_lt_f32_e64 s[72:73], |v135|, s71
	s_nop 0
	v_subbrev_co_u32_e32 v160, vcc, 0, v144, vcc
	v_sub_u32_e32 v144, 0, v160
	v_ldexp_f32 v49, v49, v144
	v_ldexp_f32 v144, v146, v144
	v_add_f32_e32 v146, -1.0, v49
	v_add_f32_e32 v145, 1.0, v146
	v_sub_f32_e32 v145, v49, v145
	v_add_f32_e32 v147, v144, v145
	v_add_f32_e32 v145, 1.0, v49
	v_add_f32_e32 v148, -1.0, v145
	v_sub_f32_e32 v49, v49, v148
	v_add_f32_e32 v49, v144, v49
	v_add_f32_e32 v161, v145, v49
	v_rcp_f32_e32 v162, v161
	v_sub_f32_e32 v144, v145, v161
	v_add_f32_e32 v145, v146, v147
	v_add_f32_e32 v49, v49, v144
	v_mul_f32_e32 v164, v145, v162
	v_sub_f32_e32 v144, v146, v145
	v_mul_f32_e32 v146, v161, v164
	v_fma_f32 v148, v164, v161, -v146
	v_fmac_f32_e32 v148, v164, v49
	v_add_f32_e32 v163, v147, v144
	v_add_f32_e32 v144, v146, v148
	v_sub_f32_e32 v147, v145, v144
	v_pk_add_f32 v[150:151], v[144:145], v[146:147] neg_lo:[0,1] neg_hi:[0,1]
	v_mov_b32_e32 v149, v144
	v_pk_add_f32 v[144:145], v[150:151], v[148:149] neg_lo:[0,1] neg_hi:[0,1]
	v_cmp_eq_f32_e32 vcc, s68, v135
	v_add_f32_e32 v145, v163, v145
	v_add_f32_e32 v144, v144, v145
	;; [unrolled: 1-line block ×3, first 2 shown]
	v_mul_f32_e32 v163, v162, v145
	v_mul_f32_e32 v146, v161, v163
	v_fma_f32 v148, v163, v161, -v146
	v_fmac_f32_e32 v148, v163, v49
	v_sub_f32_e32 v49, v147, v145
	v_add_f32_e32 v49, v144, v49
	v_add_f32_e32 v144, v146, v148
	v_sub_f32_e32 v147, v145, v144
	v_pk_add_f32 v[150:151], v[144:145], v[146:147] neg_lo:[0,1] neg_hi:[0,1]
	v_mov_b32_e32 v149, v144
	v_pk_add_f32 v[144:145], v[150:151], v[148:149] neg_lo:[0,1] neg_hi:[0,1]
	s_or_b64 vcc, vcc, s[72:73]
	v_add_f32_e32 v49, v49, v145
	v_add_f32_e32 v49, v144, v49
	;; [unrolled: 1-line block ×4, first 2 shown]
	v_sub_f32_e32 v144, v145, v164
	v_mul_f32_e32 v49, v162, v49
	v_sub_f32_e32 v144, v163, v144
	v_add_f32_e32 v146, v144, v49
	v_add_f32_e32 v148, v145, v146
	v_cvt_f32_i32_e32 v144, v160
	v_mul_f32_e32 v149, v148, v148
	v_sub_f32_e32 v145, v148, v145
	v_fmamk_f32 v49, v149, 0x3e9b6dac, v132
	v_sub_f32_e32 v145, v146, v145
	v_fmaak_f32 v49, v149, v49, 0x3f2aaada
	v_ldexp_f32 v150, v145, 1
	v_mul_f32_e32 v145, v148, v149
	v_ldexp_f32 v147, v148, 1
	v_pk_mul_f32 v[148:149], v[144:145], v[48:49]
	s_nop 0
	v_fma_f32 v146, v144, s70, -v148
	v_fmac_f32_e32 v146, 0xb102e308, v144
	v_pk_add_f32 v[144:145], v[148:149], v[146:147]
	s_nop 0
	v_sub_f32_e32 v49, v145, v147
	v_sub_f32_e32 v49, v149, v49
	v_add_f32_e32 v151, v150, v49
	v_mov_b32_e32 v150, v148
	v_pk_add_f32 v[148:149], v[144:145], v[148:149] neg_lo:[0,1] neg_hi:[0,1]
	v_pk_add_f32 v[160:161], v[144:145], v[150:151]
	v_mov_b32_e32 v147, v144
	v_mov_b32_e32 v149, v161
	v_pk_add_f32 v[162:163], v[146:147], v[148:149] neg_lo:[0,1] neg_hi:[0,1]
	v_pk_add_f32 v[146:147], v[146:147], v[148:149]
	v_mov_b32_e32 v150, v151
	v_mov_b32_e32 v148, v147
	v_pk_add_f32 v[164:165], v[148:149], v[144:145] neg_lo:[0,1] neg_hi:[0,1]
	v_mov_b32_e32 v146, v161
	v_mov_b32_e32 v49, v164
	v_pk_add_f32 v[166:167], v[160:161], v[48:49] neg_lo:[0,1] neg_hi:[0,1]
	v_mov_b32_e32 v160, v145
	v_mov_b32_e32 v161, v164
	;; [unrolled: 1-line block ×3, first 2 shown]
	v_pk_add_f32 v[146:147], v[146:147], v[160:161] neg_lo:[0,1] neg_hi:[0,1]
	v_mov_b32_e32 v151, v144
	v_pk_add_f32 v[144:145], v[150:151], v[146:147] neg_lo:[0,1] neg_hi:[0,1]
	v_mov_b32_e32 v166, v162
	v_pk_add_f32 v[146:147], v[166:167], v[144:145]
	s_nop 0
	v_mov_b32_e32 v150, v147
	v_pk_add_f32 v[150:151], v[146:147], v[150:151]
	s_nop 0
	v_pk_add_f32 v[148:149], v[148:149], v[150:151]
	v_mov_b32_e32 v145, v150
	v_mov_b32_e32 v147, v148
	v_pk_add_f32 v[160:161], v[146:147], v[162:163] neg_lo:[0,1] neg_hi:[0,1]
	s_nop 0
	v_sub_f32_e32 v49, v146, v160
	v_pk_add_f32 v[144:145], v[144:145], v[160:161] neg_lo:[0,1] neg_hi:[0,1]
	v_sub_f32_e32 v49, v162, v49
	v_add_f32_e32 v49, v144, v49
	v_add_f32_e32 v49, v49, v145
	;; [unrolled: 1-line block ×3, first 2 shown]
	v_cndmask_b32_e32 v49, v49, v135, vcc
	v_add_f32_e32 v49, v51, v49
	v_cvt_f16_f32_e32 v144, v49
.LBB388_194:                            ;   in Loop: Header=BB388_176 Depth=1
	s_or_b64 exec, exec, s[58:59]
	v_and_b32_e32 v49, 0xffff, v144
	v_mov_b32_e32 v135, v144
.LBB388_195:                            ;   in Loop: Header=BB388_176 Depth=1
	s_or_b64 exec, exec, s[62:63]
	s_waitcnt lgkmcnt(0)
	ds_bpermute_b32 v144, v117, v49
	v_cmp_le_u32_e32 vcc, v118, v50
	s_and_saveexec_b64 s[62:63], vcc
	s_cbranch_execz .LBB388_199
; %bb.196:                              ;   in Loop: Header=BB388_176 Depth=1
	s_waitcnt lgkmcnt(0)
	v_cvt_f32_f16_e32 v51, v144
	v_cvt_f32_f16_e32 v145, v135
	v_cmp_u_f16_e32 vcc, v144, v144
	v_cmp_u_f16_e64 s[58:59], v135, v135
	v_min_f32_e32 v49, v51, v145
	v_max_f32_e32 v135, v51, v145
	v_cndmask_b32_e32 v49, v49, v51, vcc
	v_cndmask_b32_e32 v51, v135, v51, vcc
	v_cndmask_b32_e64 v49, v49, v145, s[58:59]
	v_cndmask_b32_e64 v51, v51, v145, s[58:59]
	v_cmp_neq_f32_e32 vcc, v49, v51
	v_cmp_class_f32_e64 s[58:59], v49, s64
	s_or_b64 vcc, vcc, s[58:59]
	s_and_saveexec_b64 s[58:59], vcc
	s_cbranch_execz .LBB388_198
; %bb.197:                              ;   in Loop: Header=BB388_176 Depth=1
	v_sub_f32_e32 v49, v49, v51
	v_mul_f32_e32 v135, 0x3fb8aa3b, v49
	v_fma_f32 v144, v49, s65, -v135
	v_rndne_f32_e32 v145, v135
	v_fmac_f32_e32 v144, 0x32a5705f, v49
	v_sub_f32_e32 v135, v135, v145
	v_add_f32_e32 v135, v135, v144
	v_cvt_i32_f32_e32 v144, v145
	v_exp_f32_e32 v135, v135
	v_cmp_ngt_f32_e32 vcc, s66, v49
	v_ldexp_f32 v135, v135, v144
	s_nop 0
	v_cndmask_b32_e32 v135, 0, v135, vcc
	v_cmp_nlt_f32_e32 vcc, s67, v49
	s_nop 1
	v_cndmask_b32_e32 v135, v134, v135, vcc
	v_add_f32_e32 v49, 1.0, v135
	v_add_f32_e32 v144, -1.0, v49
	v_sub_f32_e32 v145, v144, v49
	v_add_f32_e32 v145, 1.0, v145
	v_sub_f32_e32 v144, v135, v144
	v_add_f32_e32 v146, v144, v145
	v_frexp_mant_f32_e32 v147, v49
	v_cvt_f64_f32_e32 v[144:145], v49
	v_frexp_exp_i32_f64_e32 v144, v[144:145]
	v_cmp_gt_f32_e32 vcc, s69, v147
	v_cmp_lt_f32_e64 s[72:73], |v135|, s71
	s_nop 0
	v_subbrev_co_u32_e32 v160, vcc, 0, v144, vcc
	v_sub_u32_e32 v144, 0, v160
	v_ldexp_f32 v49, v49, v144
	v_ldexp_f32 v144, v146, v144
	v_add_f32_e32 v146, -1.0, v49
	v_add_f32_e32 v145, 1.0, v146
	v_sub_f32_e32 v145, v49, v145
	v_add_f32_e32 v147, v144, v145
	v_add_f32_e32 v145, 1.0, v49
	v_add_f32_e32 v148, -1.0, v145
	v_sub_f32_e32 v49, v49, v148
	v_add_f32_e32 v49, v144, v49
	v_add_f32_e32 v161, v145, v49
	v_rcp_f32_e32 v162, v161
	v_sub_f32_e32 v144, v145, v161
	v_add_f32_e32 v145, v146, v147
	v_add_f32_e32 v49, v49, v144
	v_mul_f32_e32 v164, v145, v162
	v_sub_f32_e32 v144, v146, v145
	v_mul_f32_e32 v146, v161, v164
	v_fma_f32 v148, v164, v161, -v146
	v_fmac_f32_e32 v148, v164, v49
	v_add_f32_e32 v163, v147, v144
	v_add_f32_e32 v144, v146, v148
	v_sub_f32_e32 v147, v145, v144
	v_pk_add_f32 v[150:151], v[144:145], v[146:147] neg_lo:[0,1] neg_hi:[0,1]
	v_mov_b32_e32 v149, v144
	v_pk_add_f32 v[144:145], v[150:151], v[148:149] neg_lo:[0,1] neg_hi:[0,1]
	v_cmp_eq_f32_e32 vcc, s68, v135
	v_add_f32_e32 v145, v163, v145
	v_add_f32_e32 v144, v144, v145
	;; [unrolled: 1-line block ×3, first 2 shown]
	v_mul_f32_e32 v163, v162, v145
	v_mul_f32_e32 v146, v161, v163
	v_fma_f32 v148, v163, v161, -v146
	v_fmac_f32_e32 v148, v163, v49
	v_sub_f32_e32 v49, v147, v145
	v_add_f32_e32 v49, v144, v49
	v_add_f32_e32 v144, v146, v148
	v_sub_f32_e32 v147, v145, v144
	v_pk_add_f32 v[150:151], v[144:145], v[146:147] neg_lo:[0,1] neg_hi:[0,1]
	v_mov_b32_e32 v149, v144
	v_pk_add_f32 v[144:145], v[150:151], v[148:149] neg_lo:[0,1] neg_hi:[0,1]
	s_or_b64 vcc, vcc, s[72:73]
	v_add_f32_e32 v49, v49, v145
	v_add_f32_e32 v49, v144, v49
	;; [unrolled: 1-line block ×4, first 2 shown]
	v_sub_f32_e32 v144, v145, v164
	v_mul_f32_e32 v49, v162, v49
	v_sub_f32_e32 v144, v163, v144
	v_add_f32_e32 v146, v144, v49
	v_add_f32_e32 v148, v145, v146
	v_cvt_f32_i32_e32 v144, v160
	v_mul_f32_e32 v149, v148, v148
	v_sub_f32_e32 v145, v148, v145
	v_fmamk_f32 v49, v149, 0x3e9b6dac, v132
	v_sub_f32_e32 v145, v146, v145
	v_fmaak_f32 v49, v149, v49, 0x3f2aaada
	v_ldexp_f32 v150, v145, 1
	v_mul_f32_e32 v145, v148, v149
	v_ldexp_f32 v147, v148, 1
	v_pk_mul_f32 v[148:149], v[144:145], v[48:49]
	s_nop 0
	v_fma_f32 v146, v144, s70, -v148
	v_fmac_f32_e32 v146, 0xb102e308, v144
	v_pk_add_f32 v[144:145], v[148:149], v[146:147]
	s_nop 0
	v_sub_f32_e32 v49, v145, v147
	v_sub_f32_e32 v49, v149, v49
	v_add_f32_e32 v151, v150, v49
	v_mov_b32_e32 v150, v148
	v_pk_add_f32 v[148:149], v[144:145], v[148:149] neg_lo:[0,1] neg_hi:[0,1]
	v_pk_add_f32 v[160:161], v[144:145], v[150:151]
	v_mov_b32_e32 v147, v144
	v_mov_b32_e32 v149, v161
	v_pk_add_f32 v[162:163], v[146:147], v[148:149] neg_lo:[0,1] neg_hi:[0,1]
	v_pk_add_f32 v[146:147], v[146:147], v[148:149]
	v_mov_b32_e32 v150, v151
	v_mov_b32_e32 v148, v147
	v_pk_add_f32 v[164:165], v[148:149], v[144:145] neg_lo:[0,1] neg_hi:[0,1]
	v_mov_b32_e32 v146, v161
	v_mov_b32_e32 v49, v164
	v_pk_add_f32 v[166:167], v[160:161], v[48:49] neg_lo:[0,1] neg_hi:[0,1]
	v_mov_b32_e32 v160, v145
	v_mov_b32_e32 v161, v164
	;; [unrolled: 1-line block ×3, first 2 shown]
	v_pk_add_f32 v[146:147], v[146:147], v[160:161] neg_lo:[0,1] neg_hi:[0,1]
	v_mov_b32_e32 v151, v144
	v_pk_add_f32 v[144:145], v[150:151], v[146:147] neg_lo:[0,1] neg_hi:[0,1]
	v_mov_b32_e32 v166, v162
	v_pk_add_f32 v[146:147], v[166:167], v[144:145]
	s_nop 0
	v_mov_b32_e32 v150, v147
	v_pk_add_f32 v[150:151], v[146:147], v[150:151]
	s_nop 0
	v_pk_add_f32 v[148:149], v[148:149], v[150:151]
	v_mov_b32_e32 v145, v150
	v_mov_b32_e32 v147, v148
	v_pk_add_f32 v[160:161], v[146:147], v[162:163] neg_lo:[0,1] neg_hi:[0,1]
	s_nop 0
	v_sub_f32_e32 v49, v146, v160
	v_pk_add_f32 v[144:145], v[144:145], v[160:161] neg_lo:[0,1] neg_hi:[0,1]
	v_sub_f32_e32 v49, v162, v49
	v_add_f32_e32 v49, v144, v49
	v_add_f32_e32 v49, v49, v145
	;; [unrolled: 1-line block ×3, first 2 shown]
	v_cndmask_b32_e32 v49, v49, v135, vcc
	v_add_f32_e32 v49, v51, v49
	v_cvt_f16_f32_e32 v144, v49
.LBB388_198:                            ;   in Loop: Header=BB388_176 Depth=1
	s_or_b64 exec, exec, s[58:59]
	v_and_b32_e32 v49, 0xffff, v144
	v_mov_b32_e32 v135, v144
.LBB388_199:                            ;   in Loop: Header=BB388_176 Depth=1
	s_or_b64 exec, exec, s[62:63]
	s_waitcnt lgkmcnt(0)
	ds_bpermute_b32 v144, v119, v49
	v_cmp_le_u32_e32 vcc, v128, v50
	s_and_saveexec_b64 s[62:63], vcc
	s_cbranch_execz .LBB388_203
; %bb.200:                              ;   in Loop: Header=BB388_176 Depth=1
	s_waitcnt lgkmcnt(0)
	v_cvt_f32_f16_e32 v51, v144
	v_cvt_f32_f16_e32 v145, v135
	v_cmp_u_f16_e32 vcc, v144, v144
	v_cmp_u_f16_e64 s[58:59], v135, v135
	v_min_f32_e32 v49, v51, v145
	v_max_f32_e32 v135, v51, v145
	v_cndmask_b32_e32 v49, v49, v51, vcc
	v_cndmask_b32_e32 v51, v135, v51, vcc
	v_cndmask_b32_e64 v49, v49, v145, s[58:59]
	v_cndmask_b32_e64 v51, v51, v145, s[58:59]
	v_cmp_neq_f32_e32 vcc, v49, v51
	v_cmp_class_f32_e64 s[58:59], v49, s64
	s_or_b64 vcc, vcc, s[58:59]
	s_and_saveexec_b64 s[58:59], vcc
	s_cbranch_execz .LBB388_202
; %bb.201:                              ;   in Loop: Header=BB388_176 Depth=1
	v_sub_f32_e32 v49, v49, v51
	v_mul_f32_e32 v135, 0x3fb8aa3b, v49
	v_fma_f32 v144, v49, s65, -v135
	v_rndne_f32_e32 v145, v135
	v_fmac_f32_e32 v144, 0x32a5705f, v49
	v_sub_f32_e32 v135, v135, v145
	v_add_f32_e32 v135, v135, v144
	v_cvt_i32_f32_e32 v144, v145
	v_exp_f32_e32 v135, v135
	v_cmp_ngt_f32_e32 vcc, s66, v49
	v_ldexp_f32 v135, v135, v144
	s_nop 0
	v_cndmask_b32_e32 v135, 0, v135, vcc
	v_cmp_nlt_f32_e32 vcc, s67, v49
	s_nop 1
	v_cndmask_b32_e32 v135, v134, v135, vcc
	v_add_f32_e32 v49, 1.0, v135
	v_add_f32_e32 v144, -1.0, v49
	v_sub_f32_e32 v145, v144, v49
	v_add_f32_e32 v145, 1.0, v145
	v_sub_f32_e32 v144, v135, v144
	v_add_f32_e32 v146, v144, v145
	v_frexp_mant_f32_e32 v147, v49
	v_cvt_f64_f32_e32 v[144:145], v49
	v_frexp_exp_i32_f64_e32 v144, v[144:145]
	v_cmp_gt_f32_e32 vcc, s69, v147
	v_cmp_lt_f32_e64 s[72:73], |v135|, s71
	s_nop 0
	v_subbrev_co_u32_e32 v160, vcc, 0, v144, vcc
	v_sub_u32_e32 v144, 0, v160
	v_ldexp_f32 v49, v49, v144
	v_ldexp_f32 v144, v146, v144
	v_add_f32_e32 v146, -1.0, v49
	v_add_f32_e32 v145, 1.0, v146
	v_sub_f32_e32 v145, v49, v145
	v_add_f32_e32 v147, v144, v145
	v_add_f32_e32 v145, 1.0, v49
	v_add_f32_e32 v148, -1.0, v145
	v_sub_f32_e32 v49, v49, v148
	v_add_f32_e32 v49, v144, v49
	v_add_f32_e32 v161, v145, v49
	v_rcp_f32_e32 v162, v161
	v_sub_f32_e32 v144, v145, v161
	v_add_f32_e32 v145, v146, v147
	v_add_f32_e32 v49, v49, v144
	v_mul_f32_e32 v164, v145, v162
	v_sub_f32_e32 v144, v146, v145
	v_mul_f32_e32 v146, v161, v164
	v_fma_f32 v148, v164, v161, -v146
	v_fmac_f32_e32 v148, v164, v49
	v_add_f32_e32 v163, v147, v144
	v_add_f32_e32 v144, v146, v148
	v_sub_f32_e32 v147, v145, v144
	v_pk_add_f32 v[150:151], v[144:145], v[146:147] neg_lo:[0,1] neg_hi:[0,1]
	v_mov_b32_e32 v149, v144
	v_pk_add_f32 v[144:145], v[150:151], v[148:149] neg_lo:[0,1] neg_hi:[0,1]
	v_cmp_eq_f32_e32 vcc, s68, v135
	v_add_f32_e32 v145, v163, v145
	v_add_f32_e32 v144, v144, v145
	;; [unrolled: 1-line block ×3, first 2 shown]
	v_mul_f32_e32 v163, v162, v145
	v_mul_f32_e32 v146, v161, v163
	v_fma_f32 v148, v163, v161, -v146
	v_fmac_f32_e32 v148, v163, v49
	v_sub_f32_e32 v49, v147, v145
	v_add_f32_e32 v49, v144, v49
	v_add_f32_e32 v144, v146, v148
	v_sub_f32_e32 v147, v145, v144
	v_pk_add_f32 v[150:151], v[144:145], v[146:147] neg_lo:[0,1] neg_hi:[0,1]
	v_mov_b32_e32 v149, v144
	v_pk_add_f32 v[144:145], v[150:151], v[148:149] neg_lo:[0,1] neg_hi:[0,1]
	s_or_b64 vcc, vcc, s[72:73]
	v_add_f32_e32 v49, v49, v145
	v_add_f32_e32 v49, v144, v49
	;; [unrolled: 1-line block ×4, first 2 shown]
	v_sub_f32_e32 v144, v145, v164
	v_mul_f32_e32 v49, v162, v49
	v_sub_f32_e32 v144, v163, v144
	v_add_f32_e32 v146, v144, v49
	v_add_f32_e32 v148, v145, v146
	v_cvt_f32_i32_e32 v144, v160
	v_mul_f32_e32 v149, v148, v148
	v_sub_f32_e32 v145, v148, v145
	v_fmamk_f32 v49, v149, 0x3e9b6dac, v132
	v_sub_f32_e32 v145, v146, v145
	v_fmaak_f32 v49, v149, v49, 0x3f2aaada
	v_ldexp_f32 v150, v145, 1
	v_mul_f32_e32 v145, v148, v149
	v_ldexp_f32 v147, v148, 1
	v_pk_mul_f32 v[148:149], v[144:145], v[48:49]
	s_nop 0
	v_fma_f32 v146, v144, s70, -v148
	v_fmac_f32_e32 v146, 0xb102e308, v144
	v_pk_add_f32 v[144:145], v[148:149], v[146:147]
	s_nop 0
	v_sub_f32_e32 v49, v145, v147
	v_sub_f32_e32 v49, v149, v49
	v_add_f32_e32 v151, v150, v49
	v_mov_b32_e32 v150, v148
	v_pk_add_f32 v[148:149], v[144:145], v[148:149] neg_lo:[0,1] neg_hi:[0,1]
	v_pk_add_f32 v[160:161], v[144:145], v[150:151]
	v_mov_b32_e32 v147, v144
	v_mov_b32_e32 v149, v161
	v_pk_add_f32 v[162:163], v[146:147], v[148:149] neg_lo:[0,1] neg_hi:[0,1]
	v_pk_add_f32 v[146:147], v[146:147], v[148:149]
	v_mov_b32_e32 v150, v151
	v_mov_b32_e32 v148, v147
	v_pk_add_f32 v[164:165], v[148:149], v[144:145] neg_lo:[0,1] neg_hi:[0,1]
	v_mov_b32_e32 v146, v161
	v_mov_b32_e32 v49, v164
	v_pk_add_f32 v[166:167], v[160:161], v[48:49] neg_lo:[0,1] neg_hi:[0,1]
	v_mov_b32_e32 v160, v145
	v_mov_b32_e32 v161, v164
	;; [unrolled: 1-line block ×3, first 2 shown]
	v_pk_add_f32 v[146:147], v[146:147], v[160:161] neg_lo:[0,1] neg_hi:[0,1]
	v_mov_b32_e32 v151, v144
	v_pk_add_f32 v[144:145], v[150:151], v[146:147] neg_lo:[0,1] neg_hi:[0,1]
	v_mov_b32_e32 v166, v162
	v_pk_add_f32 v[146:147], v[166:167], v[144:145]
	s_nop 0
	v_mov_b32_e32 v150, v147
	v_pk_add_f32 v[150:151], v[146:147], v[150:151]
	s_nop 0
	v_pk_add_f32 v[148:149], v[148:149], v[150:151]
	v_mov_b32_e32 v145, v150
	v_mov_b32_e32 v147, v148
	v_pk_add_f32 v[160:161], v[146:147], v[162:163] neg_lo:[0,1] neg_hi:[0,1]
	s_nop 0
	v_sub_f32_e32 v49, v146, v160
	v_pk_add_f32 v[144:145], v[144:145], v[160:161] neg_lo:[0,1] neg_hi:[0,1]
	v_sub_f32_e32 v49, v162, v49
	v_add_f32_e32 v49, v144, v49
	v_add_f32_e32 v49, v49, v145
	;; [unrolled: 1-line block ×3, first 2 shown]
	v_cndmask_b32_e32 v49, v49, v135, vcc
	v_add_f32_e32 v49, v51, v49
	v_cvt_f16_f32_e32 v144, v49
.LBB388_202:                            ;   in Loop: Header=BB388_176 Depth=1
	s_or_b64 exec, exec, s[58:59]
	v_and_b32_e32 v49, 0xffff, v144
	v_mov_b32_e32 v135, v144
.LBB388_203:                            ;   in Loop: Header=BB388_176 Depth=1
	s_or_b64 exec, exec, s[62:63]
	ds_bpermute_b32 v49, v129, v49
	v_cmp_le_u32_e32 vcc, v130, v50
	s_and_saveexec_b64 s[62:63], vcc
	s_cbranch_execz .LBB388_207
; %bb.204:                              ;   in Loop: Header=BB388_176 Depth=1
	s_waitcnt lgkmcnt(0)
	v_cvt_f32_f16_e32 v50, v49
	v_cvt_f32_f16_e32 v144, v135
	v_cmp_u_f16_e32 vcc, v49, v49
	v_cmp_u_f16_e64 s[58:59], v135, v135
	v_min_f32_e32 v51, v50, v144
	v_max_f32_e32 v135, v50, v144
	v_cndmask_b32_e32 v51, v51, v50, vcc
	v_cndmask_b32_e32 v50, v135, v50, vcc
	v_cndmask_b32_e64 v51, v51, v144, s[58:59]
	v_cndmask_b32_e64 v50, v50, v144, s[58:59]
	v_cmp_neq_f32_e32 vcc, v51, v50
	v_cmp_class_f32_e64 s[58:59], v51, s64
	s_or_b64 vcc, vcc, s[58:59]
	s_and_saveexec_b64 s[58:59], vcc
	s_cbranch_execz .LBB388_206
; %bb.205:                              ;   in Loop: Header=BB388_176 Depth=1
	v_sub_f32_e32 v49, v51, v50
	v_mul_f32_e32 v51, 0x3fb8aa3b, v49
	v_fma_f32 v135, v49, s65, -v51
	v_rndne_f32_e32 v144, v51
	v_fmac_f32_e32 v135, 0x32a5705f, v49
	v_sub_f32_e32 v51, v51, v144
	v_add_f32_e32 v51, v51, v135
	v_cvt_i32_f32_e32 v135, v144
	v_exp_f32_e32 v51, v51
	v_cmp_ngt_f32_e32 vcc, s66, v49
	v_ldexp_f32 v51, v51, v135
	s_nop 0
	v_cndmask_b32_e32 v51, 0, v51, vcc
	v_cmp_nlt_f32_e32 vcc, s67, v49
	s_nop 1
	v_cndmask_b32_e32 v51, v134, v51, vcc
	v_add_f32_e32 v49, 1.0, v51
	v_add_f32_e32 v135, -1.0, v49
	v_sub_f32_e32 v144, v135, v49
	v_add_f32_e32 v144, 1.0, v144
	v_sub_f32_e32 v135, v51, v135
	v_add_f32_e32 v135, v135, v144
	v_frexp_mant_f32_e32 v146, v49
	v_cvt_f64_f32_e32 v[144:145], v49
	v_frexp_exp_i32_f64_e32 v144, v[144:145]
	v_cmp_gt_f32_e32 vcc, s69, v146
	v_cmp_lt_f32_e64 s[72:73], |v51|, s71
	s_nop 0
	v_subbrev_co_u32_e32 v160, vcc, 0, v144, vcc
	v_sub_u32_e32 v144, 0, v160
	v_ldexp_f32 v49, v49, v144
	v_ldexp_f32 v135, v135, v144
	v_add_f32_e32 v144, -1.0, v49
	v_add_f32_e32 v145, 1.0, v144
	v_sub_f32_e32 v145, v49, v145
	v_add_f32_e32 v146, v135, v145
	v_add_f32_e32 v145, 1.0, v49
	v_add_f32_e32 v147, -1.0, v145
	v_sub_f32_e32 v49, v49, v147
	v_add_f32_e32 v49, v135, v49
	v_add_f32_e32 v135, v145, v49
	v_rcp_f32_e32 v161, v135
	v_sub_f32_e32 v145, v145, v135
	v_add_f32_e32 v49, v49, v145
	v_add_f32_e32 v145, v144, v146
	v_sub_f32_e32 v144, v144, v145
	v_mul_f32_e32 v163, v145, v161
	v_add_f32_e32 v162, v146, v144
	v_mul_f32_e32 v146, v135, v163
	v_fma_f32 v148, v163, v135, -v146
	v_fmac_f32_e32 v148, v163, v49
	v_add_f32_e32 v144, v146, v148
	v_sub_f32_e32 v147, v145, v144
	v_pk_add_f32 v[150:151], v[144:145], v[146:147] neg_lo:[0,1] neg_hi:[0,1]
	v_mov_b32_e32 v149, v144
	v_pk_add_f32 v[144:145], v[150:151], v[148:149] neg_lo:[0,1] neg_hi:[0,1]
	v_cmp_eq_f32_e32 vcc, s68, v51
	v_add_f32_e32 v145, v162, v145
	v_add_f32_e32 v144, v144, v145
	;; [unrolled: 1-line block ×3, first 2 shown]
	v_mul_f32_e32 v162, v161, v145
	v_mul_f32_e32 v146, v135, v162
	v_fma_f32 v148, v162, v135, -v146
	v_fmac_f32_e32 v148, v162, v49
	v_sub_f32_e32 v49, v147, v145
	v_add_f32_e32 v49, v144, v49
	v_add_f32_e32 v144, v146, v148
	v_sub_f32_e32 v147, v145, v144
	v_pk_add_f32 v[150:151], v[144:145], v[146:147] neg_lo:[0,1] neg_hi:[0,1]
	v_mov_b32_e32 v149, v144
	v_pk_add_f32 v[144:145], v[150:151], v[148:149] neg_lo:[0,1] neg_hi:[0,1]
	v_add_f32_e32 v135, v163, v162
	v_add_f32_e32 v49, v49, v145
	;; [unrolled: 1-line block ×4, first 2 shown]
	v_sub_f32_e32 v144, v135, v163
	v_mul_f32_e32 v49, v161, v49
	v_sub_f32_e32 v144, v162, v144
	v_add_f32_e32 v145, v144, v49
	v_add_f32_e32 v146, v135, v145
	v_cvt_f32_i32_e32 v144, v160
	v_mul_f32_e32 v148, v146, v146
	v_fmamk_f32 v49, v148, 0x3e9b6dac, v132
	v_sub_f32_e32 v135, v146, v135
	v_fmaak_f32 v49, v148, v49, 0x3f2aaada
	v_sub_f32_e32 v135, v145, v135
	v_mul_f32_e32 v145, v146, v148
	v_pk_mul_f32 v[148:149], v[144:145], v[48:49]
	v_ldexp_f32 v147, v146, 1
	v_fma_f32 v146, v144, s70, -v148
	v_fmac_f32_e32 v146, 0xb102e308, v144
	v_pk_add_f32 v[144:145], v[148:149], v[146:147]
	v_ldexp_f32 v135, v135, 1
	v_sub_f32_e32 v49, v145, v147
	v_sub_f32_e32 v49, v149, v49
	v_add_f32_e32 v151, v135, v49
	v_mov_b32_e32 v150, v148
	v_pk_add_f32 v[148:149], v[144:145], v[148:149] neg_lo:[0,1] neg_hi:[0,1]
	v_pk_add_f32 v[160:161], v[144:145], v[150:151]
	v_mov_b32_e32 v147, v144
	v_mov_b32_e32 v149, v161
	v_pk_add_f32 v[162:163], v[146:147], v[148:149] neg_lo:[0,1] neg_hi:[0,1]
	v_pk_add_f32 v[146:147], v[146:147], v[148:149]
	v_mov_b32_e32 v150, v151
	v_mov_b32_e32 v148, v147
	v_pk_add_f32 v[164:165], v[148:149], v[144:145] neg_lo:[0,1] neg_hi:[0,1]
	v_mov_b32_e32 v146, v161
	v_mov_b32_e32 v49, v164
	v_pk_add_f32 v[166:167], v[160:161], v[48:49] neg_lo:[0,1] neg_hi:[0,1]
	v_mov_b32_e32 v160, v145
	v_mov_b32_e32 v161, v164
	;; [unrolled: 1-line block ×3, first 2 shown]
	v_pk_add_f32 v[146:147], v[146:147], v[160:161] neg_lo:[0,1] neg_hi:[0,1]
	v_mov_b32_e32 v151, v144
	v_pk_add_f32 v[144:145], v[150:151], v[146:147] neg_lo:[0,1] neg_hi:[0,1]
	v_mov_b32_e32 v166, v162
	v_pk_add_f32 v[146:147], v[166:167], v[144:145]
	s_or_b64 vcc, vcc, s[72:73]
	v_mov_b32_e32 v150, v147
	v_pk_add_f32 v[150:151], v[146:147], v[150:151]
	s_nop 0
	v_pk_add_f32 v[148:149], v[148:149], v[150:151]
	v_mov_b32_e32 v145, v150
	v_mov_b32_e32 v147, v148
	v_pk_add_f32 v[160:161], v[146:147], v[162:163] neg_lo:[0,1] neg_hi:[0,1]
	s_nop 0
	v_sub_f32_e32 v49, v146, v160
	v_pk_add_f32 v[144:145], v[144:145], v[160:161] neg_lo:[0,1] neg_hi:[0,1]
	v_sub_f32_e32 v49, v162, v49
	v_add_f32_e32 v49, v144, v49
	v_add_f32_e32 v49, v49, v145
	;; [unrolled: 1-line block ×3, first 2 shown]
	v_cndmask_b32_e32 v49, v49, v51, vcc
	v_add_f32_e32 v49, v50, v49
	v_cvt_f16_f32_e32 v49, v49
.LBB388_206:                            ;   in Loop: Header=BB388_176 Depth=1
	s_or_b64 exec, exec, s[58:59]
	v_mov_b32_e32 v135, v49
.LBB388_207:                            ;   in Loop: Header=BB388_176 Depth=1
	s_or_b64 exec, exec, s[62:63]
	v_cvt_f32_f16_e32 v50, v135
	v_cvt_f32_f16_e32 v51, v131
	v_cmp_u_f16_e32 vcc, v135, v135
	v_cmp_u_f16_e64 s[58:59], v131, v131
	s_waitcnt lgkmcnt(0)
	v_min_f32_e32 v49, v50, v51
	v_max_f32_e32 v144, v50, v51
	v_cndmask_b32_e32 v49, v49, v50, vcc
	v_cndmask_b32_e32 v50, v144, v50, vcc
	v_cndmask_b32_e64 v49, v49, v51, s[58:59]
	v_cndmask_b32_e64 v50, v50, v51, s[58:59]
	v_cmp_neq_f32_e32 vcc, v49, v50
	v_cmp_class_f32_e64 s[58:59], v49, s64
	s_or_b64 vcc, vcc, s[58:59]
	s_and_saveexec_b64 s[58:59], vcc
	s_xor_b64 s[58:59], exec, s[58:59]
	s_cbranch_execz .LBB388_175
; %bb.208:                              ;   in Loop: Header=BB388_176 Depth=1
	v_sub_f32_e32 v49, v49, v50
	v_mul_f32_e32 v51, 0x3fb8aa3b, v49
	v_fma_f32 v135, v49, s65, -v51
	v_rndne_f32_e32 v144, v51
	v_fmac_f32_e32 v135, 0x32a5705f, v49
	v_sub_f32_e32 v51, v51, v144
	v_add_f32_e32 v51, v51, v135
	v_cvt_i32_f32_e32 v135, v144
	v_exp_f32_e32 v51, v51
	v_cmp_ngt_f32_e32 vcc, s66, v49
	v_ldexp_f32 v51, v51, v135
	s_nop 0
	v_cndmask_b32_e32 v51, 0, v51, vcc
	v_cmp_nlt_f32_e32 vcc, s67, v49
	s_nop 1
	v_cndmask_b32_e32 v51, v134, v51, vcc
	v_add_f32_e32 v49, 1.0, v51
	v_add_f32_e32 v135, -1.0, v49
	v_sub_f32_e32 v144, v135, v49
	v_add_f32_e32 v144, 1.0, v144
	v_sub_f32_e32 v135, v51, v135
	v_add_f32_e32 v135, v135, v144
	v_frexp_mant_f32_e32 v146, v49
	v_cvt_f64_f32_e32 v[144:145], v49
	v_frexp_exp_i32_f64_e32 v144, v[144:145]
	v_cmp_gt_f32_e32 vcc, s69, v146
	v_cmp_lt_f32_e64 s[62:63], |v51|, s71
	s_nop 0
	v_subbrev_co_u32_e32 v144, vcc, 0, v144, vcc
	v_sub_u32_e32 v145, 0, v144
	v_ldexp_f32 v49, v49, v145
	v_ldexp_f32 v135, v135, v145
	v_add_f32_e32 v145, -1.0, v49
	v_add_f32_e32 v148, 1.0, v49
	v_add_f32_e32 v146, 1.0, v145
	v_add_f32_e32 v149, -1.0, v148
	v_sub_f32_e32 v146, v49, v146
	v_sub_f32_e32 v49, v49, v149
	v_add_f32_e32 v49, v135, v49
	v_add_f32_e32 v146, v135, v146
	;; [unrolled: 1-line block ×3, first 2 shown]
	v_rcp_f32_e32 v149, v135
	v_add_f32_e32 v147, v145, v146
	v_sub_f32_e32 v145, v145, v147
	v_add_f32_e32 v145, v146, v145
	v_sub_f32_e32 v146, v148, v135
	v_add_f32_e32 v49, v49, v146
	v_mul_f32_e32 v146, v147, v149
	v_mul_f32_e32 v148, v135, v146
	v_fma_f32 v150, v146, v135, -v148
	v_fmac_f32_e32 v150, v146, v49
	v_add_f32_e32 v151, v148, v150
	v_sub_f32_e32 v160, v147, v151
	v_sub_f32_e32 v147, v147, v160
	;; [unrolled: 1-line block ×4, first 2 shown]
	v_add_f32_e32 v145, v145, v147
	v_sub_f32_e32 v147, v148, v150
	v_add_f32_e32 v145, v147, v145
	v_add_f32_e32 v147, v160, v145
	v_mul_f32_e32 v148, v149, v147
	v_mul_f32_e32 v150, v135, v148
	v_fma_f32 v135, v148, v135, -v150
	v_fmac_f32_e32 v135, v148, v49
	v_sub_f32_e32 v49, v160, v147
	v_add_f32_e32 v49, v145, v49
	v_add_f32_e32 v145, v150, v135
	v_sub_f32_e32 v151, v147, v145
	v_sub_f32_e32 v147, v147, v151
	;; [unrolled: 1-line block ×4, first 2 shown]
	v_add_f32_e32 v49, v49, v145
	v_sub_f32_e32 v135, v150, v135
	v_add_f32_e32 v49, v135, v49
	v_add_f32_e32 v135, v146, v148
	;; [unrolled: 1-line block ×3, first 2 shown]
	v_sub_f32_e32 v145, v135, v146
	v_mul_f32_e32 v49, v149, v49
	v_sub_f32_e32 v145, v148, v145
	v_add_f32_e32 v145, v145, v49
	v_add_f32_e32 v146, v135, v145
	v_cvt_f32_i32_e32 v144, v144
	v_mul_f32_e32 v148, v146, v146
	v_fmamk_f32 v49, v148, 0x3e9b6dac, v132
	v_sub_f32_e32 v135, v146, v135
	v_fmaak_f32 v49, v148, v49, 0x3f2aaada
	v_sub_f32_e32 v135, v145, v135
	v_mul_f32_e32 v145, v146, v148
	v_pk_mul_f32 v[148:149], v[144:145], v[48:49]
	v_ldexp_f32 v147, v146, 1
	v_fma_f32 v146, v144, s70, -v148
	v_fmac_f32_e32 v146, 0xb102e308, v144
	v_pk_add_f32 v[144:145], v[148:149], v[146:147]
	v_ldexp_f32 v135, v135, 1
	v_sub_f32_e32 v49, v145, v147
	v_sub_f32_e32 v49, v149, v49
	v_add_f32_e32 v151, v135, v49
	v_mov_b32_e32 v150, v148
	v_pk_add_f32 v[148:149], v[144:145], v[148:149] neg_lo:[0,1] neg_hi:[0,1]
	v_pk_add_f32 v[160:161], v[144:145], v[150:151]
	v_mov_b32_e32 v147, v144
	v_mov_b32_e32 v149, v161
	v_pk_add_f32 v[162:163], v[146:147], v[148:149] neg_lo:[0,1] neg_hi:[0,1]
	v_pk_add_f32 v[146:147], v[146:147], v[148:149]
	v_mov_b32_e32 v150, v151
	v_mov_b32_e32 v148, v147
	v_pk_add_f32 v[164:165], v[148:149], v[144:145] neg_lo:[0,1] neg_hi:[0,1]
	v_mov_b32_e32 v146, v161
	v_mov_b32_e32 v49, v164
	v_pk_add_f32 v[166:167], v[160:161], v[48:49] neg_lo:[0,1] neg_hi:[0,1]
	v_mov_b32_e32 v160, v145
	v_mov_b32_e32 v161, v164
	;; [unrolled: 1-line block ×3, first 2 shown]
	v_pk_add_f32 v[146:147], v[146:147], v[160:161] neg_lo:[0,1] neg_hi:[0,1]
	v_mov_b32_e32 v151, v144
	v_pk_add_f32 v[144:145], v[150:151], v[146:147] neg_lo:[0,1] neg_hi:[0,1]
	v_mov_b32_e32 v166, v162
	v_pk_add_f32 v[146:147], v[166:167], v[144:145]
	v_cmp_eq_f32_e32 vcc, s68, v51
	v_mov_b32_e32 v150, v147
	v_pk_add_f32 v[150:151], v[146:147], v[150:151]
	s_or_b64 vcc, vcc, s[62:63]
	v_pk_add_f32 v[148:149], v[148:149], v[150:151]
	v_mov_b32_e32 v145, v150
	v_mov_b32_e32 v147, v148
	v_pk_add_f32 v[160:161], v[146:147], v[162:163] neg_lo:[0,1] neg_hi:[0,1]
	s_nop 0
	v_sub_f32_e32 v49, v146, v160
	v_pk_add_f32 v[144:145], v[144:145], v[160:161] neg_lo:[0,1] neg_hi:[0,1]
	v_sub_f32_e32 v49, v162, v49
	v_add_f32_e32 v49, v144, v49
	v_add_f32_e32 v49, v49, v145
	;; [unrolled: 1-line block ×3, first 2 shown]
	v_cndmask_b32_e32 v49, v49, v51, vcc
	v_add_f32_e32 v49, v50, v49
	v_cvt_f16_f32_e32 v135, v49
	s_branch .LBB388_175
.LBB388_209:                            ;   in Loop: Header=BB388_176 Depth=1
                                        ; implicit-def: $vgpr135
                                        ; implicit-def: $vgpr112
	s_cbranch_execz .LBB388_176
; %bb.210:
	s_and_saveexec_b64 s[62:63], s[56:57]
	s_cbranch_execz .LBB388_214
; %bb.211:
	v_cvt_f32_f16_e32 v31, v131
	v_cvt_f32_f16_e32 v36, v102
	v_cmp_u_f16_e32 vcc, v131, v131
	v_cmp_u_f16_e64 s[58:59], v102, v102
	v_min_f32_e32 v37, v31, v36
	v_max_f32_e32 v38, v31, v36
	v_cndmask_b32_e32 v37, v37, v31, vcc
	v_cndmask_b32_e32 v31, v38, v31, vcc
	v_cndmask_b32_e64 v37, v37, v36, s[58:59]
	v_cndmask_b32_e64 v31, v31, v36, s[58:59]
	s_movk_i32 s58, 0x1f8
	v_cmp_neq_f32_e32 vcc, v37, v31
	v_cmp_class_f32_e64 s[58:59], v37, s58
	s_or_b64 vcc, vcc, s[58:59]
	v_mov_b32_e32 v36, v131
	s_and_saveexec_b64 s[58:59], vcc
	s_cbranch_execz .LBB388_213
; %bb.212:
	v_sub_f32_e32 v36, v37, v31
	s_mov_b32 s64, 0x3fb8aa3b
	v_mul_f32_e32 v37, 0x3fb8aa3b, v36
	v_fma_f32 v38, v36, s64, -v37
	v_rndne_f32_e32 v39, v37
	v_fmamk_f32 v38, v36, 0x32a5705f, v38
	v_sub_f32_e32 v37, v37, v39
	v_add_f32_e32 v37, v37, v38
	v_exp_f32_e32 v37, v37
	v_cvt_i32_f32_e32 v38, v39
	s_mov_b32 s64, 0xc2ce8ed0
	v_cmp_ngt_f32_e32 vcc, s64, v36
	s_mov_b32 s64, 0x42b17218
	v_ldexp_f32 v37, v37, v38
	v_cndmask_b32_e32 v37, 0, v37, vcc
	v_mov_b32_e32 v38, 0x7f800000
	v_cmp_nlt_f32_e32 vcc, s64, v36
	s_mov_b32 s64, 0x3f2aaaab
	s_mov_b32 s65, 0x7f800000
	v_cndmask_b32_e32 v118, v38, v37, vcc
	v_add_f32_e32 v38, 1.0, v118
	v_add_f32_e32 v36, -1.0, v38
	v_sub_f32_e32 v37, v36, v38
	v_add_f32_e32 v37, 1.0, v37
	v_sub_f32_e32 v36, v118, v36
	v_add_f32_e32 v39, v36, v37
	v_frexp_mant_f32_e32 v48, v38
	v_cvt_f64_f32_e32 v[36:37], v38
	v_frexp_exp_i32_f64_e32 v36, v[36:37]
	v_cmp_gt_f32_e32 vcc, s64, v48
	s_mov_b32 s64, 0x3f317218
	s_nop 0
	v_subbrev_co_u32_e32 v102, vcc, 0, v36, vcc
	v_sub_u32_e32 v36, 0, v102
	v_ldexp_f32 v37, v38, v36
	v_add_f32_e32 v38, -1.0, v37
	v_add_f32_e32 v48, 1.0, v37
	v_ldexp_f32 v36, v39, v36
	v_add_f32_e32 v39, 1.0, v38
	v_add_f32_e32 v49, -1.0, v48
	v_sub_f32_e32 v39, v37, v39
	v_sub_f32_e32 v37, v37, v49
	v_add_f32_e32 v39, v36, v39
	v_add_f32_e32 v36, v36, v37
	;; [unrolled: 1-line block ×3, first 2 shown]
	v_rcp_f32_e32 v113, v103
	v_sub_f32_e32 v37, v48, v103
	v_add_f32_e32 v112, v36, v37
	v_add_f32_e32 v37, v38, v39
	v_mul_f32_e32 v115, v37, v113
	v_sub_f32_e32 v36, v38, v37
	v_mul_f32_e32 v38, v103, v115
	v_fma_f32 v48, v115, v103, -v38
	v_fmac_f32_e32 v48, v115, v112
	v_add_f32_e32 v114, v39, v36
	v_add_f32_e32 v36, v38, v48
	v_sub_f32_e32 v39, v37, v36
	v_pk_add_f32 v[50:51], v[36:37], v[38:39] neg_lo:[0,1] neg_hi:[0,1]
	v_mov_b32_e32 v49, v36
	v_pk_add_f32 v[36:37], v[50:51], v[48:49] neg_lo:[0,1] neg_hi:[0,1]
	v_cmp_eq_f32_e32 vcc, s65, v118
	v_add_f32_e32 v37, v114, v37
	v_add_f32_e32 v36, v36, v37
	;; [unrolled: 1-line block ×3, first 2 shown]
	v_mul_f32_e32 v114, v113, v37
	v_mul_f32_e32 v38, v103, v114
	v_fma_f32 v48, v114, v103, -v38
	v_fmac_f32_e32 v48, v114, v112
	v_sub_f32_e32 v39, v39, v37
	v_add_f32_e32 v103, v36, v39
	v_add_f32_e32 v36, v38, v48
	v_sub_f32_e32 v39, v37, v36
	v_pk_add_f32 v[50:51], v[36:37], v[38:39] neg_lo:[0,1] neg_hi:[0,1]
	v_mov_b32_e32 v49, v36
	v_pk_add_f32 v[36:37], v[50:51], v[48:49] neg_lo:[0,1] neg_hi:[0,1]
	v_cvt_f32_i32_e32 v38, v102
	v_add_f32_e32 v37, v103, v37
	v_add_f32_e32 v36, v36, v37
	;; [unrolled: 1-line block ×4, first 2 shown]
	v_sub_f32_e32 v37, v39, v115
	v_mul_f32_e32 v36, v113, v36
	v_sub_f32_e32 v37, v114, v37
	v_add_f32_e32 v36, v37, v36
	v_add_f32_e32 v48, v39, v36
	v_mul_f32_e32 v50, v48, v48
	v_mov_b32_e32 v37, 0x3ecc95a3
	v_sub_f32_e32 v39, v48, v39
	v_fmac_f32_e32 v37, 0x3e9b6dac, v50
	v_sub_f32_e32 v36, v36, v39
	v_fmaak_f32 v37, v50, v37, 0x3f2aaada
	v_ldexp_f32 v51, v36, 1
	v_mul_f32_e32 v39, v48, v50
	v_mov_b32_e32 v36, 0x3f317218
	v_pk_mul_f32 v[36:37], v[38:39], v[36:37]
	v_ldexp_f32 v49, v48, 1
	v_fma_f32 v39, v38, s64, -v36
	v_fmamk_f32 v48, v38, 0xb102e308, v39
	v_pk_add_f32 v[38:39], v[36:37], v[48:49]
	v_mov_b32_e32 v50, v36
	v_sub_f32_e32 v49, v39, v49
	v_sub_f32_e32 v49, v37, v49
	v_add_f32_e32 v51, v51, v49
	v_pk_add_f32 v[36:37], v[38:39], v[36:37] neg_lo:[0,1] neg_hi:[0,1]
	v_pk_add_f32 v[102:103], v[38:39], v[50:51]
	v_mov_b32_e32 v49, v38
	v_mov_b32_e32 v37, v103
	v_pk_add_f32 v[112:113], v[48:49], v[36:37] neg_lo:[0,1] neg_hi:[0,1]
	v_pk_add_f32 v[36:37], v[48:49], v[36:37]
	v_mov_b32_e32 v50, v51
	v_mov_b32_e32 v48, v37
	v_pk_add_f32 v[114:115], v[48:49], v[38:39] neg_lo:[0,1] neg_hi:[0,1]
	v_mov_b32_e32 v36, v103
	v_mov_b32_e32 v49, v114
	v_pk_add_f32 v[116:117], v[102:103], v[48:49] neg_lo:[0,1] neg_hi:[0,1]
	v_mov_b32_e32 v102, v39
	v_mov_b32_e32 v103, v114
	;; [unrolled: 1-line block ×3, first 2 shown]
	v_pk_add_f32 v[36:37], v[36:37], v[102:103] neg_lo:[0,1] neg_hi:[0,1]
	v_mov_b32_e32 v51, v38
	v_pk_add_f32 v[36:37], v[50:51], v[36:37] neg_lo:[0,1] neg_hi:[0,1]
	v_mov_b32_e32 v116, v112
	v_pk_add_f32 v[38:39], v[116:117], v[36:37]
	s_mov_b32 s64, 0x33800000
	v_mov_b32_e32 v50, v39
	v_pk_add_f32 v[50:51], v[38:39], v[50:51]
	v_cmp_lt_f32_e64 s[64:65], |v118|, s64
	v_pk_add_f32 v[48:49], v[48:49], v[50:51]
	v_mov_b32_e32 v37, v50
	v_mov_b32_e32 v39, v48
	v_pk_add_f32 v[102:103], v[38:39], v[112:113] neg_lo:[0,1] neg_hi:[0,1]
	s_or_b64 vcc, vcc, s[64:65]
	v_sub_f32_e32 v38, v38, v102
	v_pk_add_f32 v[36:37], v[36:37], v[102:103] neg_lo:[0,1] neg_hi:[0,1]
	v_sub_f32_e32 v38, v112, v38
	v_add_f32_e32 v36, v36, v38
	v_add_f32_e32 v36, v36, v37
	;; [unrolled: 1-line block ×3, first 2 shown]
	v_cndmask_b32_e32 v36, v36, v118, vcc
	v_add_f32_e32 v31, v31, v36
	v_cvt_f16_f32_e32 v36, v31
.LBB388_213:
	s_or_b64 exec, exec, s[58:59]
	v_mov_b32_e32 v31, 0
	s_mov_b32 vcc_lo, 0x20000
	v_lshl_add_u64 v[30:31], v[30:31], 2, v[28:29]
	v_or_b32_sdwa v36, v36, vcc_lo dst_sel:DWORD dst_unused:UNUSED_PAD src0_sel:WORD_0 src1_sel:DWORD
	flat_store_dword v[30:31], v36 sc1
.LBB388_214:
	s_or_b64 exec, exec, s[62:63]
	s_and_b64 exec, exec, s[4:5]
	s_cbranch_execz .LBB388_216
; %bb.215:
	v_mov_b32_e32 v30, 0
	ds_write_b16 v30, v131 offset:6
.LBB388_216:
	s_or_b64 exec, exec, s[60:61]
	v_mov_b32_e32 v30, 0
	s_waitcnt lgkmcnt(0)
	s_barrier
	ds_read_u16 v30, v30 offset:6
	v_mov_b32_e32 v36, v24
	s_and_saveexec_b64 s[58:59], s[2:3]
	s_cbranch_execz .LBB388_220
; %bb.217:
	v_cndmask_b32_e64 v36, v101, v100, s[56:57]
	v_cvt_f32_f16_e32 v37, v36
	v_max_f32_e32 v31, v99, v99
	v_cmp_u_f16_e32 vcc, v36, v36
	v_min_f32_e32 v38, v37, v31
	v_max_f32_e32 v31, v37, v31
	v_cndmask_b32_e32 v38, v38, v37, vcc
	v_cndmask_b32_e32 v31, v31, v37, vcc
	v_cndmask_b32_e64 v38, v38, v99, s[54:55]
	v_cndmask_b32_e64 v31, v31, v99, s[54:55]
	s_movk_i32 s54, 0x1f8
	v_cmp_neq_f32_e32 vcc, v38, v31
	v_cmp_class_f32_e64 s[54:55], v38, s54
	s_or_b64 vcc, vcc, s[54:55]
	s_and_saveexec_b64 s[54:55], vcc
	s_cbranch_execz .LBB388_219
; %bb.218:
	v_sub_f32_e32 v36, v38, v31
	s_mov_b32 s56, 0x3fb8aa3b
	v_mul_f32_e32 v37, 0x3fb8aa3b, v36
	v_fma_f32 v38, v36, s56, -v37
	v_rndne_f32_e32 v39, v37
	v_fmamk_f32 v38, v36, 0x32a5705f, v38
	v_sub_f32_e32 v37, v37, v39
	v_add_f32_e32 v37, v37, v38
	v_exp_f32_e32 v37, v37
	v_cvt_i32_f32_e32 v38, v39
	s_mov_b32 s56, 0xc2ce8ed0
	v_cmp_ngt_f32_e32 vcc, s56, v36
	s_mov_b32 s56, 0x42b17218
	v_ldexp_f32 v37, v37, v38
	v_cndmask_b32_e32 v37, 0, v37, vcc
	v_mov_b32_e32 v38, 0x7f800000
	v_cmp_nlt_f32_e32 vcc, s56, v36
	s_mov_b32 s56, 0x3f2aaaab
	s_mov_b32 s57, 0x7f800000
	v_cndmask_b32_e32 v99, v38, v37, vcc
	v_add_f32_e32 v38, 1.0, v99
	v_add_f32_e32 v36, -1.0, v38
	v_sub_f32_e32 v37, v36, v38
	v_add_f32_e32 v37, 1.0, v37
	v_sub_f32_e32 v36, v99, v36
	v_add_f32_e32 v39, v36, v37
	v_frexp_mant_f32_e32 v48, v38
	v_cvt_f64_f32_e32 v[36:37], v38
	v_frexp_exp_i32_f64_e32 v36, v[36:37]
	v_cmp_gt_f32_e32 vcc, s56, v48
	s_mov_b32 s56, 0x3f317218
	s_nop 0
	v_subbrev_co_u32_e32 v100, vcc, 0, v36, vcc
	v_sub_u32_e32 v36, 0, v100
	v_ldexp_f32 v37, v38, v36
	v_add_f32_e32 v38, -1.0, v37
	v_add_f32_e32 v48, 1.0, v37
	v_ldexp_f32 v36, v39, v36
	v_add_f32_e32 v39, 1.0, v38
	v_add_f32_e32 v49, -1.0, v48
	v_sub_f32_e32 v39, v37, v39
	v_sub_f32_e32 v37, v37, v49
	v_add_f32_e32 v39, v36, v39
	v_add_f32_e32 v36, v36, v37
	;; [unrolled: 1-line block ×3, first 2 shown]
	v_rcp_f32_e32 v103, v101
	v_sub_f32_e32 v37, v48, v101
	v_add_f32_e32 v102, v36, v37
	v_add_f32_e32 v37, v38, v39
	v_mul_f32_e32 v113, v37, v103
	v_sub_f32_e32 v36, v38, v37
	v_mul_f32_e32 v38, v101, v113
	v_fma_f32 v48, v113, v101, -v38
	v_fmac_f32_e32 v48, v113, v102
	v_add_f32_e32 v112, v39, v36
	v_add_f32_e32 v36, v38, v48
	v_sub_f32_e32 v39, v37, v36
	v_pk_add_f32 v[50:51], v[36:37], v[38:39] neg_lo:[0,1] neg_hi:[0,1]
	v_mov_b32_e32 v49, v36
	v_pk_add_f32 v[36:37], v[50:51], v[48:49] neg_lo:[0,1] neg_hi:[0,1]
	v_cmp_eq_f32_e32 vcc, s57, v99
	v_add_f32_e32 v37, v112, v37
	v_add_f32_e32 v36, v36, v37
	;; [unrolled: 1-line block ×3, first 2 shown]
	v_mul_f32_e32 v112, v103, v37
	v_mul_f32_e32 v38, v101, v112
	v_fma_f32 v48, v112, v101, -v38
	v_fmac_f32_e32 v48, v112, v102
	v_sub_f32_e32 v39, v39, v37
	v_add_f32_e32 v101, v36, v39
	v_add_f32_e32 v36, v38, v48
	v_sub_f32_e32 v39, v37, v36
	v_pk_add_f32 v[50:51], v[36:37], v[38:39] neg_lo:[0,1] neg_hi:[0,1]
	v_mov_b32_e32 v49, v36
	v_pk_add_f32 v[36:37], v[50:51], v[48:49] neg_lo:[0,1] neg_hi:[0,1]
	v_cvt_f32_i32_e32 v38, v100
	v_add_f32_e32 v37, v101, v37
	v_add_f32_e32 v36, v36, v37
	;; [unrolled: 1-line block ×4, first 2 shown]
	v_sub_f32_e32 v37, v39, v113
	v_mul_f32_e32 v36, v103, v36
	v_sub_f32_e32 v37, v112, v37
	v_add_f32_e32 v36, v37, v36
	v_add_f32_e32 v48, v39, v36
	v_mul_f32_e32 v50, v48, v48
	v_mov_b32_e32 v37, 0x3ecc95a3
	v_sub_f32_e32 v39, v48, v39
	v_fmac_f32_e32 v37, 0x3e9b6dac, v50
	v_sub_f32_e32 v36, v36, v39
	v_fmaak_f32 v37, v50, v37, 0x3f2aaada
	v_ldexp_f32 v51, v36, 1
	v_mul_f32_e32 v39, v48, v50
	v_mov_b32_e32 v36, 0x3f317218
	v_pk_mul_f32 v[36:37], v[38:39], v[36:37]
	v_ldexp_f32 v49, v48, 1
	v_fma_f32 v39, v38, s56, -v36
	v_fmamk_f32 v48, v38, 0xb102e308, v39
	v_pk_add_f32 v[38:39], v[36:37], v[48:49]
	v_mov_b32_e32 v50, v36
	v_sub_f32_e32 v49, v39, v49
	v_sub_f32_e32 v49, v37, v49
	v_add_f32_e32 v51, v51, v49
	v_pk_add_f32 v[36:37], v[38:39], v[36:37] neg_lo:[0,1] neg_hi:[0,1]
	v_pk_add_f32 v[100:101], v[38:39], v[50:51]
	v_mov_b32_e32 v49, v38
	v_mov_b32_e32 v37, v101
	v_pk_add_f32 v[102:103], v[48:49], v[36:37] neg_lo:[0,1] neg_hi:[0,1]
	v_pk_add_f32 v[36:37], v[48:49], v[36:37]
	v_mov_b32_e32 v50, v51
	v_mov_b32_e32 v48, v37
	v_pk_add_f32 v[112:113], v[48:49], v[38:39] neg_lo:[0,1] neg_hi:[0,1]
	v_mov_b32_e32 v36, v101
	v_mov_b32_e32 v49, v112
	v_pk_add_f32 v[114:115], v[100:101], v[48:49] neg_lo:[0,1] neg_hi:[0,1]
	v_mov_b32_e32 v100, v39
	v_mov_b32_e32 v101, v112
	;; [unrolled: 1-line block ×3, first 2 shown]
	v_pk_add_f32 v[36:37], v[36:37], v[100:101] neg_lo:[0,1] neg_hi:[0,1]
	v_mov_b32_e32 v51, v38
	v_pk_add_f32 v[36:37], v[50:51], v[36:37] neg_lo:[0,1] neg_hi:[0,1]
	v_mov_b32_e32 v114, v102
	v_pk_add_f32 v[38:39], v[114:115], v[36:37]
	s_mov_b32 s56, 0x33800000
	v_mov_b32_e32 v50, v39
	v_pk_add_f32 v[50:51], v[38:39], v[50:51]
	v_cmp_lt_f32_e64 s[56:57], |v99|, s56
	v_pk_add_f32 v[48:49], v[48:49], v[50:51]
	v_mov_b32_e32 v37, v50
	v_mov_b32_e32 v39, v48
	v_pk_add_f32 v[100:101], v[38:39], v[102:103] neg_lo:[0,1] neg_hi:[0,1]
	s_or_b64 vcc, vcc, s[56:57]
	v_sub_f32_e32 v38, v38, v100
	v_pk_add_f32 v[36:37], v[36:37], v[100:101] neg_lo:[0,1] neg_hi:[0,1]
	v_sub_f32_e32 v38, v102, v38
	v_add_f32_e32 v36, v36, v38
	v_add_f32_e32 v36, v36, v37
	;; [unrolled: 1-line block ×3, first 2 shown]
	v_cndmask_b32_e32 v36, v36, v99, vcc
	v_add_f32_e32 v31, v31, v36
	v_cvt_f16_f32_e32 v36, v31
	v_cvt_f32_f16_e32 v37, v36
.LBB388_219:
	s_or_b64 exec, exec, s[54:55]
	v_mov_b32_e32 v99, v37
.LBB388_220:
	s_or_b64 exec, exec, s[58:59]
	s_waitcnt lgkmcnt(0)
	v_cvt_f32_f16_e32 v100, v30
	v_max_f32_e32 v31, v99, v99
	v_cmp_u_f16_e32 vcc, v30, v30
	v_cmp_u_f16_e64 s[54:55], v36, v36
	v_min_f32_e32 v37, v100, v31
	v_max_f32_e32 v31, v100, v31
	v_cndmask_b32_e32 v37, v37, v100, vcc
	v_cndmask_b32_e32 v31, v31, v100, vcc
	v_cndmask_b32_e64 v36, v37, v99, s[54:55]
	v_cndmask_b32_e64 v31, v31, v99, s[54:55]
	s_movk_i32 s56, 0x1f8
	v_cmp_neq_f32_e32 vcc, v36, v31
	v_cmp_class_f32_e64 s[54:55], v36, s56
	s_or_b64 vcc, vcc, s[54:55]
	s_and_saveexec_b64 s[54:55], vcc
	s_cbranch_execz .LBB388_222
; %bb.221:
	v_sub_f32_e32 v30, v36, v31
	s_mov_b32 s57, 0x3fb8aa3b
	v_mul_f32_e32 v36, 0x3fb8aa3b, v30
	v_fma_f32 v37, v30, s57, -v36
	v_rndne_f32_e32 v38, v36
	v_fmamk_f32 v37, v30, 0x32a5705f, v37
	v_sub_f32_e32 v36, v36, v38
	v_add_f32_e32 v36, v36, v37
	v_exp_f32_e32 v36, v36
	v_cvt_i32_f32_e32 v37, v38
	s_mov_b32 s57, 0xc2ce8ed0
	v_cmp_ngt_f32_e32 vcc, s57, v30
	s_mov_b32 s57, 0x42b17218
	v_ldexp_f32 v36, v36, v37
	v_cndmask_b32_e32 v36, 0, v36, vcc
	v_mov_b32_e32 v37, 0x7f800000
	v_cmp_nlt_f32_e32 vcc, s57, v30
	s_mov_b32 s57, 0x3f2aaaab
	s_mov_b32 s58, 0x7f800000
	v_cndmask_b32_e32 v99, v37, v36, vcc
	v_add_f32_e32 v30, 1.0, v99
	v_add_f32_e32 v36, -1.0, v30
	v_sub_f32_e32 v37, v36, v30
	v_add_f32_e32 v37, 1.0, v37
	v_sub_f32_e32 v36, v99, v36
	v_add_f32_e32 v38, v36, v37
	v_frexp_mant_f32_e32 v39, v30
	v_cvt_f64_f32_e32 v[36:37], v30
	v_frexp_exp_i32_f64_e32 v36, v[36:37]
	v_cmp_gt_f32_e32 vcc, s57, v39
	s_mov_b32 s57, 0x3f317218
	s_nop 0
	v_subbrev_co_u32_e32 v100, vcc, 0, v36, vcc
	v_sub_u32_e32 v36, 0, v100
	v_ldexp_f32 v30, v30, v36
	v_ldexp_f32 v36, v38, v36
	v_add_f32_e32 v38, -1.0, v30
	v_add_f32_e32 v37, 1.0, v38
	v_sub_f32_e32 v37, v30, v37
	v_add_f32_e32 v39, v36, v37
	v_add_f32_e32 v37, 1.0, v30
	v_add_f32_e32 v48, -1.0, v37
	v_sub_f32_e32 v30, v30, v48
	v_add_f32_e32 v30, v36, v30
	v_add_f32_e32 v101, v37, v30
	v_rcp_f32_e32 v102, v101
	v_sub_f32_e32 v36, v37, v101
	v_add_f32_e32 v37, v38, v39
	v_add_f32_e32 v30, v30, v36
	v_mul_f32_e32 v112, v37, v102
	v_sub_f32_e32 v36, v38, v37
	v_mul_f32_e32 v38, v101, v112
	v_fma_f32 v48, v112, v101, -v38
	v_fmac_f32_e32 v48, v112, v30
	v_add_f32_e32 v103, v39, v36
	v_add_f32_e32 v36, v38, v48
	v_sub_f32_e32 v39, v37, v36
	v_pk_add_f32 v[50:51], v[36:37], v[38:39] neg_lo:[0,1] neg_hi:[0,1]
	v_mov_b32_e32 v49, v36
	v_pk_add_f32 v[36:37], v[50:51], v[48:49] neg_lo:[0,1] neg_hi:[0,1]
	v_cmp_eq_f32_e32 vcc, s58, v99
	v_add_f32_e32 v37, v103, v37
	v_add_f32_e32 v36, v36, v37
	;; [unrolled: 1-line block ×3, first 2 shown]
	v_mul_f32_e32 v103, v102, v37
	v_mul_f32_e32 v38, v101, v103
	v_fma_f32 v48, v103, v101, -v38
	v_fmac_f32_e32 v48, v103, v30
	v_sub_f32_e32 v30, v39, v37
	v_add_f32_e32 v30, v36, v30
	v_add_f32_e32 v36, v38, v48
	v_sub_f32_e32 v39, v37, v36
	v_pk_add_f32 v[50:51], v[36:37], v[38:39] neg_lo:[0,1] neg_hi:[0,1]
	v_mov_b32_e32 v49, v36
	v_pk_add_f32 v[36:37], v[50:51], v[48:49] neg_lo:[0,1] neg_hi:[0,1]
	v_cvt_f32_i32_e32 v38, v100
	v_add_f32_e32 v30, v30, v37
	v_add_f32_e32 v30, v36, v30
	;; [unrolled: 1-line block ×4, first 2 shown]
	v_sub_f32_e32 v37, v36, v112
	v_mul_f32_e32 v30, v102, v30
	v_sub_f32_e32 v37, v103, v37
	v_add_f32_e32 v30, v37, v30
	v_add_f32_e32 v39, v36, v30
	v_mul_f32_e32 v48, v39, v39
	v_mov_b32_e32 v37, 0x3ecc95a3
	v_fmac_f32_e32 v37, 0x3e9b6dac, v48
	v_sub_f32_e32 v36, v39, v36
	v_fmaak_f32 v37, v48, v37, 0x3f2aaada
	v_sub_f32_e32 v30, v30, v36
	v_ldexp_f32 v49, v39, 1
	v_mul_f32_e32 v39, v39, v48
	v_mov_b32_e32 v36, 0x3f317218
	v_pk_mul_f32 v[36:37], v[38:39], v[36:37]
	v_ldexp_f32 v30, v30, 1
	v_fma_f32 v39, v38, s57, -v36
	v_fmamk_f32 v48, v38, 0xb102e308, v39
	v_pk_add_f32 v[38:39], v[36:37], v[48:49]
	v_mov_b32_e32 v50, v36
	v_sub_f32_e32 v49, v39, v49
	v_sub_f32_e32 v49, v37, v49
	v_add_f32_e32 v51, v30, v49
	v_pk_add_f32 v[36:37], v[38:39], v[36:37] neg_lo:[0,1] neg_hi:[0,1]
	v_pk_add_f32 v[100:101], v[38:39], v[50:51]
	v_mov_b32_e32 v49, v38
	v_mov_b32_e32 v37, v101
	v_pk_add_f32 v[102:103], v[48:49], v[36:37] neg_lo:[0,1] neg_hi:[0,1]
	v_pk_add_f32 v[36:37], v[48:49], v[36:37]
	s_mov_b32 s57, 0x33800000
	v_mov_b32_e32 v30, v37
	v_pk_add_f32 v[48:49], v[30:31], v[38:39] neg_lo:[0,1] neg_hi:[0,1]
	v_mov_b32_e32 v36, v101
	v_mov_b32_e32 v49, v48
	v_pk_add_f32 v[112:113], v[100:101], v[48:49] neg_lo:[0,1] neg_hi:[0,1]
	v_mov_b32_e32 v100, v39
	v_mov_b32_e32 v101, v48
	;; [unrolled: 1-line block ×3, first 2 shown]
	v_pk_add_f32 v[36:37], v[36:37], v[100:101] neg_lo:[0,1] neg_hi:[0,1]
	v_mov_b32_e32 v48, v51
	v_mov_b32_e32 v49, v38
	v_pk_add_f32 v[36:37], v[48:49], v[36:37] neg_lo:[0,1] neg_hi:[0,1]
	v_mov_b32_e32 v112, v102
	v_pk_add_f32 v[38:39], v[112:113], v[36:37]
	v_cmp_lt_f32_e64 s[58:59], |v99|, s57
	v_mov_b32_e32 v48, v39
	v_pk_add_f32 v[48:49], v[38:39], v[48:49]
	s_or_b64 vcc, vcc, s[58:59]
	v_pk_add_f32 v[50:51], v[30:31], v[48:49]
	v_mov_b32_e32 v37, v48
	v_mov_b32_e32 v39, v50
	v_pk_add_f32 v[100:101], v[38:39], v[102:103] neg_lo:[0,1] neg_hi:[0,1]
	s_nop 0
	v_sub_f32_e32 v30, v38, v100
	v_pk_add_f32 v[36:37], v[36:37], v[100:101] neg_lo:[0,1] neg_hi:[0,1]
	v_sub_f32_e32 v30, v102, v30
	v_add_f32_e32 v30, v36, v30
	v_add_f32_e32 v30, v30, v37
	;; [unrolled: 1-line block ×3, first 2 shown]
	v_cndmask_b32_e32 v30, v30, v99, vcc
	v_add_f32_e32 v30, v31, v30
	v_cvt_f16_f32_e32 v30, v30
	v_cvt_f32_f16_e32 v100, v30
.LBB388_222:
	s_or_b64 exec, exec, s[54:55]
	v_max_f32_e32 v31, v33, v33
	v_max_f32_e32 v36, v100, v100
	v_min_f32_e32 v37, v36, v31
	v_cmp_u_f16_e32 vcc, v30, v30
	v_max_f32_e32 v31, v36, v31
	v_mov_b32_e32 v99, v30
	v_cndmask_b32_e32 v37, v37, v100, vcc
	v_cndmask_b32_e32 v31, v31, v100, vcc
	v_cndmask_b32_e64 v37, v37, v33, s[6:7]
	v_cndmask_b32_e64 v36, v31, v33, s[6:7]
	v_cmp_neq_f32_e32 vcc, v37, v36
	v_cmp_class_f32_e64 s[6:7], v37, s56
	s_or_b64 vcc, vcc, s[6:7]
	v_mov_b32_e32 v31, v30
	s_and_saveexec_b64 s[6:7], vcc
	s_cbranch_execz .LBB388_224
; %bb.223:
	v_sub_f32_e32 v31, v37, v36
	s_mov_b32 s54, 0x3fb8aa3b
	v_mul_f32_e32 v37, 0x3fb8aa3b, v31
	v_fma_f32 v38, v31, s54, -v37
	v_rndne_f32_e32 v39, v37
	v_fmamk_f32 v38, v31, 0x32a5705f, v38
	v_sub_f32_e32 v37, v37, v39
	v_add_f32_e32 v37, v37, v38
	v_exp_f32_e32 v37, v37
	v_cvt_i32_f32_e32 v38, v39
	s_mov_b32 s54, 0xc2ce8ed0
	v_cmp_ngt_f32_e32 vcc, s54, v31
	s_mov_b32 s54, 0x42b17218
	v_ldexp_f32 v37, v37, v38
	v_cndmask_b32_e32 v37, 0, v37, vcc
	v_mov_b32_e32 v38, 0x7f800000
	v_cmp_nlt_f32_e32 vcc, s54, v31
	s_mov_b32 s54, 0x3f2aaaab
	s_mov_b32 s55, 0x7f800000
	v_cndmask_b32_e32 v37, v38, v37, vcc
	v_add_f32_e32 v31, 1.0, v37
	v_add_f32_e32 v38, -1.0, v31
	v_sub_f32_e32 v39, v38, v31
	v_add_f32_e32 v39, 1.0, v39
	v_sub_f32_e32 v38, v37, v38
	v_add_f32_e32 v48, v38, v39
	v_frexp_mant_f32_e32 v49, v31
	v_cvt_f64_f32_e32 v[38:39], v31
	v_frexp_exp_i32_f64_e32 v38, v[38:39]
	v_cmp_gt_f32_e32 vcc, s54, v49
	s_mov_b32 s54, 0x3f317218
	s_nop 0
	v_subbrev_co_u32_e32 v99, vcc, 0, v38, vcc
	v_sub_u32_e32 v38, 0, v99
	v_ldexp_f32 v31, v31, v38
	v_ldexp_f32 v38, v48, v38
	v_add_f32_e32 v48, -1.0, v31
	v_add_f32_e32 v39, 1.0, v48
	v_sub_f32_e32 v39, v31, v39
	v_add_f32_e32 v49, v38, v39
	v_add_f32_e32 v39, 1.0, v31
	v_add_f32_e32 v50, -1.0, v39
	v_sub_f32_e32 v31, v31, v50
	v_add_f32_e32 v31, v38, v31
	v_add_f32_e32 v102, v39, v31
	v_rcp_f32_e32 v103, v102
	v_sub_f32_e32 v38, v39, v102
	v_add_f32_e32 v39, v48, v49
	v_add_f32_e32 v31, v31, v38
	v_mul_f32_e32 v113, v39, v103
	v_sub_f32_e32 v38, v48, v39
	v_mul_f32_e32 v48, v102, v113
	v_fma_f32 v50, v113, v102, -v48
	v_fmac_f32_e32 v50, v113, v31
	v_add_f32_e32 v112, v49, v38
	v_add_f32_e32 v38, v48, v50
	v_sub_f32_e32 v49, v39, v38
	v_pk_add_f32 v[100:101], v[38:39], v[48:49] neg_lo:[0,1] neg_hi:[0,1]
	v_mov_b32_e32 v51, v38
	v_pk_add_f32 v[38:39], v[100:101], v[50:51] neg_lo:[0,1] neg_hi:[0,1]
	v_cmp_eq_f32_e32 vcc, s55, v37
	v_add_f32_e32 v39, v112, v39
	v_add_f32_e32 v38, v38, v39
	;; [unrolled: 1-line block ×3, first 2 shown]
	v_mul_f32_e32 v112, v103, v39
	v_mul_f32_e32 v48, v102, v112
	v_fma_f32 v50, v112, v102, -v48
	v_fmac_f32_e32 v50, v112, v31
	v_sub_f32_e32 v31, v49, v39
	v_add_f32_e32 v31, v38, v31
	v_add_f32_e32 v38, v48, v50
	v_sub_f32_e32 v49, v39, v38
	v_pk_add_f32 v[100:101], v[38:39], v[48:49] neg_lo:[0,1] neg_hi:[0,1]
	v_mov_b32_e32 v51, v38
	v_pk_add_f32 v[38:39], v[100:101], v[50:51] neg_lo:[0,1] neg_hi:[0,1]
	v_cvt_f32_i32_e32 v48, v99
	v_add_f32_e32 v31, v31, v39
	v_add_f32_e32 v31, v38, v31
	;; [unrolled: 1-line block ×4, first 2 shown]
	v_sub_f32_e32 v39, v38, v113
	v_mul_f32_e32 v31, v103, v31
	v_sub_f32_e32 v39, v112, v39
	v_add_f32_e32 v31, v39, v31
	v_add_f32_e32 v49, v38, v31
	v_mul_f32_e32 v50, v49, v49
	v_mov_b32_e32 v39, 0x3ecc95a3
	v_fmac_f32_e32 v39, 0x3e9b6dac, v50
	v_sub_f32_e32 v38, v49, v38
	v_fmaak_f32 v39, v50, v39, 0x3f2aaada
	v_sub_f32_e32 v31, v31, v38
	v_ldexp_f32 v51, v49, 1
	v_mul_f32_e32 v49, v49, v50
	v_mov_b32_e32 v38, 0x3f317218
	v_pk_mul_f32 v[38:39], v[48:49], v[38:39]
	v_ldexp_f32 v31, v31, 1
	v_fma_f32 v49, v48, s54, -v38
	v_fmamk_f32 v50, v48, 0xb102e308, v49
	v_pk_add_f32 v[48:49], v[38:39], v[50:51]
	v_mov_b32_e32 v100, v38
	v_sub_f32_e32 v51, v49, v51
	v_sub_f32_e32 v51, v39, v51
	v_add_f32_e32 v101, v31, v51
	v_pk_add_f32 v[38:39], v[48:49], v[38:39] neg_lo:[0,1] neg_hi:[0,1]
	v_pk_add_f32 v[102:103], v[48:49], v[100:101]
	v_mov_b32_e32 v51, v48
	v_mov_b32_e32 v39, v103
	v_pk_add_f32 v[112:113], v[50:51], v[38:39] neg_lo:[0,1] neg_hi:[0,1]
	v_pk_add_f32 v[38:39], v[50:51], v[38:39]
	v_mov_b32_e32 v100, v101
	v_mov_b32_e32 v50, v39
	v_pk_add_f32 v[114:115], v[50:51], v[48:49] neg_lo:[0,1] neg_hi:[0,1]
	v_mov_b32_e32 v38, v103
	v_mov_b32_e32 v31, v114
	v_pk_add_f32 v[116:117], v[102:103], v[30:31] neg_lo:[0,1] neg_hi:[0,1]
	v_mov_b32_e32 v102, v49
	v_mov_b32_e32 v103, v114
	;; [unrolled: 1-line block ×3, first 2 shown]
	v_pk_add_f32 v[38:39], v[38:39], v[102:103] neg_lo:[0,1] neg_hi:[0,1]
	v_mov_b32_e32 v101, v48
	v_pk_add_f32 v[38:39], v[100:101], v[38:39] neg_lo:[0,1] neg_hi:[0,1]
	v_mov_b32_e32 v116, v112
	v_pk_add_f32 v[48:49], v[116:117], v[38:39]
	s_mov_b32 s54, 0x33800000
	v_mov_b32_e32 v100, v49
	v_pk_add_f32 v[100:101], v[48:49], v[100:101]
	v_cmp_lt_f32_e64 s[54:55], |v37|, s54
	v_pk_add_f32 v[50:51], v[50:51], v[100:101]
	v_mov_b32_e32 v39, v100
	v_mov_b32_e32 v49, v50
	v_pk_add_f32 v[102:103], v[48:49], v[112:113] neg_lo:[0,1] neg_hi:[0,1]
	s_or_b64 vcc, vcc, s[54:55]
	v_sub_f32_e32 v31, v48, v102
	v_pk_add_f32 v[38:39], v[38:39], v[102:103] neg_lo:[0,1] neg_hi:[0,1]
	v_sub_f32_e32 v31, v112, v31
	v_add_f32_e32 v31, v38, v31
	v_add_f32_e32 v31, v31, v39
	;; [unrolled: 1-line block ×3, first 2 shown]
	v_cndmask_b32_e32 v31, v31, v37, vcc
	v_add_f32_e32 v31, v36, v31
	v_cvt_f16_f32_e32 v99, v31
	v_cvt_f32_f16_e32 v100, v99
	v_mov_b32_e32 v31, v99
.LBB388_224:
	s_or_b64 exec, exec, s[6:7]
	v_max_f32_e32 v36, v53, v53
	v_max_f32_e32 v37, v100, v100
	v_min_f32_e32 v38, v37, v36
	v_cmp_u_f16_e32 vcc, v99, v99
	v_max_f32_e32 v36, v37, v36
	s_nop 0
	v_cndmask_b32_e32 v38, v38, v100, vcc
	v_cndmask_b32_e32 v36, v36, v100, vcc
	v_cndmask_b32_e64 v38, v38, v53, s[8:9]
	v_cndmask_b32_e64 v37, v36, v53, s[8:9]
	s_movk_i32 s8, 0x1f8
	v_cmp_neq_f32_e32 vcc, v38, v37
	v_cmp_class_f32_e64 s[6:7], v38, s8
	s_or_b64 vcc, vcc, s[6:7]
	v_mov_b32_e32 v36, v31
	s_and_saveexec_b64 s[6:7], vcc
	s_cbranch_execz .LBB388_226
; %bb.225:
	v_sub_f32_e32 v36, v38, v37
	s_mov_b32 s9, 0x3fb8aa3b
	v_mul_f32_e32 v38, 0x3fb8aa3b, v36
	v_fma_f32 v39, v36, s9, -v38
	v_rndne_f32_e32 v48, v38
	v_fmamk_f32 v39, v36, 0x32a5705f, v39
	v_sub_f32_e32 v38, v38, v48
	v_add_f32_e32 v38, v38, v39
	v_exp_f32_e32 v38, v38
	v_cvt_i32_f32_e32 v39, v48
	s_mov_b32 s9, 0xc2ce8ed0
	v_cmp_ngt_f32_e32 vcc, s9, v36
	s_mov_b32 s9, 0x42b17218
	v_ldexp_f32 v38, v38, v39
	v_cndmask_b32_e32 v38, 0, v38, vcc
	v_mov_b32_e32 v39, 0x7f800000
	v_cmp_nlt_f32_e32 vcc, s9, v36
	s_mov_b32 s9, 0x3f2aaaab
	s_mov_b32 s54, 0x7f800000
	v_cndmask_b32_e32 v53, v39, v38, vcc
	v_add_f32_e32 v36, 1.0, v53
	v_add_f32_e32 v38, -1.0, v36
	v_sub_f32_e32 v39, v38, v36
	v_add_f32_e32 v39, 1.0, v39
	v_sub_f32_e32 v38, v53, v38
	v_add_f32_e32 v48, v38, v39
	v_frexp_mant_f32_e32 v49, v36
	v_cvt_f64_f32_e32 v[38:39], v36
	v_frexp_exp_i32_f64_e32 v38, v[38:39]
	v_cmp_gt_f32_e32 vcc, s9, v49
	s_mov_b32 s9, 0x3f317218
	s_nop 0
	v_subbrev_co_u32_e32 v99, vcc, 0, v38, vcc
	v_sub_u32_e32 v38, 0, v99
	v_ldexp_f32 v36, v36, v38
	v_ldexp_f32 v38, v48, v38
	v_add_f32_e32 v48, -1.0, v36
	v_add_f32_e32 v39, 1.0, v48
	v_sub_f32_e32 v39, v36, v39
	v_add_f32_e32 v49, v38, v39
	v_add_f32_e32 v39, 1.0, v36
	v_add_f32_e32 v50, -1.0, v39
	v_sub_f32_e32 v36, v36, v50
	v_add_f32_e32 v36, v38, v36
	v_add_f32_e32 v102, v39, v36
	v_rcp_f32_e32 v103, v102
	v_sub_f32_e32 v38, v39, v102
	v_add_f32_e32 v39, v48, v49
	v_add_f32_e32 v36, v36, v38
	v_mul_f32_e32 v113, v39, v103
	v_sub_f32_e32 v38, v48, v39
	v_mul_f32_e32 v48, v102, v113
	v_fma_f32 v50, v113, v102, -v48
	v_fmac_f32_e32 v50, v113, v36
	v_add_f32_e32 v112, v49, v38
	v_add_f32_e32 v38, v48, v50
	v_sub_f32_e32 v49, v39, v38
	v_pk_add_f32 v[100:101], v[38:39], v[48:49] neg_lo:[0,1] neg_hi:[0,1]
	v_mov_b32_e32 v51, v38
	v_pk_add_f32 v[38:39], v[100:101], v[50:51] neg_lo:[0,1] neg_hi:[0,1]
	v_cmp_eq_f32_e32 vcc, s54, v53
	v_add_f32_e32 v39, v112, v39
	v_add_f32_e32 v38, v38, v39
	;; [unrolled: 1-line block ×3, first 2 shown]
	v_mul_f32_e32 v112, v103, v39
	v_mul_f32_e32 v48, v102, v112
	v_fma_f32 v50, v112, v102, -v48
	v_fmac_f32_e32 v50, v112, v36
	v_sub_f32_e32 v36, v49, v39
	v_add_f32_e32 v36, v38, v36
	v_add_f32_e32 v38, v48, v50
	v_sub_f32_e32 v49, v39, v38
	v_pk_add_f32 v[100:101], v[38:39], v[48:49] neg_lo:[0,1] neg_hi:[0,1]
	v_mov_b32_e32 v51, v38
	v_pk_add_f32 v[38:39], v[100:101], v[50:51] neg_lo:[0,1] neg_hi:[0,1]
	v_cvt_f32_i32_e32 v48, v99
	v_add_f32_e32 v36, v36, v39
	v_add_f32_e32 v36, v38, v36
	;; [unrolled: 1-line block ×4, first 2 shown]
	v_sub_f32_e32 v39, v38, v113
	v_mul_f32_e32 v36, v103, v36
	v_sub_f32_e32 v39, v112, v39
	v_add_f32_e32 v36, v39, v36
	v_add_f32_e32 v49, v38, v36
	v_mul_f32_e32 v50, v49, v49
	v_mov_b32_e32 v39, 0x3ecc95a3
	v_fmac_f32_e32 v39, 0x3e9b6dac, v50
	v_sub_f32_e32 v38, v49, v38
	v_fmaak_f32 v39, v50, v39, 0x3f2aaada
	v_sub_f32_e32 v36, v36, v38
	v_ldexp_f32 v51, v49, 1
	v_mul_f32_e32 v49, v49, v50
	v_mov_b32_e32 v38, 0x3f317218
	v_pk_mul_f32 v[38:39], v[48:49], v[38:39]
	v_ldexp_f32 v36, v36, 1
	v_fma_f32 v49, v48, s9, -v38
	v_fmamk_f32 v50, v48, 0xb102e308, v49
	v_pk_add_f32 v[48:49], v[38:39], v[50:51]
	v_mov_b32_e32 v100, v38
	v_sub_f32_e32 v51, v49, v51
	v_sub_f32_e32 v51, v39, v51
	v_add_f32_e32 v101, v36, v51
	v_pk_add_f32 v[38:39], v[48:49], v[38:39] neg_lo:[0,1] neg_hi:[0,1]
	v_pk_add_f32 v[102:103], v[48:49], v[100:101]
	v_mov_b32_e32 v51, v48
	v_mov_b32_e32 v39, v103
	v_pk_add_f32 v[112:113], v[50:51], v[38:39] neg_lo:[0,1] neg_hi:[0,1]
	v_pk_add_f32 v[38:39], v[50:51], v[38:39]
	s_mov_b32 s9, 0x33800000
	v_mov_b32_e32 v36, v39
	v_pk_add_f32 v[50:51], v[36:37], v[48:49] neg_lo:[0,1] neg_hi:[0,1]
	v_mov_b32_e32 v38, v103
	v_mov_b32_e32 v51, v50
	v_pk_add_f32 v[114:115], v[102:103], v[50:51] neg_lo:[0,1] neg_hi:[0,1]
	v_mov_b32_e32 v102, v49
	v_mov_b32_e32 v103, v50
	;; [unrolled: 1-line block ×3, first 2 shown]
	v_pk_add_f32 v[38:39], v[38:39], v[102:103] neg_lo:[0,1] neg_hi:[0,1]
	v_mov_b32_e32 v50, v101
	v_mov_b32_e32 v51, v48
	v_pk_add_f32 v[38:39], v[50:51], v[38:39] neg_lo:[0,1] neg_hi:[0,1]
	v_mov_b32_e32 v114, v112
	v_pk_add_f32 v[48:49], v[114:115], v[38:39]
	v_cmp_lt_f32_e64 s[54:55], |v53|, s9
	v_mov_b32_e32 v50, v49
	v_pk_add_f32 v[50:51], v[48:49], v[50:51]
	s_or_b64 vcc, vcc, s[54:55]
	v_pk_add_f32 v[100:101], v[36:37], v[50:51]
	v_mov_b32_e32 v39, v50
	v_mov_b32_e32 v49, v100
	v_pk_add_f32 v[102:103], v[48:49], v[112:113] neg_lo:[0,1] neg_hi:[0,1]
	s_nop 0
	v_sub_f32_e32 v36, v48, v102
	v_pk_add_f32 v[38:39], v[38:39], v[102:103] neg_lo:[0,1] neg_hi:[0,1]
	v_sub_f32_e32 v36, v112, v36
	v_add_f32_e32 v36, v38, v36
	v_add_f32_e32 v36, v36, v39
	;; [unrolled: 1-line block ×3, first 2 shown]
	v_cndmask_b32_e32 v36, v36, v53, vcc
	v_add_f32_e32 v36, v37, v36
	v_cvt_f16_f32_e32 v99, v36
	v_cvt_f32_f16_e32 v100, v99
	v_mov_b32_e32 v36, v99
.LBB388_226:
	s_or_b64 exec, exec, s[6:7]
	v_max_f32_e32 v37, v54, v54
	v_max_f32_e32 v38, v100, v100
	v_min_f32_e32 v39, v38, v37
	v_cmp_u_f16_e32 vcc, v99, v99
	v_max_f32_e32 v37, v38, v37
	s_nop 0
	v_cndmask_b32_e32 v39, v39, v100, vcc
	v_cndmask_b32_e32 v37, v37, v100, vcc
	v_cndmask_b32_e64 v39, v39, v54, s[10:11]
	v_cndmask_b32_e64 v38, v37, v54, s[10:11]
	v_cmp_neq_f32_e32 vcc, v39, v38
	v_cmp_class_f32_e64 s[6:7], v39, s8
	s_or_b64 s[8:9], vcc, s[6:7]
	v_mov_b32_e32 v37, v36
	s_and_saveexec_b64 s[6:7], s[8:9]
	s_cbranch_execz .LBB388_228
; %bb.227:
	v_sub_f32_e32 v37, v39, v38
	s_mov_b32 s8, 0x3fb8aa3b
	v_mul_f32_e32 v39, 0x3fb8aa3b, v37
	v_fma_f32 v48, v37, s8, -v39
	v_rndne_f32_e32 v49, v39
	v_fmamk_f32 v48, v37, 0x32a5705f, v48
	v_sub_f32_e32 v39, v39, v49
	v_add_f32_e32 v39, v39, v48
	v_exp_f32_e32 v39, v39
	v_cvt_i32_f32_e32 v48, v49
	s_mov_b32 s8, 0xc2ce8ed0
	v_cmp_ngt_f32_e32 vcc, s8, v37
	s_mov_b32 s8, 0x42b17218
	v_ldexp_f32 v39, v39, v48
	v_cndmask_b32_e32 v39, 0, v39, vcc
	v_mov_b32_e32 v48, 0x7f800000
	v_cmp_nlt_f32_e32 vcc, s8, v37
	s_mov_b32 s8, 0x3f2aaaab
	s_mov_b32 s9, 0x7f800000
	v_cndmask_b32_e32 v39, v48, v39, vcc
	v_add_f32_e32 v37, 1.0, v39
	v_add_f32_e32 v48, -1.0, v37
	v_sub_f32_e32 v49, v48, v37
	v_add_f32_e32 v49, 1.0, v49
	v_sub_f32_e32 v48, v39, v48
	v_add_f32_e32 v50, v48, v49
	v_frexp_mant_f32_e32 v51, v37
	v_cvt_f64_f32_e32 v[48:49], v37
	v_frexp_exp_i32_f64_e32 v48, v[48:49]
	v_cmp_gt_f32_e32 vcc, s8, v51
	s_mov_b32 s8, 0x3f317218
	s_nop 0
	v_subbrev_co_u32_e32 v53, vcc, 0, v48, vcc
	v_sub_u32_e32 v48, 0, v53
	v_ldexp_f32 v37, v37, v48
	v_ldexp_f32 v48, v50, v48
	v_add_f32_e32 v50, -1.0, v37
	v_add_f32_e32 v49, 1.0, v50
	v_sub_f32_e32 v49, v37, v49
	v_add_f32_e32 v51, v48, v49
	v_add_f32_e32 v49, 1.0, v37
	v_add_f32_e32 v54, -1.0, v49
	v_sub_f32_e32 v37, v37, v54
	v_add_f32_e32 v37, v48, v37
	v_add_f32_e32 v54, v49, v37
	v_rcp_f32_e32 v99, v54
	v_sub_f32_e32 v48, v49, v54
	v_add_f32_e32 v49, v50, v51
	v_add_f32_e32 v37, v37, v48
	v_mul_f32_e32 v113, v49, v99
	v_sub_f32_e32 v48, v50, v49
	v_mul_f32_e32 v50, v54, v113
	v_fma_f32 v100, v113, v54, -v50
	v_fmac_f32_e32 v100, v113, v37
	v_add_f32_e32 v112, v51, v48
	v_add_f32_e32 v48, v50, v100
	v_sub_f32_e32 v51, v49, v48
	v_pk_add_f32 v[102:103], v[48:49], v[50:51] neg_lo:[0,1] neg_hi:[0,1]
	v_mov_b32_e32 v101, v48
	v_pk_add_f32 v[48:49], v[102:103], v[100:101] neg_lo:[0,1] neg_hi:[0,1]
	v_cmp_eq_f32_e32 vcc, s9, v39
	v_add_f32_e32 v49, v112, v49
	v_add_f32_e32 v48, v48, v49
	;; [unrolled: 1-line block ×3, first 2 shown]
	v_mul_f32_e32 v112, v99, v49
	v_mul_f32_e32 v50, v54, v112
	v_fma_f32 v100, v112, v54, -v50
	v_fmac_f32_e32 v100, v112, v37
	v_sub_f32_e32 v37, v51, v49
	v_add_f32_e32 v37, v48, v37
	v_add_f32_e32 v48, v50, v100
	v_sub_f32_e32 v51, v49, v48
	v_pk_add_f32 v[102:103], v[48:49], v[50:51] neg_lo:[0,1] neg_hi:[0,1]
	v_mov_b32_e32 v101, v48
	v_pk_add_f32 v[48:49], v[102:103], v[100:101] neg_lo:[0,1] neg_hi:[0,1]
	v_cvt_f32_i32_e32 v50, v53
	v_add_f32_e32 v37, v37, v49
	v_add_f32_e32 v37, v48, v37
	;; [unrolled: 1-line block ×4, first 2 shown]
	v_sub_f32_e32 v49, v48, v113
	v_mul_f32_e32 v37, v99, v37
	v_sub_f32_e32 v49, v112, v49
	v_add_f32_e32 v37, v49, v37
	v_add_f32_e32 v51, v48, v37
	v_mul_f32_e32 v54, v51, v51
	v_mov_b32_e32 v49, 0x3ecc95a3
	v_fmac_f32_e32 v49, 0x3e9b6dac, v54
	v_sub_f32_e32 v48, v51, v48
	v_fmaak_f32 v49, v54, v49, 0x3f2aaada
	v_sub_f32_e32 v37, v37, v48
	v_ldexp_f32 v101, v51, 1
	v_mul_f32_e32 v51, v51, v54
	v_mov_b32_e32 v48, 0x3f317218
	v_pk_mul_f32 v[48:49], v[50:51], v[48:49]
	v_ldexp_f32 v37, v37, 1
	v_fma_f32 v51, v50, s8, -v48
	v_fmamk_f32 v100, v50, 0xb102e308, v51
	v_pk_add_f32 v[50:51], v[48:49], v[100:101]
	v_mov_b32_e32 v102, v48
	v_sub_f32_e32 v53, v51, v101
	v_sub_f32_e32 v53, v49, v53
	v_add_f32_e32 v103, v37, v53
	v_pk_add_f32 v[48:49], v[50:51], v[48:49] neg_lo:[0,1] neg_hi:[0,1]
	v_pk_add_f32 v[112:113], v[50:51], v[102:103]
	v_mov_b32_e32 v101, v50
	v_mov_b32_e32 v49, v113
	v_pk_add_f32 v[114:115], v[100:101], v[48:49] neg_lo:[0,1] neg_hi:[0,1]
	v_pk_add_f32 v[48:49], v[100:101], v[48:49]
	s_mov_b32 s8, 0x33800000
	v_mov_b32_e32 v54, v49
	v_pk_add_f32 v[100:101], v[54:55], v[50:51] neg_lo:[0,1] neg_hi:[0,1]
	v_mov_b32_e32 v48, v113
	v_mov_b32_e32 v37, v100
	v_pk_add_f32 v[116:117], v[112:113], v[36:37] neg_lo:[0,1] neg_hi:[0,1]
	v_mov_b32_e32 v112, v51
	v_mov_b32_e32 v113, v100
	v_mov_b32_e32 v115, v49
	v_pk_add_f32 v[48:49], v[48:49], v[112:113] neg_lo:[0,1] neg_hi:[0,1]
	v_mov_b32_e32 v100, v103
	v_mov_b32_e32 v101, v50
	v_pk_add_f32 v[48:49], v[100:101], v[48:49] neg_lo:[0,1] neg_hi:[0,1]
	v_mov_b32_e32 v116, v114
	v_pk_add_f32 v[50:51], v[116:117], v[48:49]
	v_cmp_lt_f32_e64 s[8:9], |v39|, s8
	v_mov_b32_e32 v100, v51
	v_pk_add_f32 v[100:101], v[50:51], v[100:101]
	s_or_b64 vcc, vcc, s[8:9]
	v_pk_add_f32 v[102:103], v[54:55], v[100:101]
	v_mov_b32_e32 v49, v100
	v_mov_b32_e32 v51, v102
	v_pk_add_f32 v[112:113], v[50:51], v[114:115] neg_lo:[0,1] neg_hi:[0,1]
	s_nop 0
	v_sub_f32_e32 v37, v50, v112
	v_pk_add_f32 v[48:49], v[48:49], v[112:113] neg_lo:[0,1] neg_hi:[0,1]
	v_sub_f32_e32 v37, v114, v37
	v_add_f32_e32 v37, v48, v37
	v_add_f32_e32 v37, v37, v49
	;; [unrolled: 1-line block ×3, first 2 shown]
	v_cndmask_b32_e32 v37, v37, v39, vcc
	v_add_f32_e32 v37, v38, v37
	v_cvt_f16_f32_e32 v99, v37
	v_cvt_f32_f16_e32 v100, v99
	v_mov_b32_e32 v37, v99
.LBB388_228:
	s_or_b64 exec, exec, s[6:7]
	v_max_f32_e32 v38, v55, v55
	v_max_f32_e32 v39, v100, v100
	v_min_f32_e32 v48, v39, v38
	v_cmp_u_f16_e32 vcc, v99, v99
	v_max_f32_e32 v38, v39, v38
	s_movk_i32 s8, 0x1f8
	v_cndmask_b32_e32 v48, v48, v100, vcc
	v_cndmask_b32_e32 v38, v38, v100, vcc
	v_cndmask_b32_e64 v48, v48, v55, s[12:13]
	v_cndmask_b32_e64 v39, v38, v55, s[12:13]
	v_cmp_neq_f32_e32 vcc, v48, v39
	v_cmp_class_f32_e64 s[6:7], v48, s8
	s_or_b64 s[10:11], vcc, s[6:7]
	v_mov_b32_e32 v38, v37
	s_and_saveexec_b64 s[6:7], s[10:11]
	s_cbranch_execz .LBB388_230
; %bb.229:
	v_sub_f32_e32 v38, v48, v39
	s_mov_b32 s9, 0x3fb8aa3b
	v_mul_f32_e32 v48, 0x3fb8aa3b, v38
	v_fma_f32 v49, v38, s9, -v48
	v_rndne_f32_e32 v50, v48
	v_fmamk_f32 v49, v38, 0x32a5705f, v49
	v_sub_f32_e32 v48, v48, v50
	v_add_f32_e32 v48, v48, v49
	v_exp_f32_e32 v48, v48
	v_cvt_i32_f32_e32 v49, v50
	s_mov_b32 s9, 0xc2ce8ed0
	v_cmp_ngt_f32_e32 vcc, s9, v38
	s_mov_b32 s9, 0x42b17218
	v_ldexp_f32 v48, v48, v49
	v_cndmask_b32_e32 v48, 0, v48, vcc
	v_mov_b32_e32 v49, 0x7f800000
	v_cmp_nlt_f32_e32 vcc, s9, v38
	s_mov_b32 s9, 0x3f2aaaab
	s_mov_b32 s10, 0x7f800000
	v_cndmask_b32_e32 v99, v49, v48, vcc
	v_add_f32_e32 v38, 1.0, v99
	v_add_f32_e32 v48, -1.0, v38
	v_sub_f32_e32 v49, v48, v38
	v_add_f32_e32 v49, 1.0, v49
	v_sub_f32_e32 v48, v99, v48
	v_add_f32_e32 v50, v48, v49
	v_frexp_mant_f32_e32 v51, v38
	v_cvt_f64_f32_e32 v[48:49], v38
	v_frexp_exp_i32_f64_e32 v48, v[48:49]
	v_cmp_gt_f32_e32 vcc, s9, v51
	s_mov_b32 s9, 0x3f317218
	s_nop 0
	v_subbrev_co_u32_e32 v53, vcc, 0, v48, vcc
	v_sub_u32_e32 v48, 0, v53
	v_ldexp_f32 v38, v38, v48
	v_ldexp_f32 v48, v50, v48
	v_add_f32_e32 v50, -1.0, v38
	v_add_f32_e32 v49, 1.0, v50
	v_sub_f32_e32 v49, v38, v49
	v_add_f32_e32 v51, v48, v49
	v_add_f32_e32 v49, 1.0, v38
	v_add_f32_e32 v54, -1.0, v49
	v_sub_f32_e32 v38, v38, v54
	v_add_f32_e32 v38, v48, v38
	v_add_f32_e32 v102, v49, v38
	v_rcp_f32_e32 v103, v102
	v_sub_f32_e32 v48, v49, v102
	v_add_f32_e32 v49, v50, v51
	v_add_f32_e32 v38, v38, v48
	v_mul_f32_e32 v113, v49, v103
	v_sub_f32_e32 v48, v50, v49
	v_mul_f32_e32 v50, v102, v113
	v_fma_f32 v54, v113, v102, -v50
	v_fmac_f32_e32 v54, v113, v38
	v_add_f32_e32 v112, v51, v48
	v_add_f32_e32 v48, v50, v54
	v_sub_f32_e32 v51, v49, v48
	v_pk_add_f32 v[100:101], v[48:49], v[50:51] neg_lo:[0,1] neg_hi:[0,1]
	v_mov_b32_e32 v55, v48
	v_pk_add_f32 v[48:49], v[100:101], v[54:55] neg_lo:[0,1] neg_hi:[0,1]
	v_cmp_eq_f32_e32 vcc, s10, v99
	v_add_f32_e32 v49, v112, v49
	v_add_f32_e32 v48, v48, v49
	;; [unrolled: 1-line block ×3, first 2 shown]
	v_mul_f32_e32 v112, v103, v49
	v_mul_f32_e32 v50, v102, v112
	v_fma_f32 v54, v112, v102, -v50
	v_fmac_f32_e32 v54, v112, v38
	v_sub_f32_e32 v38, v51, v49
	v_add_f32_e32 v38, v48, v38
	v_add_f32_e32 v48, v50, v54
	v_sub_f32_e32 v51, v49, v48
	v_pk_add_f32 v[100:101], v[48:49], v[50:51] neg_lo:[0,1] neg_hi:[0,1]
	v_mov_b32_e32 v55, v48
	v_pk_add_f32 v[48:49], v[100:101], v[54:55] neg_lo:[0,1] neg_hi:[0,1]
	v_cvt_f32_i32_e32 v50, v53
	v_add_f32_e32 v38, v38, v49
	v_add_f32_e32 v38, v48, v38
	;; [unrolled: 1-line block ×4, first 2 shown]
	v_sub_f32_e32 v49, v48, v113
	v_mul_f32_e32 v38, v103, v38
	v_sub_f32_e32 v49, v112, v49
	v_add_f32_e32 v38, v49, v38
	v_add_f32_e32 v51, v48, v38
	v_mul_f32_e32 v54, v51, v51
	v_mov_b32_e32 v49, 0x3ecc95a3
	v_fmac_f32_e32 v49, 0x3e9b6dac, v54
	v_sub_f32_e32 v48, v51, v48
	v_fmaak_f32 v49, v54, v49, 0x3f2aaada
	v_sub_f32_e32 v38, v38, v48
	v_ldexp_f32 v55, v51, 1
	v_mul_f32_e32 v51, v51, v54
	v_mov_b32_e32 v48, 0x3f317218
	v_pk_mul_f32 v[48:49], v[50:51], v[48:49]
	v_ldexp_f32 v38, v38, 1
	v_fma_f32 v51, v50, s9, -v48
	v_fmamk_f32 v54, v50, 0xb102e308, v51
	v_pk_add_f32 v[50:51], v[48:49], v[54:55]
	v_mov_b32_e32 v100, v48
	v_sub_f32_e32 v53, v51, v55
	v_sub_f32_e32 v53, v49, v53
	v_add_f32_e32 v101, v38, v53
	v_pk_add_f32 v[48:49], v[50:51], v[48:49] neg_lo:[0,1] neg_hi:[0,1]
	v_pk_add_f32 v[102:103], v[50:51], v[100:101]
	v_mov_b32_e32 v55, v50
	v_mov_b32_e32 v49, v103
	v_pk_add_f32 v[112:113], v[54:55], v[48:49] neg_lo:[0,1] neg_hi:[0,1]
	v_pk_add_f32 v[48:49], v[54:55], v[48:49]
	s_mov_b32 s9, 0x33800000
	v_mov_b32_e32 v38, v49
	v_pk_add_f32 v[54:55], v[38:39], v[50:51] neg_lo:[0,1] neg_hi:[0,1]
	v_mov_b32_e32 v48, v103
	v_mov_b32_e32 v53, v54
	v_pk_add_f32 v[114:115], v[102:103], v[52:53] neg_lo:[0,1] neg_hi:[0,1]
	v_mov_b32_e32 v102, v51
	v_mov_b32_e32 v103, v54
	;; [unrolled: 1-line block ×3, first 2 shown]
	v_pk_add_f32 v[48:49], v[48:49], v[102:103] neg_lo:[0,1] neg_hi:[0,1]
	v_mov_b32_e32 v54, v101
	v_mov_b32_e32 v55, v50
	v_pk_add_f32 v[48:49], v[54:55], v[48:49] neg_lo:[0,1] neg_hi:[0,1]
	v_mov_b32_e32 v114, v112
	v_pk_add_f32 v[50:51], v[114:115], v[48:49]
	v_cmp_lt_f32_e64 s[10:11], |v99|, s9
	v_mov_b32_e32 v54, v51
	v_pk_add_f32 v[54:55], v[50:51], v[54:55]
	s_or_b64 vcc, vcc, s[10:11]
	v_pk_add_f32 v[100:101], v[38:39], v[54:55]
	v_mov_b32_e32 v49, v54
	v_mov_b32_e32 v51, v100
	v_pk_add_f32 v[102:103], v[50:51], v[112:113] neg_lo:[0,1] neg_hi:[0,1]
	s_nop 0
	v_sub_f32_e32 v38, v50, v102
	v_pk_add_f32 v[48:49], v[48:49], v[102:103] neg_lo:[0,1] neg_hi:[0,1]
	v_sub_f32_e32 v38, v112, v38
	v_add_f32_e32 v38, v48, v38
	v_add_f32_e32 v38, v38, v49
	;; [unrolled: 1-line block ×3, first 2 shown]
	v_cndmask_b32_e32 v38, v38, v99, vcc
	v_add_f32_e32 v38, v39, v38
	v_cvt_f16_f32_e32 v99, v38
	v_cvt_f32_f16_e32 v100, v99
	v_mov_b32_e32 v38, v99
.LBB388_230:
	s_or_b64 exec, exec, s[6:7]
	v_max_f32_e32 v39, v64, v64
	v_max_f32_e32 v48, v100, v100
	v_min_f32_e32 v49, v48, v39
	v_cmp_u_f16_e32 vcc, v99, v99
	v_max_f32_e32 v39, v48, v39
	s_nop 0
	v_cndmask_b32_e32 v49, v49, v100, vcc
	v_cndmask_b32_e32 v39, v39, v100, vcc
	v_cndmask_b32_e64 v49, v49, v64, s[14:15]
	v_cndmask_b32_e64 v48, v39, v64, s[14:15]
	v_cmp_neq_f32_e32 vcc, v49, v48
	v_cmp_class_f32_e64 s[6:7], v49, s8
	s_or_b64 s[8:9], vcc, s[6:7]
	v_mov_b32_e32 v39, v38
	s_and_saveexec_b64 s[6:7], s[8:9]
	s_cbranch_execz .LBB388_232
; %bb.231:
	v_sub_f32_e32 v39, v49, v48
	s_mov_b32 s8, 0x3fb8aa3b
	v_mul_f32_e32 v49, 0x3fb8aa3b, v39
	v_fma_f32 v50, v39, s8, -v49
	v_rndne_f32_e32 v51, v49
	v_fmamk_f32 v50, v39, 0x32a5705f, v50
	v_sub_f32_e32 v49, v49, v51
	v_add_f32_e32 v49, v49, v50
	v_exp_f32_e32 v49, v49
	v_cvt_i32_f32_e32 v50, v51
	s_mov_b32 s8, 0xc2ce8ed0
	v_cmp_ngt_f32_e32 vcc, s8, v39
	s_mov_b32 s8, 0x42b17218
	v_ldexp_f32 v49, v49, v50
	v_cndmask_b32_e32 v49, 0, v49, vcc
	v_mov_b32_e32 v50, 0x7f800000
	v_cmp_nlt_f32_e32 vcc, s8, v39
	s_mov_b32 s8, 0x3f2aaaab
	s_mov_b32 s9, 0x7f800000
	v_cndmask_b32_e32 v49, v50, v49, vcc
	v_add_f32_e32 v39, 1.0, v49
	v_add_f32_e32 v50, -1.0, v39
	v_sub_f32_e32 v51, v50, v39
	v_add_f32_e32 v51, 1.0, v51
	v_sub_f32_e32 v50, v49, v50
	v_add_f32_e32 v53, v50, v51
	v_frexp_mant_f32_e32 v54, v39
	v_cvt_f64_f32_e32 v[50:51], v39
	v_frexp_exp_i32_f64_e32 v50, v[50:51]
	v_cmp_gt_f32_e32 vcc, s8, v54
	s_mov_b32 s8, 0x3f317218
	s_nop 0
	v_subbrev_co_u32_e32 v64, vcc, 0, v50, vcc
	v_sub_u32_e32 v50, 0, v64
	v_ldexp_f32 v39, v39, v50
	v_ldexp_f32 v50, v53, v50
	v_add_f32_e32 v53, -1.0, v39
	v_add_f32_e32 v51, 1.0, v53
	v_sub_f32_e32 v51, v39, v51
	v_add_f32_e32 v54, v50, v51
	v_add_f32_e32 v51, 1.0, v39
	v_add_f32_e32 v55, -1.0, v51
	v_sub_f32_e32 v39, v39, v55
	v_add_f32_e32 v39, v50, v39
	v_add_f32_e32 v99, v51, v39
	v_rcp_f32_e32 v112, v99
	v_sub_f32_e32 v50, v51, v99
	v_add_f32_e32 v51, v53, v54
	v_add_f32_e32 v39, v39, v50
	v_sub_f32_e32 v50, v53, v51
	v_mul_f32_e32 v113, v51, v112
	v_add_f32_e32 v53, v54, v50
	v_mul_f32_e32 v54, v99, v113
	v_fma_f32 v100, v113, v99, -v54
	v_fmac_f32_e32 v100, v113, v39
	v_add_f32_e32 v50, v54, v100
	v_sub_f32_e32 v55, v51, v50
	v_pk_add_f32 v[102:103], v[50:51], v[54:55] neg_lo:[0,1] neg_hi:[0,1]
	v_mov_b32_e32 v101, v50
	v_pk_add_f32 v[50:51], v[102:103], v[100:101] neg_lo:[0,1] neg_hi:[0,1]
	v_cmp_eq_f32_e32 vcc, s9, v49
	v_add_f32_e32 v51, v53, v51
	v_add_f32_e32 v50, v50, v51
	;; [unrolled: 1-line block ×3, first 2 shown]
	v_mul_f32_e32 v53, v112, v51
	v_mul_f32_e32 v54, v99, v53
	v_fma_f32 v100, v53, v99, -v54
	v_fmac_f32_e32 v100, v53, v39
	v_sub_f32_e32 v39, v55, v51
	v_add_f32_e32 v39, v50, v39
	v_add_f32_e32 v50, v54, v100
	v_sub_f32_e32 v55, v51, v50
	v_pk_add_f32 v[102:103], v[50:51], v[54:55] neg_lo:[0,1] neg_hi:[0,1]
	v_mov_b32_e32 v101, v50
	v_pk_add_f32 v[50:51], v[102:103], v[100:101] neg_lo:[0,1] neg_hi:[0,1]
	v_cvt_f32_i32_e32 v54, v64
	v_add_f32_e32 v39, v39, v51
	v_add_f32_e32 v39, v50, v39
	;; [unrolled: 1-line block ×4, first 2 shown]
	v_sub_f32_e32 v51, v50, v113
	v_mul_f32_e32 v39, v112, v39
	v_sub_f32_e32 v51, v53, v51
	v_add_f32_e32 v39, v51, v39
	v_add_f32_e32 v53, v50, v39
	v_mul_f32_e32 v55, v53, v53
	v_mov_b32_e32 v51, 0x3ecc95a3
	v_fmac_f32_e32 v51, 0x3e9b6dac, v55
	v_sub_f32_e32 v50, v53, v50
	v_fmaak_f32 v51, v55, v51, 0x3f2aaada
	v_sub_f32_e32 v39, v39, v50
	v_mul_f32_e32 v55, v53, v55
	v_mov_b32_e32 v50, 0x3f317218
	v_pk_mul_f32 v[50:51], v[54:55], v[50:51]
	v_ldexp_f32 v101, v53, 1
	v_fma_f32 v53, v54, s8, -v50
	v_fmamk_f32 v100, v54, 0xb102e308, v53
	v_pk_add_f32 v[54:55], v[50:51], v[100:101]
	v_ldexp_f32 v39, v39, 1
	v_sub_f32_e32 v53, v55, v101
	v_sub_f32_e32 v53, v51, v53
	v_add_f32_e32 v103, v39, v53
	v_mov_b32_e32 v102, v50
	v_pk_add_f32 v[50:51], v[54:55], v[50:51] neg_lo:[0,1] neg_hi:[0,1]
	v_pk_add_f32 v[112:113], v[54:55], v[102:103]
	v_mov_b32_e32 v101, v54
	v_mov_b32_e32 v51, v113
	v_pk_add_f32 v[114:115], v[100:101], v[50:51] neg_lo:[0,1] neg_hi:[0,1]
	v_pk_add_f32 v[50:51], v[100:101], v[50:51]
	s_mov_b32 s8, 0x33800000
	v_mov_b32_e32 v64, v51
	v_pk_add_f32 v[100:101], v[64:65], v[54:55] neg_lo:[0,1] neg_hi:[0,1]
	v_mov_b32_e32 v50, v113
	v_mov_b32_e32 v39, v100
	v_pk_add_f32 v[116:117], v[112:113], v[38:39] neg_lo:[0,1] neg_hi:[0,1]
	v_mov_b32_e32 v112, v55
	v_mov_b32_e32 v113, v100
	;; [unrolled: 1-line block ×3, first 2 shown]
	v_pk_add_f32 v[50:51], v[50:51], v[112:113] neg_lo:[0,1] neg_hi:[0,1]
	v_mov_b32_e32 v100, v103
	v_mov_b32_e32 v101, v54
	v_pk_add_f32 v[50:51], v[100:101], v[50:51] neg_lo:[0,1] neg_hi:[0,1]
	v_mov_b32_e32 v116, v114
	v_pk_add_f32 v[54:55], v[116:117], v[50:51]
	v_cmp_lt_f32_e64 s[8:9], |v49|, s8
	v_mov_b32_e32 v100, v55
	v_pk_add_f32 v[100:101], v[54:55], v[100:101]
	s_or_b64 vcc, vcc, s[8:9]
	v_pk_add_f32 v[102:103], v[64:65], v[100:101]
	v_mov_b32_e32 v51, v100
	v_mov_b32_e32 v55, v102
	v_pk_add_f32 v[112:113], v[54:55], v[114:115] neg_lo:[0,1] neg_hi:[0,1]
	s_nop 0
	v_sub_f32_e32 v39, v54, v112
	v_pk_add_f32 v[50:51], v[50:51], v[112:113] neg_lo:[0,1] neg_hi:[0,1]
	v_sub_f32_e32 v39, v114, v39
	v_add_f32_e32 v39, v50, v39
	v_add_f32_e32 v39, v39, v51
	;; [unrolled: 1-line block ×3, first 2 shown]
	v_cndmask_b32_e32 v39, v39, v49, vcc
	v_add_f32_e32 v39, v48, v39
	v_cvt_f16_f32_e32 v99, v39
	v_cvt_f32_f16_e32 v100, v99
	v_mov_b32_e32 v39, v99
.LBB388_232:
	s_or_b64 exec, exec, s[6:7]
	v_max_f32_e32 v48, v65, v65
	v_max_f32_e32 v49, v100, v100
	v_min_f32_e32 v50, v49, v48
	v_cmp_u_f16_e32 vcc, v99, v99
	v_max_f32_e32 v48, v49, v48
	s_movk_i32 s8, 0x1f8
	v_cndmask_b32_e32 v50, v50, v100, vcc
	v_cndmask_b32_e32 v48, v48, v100, vcc
	v_cndmask_b32_e64 v50, v50, v65, s[16:17]
	v_cndmask_b32_e64 v49, v48, v65, s[16:17]
	v_cmp_neq_f32_e32 vcc, v50, v49
	v_cmp_class_f32_e64 s[6:7], v50, s8
	s_or_b64 s[10:11], vcc, s[6:7]
	v_mov_b32_e32 v48, v39
	s_and_saveexec_b64 s[6:7], s[10:11]
	s_cbranch_execz .LBB388_234
; %bb.233:
	v_sub_f32_e32 v48, v50, v49
	s_mov_b32 s9, 0x3fb8aa3b
	v_mul_f32_e32 v50, 0x3fb8aa3b, v48
	v_fma_f32 v51, v48, s9, -v50
	v_rndne_f32_e32 v53, v50
	v_fmamk_f32 v51, v48, 0x32a5705f, v51
	v_sub_f32_e32 v50, v50, v53
	v_add_f32_e32 v50, v50, v51
	v_exp_f32_e32 v50, v50
	v_cvt_i32_f32_e32 v51, v53
	s_mov_b32 s9, 0xc2ce8ed0
	v_cmp_ngt_f32_e32 vcc, s9, v48
	s_mov_b32 s9, 0x42b17218
	v_ldexp_f32 v50, v50, v51
	v_cndmask_b32_e32 v50, 0, v50, vcc
	v_mov_b32_e32 v51, 0x7f800000
	v_cmp_nlt_f32_e32 vcc, s9, v48
	s_mov_b32 s9, 0x3f2aaaab
	s_mov_b32 s10, 0x7f800000
	v_cndmask_b32_e32 v99, v51, v50, vcc
	v_add_f32_e32 v48, 1.0, v99
	v_add_f32_e32 v50, -1.0, v48
	v_sub_f32_e32 v51, v50, v48
	v_add_f32_e32 v51, 1.0, v51
	v_sub_f32_e32 v50, v99, v50
	v_add_f32_e32 v53, v50, v51
	v_frexp_mant_f32_e32 v54, v48
	v_cvt_f64_f32_e32 v[50:51], v48
	v_frexp_exp_i32_f64_e32 v50, v[50:51]
	v_cmp_gt_f32_e32 vcc, s9, v54
	s_mov_b32 s9, 0x3f317218
	s_nop 0
	v_subbrev_co_u32_e32 v102, vcc, 0, v50, vcc
	v_sub_u32_e32 v50, 0, v102
	v_ldexp_f32 v48, v48, v50
	v_ldexp_f32 v50, v53, v50
	v_add_f32_e32 v53, -1.0, v48
	v_add_f32_e32 v51, 1.0, v53
	v_sub_f32_e32 v51, v48, v51
	v_add_f32_e32 v54, v50, v51
	v_add_f32_e32 v51, 1.0, v48
	v_add_f32_e32 v55, -1.0, v51
	v_sub_f32_e32 v48, v48, v55
	v_add_f32_e32 v48, v50, v48
	v_add_f32_e32 v103, v51, v48
	v_rcp_f32_e32 v112, v103
	v_sub_f32_e32 v50, v51, v103
	v_add_f32_e32 v51, v53, v54
	v_add_f32_e32 v48, v48, v50
	v_sub_f32_e32 v50, v53, v51
	v_mul_f32_e32 v113, v51, v112
	v_add_f32_e32 v53, v54, v50
	v_mul_f32_e32 v54, v103, v113
	v_fma_f32 v64, v113, v103, -v54
	v_fmac_f32_e32 v64, v113, v48
	v_add_f32_e32 v50, v54, v64
	v_sub_f32_e32 v55, v51, v50
	v_pk_add_f32 v[100:101], v[50:51], v[54:55] neg_lo:[0,1] neg_hi:[0,1]
	v_mov_b32_e32 v65, v50
	v_pk_add_f32 v[50:51], v[100:101], v[64:65] neg_lo:[0,1] neg_hi:[0,1]
	v_cmp_eq_f32_e32 vcc, s10, v99
	v_add_f32_e32 v51, v53, v51
	v_add_f32_e32 v50, v50, v51
	;; [unrolled: 1-line block ×3, first 2 shown]
	v_mul_f32_e32 v53, v112, v51
	v_mul_f32_e32 v54, v103, v53
	v_fma_f32 v64, v53, v103, -v54
	v_fmac_f32_e32 v64, v53, v48
	v_sub_f32_e32 v48, v55, v51
	v_add_f32_e32 v48, v50, v48
	v_add_f32_e32 v50, v54, v64
	v_sub_f32_e32 v55, v51, v50
	v_pk_add_f32 v[100:101], v[50:51], v[54:55] neg_lo:[0,1] neg_hi:[0,1]
	v_mov_b32_e32 v65, v50
	v_pk_add_f32 v[50:51], v[100:101], v[64:65] neg_lo:[0,1] neg_hi:[0,1]
	v_cvt_f32_i32_e32 v54, v102
	v_add_f32_e32 v48, v48, v51
	v_add_f32_e32 v48, v50, v48
	;; [unrolled: 1-line block ×4, first 2 shown]
	v_sub_f32_e32 v51, v50, v113
	v_mul_f32_e32 v48, v112, v48
	v_sub_f32_e32 v51, v53, v51
	v_add_f32_e32 v48, v51, v48
	v_add_f32_e32 v53, v50, v48
	v_mul_f32_e32 v55, v53, v53
	v_mov_b32_e32 v51, 0x3ecc95a3
	v_fmac_f32_e32 v51, 0x3e9b6dac, v55
	v_sub_f32_e32 v50, v53, v50
	v_fmaak_f32 v51, v55, v51, 0x3f2aaada
	v_sub_f32_e32 v48, v48, v50
	v_mul_f32_e32 v55, v53, v55
	v_mov_b32_e32 v50, 0x3f317218
	v_pk_mul_f32 v[50:51], v[54:55], v[50:51]
	v_ldexp_f32 v65, v53, 1
	v_fma_f32 v53, v54, s9, -v50
	v_fmamk_f32 v64, v54, 0xb102e308, v53
	v_pk_add_f32 v[54:55], v[50:51], v[64:65]
	v_ldexp_f32 v48, v48, 1
	v_sub_f32_e32 v53, v55, v65
	v_sub_f32_e32 v53, v51, v53
	v_add_f32_e32 v101, v48, v53
	v_mov_b32_e32 v100, v50
	v_pk_add_f32 v[50:51], v[54:55], v[50:51] neg_lo:[0,1] neg_hi:[0,1]
	v_pk_add_f32 v[102:103], v[54:55], v[100:101]
	v_mov_b32_e32 v65, v54
	v_mov_b32_e32 v51, v103
	v_pk_add_f32 v[112:113], v[64:65], v[50:51] neg_lo:[0,1] neg_hi:[0,1]
	v_pk_add_f32 v[50:51], v[64:65], v[50:51]
	s_mov_b32 s9, 0x33800000
	v_mov_b32_e32 v48, v51
	v_pk_add_f32 v[64:65], v[48:49], v[54:55] neg_lo:[0,1] neg_hi:[0,1]
	v_mov_b32_e32 v50, v103
	v_mov_b32_e32 v53, v64
	v_pk_add_f32 v[114:115], v[102:103], v[52:53] neg_lo:[0,1] neg_hi:[0,1]
	v_mov_b32_e32 v102, v55
	v_mov_b32_e32 v103, v64
	;; [unrolled: 1-line block ×3, first 2 shown]
	v_pk_add_f32 v[50:51], v[50:51], v[102:103] neg_lo:[0,1] neg_hi:[0,1]
	v_mov_b32_e32 v64, v101
	v_mov_b32_e32 v65, v54
	v_pk_add_f32 v[50:51], v[64:65], v[50:51] neg_lo:[0,1] neg_hi:[0,1]
	v_mov_b32_e32 v114, v112
	v_pk_add_f32 v[54:55], v[114:115], v[50:51]
	v_cmp_lt_f32_e64 s[10:11], |v99|, s9
	v_mov_b32_e32 v64, v55
	v_pk_add_f32 v[64:65], v[54:55], v[64:65]
	s_or_b64 vcc, vcc, s[10:11]
	v_pk_add_f32 v[100:101], v[48:49], v[64:65]
	v_mov_b32_e32 v51, v64
	v_mov_b32_e32 v55, v100
	v_pk_add_f32 v[102:103], v[54:55], v[112:113] neg_lo:[0,1] neg_hi:[0,1]
	s_nop 0
	v_sub_f32_e32 v48, v54, v102
	v_pk_add_f32 v[50:51], v[50:51], v[102:103] neg_lo:[0,1] neg_hi:[0,1]
	v_sub_f32_e32 v48, v112, v48
	v_add_f32_e32 v48, v50, v48
	v_add_f32_e32 v48, v48, v51
	;; [unrolled: 1-line block ×3, first 2 shown]
	v_cndmask_b32_e32 v48, v48, v99, vcc
	v_add_f32_e32 v48, v49, v48
	v_cvt_f16_f32_e32 v99, v48
	v_cvt_f32_f16_e32 v100, v99
	v_mov_b32_e32 v48, v99
.LBB388_234:
	s_or_b64 exec, exec, s[6:7]
	v_max_f32_e32 v49, v66, v66
	v_max_f32_e32 v51, v100, v100
	v_min_f32_e32 v50, v51, v49
	v_cmp_u_f16_e32 vcc, v99, v99
	v_max_f32_e32 v49, v51, v49
	s_nop 0
	v_cndmask_b32_e32 v50, v50, v100, vcc
	v_cndmask_b32_e32 v49, v49, v100, vcc
	v_cndmask_b32_e64 v50, v50, v66, s[18:19]
	v_cndmask_b32_e64 v49, v49, v66, s[18:19]
	v_cmp_neq_f32_e32 vcc, v50, v49
	v_cmp_class_f32_e64 s[6:7], v50, s8
	s_or_b64 s[8:9], vcc, s[6:7]
	v_mov_b32_e32 v66, v48
	s_and_saveexec_b64 s[6:7], s[8:9]
	s_cbranch_execz .LBB388_236
; %bb.235:
	v_sub_f32_e32 v50, v50, v49
	s_mov_b32 s8, 0x3fb8aa3b
	v_mul_f32_e32 v51, 0x3fb8aa3b, v50
	v_fma_f32 v53, v50, s8, -v51
	v_rndne_f32_e32 v54, v51
	v_fmamk_f32 v53, v50, 0x32a5705f, v53
	v_sub_f32_e32 v51, v51, v54
	v_add_f32_e32 v51, v51, v53
	v_exp_f32_e32 v51, v51
	v_cvt_i32_f32_e32 v53, v54
	s_mov_b32 s8, 0xc2ce8ed0
	v_cmp_ngt_f32_e32 vcc, s8, v50
	s_mov_b32 s8, 0x42b17218
	v_ldexp_f32 v51, v51, v53
	v_cndmask_b32_e32 v51, 0, v51, vcc
	v_mov_b32_e32 v53, 0x7f800000
	v_cmp_nlt_f32_e32 vcc, s8, v50
	s_mov_b32 s8, 0x3f2aaaab
	s_mov_b32 s9, 0x7f800000
	v_cndmask_b32_e32 v99, v53, v51, vcc
	v_add_f32_e32 v53, 1.0, v99
	v_add_f32_e32 v50, -1.0, v53
	v_sub_f32_e32 v51, v50, v53
	v_add_f32_e32 v51, 1.0, v51
	v_sub_f32_e32 v50, v99, v50
	v_add_f32_e32 v54, v50, v51
	v_frexp_mant_f32_e32 v55, v53
	v_cvt_f64_f32_e32 v[50:51], v53
	v_frexp_exp_i32_f64_e32 v50, v[50:51]
	v_cmp_gt_f32_e32 vcc, s8, v55
	s_mov_b32 s8, 0x3f317218
	s_nop 0
	v_subbrev_co_u32_e32 v66, vcc, 0, v50, vcc
	v_sub_u32_e32 v50, 0, v66
	v_ldexp_f32 v51, v53, v50
	v_add_f32_e32 v53, -1.0, v51
	v_add_f32_e32 v55, 1.0, v51
	v_ldexp_f32 v50, v54, v50
	v_add_f32_e32 v54, 1.0, v53
	v_add_f32_e32 v64, -1.0, v55
	v_sub_f32_e32 v54, v51, v54
	v_sub_f32_e32 v51, v51, v64
	v_add_f32_e32 v54, v50, v54
	v_add_f32_e32 v50, v50, v51
	v_add_f32_e32 v102, v55, v50
	v_rcp_f32_e32 v112, v102
	v_sub_f32_e32 v51, v55, v102
	v_add_f32_e32 v103, v50, v51
	v_add_f32_e32 v51, v53, v54
	v_sub_f32_e32 v50, v53, v51
	v_mul_f32_e32 v113, v51, v112
	v_add_f32_e32 v53, v54, v50
	v_mul_f32_e32 v54, v102, v113
	v_fma_f32 v64, v113, v102, -v54
	v_fmac_f32_e32 v64, v113, v103
	v_add_f32_e32 v50, v54, v64
	v_sub_f32_e32 v55, v51, v50
	v_pk_add_f32 v[100:101], v[50:51], v[54:55] neg_lo:[0,1] neg_hi:[0,1]
	v_mov_b32_e32 v65, v50
	v_pk_add_f32 v[50:51], v[100:101], v[64:65] neg_lo:[0,1] neg_hi:[0,1]
	v_cmp_eq_f32_e32 vcc, s9, v99
	v_add_f32_e32 v51, v53, v51
	v_add_f32_e32 v50, v50, v51
	;; [unrolled: 1-line block ×3, first 2 shown]
	v_mul_f32_e32 v53, v112, v51
	v_mul_f32_e32 v54, v102, v53
	v_fma_f32 v64, v53, v102, -v54
	v_fmac_f32_e32 v64, v53, v103
	v_sub_f32_e32 v55, v55, v51
	v_add_f32_e32 v102, v50, v55
	v_add_f32_e32 v50, v54, v64
	v_sub_f32_e32 v55, v51, v50
	v_pk_add_f32 v[100:101], v[50:51], v[54:55] neg_lo:[0,1] neg_hi:[0,1]
	v_mov_b32_e32 v65, v50
	v_pk_add_f32 v[50:51], v[100:101], v[64:65] neg_lo:[0,1] neg_hi:[0,1]
	v_cvt_f32_i32_e32 v54, v66
	v_add_f32_e32 v51, v102, v51
	v_add_f32_e32 v50, v50, v51
	;; [unrolled: 1-line block ×4, first 2 shown]
	v_sub_f32_e32 v51, v55, v113
	v_mul_f32_e32 v50, v112, v50
	v_sub_f32_e32 v51, v53, v51
	v_add_f32_e32 v50, v51, v50
	v_add_f32_e32 v53, v55, v50
	v_mul_f32_e32 v64, v53, v53
	v_mov_b32_e32 v51, 0x3ecc95a3
	v_sub_f32_e32 v55, v53, v55
	v_fmac_f32_e32 v51, 0x3e9b6dac, v64
	v_sub_f32_e32 v50, v50, v55
	v_fmaak_f32 v51, v64, v51, 0x3f2aaada
	v_ldexp_f32 v66, v50, 1
	v_mul_f32_e32 v55, v53, v64
	v_mov_b32_e32 v50, 0x3f317218
	v_pk_mul_f32 v[50:51], v[54:55], v[50:51]
	v_ldexp_f32 v65, v53, 1
	v_fma_f32 v53, v54, s8, -v50
	v_fmamk_f32 v64, v54, 0xb102e308, v53
	v_pk_add_f32 v[54:55], v[50:51], v[64:65]
	v_mov_b32_e32 v100, v50
	v_sub_f32_e32 v53, v55, v65
	v_sub_f32_e32 v53, v51, v53
	v_add_f32_e32 v101, v66, v53
	v_pk_add_f32 v[50:51], v[54:55], v[50:51] neg_lo:[0,1] neg_hi:[0,1]
	v_pk_add_f32 v[102:103], v[54:55], v[100:101]
	v_mov_b32_e32 v65, v54
	v_mov_b32_e32 v51, v103
	v_pk_add_f32 v[112:113], v[64:65], v[50:51] neg_lo:[0,1] neg_hi:[0,1]
	v_pk_add_f32 v[50:51], v[64:65], v[50:51]
	v_mov_b32_e32 v100, v101
	v_mov_b32_e32 v64, v51
	v_pk_add_f32 v[114:115], v[64:65], v[54:55] neg_lo:[0,1] neg_hi:[0,1]
	v_mov_b32_e32 v50, v103
	v_mov_b32_e32 v53, v114
	v_pk_add_f32 v[116:117], v[102:103], v[52:53] neg_lo:[0,1] neg_hi:[0,1]
	v_mov_b32_e32 v102, v55
	v_mov_b32_e32 v103, v114
	;; [unrolled: 1-line block ×3, first 2 shown]
	v_pk_add_f32 v[50:51], v[50:51], v[102:103] neg_lo:[0,1] neg_hi:[0,1]
	v_mov_b32_e32 v101, v54
	v_pk_add_f32 v[50:51], v[100:101], v[50:51] neg_lo:[0,1] neg_hi:[0,1]
	v_mov_b32_e32 v116, v112
	v_pk_add_f32 v[54:55], v[116:117], v[50:51]
	s_mov_b32 s8, 0x33800000
	v_mov_b32_e32 v66, v55
	v_pk_add_f32 v[100:101], v[54:55], v[66:67]
	v_cmp_lt_f32_e64 s[8:9], |v99|, s8
	v_pk_add_f32 v[64:65], v[64:65], v[100:101]
	v_mov_b32_e32 v51, v100
	v_mov_b32_e32 v55, v64
	v_pk_add_f32 v[102:103], v[54:55], v[112:113] neg_lo:[0,1] neg_hi:[0,1]
	s_or_b64 vcc, vcc, s[8:9]
	v_sub_f32_e32 v53, v54, v102
	v_pk_add_f32 v[50:51], v[50:51], v[102:103] neg_lo:[0,1] neg_hi:[0,1]
	v_sub_f32_e32 v53, v112, v53
	v_add_f32_e32 v50, v50, v53
	v_add_f32_e32 v50, v50, v51
	v_add_f32_e32 v50, v64, v50
	v_cndmask_b32_e32 v50, v50, v99, vcc
	v_add_f32_e32 v49, v49, v50
	v_cvt_f16_f32_e32 v99, v49
	v_cvt_f32_f16_e32 v100, v99
	v_mov_b32_e32 v66, v99
.LBB388_236:
	s_or_b64 exec, exec, s[6:7]
	v_max_f32_e32 v49, v67, v67
	v_max_f32_e32 v51, v100, v100
	v_min_f32_e32 v50, v51, v49
	v_cmp_u_f16_e32 vcc, v99, v99
	v_max_f32_e32 v49, v51, v49
	s_movk_i32 s8, 0x1f8
	v_cndmask_b32_e32 v50, v50, v100, vcc
	v_cndmask_b32_e32 v49, v49, v100, vcc
	v_cndmask_b32_e64 v50, v50, v67, s[20:21]
	v_cndmask_b32_e64 v49, v49, v67, s[20:21]
	v_cmp_neq_f32_e32 vcc, v50, v49
	v_cmp_class_f32_e64 s[6:7], v50, s8
	s_or_b64 s[10:11], vcc, s[6:7]
	v_mov_b32_e32 v67, v66
	s_and_saveexec_b64 s[6:7], s[10:11]
	s_cbranch_execz .LBB388_238
; %bb.237:
	v_sub_f32_e32 v50, v50, v49
	s_mov_b32 s9, 0x3fb8aa3b
	v_mul_f32_e32 v51, 0x3fb8aa3b, v50
	v_fma_f32 v53, v50, s9, -v51
	v_rndne_f32_e32 v54, v51
	v_fmamk_f32 v53, v50, 0x32a5705f, v53
	v_sub_f32_e32 v51, v51, v54
	v_add_f32_e32 v51, v51, v53
	v_exp_f32_e32 v51, v51
	v_cvt_i32_f32_e32 v53, v54
	s_mov_b32 s9, 0xc2ce8ed0
	v_cmp_ngt_f32_e32 vcc, s9, v50
	s_mov_b32 s9, 0x42b17218
	v_ldexp_f32 v51, v51, v53
	v_cndmask_b32_e32 v51, 0, v51, vcc
	v_mov_b32_e32 v53, 0x7f800000
	v_cmp_nlt_f32_e32 vcc, s9, v50
	s_mov_b32 s9, 0x3f2aaaab
	s_mov_b32 s10, 0x7f800000
	v_cndmask_b32_e32 v67, v53, v51, vcc
	v_add_f32_e32 v53, 1.0, v67
	v_add_f32_e32 v50, -1.0, v53
	v_sub_f32_e32 v51, v50, v53
	v_add_f32_e32 v51, 1.0, v51
	v_sub_f32_e32 v50, v67, v50
	v_add_f32_e32 v54, v50, v51
	v_frexp_mant_f32_e32 v55, v53
	v_cvt_f64_f32_e32 v[50:51], v53
	v_frexp_exp_i32_f64_e32 v50, v[50:51]
	v_cmp_gt_f32_e32 vcc, s9, v55
	s_mov_b32 s9, 0x3f317218
	s_nop 0
	v_subbrev_co_u32_e32 v99, vcc, 0, v50, vcc
	v_sub_u32_e32 v50, 0, v99
	v_ldexp_f32 v51, v53, v50
	v_add_f32_e32 v53, -1.0, v51
	v_add_f32_e32 v55, 1.0, v51
	v_ldexp_f32 v50, v54, v50
	v_add_f32_e32 v54, 1.0, v53
	v_add_f32_e32 v64, -1.0, v55
	v_sub_f32_e32 v54, v51, v54
	v_sub_f32_e32 v51, v51, v64
	v_add_f32_e32 v54, v50, v54
	v_add_f32_e32 v50, v50, v51
	;; [unrolled: 1-line block ×3, first 2 shown]
	v_rcp_f32_e32 v112, v102
	v_sub_f32_e32 v51, v55, v102
	v_add_f32_e32 v103, v50, v51
	v_add_f32_e32 v51, v53, v54
	v_sub_f32_e32 v50, v53, v51
	v_mul_f32_e32 v113, v51, v112
	v_add_f32_e32 v53, v54, v50
	v_mul_f32_e32 v54, v102, v113
	v_fma_f32 v64, v113, v102, -v54
	v_fmac_f32_e32 v64, v113, v103
	v_add_f32_e32 v50, v54, v64
	v_sub_f32_e32 v55, v51, v50
	v_pk_add_f32 v[100:101], v[50:51], v[54:55] neg_lo:[0,1] neg_hi:[0,1]
	v_mov_b32_e32 v65, v50
	v_pk_add_f32 v[50:51], v[100:101], v[64:65] neg_lo:[0,1] neg_hi:[0,1]
	v_cmp_eq_f32_e32 vcc, s10, v67
	v_add_f32_e32 v51, v53, v51
	v_add_f32_e32 v50, v50, v51
	;; [unrolled: 1-line block ×3, first 2 shown]
	v_mul_f32_e32 v53, v112, v51
	v_mul_f32_e32 v54, v102, v53
	v_fma_f32 v64, v53, v102, -v54
	v_fmac_f32_e32 v64, v53, v103
	v_sub_f32_e32 v55, v55, v51
	v_add_f32_e32 v102, v50, v55
	v_add_f32_e32 v50, v54, v64
	v_sub_f32_e32 v55, v51, v50
	v_pk_add_f32 v[100:101], v[50:51], v[54:55] neg_lo:[0,1] neg_hi:[0,1]
	v_mov_b32_e32 v65, v50
	v_pk_add_f32 v[50:51], v[100:101], v[64:65] neg_lo:[0,1] neg_hi:[0,1]
	v_cvt_f32_i32_e32 v54, v99
	v_add_f32_e32 v51, v102, v51
	v_add_f32_e32 v50, v50, v51
	;; [unrolled: 1-line block ×4, first 2 shown]
	v_sub_f32_e32 v51, v55, v113
	v_mul_f32_e32 v50, v112, v50
	v_sub_f32_e32 v51, v53, v51
	v_add_f32_e32 v50, v51, v50
	v_add_f32_e32 v53, v55, v50
	v_mul_f32_e32 v64, v53, v53
	v_mov_b32_e32 v51, 0x3ecc95a3
	v_sub_f32_e32 v55, v53, v55
	v_fmac_f32_e32 v51, 0x3e9b6dac, v64
	v_sub_f32_e32 v50, v50, v55
	v_fmaak_f32 v51, v64, v51, 0x3f2aaada
	v_ldexp_f32 v99, v50, 1
	v_mul_f32_e32 v55, v53, v64
	v_mov_b32_e32 v50, 0x3f317218
	v_pk_mul_f32 v[50:51], v[54:55], v[50:51]
	v_ldexp_f32 v65, v53, 1
	v_fma_f32 v53, v54, s9, -v50
	v_fmamk_f32 v64, v54, 0xb102e308, v53
	v_pk_add_f32 v[54:55], v[50:51], v[64:65]
	v_mov_b32_e32 v100, v50
	v_sub_f32_e32 v53, v55, v65
	v_sub_f32_e32 v53, v51, v53
	v_add_f32_e32 v101, v99, v53
	v_pk_add_f32 v[50:51], v[54:55], v[50:51] neg_lo:[0,1] neg_hi:[0,1]
	v_pk_add_f32 v[102:103], v[54:55], v[100:101]
	v_mov_b32_e32 v65, v54
	v_mov_b32_e32 v51, v103
	v_pk_add_f32 v[112:113], v[64:65], v[50:51] neg_lo:[0,1] neg_hi:[0,1]
	v_pk_add_f32 v[50:51], v[64:65], v[50:51]
	v_mov_b32_e32 v100, v101
	v_mov_b32_e32 v64, v51
	v_pk_add_f32 v[114:115], v[64:65], v[54:55] neg_lo:[0,1] neg_hi:[0,1]
	v_mov_b32_e32 v50, v103
	v_mov_b32_e32 v53, v114
	v_pk_add_f32 v[116:117], v[102:103], v[52:53] neg_lo:[0,1] neg_hi:[0,1]
	v_mov_b32_e32 v102, v55
	v_mov_b32_e32 v103, v114
	v_mov_b32_e32 v113, v51
	v_pk_add_f32 v[50:51], v[50:51], v[102:103] neg_lo:[0,1] neg_hi:[0,1]
	v_mov_b32_e32 v101, v54
	v_pk_add_f32 v[50:51], v[100:101], v[50:51] neg_lo:[0,1] neg_hi:[0,1]
	v_mov_b32_e32 v116, v112
	v_pk_add_f32 v[54:55], v[116:117], v[50:51]
	s_mov_b32 s9, 0x33800000
	v_mov_b32_e32 v100, v55
	v_pk_add_f32 v[100:101], v[54:55], v[100:101]
	v_cmp_lt_f32_e64 s[10:11], |v67|, s9
	v_pk_add_f32 v[64:65], v[64:65], v[100:101]
	v_mov_b32_e32 v51, v100
	v_mov_b32_e32 v55, v64
	v_pk_add_f32 v[102:103], v[54:55], v[112:113] neg_lo:[0,1] neg_hi:[0,1]
	s_or_b64 vcc, vcc, s[10:11]
	v_sub_f32_e32 v53, v54, v102
	v_pk_add_f32 v[50:51], v[50:51], v[102:103] neg_lo:[0,1] neg_hi:[0,1]
	v_sub_f32_e32 v53, v112, v53
	v_add_f32_e32 v50, v50, v53
	v_add_f32_e32 v50, v50, v51
	;; [unrolled: 1-line block ×3, first 2 shown]
	v_cndmask_b32_e32 v50, v50, v67, vcc
	v_add_f32_e32 v49, v49, v50
	v_cvt_f16_f32_e32 v99, v49
	v_cvt_f32_f16_e32 v100, v99
	v_mov_b32_e32 v67, v99
.LBB388_238:
	s_or_b64 exec, exec, s[6:7]
	v_max_f32_e32 v49, v68, v68
	v_max_f32_e32 v50, v100, v100
	v_min_f32_e32 v51, v50, v49
	v_cmp_u_f16_e32 vcc, v99, v99
	v_max_f32_e32 v49, v50, v49
	s_nop 0
	v_cndmask_b32_e32 v51, v51, v100, vcc
	v_cndmask_b32_e32 v49, v49, v100, vcc
	v_cndmask_b32_e64 v51, v51, v68, s[22:23]
	v_cndmask_b32_e64 v50, v49, v68, s[22:23]
	v_cmp_neq_f32_e32 vcc, v51, v50
	v_cmp_class_f32_e64 s[6:7], v51, s8
	s_or_b64 s[8:9], vcc, s[6:7]
	v_mov_b32_e32 v49, v67
	s_and_saveexec_b64 s[6:7], s[8:9]
	s_cbranch_execz .LBB388_240
; %bb.239:
	v_sub_f32_e32 v49, v51, v50
	s_mov_b32 s8, 0x3fb8aa3b
	v_mul_f32_e32 v51, 0x3fb8aa3b, v49
	v_fma_f32 v53, v49, s8, -v51
	v_rndne_f32_e32 v54, v51
	v_fmamk_f32 v53, v49, 0x32a5705f, v53
	v_sub_f32_e32 v51, v51, v54
	v_add_f32_e32 v51, v51, v53
	v_exp_f32_e32 v51, v51
	v_cvt_i32_f32_e32 v53, v54
	s_mov_b32 s8, 0xc2ce8ed0
	v_cmp_ngt_f32_e32 vcc, s8, v49
	s_mov_b32 s8, 0x42b17218
	v_ldexp_f32 v51, v51, v53
	v_cndmask_b32_e32 v51, 0, v51, vcc
	v_mov_b32_e32 v53, 0x7f800000
	v_cmp_nlt_f32_e32 vcc, s8, v49
	s_mov_b32 s8, 0x3f2aaaab
	s_mov_b32 s9, 0x7f800000
	v_cndmask_b32_e32 v51, v53, v51, vcc
	v_add_f32_e32 v49, 1.0, v51
	v_add_f32_e32 v53, -1.0, v49
	v_sub_f32_e32 v54, v53, v49
	v_add_f32_e32 v54, 1.0, v54
	v_sub_f32_e32 v53, v51, v53
	v_add_f32_e32 v53, v53, v54
	v_frexp_mant_f32_e32 v64, v49
	v_cvt_f64_f32_e32 v[54:55], v49
	v_frexp_exp_i32_f64_e32 v54, v[54:55]
	v_cmp_gt_f32_e32 vcc, s8, v64
	s_mov_b32 s8, 0x3f317218
	s_nop 0
	v_subbrev_co_u32_e32 v68, vcc, 0, v54, vcc
	v_sub_u32_e32 v54, 0, v68
	v_ldexp_f32 v49, v49, v54
	v_ldexp_f32 v53, v53, v54
	v_add_f32_e32 v54, -1.0, v49
	v_add_f32_e32 v55, 1.0, v54
	v_sub_f32_e32 v55, v49, v55
	v_add_f32_e32 v64, v53, v55
	v_add_f32_e32 v55, 1.0, v49
	v_add_f32_e32 v65, -1.0, v55
	v_sub_f32_e32 v49, v49, v65
	v_add_f32_e32 v49, v53, v49
	v_add_f32_e32 v53, v55, v49
	v_rcp_f32_e32 v99, v53
	v_sub_f32_e32 v55, v55, v53
	v_add_f32_e32 v49, v49, v55
	v_add_f32_e32 v55, v54, v64
	v_sub_f32_e32 v54, v54, v55
	v_mul_f32_e32 v113, v55, v99
	v_add_f32_e32 v112, v64, v54
	v_mul_f32_e32 v64, v53, v113
	v_fma_f32 v100, v113, v53, -v64
	v_fmac_f32_e32 v100, v113, v49
	v_add_f32_e32 v54, v64, v100
	v_sub_f32_e32 v65, v55, v54
	v_pk_add_f32 v[102:103], v[54:55], v[64:65] neg_lo:[0,1] neg_hi:[0,1]
	v_mov_b32_e32 v101, v54
	v_pk_add_f32 v[54:55], v[102:103], v[100:101] neg_lo:[0,1] neg_hi:[0,1]
	v_cmp_eq_f32_e32 vcc, s9, v51
	v_add_f32_e32 v55, v112, v55
	v_add_f32_e32 v54, v54, v55
	;; [unrolled: 1-line block ×3, first 2 shown]
	v_mul_f32_e32 v112, v99, v55
	v_mul_f32_e32 v64, v53, v112
	v_fma_f32 v100, v112, v53, -v64
	v_fmac_f32_e32 v100, v112, v49
	v_sub_f32_e32 v49, v65, v55
	v_add_f32_e32 v49, v54, v49
	v_add_f32_e32 v54, v64, v100
	v_sub_f32_e32 v65, v55, v54
	v_pk_add_f32 v[102:103], v[54:55], v[64:65] neg_lo:[0,1] neg_hi:[0,1]
	v_mov_b32_e32 v101, v54
	v_pk_add_f32 v[54:55], v[102:103], v[100:101] neg_lo:[0,1] neg_hi:[0,1]
	v_add_f32_e32 v53, v113, v112
	v_add_f32_e32 v49, v49, v55
	;; [unrolled: 1-line block ×4, first 2 shown]
	v_sub_f32_e32 v54, v53, v113
	v_mul_f32_e32 v49, v99, v49
	v_sub_f32_e32 v54, v112, v54
	v_add_f32_e32 v49, v54, v49
	v_add_f32_e32 v54, v53, v49
	v_cvt_f32_i32_e32 v64, v68
	v_mul_f32_e32 v65, v54, v54
	v_mov_b32_e32 v55, 0x3ecc95a3
	v_fmac_f32_e32 v55, 0x3e9b6dac, v65
	v_fmaak_f32 v55, v65, v55, 0x3f2aaada
	v_sub_f32_e32 v53, v54, v53
	v_ldexp_f32 v101, v54, 1
	v_mul_f32_e32 v65, v54, v65
	v_mov_b32_e32 v54, 0x3f317218
	v_pk_mul_f32 v[54:55], v[64:65], v[54:55]
	v_sub_f32_e32 v49, v49, v53
	v_fma_f32 v53, v64, s8, -v54
	v_fmamk_f32 v100, v64, 0xb102e308, v53
	v_pk_add_f32 v[64:65], v[54:55], v[100:101]
	v_ldexp_f32 v49, v49, 1
	v_sub_f32_e32 v53, v65, v101
	v_sub_f32_e32 v53, v55, v53
	v_add_f32_e32 v103, v49, v53
	v_mov_b32_e32 v102, v54
	v_pk_add_f32 v[54:55], v[64:65], v[54:55] neg_lo:[0,1] neg_hi:[0,1]
	v_pk_add_f32 v[112:113], v[64:65], v[102:103]
	v_mov_b32_e32 v101, v64
	v_mov_b32_e32 v55, v113
	v_pk_add_f32 v[114:115], v[100:101], v[54:55] neg_lo:[0,1] neg_hi:[0,1]
	v_pk_add_f32 v[54:55], v[100:101], v[54:55]
	s_mov_b32 s8, 0x33800000
	v_mov_b32_e32 v68, v55
	v_pk_add_f32 v[100:101], v[68:69], v[64:65] neg_lo:[0,1] neg_hi:[0,1]
	v_mov_b32_e32 v54, v113
	v_mov_b32_e32 v49, v100
	v_pk_add_f32 v[116:117], v[112:113], v[48:49] neg_lo:[0,1] neg_hi:[0,1]
	v_mov_b32_e32 v112, v65
	v_mov_b32_e32 v113, v100
	;; [unrolled: 1-line block ×3, first 2 shown]
	v_pk_add_f32 v[54:55], v[54:55], v[112:113] neg_lo:[0,1] neg_hi:[0,1]
	v_mov_b32_e32 v100, v103
	v_mov_b32_e32 v101, v64
	v_pk_add_f32 v[54:55], v[100:101], v[54:55] neg_lo:[0,1] neg_hi:[0,1]
	v_mov_b32_e32 v116, v114
	v_pk_add_f32 v[64:65], v[116:117], v[54:55]
	v_cmp_lt_f32_e64 s[8:9], |v51|, s8
	v_mov_b32_e32 v100, v65
	v_pk_add_f32 v[100:101], v[64:65], v[100:101]
	s_or_b64 vcc, vcc, s[8:9]
	v_pk_add_f32 v[102:103], v[68:69], v[100:101]
	v_mov_b32_e32 v55, v100
	v_mov_b32_e32 v65, v102
	v_pk_add_f32 v[112:113], v[64:65], v[114:115] neg_lo:[0,1] neg_hi:[0,1]
	s_nop 0
	v_sub_f32_e32 v49, v64, v112
	v_pk_add_f32 v[54:55], v[54:55], v[112:113] neg_lo:[0,1] neg_hi:[0,1]
	v_sub_f32_e32 v49, v114, v49
	v_add_f32_e32 v49, v54, v49
	v_add_f32_e32 v49, v49, v55
	;; [unrolled: 1-line block ×3, first 2 shown]
	v_cndmask_b32_e32 v49, v49, v51, vcc
	v_add_f32_e32 v49, v50, v49
	v_cvt_f16_f32_e32 v99, v49
	v_cvt_f32_f16_e32 v100, v99
	v_mov_b32_e32 v49, v99
.LBB388_240:
	s_or_b64 exec, exec, s[6:7]
	v_max_f32_e32 v50, v69, v69
	v_max_f32_e32 v53, v100, v100
	v_min_f32_e32 v51, v53, v50
	v_cmp_u_f16_e32 vcc, v99, v99
	v_max_f32_e32 v50, v53, v50
	s_movk_i32 s8, 0x1f8
	v_cndmask_b32_e32 v51, v51, v100, vcc
	v_cndmask_b32_e32 v50, v50, v100, vcc
	v_cndmask_b32_e64 v51, v51, v69, s[24:25]
	v_cndmask_b32_e64 v50, v50, v69, s[24:25]
	v_cmp_neq_f32_e32 vcc, v51, v50
	v_cmp_class_f32_e64 s[6:7], v51, s8
	s_or_b64 s[10:11], vcc, s[6:7]
	v_mov_b32_e32 v68, v49
	s_and_saveexec_b64 s[6:7], s[10:11]
	s_cbranch_execz .LBB388_242
; %bb.241:
	v_sub_f32_e32 v51, v51, v50
	s_mov_b32 s9, 0x3fb8aa3b
	v_mul_f32_e32 v53, 0x3fb8aa3b, v51
	v_fma_f32 v54, v51, s9, -v53
	v_rndne_f32_e32 v55, v53
	v_fmamk_f32 v54, v51, 0x32a5705f, v54
	v_sub_f32_e32 v53, v53, v55
	v_add_f32_e32 v53, v53, v54
	v_exp_f32_e32 v53, v53
	v_cvt_i32_f32_e32 v54, v55
	s_mov_b32 s9, 0xc2ce8ed0
	v_cmp_ngt_f32_e32 vcc, s9, v51
	s_mov_b32 s9, 0x42b17218
	v_ldexp_f32 v53, v53, v54
	v_cndmask_b32_e32 v53, 0, v53, vcc
	v_mov_b32_e32 v54, 0x7f800000
	v_cmp_nlt_f32_e32 vcc, s9, v51
	s_mov_b32 s9, 0x3f2aaaab
	s_mov_b32 s10, 0x7f800000
	v_cndmask_b32_e32 v53, v54, v53, vcc
	v_add_f32_e32 v51, 1.0, v53
	v_add_f32_e32 v54, -1.0, v51
	v_sub_f32_e32 v55, v54, v51
	v_add_f32_e32 v55, 1.0, v55
	v_sub_f32_e32 v54, v53, v54
	v_add_f32_e32 v64, v54, v55
	v_frexp_mant_f32_e32 v65, v51
	v_cvt_f64_f32_e32 v[54:55], v51
	v_frexp_exp_i32_f64_e32 v54, v[54:55]
	v_cmp_gt_f32_e32 vcc, s9, v65
	s_mov_b32 s9, 0x3f317218
	s_nop 0
	v_subbrev_co_u32_e32 v99, vcc, 0, v54, vcc
	v_sub_u32_e32 v54, 0, v99
	v_ldexp_f32 v51, v51, v54
	v_ldexp_f32 v54, v64, v54
	v_add_f32_e32 v64, -1.0, v51
	v_add_f32_e32 v55, 1.0, v64
	v_sub_f32_e32 v55, v51, v55
	v_add_f32_e32 v65, v54, v55
	v_add_f32_e32 v55, 1.0, v51
	v_add_f32_e32 v68, -1.0, v55
	v_sub_f32_e32 v51, v51, v68
	v_add_f32_e32 v51, v54, v51
	v_add_f32_e32 v102, v55, v51
	v_rcp_f32_e32 v103, v102
	v_sub_f32_e32 v54, v55, v102
	v_add_f32_e32 v55, v64, v65
	v_add_f32_e32 v51, v51, v54
	v_mul_f32_e32 v113, v55, v103
	v_sub_f32_e32 v54, v64, v55
	v_mul_f32_e32 v64, v102, v113
	v_fma_f32 v68, v113, v102, -v64
	v_fmac_f32_e32 v68, v113, v51
	v_add_f32_e32 v112, v65, v54
	v_add_f32_e32 v54, v64, v68
	v_sub_f32_e32 v65, v55, v54
	v_pk_add_f32 v[100:101], v[54:55], v[64:65] neg_lo:[0,1] neg_hi:[0,1]
	v_mov_b32_e32 v69, v54
	v_pk_add_f32 v[54:55], v[100:101], v[68:69] neg_lo:[0,1] neg_hi:[0,1]
	v_cmp_eq_f32_e32 vcc, s10, v53
	v_add_f32_e32 v55, v112, v55
	v_add_f32_e32 v54, v54, v55
	;; [unrolled: 1-line block ×3, first 2 shown]
	v_mul_f32_e32 v112, v103, v55
	v_mul_f32_e32 v64, v102, v112
	v_fma_f32 v68, v112, v102, -v64
	v_fmac_f32_e32 v68, v112, v51
	v_sub_f32_e32 v51, v65, v55
	v_add_f32_e32 v51, v54, v51
	v_add_f32_e32 v54, v64, v68
	v_sub_f32_e32 v65, v55, v54
	v_pk_add_f32 v[100:101], v[54:55], v[64:65] neg_lo:[0,1] neg_hi:[0,1]
	v_mov_b32_e32 v69, v54
	v_pk_add_f32 v[54:55], v[100:101], v[68:69] neg_lo:[0,1] neg_hi:[0,1]
	v_cvt_f32_i32_e32 v64, v99
	v_add_f32_e32 v51, v51, v55
	v_add_f32_e32 v51, v54, v51
	;; [unrolled: 1-line block ×4, first 2 shown]
	v_sub_f32_e32 v55, v54, v113
	v_mul_f32_e32 v51, v103, v51
	v_sub_f32_e32 v55, v112, v55
	v_add_f32_e32 v51, v55, v51
	v_add_f32_e32 v65, v54, v51
	v_mul_f32_e32 v68, v65, v65
	v_mov_b32_e32 v55, 0x3ecc95a3
	v_fmac_f32_e32 v55, 0x3e9b6dac, v68
	v_sub_f32_e32 v54, v65, v54
	v_fmaak_f32 v55, v68, v55, 0x3f2aaada
	v_sub_f32_e32 v51, v51, v54
	v_ldexp_f32 v69, v65, 1
	v_mul_f32_e32 v65, v65, v68
	v_mov_b32_e32 v54, 0x3f317218
	v_pk_mul_f32 v[54:55], v[64:65], v[54:55]
	v_ldexp_f32 v51, v51, 1
	v_fma_f32 v65, v64, s9, -v54
	v_fmamk_f32 v68, v64, 0xb102e308, v65
	v_pk_add_f32 v[64:65], v[54:55], v[68:69]
	v_mov_b32_e32 v100, v54
	v_sub_f32_e32 v69, v65, v69
	v_sub_f32_e32 v69, v55, v69
	v_add_f32_e32 v101, v51, v69
	v_pk_add_f32 v[54:55], v[64:65], v[54:55] neg_lo:[0,1] neg_hi:[0,1]
	v_pk_add_f32 v[102:103], v[64:65], v[100:101]
	v_mov_b32_e32 v69, v64
	v_mov_b32_e32 v55, v103
	v_pk_add_f32 v[112:113], v[68:69], v[54:55] neg_lo:[0,1] neg_hi:[0,1]
	v_pk_add_f32 v[54:55], v[68:69], v[54:55]
	v_mov_b32_e32 v100, v101
	v_mov_b32_e32 v68, v55
	v_pk_add_f32 v[114:115], v[68:69], v[64:65] neg_lo:[0,1] neg_hi:[0,1]
	v_mov_b32_e32 v54, v103
	v_mov_b32_e32 v51, v114
	v_pk_add_f32 v[116:117], v[102:103], v[50:51] neg_lo:[0,1] neg_hi:[0,1]
	v_mov_b32_e32 v102, v65
	v_mov_b32_e32 v103, v114
	v_mov_b32_e32 v113, v55
	v_pk_add_f32 v[54:55], v[54:55], v[102:103] neg_lo:[0,1] neg_hi:[0,1]
	v_mov_b32_e32 v101, v64
	v_pk_add_f32 v[54:55], v[100:101], v[54:55] neg_lo:[0,1] neg_hi:[0,1]
	v_mov_b32_e32 v116, v112
	v_pk_add_f32 v[64:65], v[116:117], v[54:55]
	s_mov_b32 s9, 0x33800000
	v_mov_b32_e32 v100, v65
	v_pk_add_f32 v[100:101], v[64:65], v[100:101]
	v_cmp_lt_f32_e64 s[10:11], |v53|, s9
	v_pk_add_f32 v[68:69], v[68:69], v[100:101]
	v_mov_b32_e32 v55, v100
	v_mov_b32_e32 v65, v68
	v_pk_add_f32 v[102:103], v[64:65], v[112:113] neg_lo:[0,1] neg_hi:[0,1]
	s_or_b64 vcc, vcc, s[10:11]
	v_sub_f32_e32 v51, v64, v102
	v_pk_add_f32 v[54:55], v[54:55], v[102:103] neg_lo:[0,1] neg_hi:[0,1]
	v_sub_f32_e32 v51, v112, v51
	v_add_f32_e32 v51, v54, v51
	v_add_f32_e32 v51, v51, v55
	;; [unrolled: 1-line block ×3, first 2 shown]
	v_cndmask_b32_e32 v51, v51, v53, vcc
	v_add_f32_e32 v50, v50, v51
	v_cvt_f16_f32_e32 v99, v50
	v_cvt_f32_f16_e32 v100, v99
	v_mov_b32_e32 v68, v99
.LBB388_242:
	s_or_b64 exec, exec, s[6:7]
	v_max_f32_e32 v50, v70, v70
	v_max_f32_e32 v51, v100, v100
	v_min_f32_e32 v53, v51, v50
	v_cmp_u_f16_e32 vcc, v99, v99
	v_max_f32_e32 v50, v51, v50
	s_nop 0
	v_cndmask_b32_e32 v53, v53, v100, vcc
	v_cndmask_b32_e32 v50, v50, v100, vcc
	v_cndmask_b32_e64 v53, v53, v70, s[26:27]
	v_cndmask_b32_e64 v51, v50, v70, s[26:27]
	v_cmp_neq_f32_e32 vcc, v53, v51
	v_cmp_class_f32_e64 s[6:7], v53, s8
	s_or_b64 s[8:9], vcc, s[6:7]
	v_mov_b32_e32 v50, v68
	s_and_saveexec_b64 s[6:7], s[8:9]
	s_cbranch_execz .LBB388_244
; %bb.243:
	v_sub_f32_e32 v50, v53, v51
	s_mov_b32 s8, 0x3fb8aa3b
	v_mul_f32_e32 v53, 0x3fb8aa3b, v50
	v_fma_f32 v54, v50, s8, -v53
	v_rndne_f32_e32 v55, v53
	v_fmamk_f32 v54, v50, 0x32a5705f, v54
	v_sub_f32_e32 v53, v53, v55
	v_add_f32_e32 v53, v53, v54
	v_exp_f32_e32 v53, v53
	v_cvt_i32_f32_e32 v54, v55
	s_mov_b32 s8, 0xc2ce8ed0
	v_cmp_ngt_f32_e32 vcc, s8, v50
	s_mov_b32 s8, 0x42b17218
	v_ldexp_f32 v53, v53, v54
	v_cndmask_b32_e32 v53, 0, v53, vcc
	v_mov_b32_e32 v54, 0x7f800000
	v_cmp_nlt_f32_e32 vcc, s8, v50
	s_mov_b32 s8, 0x3f2aaaab
	s_mov_b32 s9, 0x7f800000
	v_cndmask_b32_e32 v69, v54, v53, vcc
	v_add_f32_e32 v50, 1.0, v69
	v_add_f32_e32 v53, -1.0, v50
	v_sub_f32_e32 v54, v53, v50
	v_add_f32_e32 v54, 1.0, v54
	v_sub_f32_e32 v53, v69, v53
	v_add_f32_e32 v53, v53, v54
	v_frexp_mant_f32_e32 v64, v50
	v_cvt_f64_f32_e32 v[54:55], v50
	v_frexp_exp_i32_f64_e32 v54, v[54:55]
	v_cmp_gt_f32_e32 vcc, s8, v64
	s_mov_b32 s8, 0x3f317218
	s_nop 0
	v_subbrev_co_u32_e32 v70, vcc, 0, v54, vcc
	v_sub_u32_e32 v54, 0, v70
	v_ldexp_f32 v50, v50, v54
	v_ldexp_f32 v53, v53, v54
	v_add_f32_e32 v54, -1.0, v50
	v_add_f32_e32 v55, 1.0, v54
	v_sub_f32_e32 v55, v50, v55
	v_add_f32_e32 v64, v53, v55
	v_add_f32_e32 v55, 1.0, v50
	v_add_f32_e32 v65, -1.0, v55
	v_sub_f32_e32 v50, v50, v65
	v_add_f32_e32 v50, v53, v50
	v_add_f32_e32 v53, v55, v50
	v_rcp_f32_e32 v99, v53
	v_sub_f32_e32 v55, v55, v53
	v_add_f32_e32 v50, v50, v55
	v_add_f32_e32 v55, v54, v64
	v_sub_f32_e32 v54, v54, v55
	v_mul_f32_e32 v113, v55, v99
	v_add_f32_e32 v112, v64, v54
	v_mul_f32_e32 v64, v53, v113
	v_fma_f32 v100, v113, v53, -v64
	v_fmac_f32_e32 v100, v113, v50
	v_add_f32_e32 v54, v64, v100
	v_sub_f32_e32 v65, v55, v54
	v_pk_add_f32 v[102:103], v[54:55], v[64:65] neg_lo:[0,1] neg_hi:[0,1]
	v_mov_b32_e32 v101, v54
	v_pk_add_f32 v[54:55], v[102:103], v[100:101] neg_lo:[0,1] neg_hi:[0,1]
	v_cmp_eq_f32_e32 vcc, s9, v69
	v_add_f32_e32 v55, v112, v55
	v_add_f32_e32 v54, v54, v55
	;; [unrolled: 1-line block ×3, first 2 shown]
	v_mul_f32_e32 v112, v99, v55
	v_mul_f32_e32 v64, v53, v112
	v_fma_f32 v100, v112, v53, -v64
	v_fmac_f32_e32 v100, v112, v50
	v_sub_f32_e32 v50, v65, v55
	v_add_f32_e32 v50, v54, v50
	v_add_f32_e32 v54, v64, v100
	v_sub_f32_e32 v65, v55, v54
	v_pk_add_f32 v[102:103], v[54:55], v[64:65] neg_lo:[0,1] neg_hi:[0,1]
	v_mov_b32_e32 v101, v54
	v_pk_add_f32 v[54:55], v[102:103], v[100:101] neg_lo:[0,1] neg_hi:[0,1]
	v_add_f32_e32 v53, v113, v112
	v_add_f32_e32 v50, v50, v55
	;; [unrolled: 1-line block ×4, first 2 shown]
	v_sub_f32_e32 v54, v53, v113
	v_mul_f32_e32 v50, v99, v50
	v_sub_f32_e32 v54, v112, v54
	v_add_f32_e32 v50, v54, v50
	v_add_f32_e32 v54, v53, v50
	v_cvt_f32_i32_e32 v64, v70
	v_mul_f32_e32 v65, v54, v54
	v_mov_b32_e32 v55, 0x3ecc95a3
	v_fmac_f32_e32 v55, 0x3e9b6dac, v65
	v_fmaak_f32 v55, v65, v55, 0x3f2aaada
	v_sub_f32_e32 v53, v54, v53
	v_ldexp_f32 v101, v54, 1
	v_mul_f32_e32 v65, v54, v65
	v_mov_b32_e32 v54, 0x3f317218
	v_pk_mul_f32 v[54:55], v[64:65], v[54:55]
	v_sub_f32_e32 v50, v50, v53
	v_fma_f32 v53, v64, s8, -v54
	v_fmamk_f32 v100, v64, 0xb102e308, v53
	v_pk_add_f32 v[64:65], v[54:55], v[100:101]
	v_ldexp_f32 v50, v50, 1
	v_sub_f32_e32 v53, v65, v101
	v_sub_f32_e32 v53, v55, v53
	v_add_f32_e32 v103, v50, v53
	v_mov_b32_e32 v102, v54
	v_pk_add_f32 v[54:55], v[64:65], v[54:55] neg_lo:[0,1] neg_hi:[0,1]
	v_pk_add_f32 v[112:113], v[64:65], v[102:103]
	v_mov_b32_e32 v101, v64
	v_mov_b32_e32 v55, v113
	v_pk_add_f32 v[114:115], v[100:101], v[54:55] neg_lo:[0,1] neg_hi:[0,1]
	v_pk_add_f32 v[54:55], v[100:101], v[54:55]
	s_mov_b32 s8, 0x33800000
	v_mov_b32_e32 v50, v55
	v_pk_add_f32 v[100:101], v[50:51], v[64:65] neg_lo:[0,1] neg_hi:[0,1]
	v_mov_b32_e32 v54, v113
	v_mov_b32_e32 v53, v100
	v_pk_add_f32 v[116:117], v[112:113], v[52:53] neg_lo:[0,1] neg_hi:[0,1]
	v_mov_b32_e32 v112, v65
	v_mov_b32_e32 v113, v100
	;; [unrolled: 1-line block ×3, first 2 shown]
	v_pk_add_f32 v[54:55], v[54:55], v[112:113] neg_lo:[0,1] neg_hi:[0,1]
	v_mov_b32_e32 v100, v103
	v_mov_b32_e32 v101, v64
	v_pk_add_f32 v[54:55], v[100:101], v[54:55] neg_lo:[0,1] neg_hi:[0,1]
	v_mov_b32_e32 v116, v114
	v_pk_add_f32 v[64:65], v[116:117], v[54:55]
	v_cmp_lt_f32_e64 s[8:9], |v69|, s8
	v_mov_b32_e32 v70, v65
	v_pk_add_f32 v[100:101], v[64:65], v[70:71]
	s_or_b64 vcc, vcc, s[8:9]
	v_pk_add_f32 v[102:103], v[50:51], v[100:101]
	v_mov_b32_e32 v55, v100
	v_mov_b32_e32 v65, v102
	v_pk_add_f32 v[112:113], v[64:65], v[114:115] neg_lo:[0,1] neg_hi:[0,1]
	s_nop 0
	v_sub_f32_e32 v50, v64, v112
	v_pk_add_f32 v[54:55], v[54:55], v[112:113] neg_lo:[0,1] neg_hi:[0,1]
	v_sub_f32_e32 v50, v114, v50
	v_add_f32_e32 v50, v54, v50
	v_add_f32_e32 v50, v50, v55
	;; [unrolled: 1-line block ×3, first 2 shown]
	v_cndmask_b32_e32 v50, v50, v69, vcc
	v_add_f32_e32 v50, v51, v50
	v_cvt_f16_f32_e32 v99, v50
	v_cvt_f32_f16_e32 v100, v99
	v_mov_b32_e32 v50, v99
.LBB388_244:
	s_or_b64 exec, exec, s[6:7]
	v_max_f32_e32 v51, v71, v71
	v_max_f32_e32 v54, v100, v100
	v_min_f32_e32 v53, v54, v51
	v_cmp_u_f16_e32 vcc, v99, v99
	v_max_f32_e32 v51, v54, v51
	s_movk_i32 s8, 0x1f8
	v_cndmask_b32_e32 v53, v53, v100, vcc
	v_cndmask_b32_e32 v51, v51, v100, vcc
	v_cndmask_b32_e64 v53, v53, v71, s[28:29]
	v_cndmask_b32_e64 v51, v51, v71, s[28:29]
	v_cmp_neq_f32_e32 vcc, v53, v51
	v_cmp_class_f32_e64 s[6:7], v53, s8
	s_or_b64 s[10:11], vcc, s[6:7]
	v_mov_b32_e32 v69, v50
	s_and_saveexec_b64 s[6:7], s[10:11]
	s_cbranch_execz .LBB388_246
; %bb.245:
	v_sub_f32_e32 v53, v53, v51
	s_mov_b32 s9, 0x3fb8aa3b
	v_mul_f32_e32 v54, 0x3fb8aa3b, v53
	v_fma_f32 v55, v53, s9, -v54
	v_rndne_f32_e32 v64, v54
	v_fmamk_f32 v55, v53, 0x32a5705f, v55
	v_sub_f32_e32 v54, v54, v64
	v_add_f32_e32 v54, v54, v55
	v_exp_f32_e32 v54, v54
	v_cvt_i32_f32_e32 v55, v64
	s_mov_b32 s9, 0xc2ce8ed0
	v_cmp_ngt_f32_e32 vcc, s9, v53
	s_mov_b32 s9, 0x42b17218
	v_ldexp_f32 v54, v54, v55
	v_cndmask_b32_e32 v54, 0, v54, vcc
	v_mov_b32_e32 v55, 0x7f800000
	v_cmp_nlt_f32_e32 vcc, s9, v53
	s_mov_b32 s9, 0x3f2aaaab
	s_mov_b32 s10, 0x7f800000
	v_cndmask_b32_e32 v69, v55, v54, vcc
	v_add_f32_e32 v53, 1.0, v69
	v_add_f32_e32 v54, -1.0, v53
	v_sub_f32_e32 v55, v54, v53
	v_add_f32_e32 v55, 1.0, v55
	v_sub_f32_e32 v54, v69, v54
	v_add_f32_e32 v64, v54, v55
	v_frexp_mant_f32_e32 v65, v53
	v_cvt_f64_f32_e32 v[54:55], v53
	v_frexp_exp_i32_f64_e32 v54, v[54:55]
	v_cmp_gt_f32_e32 vcc, s9, v65
	s_mov_b32 s9, 0x3f317218
	s_nop 0
	v_subbrev_co_u32_e32 v99, vcc, 0, v54, vcc
	v_sub_u32_e32 v54, 0, v99
	v_ldexp_f32 v53, v53, v54
	v_ldexp_f32 v54, v64, v54
	v_add_f32_e32 v64, -1.0, v53
	v_add_f32_e32 v55, 1.0, v64
	v_sub_f32_e32 v55, v53, v55
	v_add_f32_e32 v65, v54, v55
	v_add_f32_e32 v55, 1.0, v53
	v_add_f32_e32 v70, -1.0, v55
	v_sub_f32_e32 v53, v53, v70
	v_add_f32_e32 v53, v54, v53
	v_add_f32_e32 v102, v55, v53
	v_rcp_f32_e32 v103, v102
	v_sub_f32_e32 v54, v55, v102
	v_add_f32_e32 v55, v64, v65
	v_add_f32_e32 v53, v53, v54
	v_mul_f32_e32 v113, v55, v103
	v_sub_f32_e32 v54, v64, v55
	v_mul_f32_e32 v64, v102, v113
	v_fma_f32 v70, v113, v102, -v64
	v_fmac_f32_e32 v70, v113, v53
	v_add_f32_e32 v112, v65, v54
	v_add_f32_e32 v54, v64, v70
	v_sub_f32_e32 v65, v55, v54
	v_pk_add_f32 v[100:101], v[54:55], v[64:65] neg_lo:[0,1] neg_hi:[0,1]
	v_mov_b32_e32 v71, v54
	v_pk_add_f32 v[54:55], v[100:101], v[70:71] neg_lo:[0,1] neg_hi:[0,1]
	v_cmp_eq_f32_e32 vcc, s10, v69
	v_add_f32_e32 v55, v112, v55
	v_add_f32_e32 v54, v54, v55
	;; [unrolled: 1-line block ×3, first 2 shown]
	v_mul_f32_e32 v112, v103, v55
	v_mul_f32_e32 v64, v102, v112
	v_fma_f32 v70, v112, v102, -v64
	v_fmac_f32_e32 v70, v112, v53
	v_sub_f32_e32 v53, v65, v55
	v_add_f32_e32 v53, v54, v53
	v_add_f32_e32 v54, v64, v70
	v_sub_f32_e32 v65, v55, v54
	v_pk_add_f32 v[100:101], v[54:55], v[64:65] neg_lo:[0,1] neg_hi:[0,1]
	v_mov_b32_e32 v71, v54
	v_pk_add_f32 v[54:55], v[100:101], v[70:71] neg_lo:[0,1] neg_hi:[0,1]
	v_cvt_f32_i32_e32 v64, v99
	v_add_f32_e32 v53, v53, v55
	v_add_f32_e32 v53, v54, v53
	;; [unrolled: 1-line block ×4, first 2 shown]
	v_sub_f32_e32 v55, v54, v113
	v_mul_f32_e32 v53, v103, v53
	v_sub_f32_e32 v55, v112, v55
	v_add_f32_e32 v53, v55, v53
	v_add_f32_e32 v65, v54, v53
	v_mul_f32_e32 v70, v65, v65
	v_mov_b32_e32 v55, 0x3ecc95a3
	v_fmac_f32_e32 v55, 0x3e9b6dac, v70
	v_sub_f32_e32 v54, v65, v54
	v_fmaak_f32 v55, v70, v55, 0x3f2aaada
	v_sub_f32_e32 v53, v53, v54
	v_ldexp_f32 v71, v65, 1
	v_mul_f32_e32 v65, v65, v70
	v_mov_b32_e32 v54, 0x3f317218
	v_pk_mul_f32 v[54:55], v[64:65], v[54:55]
	v_ldexp_f32 v53, v53, 1
	v_fma_f32 v65, v64, s9, -v54
	v_fmamk_f32 v70, v64, 0xb102e308, v65
	v_pk_add_f32 v[64:65], v[54:55], v[70:71]
	v_mov_b32_e32 v100, v54
	v_sub_f32_e32 v71, v65, v71
	v_sub_f32_e32 v71, v55, v71
	v_add_f32_e32 v101, v53, v71
	v_pk_add_f32 v[54:55], v[64:65], v[54:55] neg_lo:[0,1] neg_hi:[0,1]
	v_pk_add_f32 v[102:103], v[64:65], v[100:101]
	v_mov_b32_e32 v71, v64
	v_mov_b32_e32 v55, v103
	v_pk_add_f32 v[112:113], v[70:71], v[54:55] neg_lo:[0,1] neg_hi:[0,1]
	v_pk_add_f32 v[54:55], v[70:71], v[54:55]
	v_mov_b32_e32 v100, v101
	v_mov_b32_e32 v70, v55
	v_pk_add_f32 v[114:115], v[70:71], v[64:65] neg_lo:[0,1] neg_hi:[0,1]
	v_mov_b32_e32 v54, v103
	v_mov_b32_e32 v53, v114
	v_pk_add_f32 v[116:117], v[102:103], v[52:53] neg_lo:[0,1] neg_hi:[0,1]
	v_mov_b32_e32 v102, v65
	v_mov_b32_e32 v103, v114
	;; [unrolled: 1-line block ×3, first 2 shown]
	v_pk_add_f32 v[54:55], v[54:55], v[102:103] neg_lo:[0,1] neg_hi:[0,1]
	v_mov_b32_e32 v101, v64
	v_pk_add_f32 v[54:55], v[100:101], v[54:55] neg_lo:[0,1] neg_hi:[0,1]
	v_mov_b32_e32 v116, v112
	v_pk_add_f32 v[64:65], v[116:117], v[54:55]
	s_mov_b32 s9, 0x33800000
	v_mov_b32_e32 v100, v65
	v_pk_add_f32 v[100:101], v[64:65], v[100:101]
	v_cmp_lt_f32_e64 s[10:11], |v69|, s9
	v_pk_add_f32 v[70:71], v[70:71], v[100:101]
	v_mov_b32_e32 v55, v100
	v_mov_b32_e32 v65, v70
	v_pk_add_f32 v[102:103], v[64:65], v[112:113] neg_lo:[0,1] neg_hi:[0,1]
	s_or_b64 vcc, vcc, s[10:11]
	v_sub_f32_e32 v53, v64, v102
	v_pk_add_f32 v[54:55], v[54:55], v[102:103] neg_lo:[0,1] neg_hi:[0,1]
	v_sub_f32_e32 v53, v112, v53
	v_add_f32_e32 v53, v54, v53
	v_add_f32_e32 v53, v53, v55
	v_add_f32_e32 v53, v70, v53
	v_cndmask_b32_e32 v53, v53, v69, vcc
	v_add_f32_e32 v51, v51, v53
	v_cvt_f16_f32_e32 v99, v51
	v_cvt_f32_f16_e32 v100, v99
	v_mov_b32_e32 v69, v99
.LBB388_246:
	s_or_b64 exec, exec, s[6:7]
	v_max_f32_e32 v51, v80, v80
	v_max_f32_e32 v53, v100, v100
	v_min_f32_e32 v54, v53, v51
	v_cmp_u_f16_e32 vcc, v99, v99
	v_max_f32_e32 v51, v53, v51
	s_nop 0
	v_cndmask_b32_e32 v54, v54, v100, vcc
	v_cndmask_b32_e32 v51, v51, v100, vcc
	v_cndmask_b32_e64 v54, v54, v80, s[30:31]
	v_cndmask_b32_e64 v53, v51, v80, s[30:31]
	v_cmp_neq_f32_e32 vcc, v54, v53
	v_cmp_class_f32_e64 s[6:7], v54, s8
	s_or_b64 s[8:9], vcc, s[6:7]
	v_mov_b32_e32 v51, v69
	s_and_saveexec_b64 s[6:7], s[8:9]
	s_cbranch_execz .LBB388_248
; %bb.247:
	v_sub_f32_e32 v51, v54, v53
	s_mov_b32 s8, 0x3fb8aa3b
	v_mul_f32_e32 v54, 0x3fb8aa3b, v51
	v_fma_f32 v55, v51, s8, -v54
	v_rndne_f32_e32 v64, v54
	v_fmamk_f32 v55, v51, 0x32a5705f, v55
	v_sub_f32_e32 v54, v54, v64
	v_add_f32_e32 v54, v54, v55
	v_exp_f32_e32 v54, v54
	v_cvt_i32_f32_e32 v55, v64
	s_mov_b32 s8, 0xc2ce8ed0
	v_cmp_ngt_f32_e32 vcc, s8, v51
	s_mov_b32 s8, 0x42b17218
	v_ldexp_f32 v54, v54, v55
	v_cndmask_b32_e32 v54, 0, v54, vcc
	v_mov_b32_e32 v55, 0x7f800000
	v_cmp_nlt_f32_e32 vcc, s8, v51
	s_mov_b32 s8, 0x3f2aaaab
	s_mov_b32 s9, 0x7f800000
	v_cndmask_b32_e32 v99, v55, v54, vcc
	v_add_f32_e32 v51, 1.0, v99
	v_add_f32_e32 v54, -1.0, v51
	v_sub_f32_e32 v55, v54, v51
	v_add_f32_e32 v55, 1.0, v55
	v_sub_f32_e32 v54, v99, v54
	v_add_f32_e32 v64, v54, v55
	v_frexp_mant_f32_e32 v65, v51
	v_cvt_f64_f32_e32 v[54:55], v51
	v_frexp_exp_i32_f64_e32 v54, v[54:55]
	v_cmp_gt_f32_e32 vcc, s8, v65
	s_mov_b32 s8, 0x3f317218
	s_nop 0
	v_subbrev_co_u32_e32 v80, vcc, 0, v54, vcc
	v_sub_u32_e32 v54, 0, v80
	v_ldexp_f32 v51, v51, v54
	v_ldexp_f32 v54, v64, v54
	v_add_f32_e32 v64, -1.0, v51
	v_add_f32_e32 v55, 1.0, v64
	v_sub_f32_e32 v55, v51, v55
	v_add_f32_e32 v65, v54, v55
	v_add_f32_e32 v55, 1.0, v51
	v_add_f32_e32 v70, -1.0, v55
	v_sub_f32_e32 v51, v51, v70
	v_add_f32_e32 v51, v54, v51
	v_add_f32_e32 v102, v55, v51
	v_rcp_f32_e32 v103, v102
	v_sub_f32_e32 v54, v55, v102
	v_add_f32_e32 v55, v64, v65
	v_add_f32_e32 v51, v51, v54
	v_mul_f32_e32 v113, v55, v103
	v_sub_f32_e32 v54, v64, v55
	v_mul_f32_e32 v64, v102, v113
	v_fma_f32 v70, v113, v102, -v64
	v_fmac_f32_e32 v70, v113, v51
	v_add_f32_e32 v112, v65, v54
	v_add_f32_e32 v54, v64, v70
	v_sub_f32_e32 v65, v55, v54
	v_pk_add_f32 v[100:101], v[54:55], v[64:65] neg_lo:[0,1] neg_hi:[0,1]
	v_mov_b32_e32 v71, v54
	v_pk_add_f32 v[54:55], v[100:101], v[70:71] neg_lo:[0,1] neg_hi:[0,1]
	v_cmp_eq_f32_e32 vcc, s9, v99
	v_add_f32_e32 v55, v112, v55
	v_add_f32_e32 v54, v54, v55
	;; [unrolled: 1-line block ×3, first 2 shown]
	v_mul_f32_e32 v112, v103, v55
	v_mul_f32_e32 v64, v102, v112
	v_fma_f32 v70, v112, v102, -v64
	v_fmac_f32_e32 v70, v112, v51
	v_sub_f32_e32 v51, v65, v55
	v_add_f32_e32 v51, v54, v51
	v_add_f32_e32 v54, v64, v70
	v_sub_f32_e32 v65, v55, v54
	v_pk_add_f32 v[100:101], v[54:55], v[64:65] neg_lo:[0,1] neg_hi:[0,1]
	v_mov_b32_e32 v71, v54
	v_pk_add_f32 v[54:55], v[100:101], v[70:71] neg_lo:[0,1] neg_hi:[0,1]
	v_cvt_f32_i32_e32 v64, v80
	v_add_f32_e32 v51, v51, v55
	v_add_f32_e32 v51, v54, v51
	;; [unrolled: 1-line block ×4, first 2 shown]
	v_sub_f32_e32 v55, v54, v113
	v_mul_f32_e32 v51, v103, v51
	v_sub_f32_e32 v55, v112, v55
	v_add_f32_e32 v51, v55, v51
	v_add_f32_e32 v65, v54, v51
	v_mul_f32_e32 v70, v65, v65
	v_mov_b32_e32 v55, 0x3ecc95a3
	v_fmac_f32_e32 v55, 0x3e9b6dac, v70
	v_sub_f32_e32 v54, v65, v54
	v_fmaak_f32 v55, v70, v55, 0x3f2aaada
	v_sub_f32_e32 v51, v51, v54
	v_ldexp_f32 v71, v65, 1
	v_mul_f32_e32 v65, v65, v70
	v_mov_b32_e32 v54, 0x3f317218
	v_pk_mul_f32 v[54:55], v[64:65], v[54:55]
	v_ldexp_f32 v51, v51, 1
	v_fma_f32 v65, v64, s8, -v54
	v_fmamk_f32 v70, v64, 0xb102e308, v65
	v_pk_add_f32 v[64:65], v[54:55], v[70:71]
	v_mov_b32_e32 v100, v54
	v_sub_f32_e32 v71, v65, v71
	v_sub_f32_e32 v71, v55, v71
	v_add_f32_e32 v101, v51, v71
	v_pk_add_f32 v[54:55], v[64:65], v[54:55] neg_lo:[0,1] neg_hi:[0,1]
	v_pk_add_f32 v[102:103], v[64:65], v[100:101]
	v_mov_b32_e32 v71, v64
	v_mov_b32_e32 v55, v103
	v_pk_add_f32 v[112:113], v[70:71], v[54:55] neg_lo:[0,1] neg_hi:[0,1]
	v_pk_add_f32 v[54:55], v[70:71], v[54:55]
	v_mov_b32_e32 v100, v101
	v_mov_b32_e32 v70, v55
	v_pk_add_f32 v[114:115], v[70:71], v[64:65] neg_lo:[0,1] neg_hi:[0,1]
	v_mov_b32_e32 v54, v103
	v_mov_b32_e32 v51, v114
	v_pk_add_f32 v[116:117], v[102:103], v[50:51] neg_lo:[0,1] neg_hi:[0,1]
	v_mov_b32_e32 v102, v65
	v_mov_b32_e32 v103, v114
	;; [unrolled: 1-line block ×3, first 2 shown]
	v_pk_add_f32 v[54:55], v[54:55], v[102:103] neg_lo:[0,1] neg_hi:[0,1]
	v_mov_b32_e32 v101, v64
	v_pk_add_f32 v[54:55], v[100:101], v[54:55] neg_lo:[0,1] neg_hi:[0,1]
	v_mov_b32_e32 v116, v112
	v_pk_add_f32 v[64:65], v[116:117], v[54:55]
	s_mov_b32 s8, 0x33800000
	v_mov_b32_e32 v80, v65
	v_pk_add_f32 v[100:101], v[64:65], v[80:81]
	v_cmp_lt_f32_e64 s[8:9], |v99|, s8
	v_pk_add_f32 v[70:71], v[70:71], v[100:101]
	v_mov_b32_e32 v55, v100
	v_mov_b32_e32 v65, v70
	v_pk_add_f32 v[102:103], v[64:65], v[112:113] neg_lo:[0,1] neg_hi:[0,1]
	s_or_b64 vcc, vcc, s[8:9]
	v_sub_f32_e32 v51, v64, v102
	v_pk_add_f32 v[54:55], v[54:55], v[102:103] neg_lo:[0,1] neg_hi:[0,1]
	v_sub_f32_e32 v51, v112, v51
	v_add_f32_e32 v51, v54, v51
	v_add_f32_e32 v51, v51, v55
	v_add_f32_e32 v51, v70, v51
	v_cndmask_b32_e32 v51, v51, v99, vcc
	v_add_f32_e32 v51, v53, v51
	v_cvt_f16_f32_e32 v99, v51
	v_cvt_f32_f16_e32 v100, v99
	v_mov_b32_e32 v51, v99
.LBB388_248:
	s_or_b64 exec, exec, s[6:7]
	v_max_f32_e32 v53, v81, v81
	v_max_f32_e32 v55, v100, v100
	v_min_f32_e32 v54, v55, v53
	v_cmp_u_f16_e32 vcc, v99, v99
	v_max_f32_e32 v53, v55, v53
	s_movk_i32 s8, 0x1f8
	v_cndmask_b32_e32 v54, v54, v100, vcc
	v_cndmask_b32_e32 v53, v53, v100, vcc
	v_cndmask_b32_e64 v54, v54, v81, s[34:35]
	v_cndmask_b32_e64 v53, v53, v81, s[34:35]
	v_cmp_neq_f32_e32 vcc, v54, v53
	v_cmp_class_f32_e64 s[6:7], v54, s8
	s_or_b64 s[10:11], vcc, s[6:7]
	v_mov_b32_e32 v70, v51
	s_and_saveexec_b64 s[6:7], s[10:11]
	s_cbranch_execz .LBB388_250
; %bb.249:
	v_sub_f32_e32 v54, v54, v53
	s_mov_b32 s9, 0x3fb8aa3b
	v_mul_f32_e32 v55, 0x3fb8aa3b, v54
	v_fma_f32 v64, v54, s9, -v55
	v_rndne_f32_e32 v65, v55
	v_fmamk_f32 v64, v54, 0x32a5705f, v64
	v_sub_f32_e32 v55, v55, v65
	v_add_f32_e32 v55, v55, v64
	v_exp_f32_e32 v55, v55
	v_cvt_i32_f32_e32 v64, v65
	s_mov_b32 s9, 0xc2ce8ed0
	v_cmp_ngt_f32_e32 vcc, s9, v54
	s_mov_b32 s9, 0x42b17218
	v_ldexp_f32 v55, v55, v64
	v_cndmask_b32_e32 v55, 0, v55, vcc
	v_mov_b32_e32 v64, 0x7f800000
	v_cmp_nlt_f32_e32 vcc, s9, v54
	s_mov_b32 s9, 0x3f2aaaab
	s_mov_b32 s10, 0x7f800000
	v_cndmask_b32_e32 v99, v64, v55, vcc
	v_add_f32_e32 v64, 1.0, v99
	v_add_f32_e32 v54, -1.0, v64
	v_sub_f32_e32 v55, v54, v64
	v_add_f32_e32 v55, 1.0, v55
	v_sub_f32_e32 v54, v99, v54
	v_add_f32_e32 v65, v54, v55
	v_frexp_mant_f32_e32 v70, v64
	v_cvt_f64_f32_e32 v[54:55], v64
	v_frexp_exp_i32_f64_e32 v54, v[54:55]
	v_cmp_gt_f32_e32 vcc, s9, v70
	s_mov_b32 s9, 0x3f317218
	s_nop 0
	v_subbrev_co_u32_e32 v100, vcc, 0, v54, vcc
	v_sub_u32_e32 v54, 0, v100
	v_ldexp_f32 v55, v64, v54
	v_add_f32_e32 v64, -1.0, v55
	v_add_f32_e32 v70, 1.0, v55
	v_ldexp_f32 v54, v65, v54
	v_add_f32_e32 v65, 1.0, v64
	v_add_f32_e32 v71, -1.0, v70
	v_sub_f32_e32 v65, v55, v65
	v_sub_f32_e32 v55, v55, v71
	v_add_f32_e32 v65, v54, v65
	v_add_f32_e32 v54, v54, v55
	;; [unrolled: 1-line block ×3, first 2 shown]
	v_rcp_f32_e32 v103, v101
	v_sub_f32_e32 v55, v70, v101
	v_add_f32_e32 v102, v54, v55
	v_add_f32_e32 v55, v64, v65
	v_mul_f32_e32 v113, v55, v103
	v_sub_f32_e32 v54, v64, v55
	v_mul_f32_e32 v64, v101, v113
	v_fma_f32 v70, v113, v101, -v64
	v_fmac_f32_e32 v70, v113, v102
	v_add_f32_e32 v112, v65, v54
	v_add_f32_e32 v54, v64, v70
	v_sub_f32_e32 v65, v55, v54
	v_pk_add_f32 v[80:81], v[54:55], v[64:65] neg_lo:[0,1] neg_hi:[0,1]
	v_mov_b32_e32 v71, v54
	v_pk_add_f32 v[54:55], v[80:81], v[70:71] neg_lo:[0,1] neg_hi:[0,1]
	v_cmp_eq_f32_e32 vcc, s10, v99
	v_add_f32_e32 v55, v112, v55
	v_add_f32_e32 v54, v54, v55
	;; [unrolled: 1-line block ×3, first 2 shown]
	v_mul_f32_e32 v112, v103, v55
	v_mul_f32_e32 v64, v101, v112
	v_fma_f32 v70, v112, v101, -v64
	v_fmac_f32_e32 v70, v112, v102
	v_sub_f32_e32 v65, v65, v55
	v_add_f32_e32 v101, v54, v65
	v_add_f32_e32 v54, v64, v70
	v_sub_f32_e32 v65, v55, v54
	v_pk_add_f32 v[80:81], v[54:55], v[64:65] neg_lo:[0,1] neg_hi:[0,1]
	v_mov_b32_e32 v71, v54
	v_pk_add_f32 v[54:55], v[80:81], v[70:71] neg_lo:[0,1] neg_hi:[0,1]
	v_cvt_f32_i32_e32 v64, v100
	v_add_f32_e32 v55, v101, v55
	v_add_f32_e32 v54, v54, v55
	;; [unrolled: 1-line block ×4, first 2 shown]
	v_sub_f32_e32 v55, v65, v113
	v_mul_f32_e32 v54, v103, v54
	v_sub_f32_e32 v55, v112, v55
	v_add_f32_e32 v54, v55, v54
	v_add_f32_e32 v70, v65, v54
	v_mul_f32_e32 v80, v70, v70
	v_mov_b32_e32 v55, 0x3ecc95a3
	v_sub_f32_e32 v65, v70, v65
	v_fmac_f32_e32 v55, 0x3e9b6dac, v80
	v_sub_f32_e32 v54, v54, v65
	v_fmaak_f32 v55, v80, v55, 0x3f2aaada
	v_ldexp_f32 v81, v54, 1
	v_mul_f32_e32 v65, v70, v80
	v_mov_b32_e32 v54, 0x3f317218
	v_pk_mul_f32 v[54:55], v[64:65], v[54:55]
	v_ldexp_f32 v71, v70, 1
	v_fma_f32 v65, v64, s9, -v54
	v_fmamk_f32 v70, v64, 0xb102e308, v65
	v_pk_add_f32 v[64:65], v[54:55], v[70:71]
	v_mov_b32_e32 v80, v54
	v_sub_f32_e32 v71, v65, v71
	v_sub_f32_e32 v71, v55, v71
	v_add_f32_e32 v81, v81, v71
	v_pk_add_f32 v[54:55], v[64:65], v[54:55] neg_lo:[0,1] neg_hi:[0,1]
	v_pk_add_f32 v[100:101], v[64:65], v[80:81]
	v_mov_b32_e32 v71, v64
	v_mov_b32_e32 v55, v101
	v_pk_add_f32 v[102:103], v[70:71], v[54:55] neg_lo:[0,1] neg_hi:[0,1]
	v_pk_add_f32 v[54:55], v[70:71], v[54:55]
	v_mov_b32_e32 v80, v81
	v_mov_b32_e32 v70, v55
	v_pk_add_f32 v[112:113], v[70:71], v[64:65] neg_lo:[0,1] neg_hi:[0,1]
	v_mov_b32_e32 v54, v101
	v_mov_b32_e32 v71, v112
	v_pk_add_f32 v[114:115], v[100:101], v[70:71] neg_lo:[0,1] neg_hi:[0,1]
	v_mov_b32_e32 v100, v65
	v_mov_b32_e32 v101, v112
	v_mov_b32_e32 v103, v55
	v_pk_add_f32 v[54:55], v[54:55], v[100:101] neg_lo:[0,1] neg_hi:[0,1]
	v_mov_b32_e32 v81, v64
	v_pk_add_f32 v[54:55], v[80:81], v[54:55] neg_lo:[0,1] neg_hi:[0,1]
	v_mov_b32_e32 v114, v102
	v_pk_add_f32 v[64:65], v[114:115], v[54:55]
	s_mov_b32 s9, 0x33800000
	v_mov_b32_e32 v80, v65
	v_pk_add_f32 v[80:81], v[64:65], v[80:81]
	v_cmp_lt_f32_e64 s[10:11], |v99|, s9
	v_pk_add_f32 v[70:71], v[70:71], v[80:81]
	v_mov_b32_e32 v55, v80
	v_mov_b32_e32 v65, v70
	v_pk_add_f32 v[100:101], v[64:65], v[102:103] neg_lo:[0,1] neg_hi:[0,1]
	s_or_b64 vcc, vcc, s[10:11]
	v_sub_f32_e32 v64, v64, v100
	v_pk_add_f32 v[54:55], v[54:55], v[100:101] neg_lo:[0,1] neg_hi:[0,1]
	v_sub_f32_e32 v64, v102, v64
	v_add_f32_e32 v54, v54, v64
	v_add_f32_e32 v54, v54, v55
	;; [unrolled: 1-line block ×3, first 2 shown]
	v_cndmask_b32_e32 v54, v54, v99, vcc
	v_add_f32_e32 v53, v53, v54
	v_cvt_f16_f32_e32 v99, v53
	v_cvt_f32_f16_e32 v100, v99
	v_mov_b32_e32 v70, v99
.LBB388_250:
	s_or_b64 exec, exec, s[6:7]
	v_max_f32_e32 v53, v82, v82
	v_max_f32_e32 v54, v100, v100
	v_min_f32_e32 v55, v54, v53
	v_cmp_u_f16_e32 vcc, v99, v99
	v_max_f32_e32 v53, v54, v53
	s_nop 0
	v_cndmask_b32_e32 v55, v55, v100, vcc
	v_cndmask_b32_e32 v53, v53, v100, vcc
	v_cndmask_b32_e64 v55, v55, v82, s[36:37]
	v_cndmask_b32_e64 v54, v53, v82, s[36:37]
	v_cmp_neq_f32_e32 vcc, v55, v54
	v_cmp_class_f32_e64 s[6:7], v55, s8
	s_or_b64 s[8:9], vcc, s[6:7]
	v_mov_b32_e32 v53, v70
	s_and_saveexec_b64 s[6:7], s[8:9]
	s_cbranch_execz .LBB388_252
; %bb.251:
	v_sub_f32_e32 v53, v55, v54
	s_mov_b32 s8, 0x3fb8aa3b
	v_mul_f32_e32 v55, 0x3fb8aa3b, v53
	v_fma_f32 v64, v53, s8, -v55
	v_rndne_f32_e32 v65, v55
	v_fmamk_f32 v64, v53, 0x32a5705f, v64
	v_sub_f32_e32 v55, v55, v65
	v_add_f32_e32 v55, v55, v64
	v_exp_f32_e32 v55, v55
	v_cvt_i32_f32_e32 v64, v65
	s_mov_b32 s8, 0xc2ce8ed0
	v_cmp_ngt_f32_e32 vcc, s8, v53
	s_mov_b32 s8, 0x42b17218
	v_ldexp_f32 v55, v55, v64
	v_cndmask_b32_e32 v55, 0, v55, vcc
	v_mov_b32_e32 v64, 0x7f800000
	v_cmp_nlt_f32_e32 vcc, s8, v53
	s_mov_b32 s8, 0x3f2aaaab
	s_mov_b32 s9, 0x7f800000
	v_cndmask_b32_e32 v55, v64, v55, vcc
	v_add_f32_e32 v53, 1.0, v55
	v_add_f32_e32 v64, -1.0, v53
	v_sub_f32_e32 v65, v64, v53
	v_add_f32_e32 v65, 1.0, v65
	v_sub_f32_e32 v64, v55, v64
	v_add_f32_e32 v71, v64, v65
	v_frexp_mant_f32_e32 v80, v53
	v_cvt_f64_f32_e32 v[64:65], v53
	v_frexp_exp_i32_f64_e32 v64, v[64:65]
	v_cmp_gt_f32_e32 vcc, s8, v80
	s_mov_b32 s8, 0x3f317218
	s_nop 0
	v_subbrev_co_u32_e32 v82, vcc, 0, v64, vcc
	v_sub_u32_e32 v64, 0, v82
	v_ldexp_f32 v53, v53, v64
	v_ldexp_f32 v64, v71, v64
	v_add_f32_e32 v71, -1.0, v53
	v_add_f32_e32 v65, 1.0, v71
	v_sub_f32_e32 v65, v53, v65
	v_add_f32_e32 v80, v64, v65
	v_add_f32_e32 v65, 1.0, v53
	v_add_f32_e32 v81, -1.0, v65
	v_sub_f32_e32 v53, v53, v81
	v_add_f32_e32 v53, v64, v53
	v_add_f32_e32 v99, v65, v53
	v_rcp_f32_e32 v112, v99
	v_sub_f32_e32 v64, v65, v99
	v_add_f32_e32 v65, v71, v80
	v_add_f32_e32 v53, v53, v64
	v_sub_f32_e32 v64, v71, v65
	v_mul_f32_e32 v113, v65, v112
	v_add_f32_e32 v71, v80, v64
	v_mul_f32_e32 v80, v99, v113
	v_fma_f32 v100, v113, v99, -v80
	v_fmac_f32_e32 v100, v113, v53
	v_add_f32_e32 v64, v80, v100
	v_sub_f32_e32 v81, v65, v64
	v_pk_add_f32 v[102:103], v[64:65], v[80:81] neg_lo:[0,1] neg_hi:[0,1]
	v_mov_b32_e32 v101, v64
	v_pk_add_f32 v[64:65], v[102:103], v[100:101] neg_lo:[0,1] neg_hi:[0,1]
	v_cmp_eq_f32_e32 vcc, s9, v55
	v_add_f32_e32 v65, v71, v65
	v_add_f32_e32 v64, v64, v65
	;; [unrolled: 1-line block ×3, first 2 shown]
	v_mul_f32_e32 v71, v112, v65
	v_mul_f32_e32 v80, v99, v71
	v_fma_f32 v100, v71, v99, -v80
	v_fmac_f32_e32 v100, v71, v53
	v_sub_f32_e32 v53, v81, v65
	v_add_f32_e32 v53, v64, v53
	v_add_f32_e32 v64, v80, v100
	v_sub_f32_e32 v81, v65, v64
	v_pk_add_f32 v[102:103], v[64:65], v[80:81] neg_lo:[0,1] neg_hi:[0,1]
	v_mov_b32_e32 v101, v64
	v_pk_add_f32 v[64:65], v[102:103], v[100:101] neg_lo:[0,1] neg_hi:[0,1]
	v_cvt_f32_i32_e32 v80, v82
	v_add_f32_e32 v53, v53, v65
	v_add_f32_e32 v53, v64, v53
	v_add_f32_e32 v64, v113, v71
	v_add_f32_e32 v53, v81, v53
	v_sub_f32_e32 v65, v64, v113
	v_mul_f32_e32 v53, v112, v53
	v_sub_f32_e32 v65, v71, v65
	v_add_f32_e32 v53, v65, v53
	v_add_f32_e32 v71, v64, v53
	v_mul_f32_e32 v81, v71, v71
	v_mov_b32_e32 v65, 0x3ecc95a3
	v_fmac_f32_e32 v65, 0x3e9b6dac, v81
	v_sub_f32_e32 v64, v71, v64
	v_fmaak_f32 v65, v81, v65, 0x3f2aaada
	v_sub_f32_e32 v53, v53, v64
	v_mul_f32_e32 v81, v71, v81
	v_mov_b32_e32 v64, 0x3f317218
	v_pk_mul_f32 v[64:65], v[80:81], v[64:65]
	v_ldexp_f32 v101, v71, 1
	v_fma_f32 v71, v80, s8, -v64
	v_fmamk_f32 v100, v80, 0xb102e308, v71
	v_pk_add_f32 v[80:81], v[64:65], v[100:101]
	v_ldexp_f32 v53, v53, 1
	v_sub_f32_e32 v71, v81, v101
	v_sub_f32_e32 v71, v65, v71
	v_add_f32_e32 v103, v53, v71
	v_mov_b32_e32 v102, v64
	v_pk_add_f32 v[64:65], v[80:81], v[64:65] neg_lo:[0,1] neg_hi:[0,1]
	v_pk_add_f32 v[112:113], v[80:81], v[102:103]
	v_mov_b32_e32 v101, v80
	v_mov_b32_e32 v65, v113
	v_pk_add_f32 v[114:115], v[100:101], v[64:65] neg_lo:[0,1] neg_hi:[0,1]
	v_pk_add_f32 v[64:65], v[100:101], v[64:65]
	s_mov_b32 s8, 0x33800000
	v_mov_b32_e32 v82, v65
	v_pk_add_f32 v[100:101], v[82:83], v[80:81] neg_lo:[0,1] neg_hi:[0,1]
	v_mov_b32_e32 v64, v113
	v_mov_b32_e32 v53, v100
	v_pk_add_f32 v[116:117], v[112:113], v[52:53] neg_lo:[0,1] neg_hi:[0,1]
	v_mov_b32_e32 v112, v81
	v_mov_b32_e32 v113, v100
	;; [unrolled: 1-line block ×3, first 2 shown]
	v_pk_add_f32 v[64:65], v[64:65], v[112:113] neg_lo:[0,1] neg_hi:[0,1]
	v_mov_b32_e32 v100, v103
	v_mov_b32_e32 v101, v80
	v_pk_add_f32 v[64:65], v[100:101], v[64:65] neg_lo:[0,1] neg_hi:[0,1]
	v_mov_b32_e32 v116, v114
	v_pk_add_f32 v[80:81], v[116:117], v[64:65]
	v_cmp_lt_f32_e64 s[8:9], |v55|, s8
	v_mov_b32_e32 v100, v81
	v_pk_add_f32 v[100:101], v[80:81], v[100:101]
	s_or_b64 vcc, vcc, s[8:9]
	v_pk_add_f32 v[102:103], v[82:83], v[100:101]
	v_mov_b32_e32 v65, v100
	v_mov_b32_e32 v81, v102
	v_pk_add_f32 v[112:113], v[80:81], v[114:115] neg_lo:[0,1] neg_hi:[0,1]
	s_nop 0
	v_sub_f32_e32 v53, v80, v112
	v_pk_add_f32 v[64:65], v[64:65], v[112:113] neg_lo:[0,1] neg_hi:[0,1]
	v_sub_f32_e32 v53, v114, v53
	v_add_f32_e32 v53, v64, v53
	v_add_f32_e32 v53, v53, v65
	;; [unrolled: 1-line block ×3, first 2 shown]
	v_cndmask_b32_e32 v53, v53, v55, vcc
	v_add_f32_e32 v53, v54, v53
	v_cvt_f16_f32_e32 v99, v53
	v_cvt_f32_f16_e32 v100, v99
	v_mov_b32_e32 v53, v99
.LBB388_252:
	s_or_b64 exec, exec, s[6:7]
	v_max_f32_e32 v54, v83, v83
	v_max_f32_e32 v64, v100, v100
	v_min_f32_e32 v55, v64, v54
	v_cmp_u_f16_e32 vcc, v99, v99
	v_max_f32_e32 v54, v64, v54
	s_movk_i32 s8, 0x1f8
	v_cndmask_b32_e32 v55, v55, v100, vcc
	v_cndmask_b32_e32 v54, v54, v100, vcc
	v_cndmask_b32_e64 v55, v55, v83, s[38:39]
	v_cndmask_b32_e64 v54, v54, v83, s[38:39]
	v_cmp_neq_f32_e32 vcc, v55, v54
	v_cmp_class_f32_e64 s[6:7], v55, s8
	s_or_b64 s[10:11], vcc, s[6:7]
	v_mov_b32_e32 v71, v53
	s_and_saveexec_b64 s[6:7], s[10:11]
	s_cbranch_execz .LBB388_254
; %bb.253:
	v_sub_f32_e32 v55, v55, v54
	s_mov_b32 s9, 0x3fb8aa3b
	v_mul_f32_e32 v64, 0x3fb8aa3b, v55
	v_fma_f32 v65, v55, s9, -v64
	v_rndne_f32_e32 v71, v64
	v_fmamk_f32 v65, v55, 0x32a5705f, v65
	v_sub_f32_e32 v64, v64, v71
	v_add_f32_e32 v64, v64, v65
	v_exp_f32_e32 v64, v64
	v_cvt_i32_f32_e32 v65, v71
	s_mov_b32 s9, 0xc2ce8ed0
	v_cmp_ngt_f32_e32 vcc, s9, v55
	s_mov_b32 s9, 0x42b17218
	v_ldexp_f32 v64, v64, v65
	v_cndmask_b32_e32 v64, 0, v64, vcc
	v_mov_b32_e32 v65, 0x7f800000
	v_cmp_nlt_f32_e32 vcc, s9, v55
	s_mov_b32 s9, 0x3f2aaaab
	s_mov_b32 s10, 0x7f800000
	v_cndmask_b32_e32 v71, v65, v64, vcc
	v_add_f32_e32 v55, 1.0, v71
	v_add_f32_e32 v64, -1.0, v55
	v_sub_f32_e32 v65, v64, v55
	v_add_f32_e32 v65, 1.0, v65
	v_sub_f32_e32 v64, v71, v64
	v_add_f32_e32 v80, v64, v65
	v_frexp_mant_f32_e32 v81, v55
	v_cvt_f64_f32_e32 v[64:65], v55
	v_frexp_exp_i32_f64_e32 v64, v[64:65]
	v_cmp_gt_f32_e32 vcc, s9, v81
	s_mov_b32 s9, 0x3f317218
	s_nop 0
	v_subbrev_co_u32_e32 v99, vcc, 0, v64, vcc
	v_sub_u32_e32 v64, 0, v99
	v_ldexp_f32 v55, v55, v64
	v_ldexp_f32 v64, v80, v64
	v_add_f32_e32 v80, -1.0, v55
	v_add_f32_e32 v65, 1.0, v80
	v_sub_f32_e32 v65, v55, v65
	v_add_f32_e32 v81, v64, v65
	v_add_f32_e32 v65, 1.0, v55
	v_add_f32_e32 v82, -1.0, v65
	v_sub_f32_e32 v55, v55, v82
	v_add_f32_e32 v55, v64, v55
	v_add_f32_e32 v102, v65, v55
	v_rcp_f32_e32 v103, v102
	v_sub_f32_e32 v64, v65, v102
	v_add_f32_e32 v65, v80, v81
	v_add_f32_e32 v55, v55, v64
	v_mul_f32_e32 v113, v65, v103
	v_sub_f32_e32 v64, v80, v65
	v_mul_f32_e32 v80, v102, v113
	v_fma_f32 v82, v113, v102, -v80
	v_fmac_f32_e32 v82, v113, v55
	v_add_f32_e32 v112, v81, v64
	v_add_f32_e32 v64, v80, v82
	v_sub_f32_e32 v81, v65, v64
	v_pk_add_f32 v[100:101], v[64:65], v[80:81] neg_lo:[0,1] neg_hi:[0,1]
	v_mov_b32_e32 v83, v64
	v_pk_add_f32 v[64:65], v[100:101], v[82:83] neg_lo:[0,1] neg_hi:[0,1]
	v_cmp_eq_f32_e32 vcc, s10, v71
	v_add_f32_e32 v65, v112, v65
	v_add_f32_e32 v64, v64, v65
	;; [unrolled: 1-line block ×3, first 2 shown]
	v_mul_f32_e32 v112, v103, v65
	v_mul_f32_e32 v80, v102, v112
	v_fma_f32 v82, v112, v102, -v80
	v_fmac_f32_e32 v82, v112, v55
	v_sub_f32_e32 v55, v81, v65
	v_add_f32_e32 v55, v64, v55
	v_add_f32_e32 v64, v80, v82
	v_sub_f32_e32 v81, v65, v64
	v_pk_add_f32 v[100:101], v[64:65], v[80:81] neg_lo:[0,1] neg_hi:[0,1]
	v_mov_b32_e32 v83, v64
	v_pk_add_f32 v[64:65], v[100:101], v[82:83] neg_lo:[0,1] neg_hi:[0,1]
	v_cvt_f32_i32_e32 v80, v99
	v_add_f32_e32 v55, v55, v65
	v_add_f32_e32 v55, v64, v55
	;; [unrolled: 1-line block ×4, first 2 shown]
	v_sub_f32_e32 v65, v64, v113
	v_mul_f32_e32 v55, v103, v55
	v_sub_f32_e32 v65, v112, v65
	v_add_f32_e32 v55, v65, v55
	v_add_f32_e32 v81, v64, v55
	v_mul_f32_e32 v82, v81, v81
	v_mov_b32_e32 v65, 0x3ecc95a3
	v_fmac_f32_e32 v65, 0x3e9b6dac, v82
	v_sub_f32_e32 v64, v81, v64
	v_fmaak_f32 v65, v82, v65, 0x3f2aaada
	v_sub_f32_e32 v55, v55, v64
	v_ldexp_f32 v83, v81, 1
	v_mul_f32_e32 v81, v81, v82
	v_mov_b32_e32 v64, 0x3f317218
	v_pk_mul_f32 v[64:65], v[80:81], v[64:65]
	v_ldexp_f32 v55, v55, 1
	v_fma_f32 v81, v80, s9, -v64
	v_fmamk_f32 v82, v80, 0xb102e308, v81
	v_pk_add_f32 v[80:81], v[64:65], v[82:83]
	v_mov_b32_e32 v100, v64
	v_sub_f32_e32 v83, v81, v83
	v_sub_f32_e32 v83, v65, v83
	v_add_f32_e32 v101, v55, v83
	v_pk_add_f32 v[64:65], v[80:81], v[64:65] neg_lo:[0,1] neg_hi:[0,1]
	v_pk_add_f32 v[102:103], v[80:81], v[100:101]
	v_mov_b32_e32 v83, v80
	v_mov_b32_e32 v65, v103
	v_pk_add_f32 v[112:113], v[82:83], v[64:65] neg_lo:[0,1] neg_hi:[0,1]
	v_pk_add_f32 v[64:65], v[82:83], v[64:65]
	v_mov_b32_e32 v100, v101
	v_mov_b32_e32 v82, v65
	v_pk_add_f32 v[114:115], v[82:83], v[80:81] neg_lo:[0,1] neg_hi:[0,1]
	v_mov_b32_e32 v64, v103
	v_mov_b32_e32 v55, v114
	v_pk_add_f32 v[116:117], v[102:103], v[54:55] neg_lo:[0,1] neg_hi:[0,1]
	v_mov_b32_e32 v102, v81
	v_mov_b32_e32 v103, v114
	;; [unrolled: 1-line block ×3, first 2 shown]
	v_pk_add_f32 v[64:65], v[64:65], v[102:103] neg_lo:[0,1] neg_hi:[0,1]
	v_mov_b32_e32 v101, v80
	v_pk_add_f32 v[64:65], v[100:101], v[64:65] neg_lo:[0,1] neg_hi:[0,1]
	v_mov_b32_e32 v116, v112
	v_pk_add_f32 v[80:81], v[116:117], v[64:65]
	s_mov_b32 s9, 0x33800000
	v_mov_b32_e32 v100, v81
	v_pk_add_f32 v[100:101], v[80:81], v[100:101]
	v_cmp_lt_f32_e64 s[10:11], |v71|, s9
	v_pk_add_f32 v[82:83], v[82:83], v[100:101]
	v_mov_b32_e32 v65, v100
	v_mov_b32_e32 v81, v82
	v_pk_add_f32 v[102:103], v[80:81], v[112:113] neg_lo:[0,1] neg_hi:[0,1]
	s_or_b64 vcc, vcc, s[10:11]
	v_sub_f32_e32 v55, v80, v102
	v_pk_add_f32 v[64:65], v[64:65], v[102:103] neg_lo:[0,1] neg_hi:[0,1]
	v_sub_f32_e32 v55, v112, v55
	v_add_f32_e32 v55, v64, v55
	v_add_f32_e32 v55, v55, v65
	v_add_f32_e32 v55, v82, v55
	v_cndmask_b32_e32 v55, v55, v71, vcc
	v_add_f32_e32 v54, v54, v55
	v_cvt_f16_f32_e32 v99, v54
	v_cvt_f32_f16_e32 v100, v99
	v_mov_b32_e32 v71, v99
.LBB388_254:
	s_or_b64 exec, exec, s[6:7]
	v_max_f32_e32 v54, v84, v84
	v_max_f32_e32 v55, v100, v100
	v_min_f32_e32 v64, v55, v54
	v_cmp_u_f16_e32 vcc, v99, v99
	v_max_f32_e32 v54, v55, v54
	s_nop 0
	v_cndmask_b32_e32 v64, v64, v100, vcc
	v_cndmask_b32_e32 v54, v54, v100, vcc
	v_cndmask_b32_e64 v64, v64, v84, s[40:41]
	v_cndmask_b32_e64 v55, v54, v84, s[40:41]
	v_cmp_neq_f32_e32 vcc, v64, v55
	v_cmp_class_f32_e64 s[6:7], v64, s8
	s_or_b64 s[8:9], vcc, s[6:7]
	v_mov_b32_e32 v54, v71
	s_and_saveexec_b64 s[6:7], s[8:9]
	s_cbranch_execz .LBB388_256
; %bb.255:
	v_sub_f32_e32 v54, v64, v55
	s_mov_b32 s8, 0x3fb8aa3b
	v_mul_f32_e32 v64, 0x3fb8aa3b, v54
	v_fma_f32 v65, v54, s8, -v64
	v_rndne_f32_e32 v80, v64
	v_fmamk_f32 v65, v54, 0x32a5705f, v65
	v_sub_f32_e32 v64, v64, v80
	v_add_f32_e32 v64, v64, v65
	v_exp_f32_e32 v64, v64
	v_cvt_i32_f32_e32 v65, v80
	s_mov_b32 s8, 0xc2ce8ed0
	v_cmp_ngt_f32_e32 vcc, s8, v54
	s_mov_b32 s8, 0x42b17218
	v_ldexp_f32 v64, v64, v65
	v_cndmask_b32_e32 v64, 0, v64, vcc
	v_mov_b32_e32 v65, 0x7f800000
	v_cmp_nlt_f32_e32 vcc, s8, v54
	s_mov_b32 s8, 0x3f2aaaab
	s_mov_b32 s9, 0x7f800000
	v_cndmask_b32_e32 v84, v65, v64, vcc
	v_add_f32_e32 v54, 1.0, v84
	v_add_f32_e32 v64, -1.0, v54
	v_sub_f32_e32 v65, v64, v54
	v_add_f32_e32 v65, 1.0, v65
	v_sub_f32_e32 v64, v84, v64
	v_add_f32_e32 v80, v64, v65
	v_frexp_mant_f32_e32 v81, v54
	v_cvt_f64_f32_e32 v[64:65], v54
	v_frexp_exp_i32_f64_e32 v64, v[64:65]
	v_cmp_gt_f32_e32 vcc, s8, v81
	s_mov_b32 s8, 0x3f317218
	s_nop 0
	v_subbrev_co_u32_e32 v99, vcc, 0, v64, vcc
	v_sub_u32_e32 v64, 0, v99
	v_ldexp_f32 v54, v54, v64
	v_ldexp_f32 v64, v80, v64
	v_add_f32_e32 v80, -1.0, v54
	v_add_f32_e32 v65, 1.0, v80
	v_sub_f32_e32 v65, v54, v65
	v_add_f32_e32 v81, v64, v65
	v_add_f32_e32 v65, 1.0, v54
	v_add_f32_e32 v82, -1.0, v65
	v_sub_f32_e32 v54, v54, v82
	v_add_f32_e32 v54, v64, v54
	v_add_f32_e32 v102, v65, v54
	v_rcp_f32_e32 v103, v102
	v_sub_f32_e32 v64, v65, v102
	v_add_f32_e32 v65, v80, v81
	v_add_f32_e32 v54, v54, v64
	v_mul_f32_e32 v113, v65, v103
	v_sub_f32_e32 v64, v80, v65
	v_mul_f32_e32 v80, v102, v113
	v_fma_f32 v82, v113, v102, -v80
	v_fmac_f32_e32 v82, v113, v54
	v_add_f32_e32 v112, v81, v64
	v_add_f32_e32 v64, v80, v82
	v_sub_f32_e32 v81, v65, v64
	v_pk_add_f32 v[100:101], v[64:65], v[80:81] neg_lo:[0,1] neg_hi:[0,1]
	v_mov_b32_e32 v83, v64
	v_pk_add_f32 v[64:65], v[100:101], v[82:83] neg_lo:[0,1] neg_hi:[0,1]
	v_cmp_eq_f32_e32 vcc, s9, v84
	v_add_f32_e32 v65, v112, v65
	v_add_f32_e32 v64, v64, v65
	;; [unrolled: 1-line block ×3, first 2 shown]
	v_mul_f32_e32 v112, v103, v65
	v_mul_f32_e32 v80, v102, v112
	v_fma_f32 v82, v112, v102, -v80
	v_fmac_f32_e32 v82, v112, v54
	v_sub_f32_e32 v54, v81, v65
	v_add_f32_e32 v54, v64, v54
	v_add_f32_e32 v64, v80, v82
	v_sub_f32_e32 v81, v65, v64
	v_pk_add_f32 v[100:101], v[64:65], v[80:81] neg_lo:[0,1] neg_hi:[0,1]
	v_mov_b32_e32 v83, v64
	v_pk_add_f32 v[64:65], v[100:101], v[82:83] neg_lo:[0,1] neg_hi:[0,1]
	v_cvt_f32_i32_e32 v80, v99
	v_add_f32_e32 v54, v54, v65
	v_add_f32_e32 v54, v64, v54
	;; [unrolled: 1-line block ×4, first 2 shown]
	v_sub_f32_e32 v65, v64, v113
	v_mul_f32_e32 v54, v103, v54
	v_sub_f32_e32 v65, v112, v65
	v_add_f32_e32 v54, v65, v54
	v_add_f32_e32 v81, v64, v54
	v_mul_f32_e32 v82, v81, v81
	v_mov_b32_e32 v65, 0x3ecc95a3
	v_fmac_f32_e32 v65, 0x3e9b6dac, v82
	v_sub_f32_e32 v64, v81, v64
	v_fmaak_f32 v65, v82, v65, 0x3f2aaada
	v_sub_f32_e32 v54, v54, v64
	v_ldexp_f32 v83, v81, 1
	v_mul_f32_e32 v81, v81, v82
	v_mov_b32_e32 v64, 0x3f317218
	v_pk_mul_f32 v[64:65], v[80:81], v[64:65]
	v_ldexp_f32 v54, v54, 1
	v_fma_f32 v81, v80, s8, -v64
	v_fmamk_f32 v82, v80, 0xb102e308, v81
	v_pk_add_f32 v[80:81], v[64:65], v[82:83]
	v_mov_b32_e32 v100, v64
	v_sub_f32_e32 v83, v81, v83
	v_sub_f32_e32 v83, v65, v83
	v_add_f32_e32 v101, v54, v83
	v_pk_add_f32 v[64:65], v[80:81], v[64:65] neg_lo:[0,1] neg_hi:[0,1]
	v_pk_add_f32 v[102:103], v[80:81], v[100:101]
	v_mov_b32_e32 v83, v80
	v_mov_b32_e32 v65, v103
	v_pk_add_f32 v[112:113], v[82:83], v[64:65] neg_lo:[0,1] neg_hi:[0,1]
	v_pk_add_f32 v[64:65], v[82:83], v[64:65]
	s_mov_b32 s8, 0x33800000
	v_mov_b32_e32 v54, v65
	v_pk_add_f32 v[82:83], v[54:55], v[80:81] neg_lo:[0,1] neg_hi:[0,1]
	v_mov_b32_e32 v64, v103
	v_mov_b32_e32 v83, v82
	v_pk_add_f32 v[114:115], v[102:103], v[82:83] neg_lo:[0,1] neg_hi:[0,1]
	v_mov_b32_e32 v102, v81
	v_mov_b32_e32 v103, v82
	;; [unrolled: 1-line block ×3, first 2 shown]
	v_pk_add_f32 v[64:65], v[64:65], v[102:103] neg_lo:[0,1] neg_hi:[0,1]
	v_mov_b32_e32 v82, v101
	v_mov_b32_e32 v83, v80
	v_pk_add_f32 v[64:65], v[82:83], v[64:65] neg_lo:[0,1] neg_hi:[0,1]
	v_mov_b32_e32 v114, v112
	v_pk_add_f32 v[80:81], v[114:115], v[64:65]
	v_cmp_lt_f32_e64 s[8:9], |v84|, s8
	v_mov_b32_e32 v82, v81
	v_pk_add_f32 v[82:83], v[80:81], v[82:83]
	s_or_b64 vcc, vcc, s[8:9]
	v_pk_add_f32 v[100:101], v[54:55], v[82:83]
	v_mov_b32_e32 v65, v82
	v_mov_b32_e32 v81, v100
	v_pk_add_f32 v[102:103], v[80:81], v[112:113] neg_lo:[0,1] neg_hi:[0,1]
	s_nop 0
	v_sub_f32_e32 v54, v80, v102
	v_pk_add_f32 v[64:65], v[64:65], v[102:103] neg_lo:[0,1] neg_hi:[0,1]
	v_sub_f32_e32 v54, v112, v54
	v_add_f32_e32 v54, v64, v54
	v_add_f32_e32 v54, v54, v65
	;; [unrolled: 1-line block ×3, first 2 shown]
	v_cndmask_b32_e32 v54, v54, v84, vcc
	v_add_f32_e32 v54, v55, v54
	v_cvt_f16_f32_e32 v99, v54
	v_cvt_f32_f16_e32 v100, v99
	v_mov_b32_e32 v54, v99
.LBB388_256:
	s_or_b64 exec, exec, s[6:7]
	v_max_f32_e32 v55, v85, v85
	v_max_f32_e32 v65, v100, v100
	v_min_f32_e32 v64, v65, v55
	v_cmp_u_f16_e32 vcc, v99, v99
	v_max_f32_e32 v55, v65, v55
	s_movk_i32 s8, 0x1f8
	v_cndmask_b32_e32 v64, v64, v100, vcc
	v_cndmask_b32_e32 v55, v55, v100, vcc
	v_cndmask_b32_e64 v64, v64, v85, s[42:43]
	v_cndmask_b32_e64 v55, v55, v85, s[42:43]
	v_cmp_neq_f32_e32 vcc, v64, v55
	v_cmp_class_f32_e64 s[6:7], v64, s8
	s_or_b64 s[10:11], vcc, s[6:7]
	v_mov_b32_e32 v80, v54
	s_and_saveexec_b64 s[6:7], s[10:11]
	s_cbranch_execz .LBB388_258
; %bb.257:
	v_sub_f32_e32 v64, v64, v55
	s_mov_b32 s9, 0x3fb8aa3b
	v_mul_f32_e32 v65, 0x3fb8aa3b, v64
	v_fma_f32 v80, v64, s9, -v65
	v_rndne_f32_e32 v81, v65
	v_fmamk_f32 v80, v64, 0x32a5705f, v80
	v_sub_f32_e32 v65, v65, v81
	v_add_f32_e32 v65, v65, v80
	v_exp_f32_e32 v65, v65
	v_cvt_i32_f32_e32 v80, v81
	s_mov_b32 s9, 0xc2ce8ed0
	v_cmp_ngt_f32_e32 vcc, s9, v64
	s_mov_b32 s9, 0x42b17218
	v_ldexp_f32 v65, v65, v80
	v_cndmask_b32_e32 v65, 0, v65, vcc
	v_mov_b32_e32 v80, 0x7f800000
	v_cmp_nlt_f32_e32 vcc, s9, v64
	s_mov_b32 s9, 0x3f2aaaab
	s_mov_b32 s10, 0x7f800000
	v_cndmask_b32_e32 v99, v80, v65, vcc
	v_add_f32_e32 v80, 1.0, v99
	v_add_f32_e32 v64, -1.0, v80
	v_sub_f32_e32 v65, v64, v80
	v_add_f32_e32 v65, 1.0, v65
	v_sub_f32_e32 v64, v99, v64
	v_add_f32_e32 v81, v64, v65
	v_frexp_mant_f32_e32 v82, v80
	v_cvt_f64_f32_e32 v[64:65], v80
	v_frexp_exp_i32_f64_e32 v64, v[64:65]
	v_cmp_gt_f32_e32 vcc, s9, v82
	s_mov_b32 s9, 0x3f317218
	s_nop 0
	v_subbrev_co_u32_e32 v100, vcc, 0, v64, vcc
	v_sub_u32_e32 v64, 0, v100
	v_ldexp_f32 v65, v80, v64
	v_add_f32_e32 v80, -1.0, v65
	v_add_f32_e32 v82, 1.0, v65
	v_ldexp_f32 v64, v81, v64
	v_add_f32_e32 v81, 1.0, v80
	v_add_f32_e32 v83, -1.0, v82
	v_sub_f32_e32 v81, v65, v81
	v_sub_f32_e32 v65, v65, v83
	v_add_f32_e32 v81, v64, v81
	v_add_f32_e32 v64, v64, v65
	;; [unrolled: 1-line block ×3, first 2 shown]
	v_rcp_f32_e32 v103, v101
	v_sub_f32_e32 v65, v82, v101
	v_add_f32_e32 v102, v64, v65
	v_add_f32_e32 v65, v80, v81
	v_mul_f32_e32 v113, v65, v103
	v_sub_f32_e32 v64, v80, v65
	v_mul_f32_e32 v80, v101, v113
	v_fma_f32 v82, v113, v101, -v80
	v_fmac_f32_e32 v82, v113, v102
	v_add_f32_e32 v112, v81, v64
	v_add_f32_e32 v64, v80, v82
	v_sub_f32_e32 v81, v65, v64
	v_pk_add_f32 v[84:85], v[64:65], v[80:81] neg_lo:[0,1] neg_hi:[0,1]
	v_mov_b32_e32 v83, v64
	v_pk_add_f32 v[64:65], v[84:85], v[82:83] neg_lo:[0,1] neg_hi:[0,1]
	v_cmp_eq_f32_e32 vcc, s10, v99
	v_add_f32_e32 v65, v112, v65
	v_add_f32_e32 v64, v64, v65
	;; [unrolled: 1-line block ×3, first 2 shown]
	v_mul_f32_e32 v112, v103, v65
	v_mul_f32_e32 v80, v101, v112
	v_fma_f32 v82, v112, v101, -v80
	v_fmac_f32_e32 v82, v112, v102
	v_sub_f32_e32 v81, v81, v65
	v_add_f32_e32 v101, v64, v81
	v_add_f32_e32 v64, v80, v82
	v_sub_f32_e32 v81, v65, v64
	v_pk_add_f32 v[84:85], v[64:65], v[80:81] neg_lo:[0,1] neg_hi:[0,1]
	v_mov_b32_e32 v83, v64
	v_pk_add_f32 v[64:65], v[84:85], v[82:83] neg_lo:[0,1] neg_hi:[0,1]
	v_cvt_f32_i32_e32 v80, v100
	v_add_f32_e32 v65, v101, v65
	v_add_f32_e32 v64, v64, v65
	;; [unrolled: 1-line block ×4, first 2 shown]
	v_sub_f32_e32 v65, v81, v113
	v_mul_f32_e32 v64, v103, v64
	v_sub_f32_e32 v65, v112, v65
	v_add_f32_e32 v64, v65, v64
	v_add_f32_e32 v82, v81, v64
	v_mul_f32_e32 v84, v82, v82
	v_mov_b32_e32 v65, 0x3ecc95a3
	v_sub_f32_e32 v81, v82, v81
	v_fmac_f32_e32 v65, 0x3e9b6dac, v84
	v_sub_f32_e32 v64, v64, v81
	v_fmaak_f32 v65, v84, v65, 0x3f2aaada
	v_ldexp_f32 v85, v64, 1
	v_mul_f32_e32 v81, v82, v84
	v_mov_b32_e32 v64, 0x3f317218
	v_pk_mul_f32 v[64:65], v[80:81], v[64:65]
	v_ldexp_f32 v83, v82, 1
	v_fma_f32 v81, v80, s9, -v64
	v_fmamk_f32 v82, v80, 0xb102e308, v81
	v_pk_add_f32 v[80:81], v[64:65], v[82:83]
	v_mov_b32_e32 v84, v64
	v_sub_f32_e32 v83, v81, v83
	v_sub_f32_e32 v83, v65, v83
	v_add_f32_e32 v85, v85, v83
	v_pk_add_f32 v[64:65], v[80:81], v[64:65] neg_lo:[0,1] neg_hi:[0,1]
	v_pk_add_f32 v[100:101], v[80:81], v[84:85]
	v_mov_b32_e32 v83, v80
	v_mov_b32_e32 v65, v101
	v_pk_add_f32 v[102:103], v[82:83], v[64:65] neg_lo:[0,1] neg_hi:[0,1]
	v_pk_add_f32 v[64:65], v[82:83], v[64:65]
	v_mov_b32_e32 v84, v85
	v_mov_b32_e32 v82, v65
	v_pk_add_f32 v[112:113], v[82:83], v[80:81] neg_lo:[0,1] neg_hi:[0,1]
	v_mov_b32_e32 v64, v101
	v_mov_b32_e32 v83, v112
	v_pk_add_f32 v[114:115], v[100:101], v[82:83] neg_lo:[0,1] neg_hi:[0,1]
	v_mov_b32_e32 v100, v81
	v_mov_b32_e32 v101, v112
	;; [unrolled: 1-line block ×3, first 2 shown]
	v_pk_add_f32 v[64:65], v[64:65], v[100:101] neg_lo:[0,1] neg_hi:[0,1]
	v_mov_b32_e32 v85, v80
	v_pk_add_f32 v[64:65], v[84:85], v[64:65] neg_lo:[0,1] neg_hi:[0,1]
	v_mov_b32_e32 v114, v102
	v_pk_add_f32 v[80:81], v[114:115], v[64:65]
	s_mov_b32 s9, 0x33800000
	v_mov_b32_e32 v84, v81
	v_pk_add_f32 v[84:85], v[80:81], v[84:85]
	v_cmp_lt_f32_e64 s[10:11], |v99|, s9
	v_pk_add_f32 v[82:83], v[82:83], v[84:85]
	v_mov_b32_e32 v65, v84
	v_mov_b32_e32 v81, v82
	v_pk_add_f32 v[100:101], v[80:81], v[102:103] neg_lo:[0,1] neg_hi:[0,1]
	s_or_b64 vcc, vcc, s[10:11]
	v_sub_f32_e32 v80, v80, v100
	v_pk_add_f32 v[64:65], v[64:65], v[100:101] neg_lo:[0,1] neg_hi:[0,1]
	v_sub_f32_e32 v80, v102, v80
	v_add_f32_e32 v64, v64, v80
	v_add_f32_e32 v64, v64, v65
	;; [unrolled: 1-line block ×3, first 2 shown]
	v_cndmask_b32_e32 v64, v64, v99, vcc
	v_add_f32_e32 v55, v55, v64
	v_cvt_f16_f32_e32 v99, v55
	v_cvt_f32_f16_e32 v100, v99
	v_mov_b32_e32 v80, v99
.LBB388_258:
	s_or_b64 exec, exec, s[6:7]
	v_max_f32_e32 v55, v86, v86
	v_max_f32_e32 v64, v100, v100
	v_min_f32_e32 v65, v64, v55
	v_cmp_u_f16_e32 vcc, v99, v99
	v_max_f32_e32 v55, v64, v55
	s_nop 0
	v_cndmask_b32_e32 v65, v65, v100, vcc
	v_cndmask_b32_e32 v55, v55, v100, vcc
	v_cndmask_b32_e64 v65, v65, v86, s[44:45]
	v_cndmask_b32_e64 v64, v55, v86, s[44:45]
	v_cmp_neq_f32_e32 vcc, v65, v64
	v_cmp_class_f32_e64 s[6:7], v65, s8
	s_or_b64 s[8:9], vcc, s[6:7]
	v_mov_b32_e32 v55, v80
	s_and_saveexec_b64 s[6:7], s[8:9]
	s_cbranch_execz .LBB388_260
; %bb.259:
	v_sub_f32_e32 v55, v65, v64
	s_mov_b32 s8, 0x3fb8aa3b
	v_mul_f32_e32 v65, 0x3fb8aa3b, v55
	v_fma_f32 v81, v55, s8, -v65
	v_rndne_f32_e32 v82, v65
	v_fmamk_f32 v81, v55, 0x32a5705f, v81
	v_sub_f32_e32 v65, v65, v82
	v_add_f32_e32 v65, v65, v81
	v_exp_f32_e32 v65, v65
	v_cvt_i32_f32_e32 v81, v82
	s_mov_b32 s8, 0xc2ce8ed0
	v_cmp_ngt_f32_e32 vcc, s8, v55
	s_mov_b32 s8, 0x42b17218
	v_ldexp_f32 v65, v65, v81
	v_cndmask_b32_e32 v65, 0, v65, vcc
	v_mov_b32_e32 v81, 0x7f800000
	v_cmp_nlt_f32_e32 vcc, s8, v55
	s_mov_b32 s8, 0x3f2aaaab
	s_mov_b32 s9, 0x7f800000
	v_cndmask_b32_e32 v65, v81, v65, vcc
	v_add_f32_e32 v55, 1.0, v65
	v_add_f32_e32 v81, -1.0, v55
	v_sub_f32_e32 v82, v81, v55
	v_add_f32_e32 v82, 1.0, v82
	v_sub_f32_e32 v81, v65, v81
	v_add_f32_e32 v81, v81, v82
	v_frexp_mant_f32_e32 v84, v55
	v_cvt_f64_f32_e32 v[82:83], v55
	v_frexp_exp_i32_f64_e32 v82, v[82:83]
	v_cmp_gt_f32_e32 vcc, s8, v84
	s_mov_b32 s8, 0x3f317218
	s_nop 0
	v_subbrev_co_u32_e32 v86, vcc, 0, v82, vcc
	v_sub_u32_e32 v82, 0, v86
	v_ldexp_f32 v55, v55, v82
	v_ldexp_f32 v81, v81, v82
	v_add_f32_e32 v82, -1.0, v55
	v_add_f32_e32 v83, 1.0, v82
	v_sub_f32_e32 v83, v55, v83
	v_add_f32_e32 v84, v81, v83
	v_add_f32_e32 v83, 1.0, v55
	v_add_f32_e32 v85, -1.0, v83
	v_sub_f32_e32 v55, v55, v85
	v_add_f32_e32 v55, v81, v55
	v_add_f32_e32 v81, v83, v55
	v_rcp_f32_e32 v99, v81
	v_sub_f32_e32 v83, v83, v81
	v_add_f32_e32 v55, v55, v83
	v_add_f32_e32 v83, v82, v84
	v_sub_f32_e32 v82, v82, v83
	v_mul_f32_e32 v113, v83, v99
	v_add_f32_e32 v112, v84, v82
	v_mul_f32_e32 v84, v81, v113
	v_fma_f32 v100, v113, v81, -v84
	v_fmac_f32_e32 v100, v113, v55
	v_add_f32_e32 v82, v84, v100
	v_sub_f32_e32 v85, v83, v82
	v_pk_add_f32 v[102:103], v[82:83], v[84:85] neg_lo:[0,1] neg_hi:[0,1]
	v_mov_b32_e32 v101, v82
	v_pk_add_f32 v[82:83], v[102:103], v[100:101] neg_lo:[0,1] neg_hi:[0,1]
	v_cmp_eq_f32_e32 vcc, s9, v65
	v_add_f32_e32 v83, v112, v83
	v_add_f32_e32 v82, v82, v83
	;; [unrolled: 1-line block ×3, first 2 shown]
	v_mul_f32_e32 v112, v99, v83
	v_mul_f32_e32 v84, v81, v112
	v_fma_f32 v100, v112, v81, -v84
	v_fmac_f32_e32 v100, v112, v55
	v_sub_f32_e32 v55, v85, v83
	v_add_f32_e32 v55, v82, v55
	v_add_f32_e32 v82, v84, v100
	v_sub_f32_e32 v85, v83, v82
	v_pk_add_f32 v[102:103], v[82:83], v[84:85] neg_lo:[0,1] neg_hi:[0,1]
	v_mov_b32_e32 v101, v82
	v_pk_add_f32 v[82:83], v[102:103], v[100:101] neg_lo:[0,1] neg_hi:[0,1]
	v_add_f32_e32 v81, v113, v112
	v_add_f32_e32 v55, v55, v83
	v_add_f32_e32 v55, v82, v55
	v_add_f32_e32 v55, v85, v55
	v_sub_f32_e32 v82, v81, v113
	v_mul_f32_e32 v55, v99, v55
	v_sub_f32_e32 v82, v112, v82
	v_add_f32_e32 v55, v82, v55
	v_add_f32_e32 v82, v81, v55
	v_cvt_f32_i32_e32 v84, v86
	v_mul_f32_e32 v85, v82, v82
	v_mov_b32_e32 v83, 0x3ecc95a3
	v_fmac_f32_e32 v83, 0x3e9b6dac, v85
	v_fmaak_f32 v83, v85, v83, 0x3f2aaada
	v_sub_f32_e32 v81, v82, v81
	v_ldexp_f32 v101, v82, 1
	v_mul_f32_e32 v85, v82, v85
	v_mov_b32_e32 v82, 0x3f317218
	v_pk_mul_f32 v[82:83], v[84:85], v[82:83]
	v_sub_f32_e32 v55, v55, v81
	v_fma_f32 v81, v84, s8, -v82
	v_fmamk_f32 v100, v84, 0xb102e308, v81
	v_pk_add_f32 v[84:85], v[82:83], v[100:101]
	v_ldexp_f32 v55, v55, 1
	v_sub_f32_e32 v81, v85, v101
	v_sub_f32_e32 v81, v83, v81
	v_add_f32_e32 v103, v55, v81
	v_mov_b32_e32 v102, v82
	v_pk_add_f32 v[82:83], v[84:85], v[82:83] neg_lo:[0,1] neg_hi:[0,1]
	v_pk_add_f32 v[112:113], v[84:85], v[102:103]
	v_mov_b32_e32 v101, v84
	v_mov_b32_e32 v83, v113
	v_pk_add_f32 v[114:115], v[100:101], v[82:83] neg_lo:[0,1] neg_hi:[0,1]
	v_pk_add_f32 v[82:83], v[100:101], v[82:83]
	s_mov_b32 s8, 0x33800000
	v_mov_b32_e32 v86, v83
	v_pk_add_f32 v[100:101], v[86:87], v[84:85] neg_lo:[0,1] neg_hi:[0,1]
	v_mov_b32_e32 v82, v113
	v_mov_b32_e32 v55, v100
	v_pk_add_f32 v[116:117], v[112:113], v[54:55] neg_lo:[0,1] neg_hi:[0,1]
	v_mov_b32_e32 v112, v85
	v_mov_b32_e32 v113, v100
	;; [unrolled: 1-line block ×3, first 2 shown]
	v_pk_add_f32 v[82:83], v[82:83], v[112:113] neg_lo:[0,1] neg_hi:[0,1]
	v_mov_b32_e32 v100, v103
	v_mov_b32_e32 v101, v84
	v_pk_add_f32 v[82:83], v[100:101], v[82:83] neg_lo:[0,1] neg_hi:[0,1]
	v_mov_b32_e32 v116, v114
	v_pk_add_f32 v[84:85], v[116:117], v[82:83]
	v_cmp_lt_f32_e64 s[8:9], |v65|, s8
	v_mov_b32_e32 v100, v85
	v_pk_add_f32 v[100:101], v[84:85], v[100:101]
	s_or_b64 vcc, vcc, s[8:9]
	v_pk_add_f32 v[102:103], v[86:87], v[100:101]
	v_mov_b32_e32 v83, v100
	v_mov_b32_e32 v85, v102
	v_pk_add_f32 v[112:113], v[84:85], v[114:115] neg_lo:[0,1] neg_hi:[0,1]
	s_nop 0
	v_sub_f32_e32 v55, v84, v112
	v_pk_add_f32 v[82:83], v[82:83], v[112:113] neg_lo:[0,1] neg_hi:[0,1]
	v_sub_f32_e32 v55, v114, v55
	v_add_f32_e32 v55, v82, v55
	v_add_f32_e32 v55, v55, v83
	;; [unrolled: 1-line block ×3, first 2 shown]
	v_cndmask_b32_e32 v55, v55, v65, vcc
	v_add_f32_e32 v55, v64, v55
	v_cvt_f16_f32_e32 v99, v55
	v_cvt_f32_f16_e32 v100, v99
	v_mov_b32_e32 v55, v99
.LBB388_260:
	s_or_b64 exec, exec, s[6:7]
	v_max_f32_e32 v64, v87, v87
	v_max_f32_e32 v81, v100, v100
	v_min_f32_e32 v65, v81, v64
	v_cmp_u_f16_e32 vcc, v99, v99
	v_max_f32_e32 v64, v81, v64
	s_movk_i32 s8, 0x1f8
	v_cndmask_b32_e32 v65, v65, v100, vcc
	v_cndmask_b32_e32 v64, v64, v100, vcc
	v_cndmask_b32_e64 v65, v65, v87, s[46:47]
	v_cndmask_b32_e64 v64, v64, v87, s[46:47]
	v_cmp_neq_f32_e32 vcc, v65, v64
	v_cmp_class_f32_e64 s[6:7], v65, s8
	s_or_b64 s[10:11], vcc, s[6:7]
	v_mov_b32_e32 v81, v55
	s_and_saveexec_b64 s[6:7], s[10:11]
	s_cbranch_execz .LBB388_262
; %bb.261:
	v_sub_f32_e32 v65, v65, v64
	s_mov_b32 s9, 0x3fb8aa3b
	v_mul_f32_e32 v81, 0x3fb8aa3b, v65
	v_fma_f32 v82, v65, s9, -v81
	v_rndne_f32_e32 v83, v81
	v_fmamk_f32 v82, v65, 0x32a5705f, v82
	v_sub_f32_e32 v81, v81, v83
	v_add_f32_e32 v81, v81, v82
	v_exp_f32_e32 v81, v81
	v_cvt_i32_f32_e32 v82, v83
	s_mov_b32 s9, 0xc2ce8ed0
	v_cmp_ngt_f32_e32 vcc, s9, v65
	s_mov_b32 s9, 0x42b17218
	v_ldexp_f32 v81, v81, v82
	v_cndmask_b32_e32 v81, 0, v81, vcc
	v_mov_b32_e32 v82, 0x7f800000
	v_cmp_nlt_f32_e32 vcc, s9, v65
	s_mov_b32 s9, 0x3f2aaaab
	s_mov_b32 s10, 0x7f800000
	v_cndmask_b32_e32 v81, v82, v81, vcc
	v_add_f32_e32 v65, 1.0, v81
	v_add_f32_e32 v82, -1.0, v65
	v_sub_f32_e32 v83, v82, v65
	v_add_f32_e32 v83, 1.0, v83
	v_sub_f32_e32 v82, v81, v82
	v_add_f32_e32 v84, v82, v83
	v_frexp_mant_f32_e32 v85, v65
	v_cvt_f64_f32_e32 v[82:83], v65
	v_frexp_exp_i32_f64_e32 v82, v[82:83]
	v_cmp_gt_f32_e32 vcc, s9, v85
	s_mov_b32 s9, 0x3f317218
	s_nop 0
	v_subbrev_co_u32_e32 v99, vcc, 0, v82, vcc
	v_sub_u32_e32 v82, 0, v99
	v_ldexp_f32 v65, v65, v82
	v_ldexp_f32 v82, v84, v82
	v_add_f32_e32 v84, -1.0, v65
	v_add_f32_e32 v83, 1.0, v84
	v_sub_f32_e32 v83, v65, v83
	v_add_f32_e32 v85, v82, v83
	v_add_f32_e32 v83, 1.0, v65
	v_add_f32_e32 v86, -1.0, v83
	v_sub_f32_e32 v65, v65, v86
	v_add_f32_e32 v65, v82, v65
	v_add_f32_e32 v102, v83, v65
	v_rcp_f32_e32 v103, v102
	v_sub_f32_e32 v82, v83, v102
	v_add_f32_e32 v83, v84, v85
	v_add_f32_e32 v65, v65, v82
	v_mul_f32_e32 v113, v83, v103
	v_sub_f32_e32 v82, v84, v83
	v_mul_f32_e32 v84, v102, v113
	v_fma_f32 v86, v113, v102, -v84
	v_fmac_f32_e32 v86, v113, v65
	v_add_f32_e32 v112, v85, v82
	v_add_f32_e32 v82, v84, v86
	v_sub_f32_e32 v85, v83, v82
	v_pk_add_f32 v[100:101], v[82:83], v[84:85] neg_lo:[0,1] neg_hi:[0,1]
	v_mov_b32_e32 v87, v82
	v_pk_add_f32 v[82:83], v[100:101], v[86:87] neg_lo:[0,1] neg_hi:[0,1]
	v_cmp_eq_f32_e32 vcc, s10, v81
	v_add_f32_e32 v83, v112, v83
	v_add_f32_e32 v82, v82, v83
	;; [unrolled: 1-line block ×3, first 2 shown]
	v_mul_f32_e32 v112, v103, v83
	v_mul_f32_e32 v84, v102, v112
	v_fma_f32 v86, v112, v102, -v84
	v_fmac_f32_e32 v86, v112, v65
	v_sub_f32_e32 v65, v85, v83
	v_add_f32_e32 v65, v82, v65
	v_add_f32_e32 v82, v84, v86
	v_sub_f32_e32 v85, v83, v82
	v_pk_add_f32 v[100:101], v[82:83], v[84:85] neg_lo:[0,1] neg_hi:[0,1]
	v_mov_b32_e32 v87, v82
	v_pk_add_f32 v[82:83], v[100:101], v[86:87] neg_lo:[0,1] neg_hi:[0,1]
	v_cvt_f32_i32_e32 v84, v99
	v_add_f32_e32 v65, v65, v83
	v_add_f32_e32 v65, v82, v65
	;; [unrolled: 1-line block ×4, first 2 shown]
	v_sub_f32_e32 v83, v82, v113
	v_mul_f32_e32 v65, v103, v65
	v_sub_f32_e32 v83, v112, v83
	v_add_f32_e32 v65, v83, v65
	v_add_f32_e32 v85, v82, v65
	v_mul_f32_e32 v86, v85, v85
	v_mov_b32_e32 v83, 0x3ecc95a3
	v_fmac_f32_e32 v83, 0x3e9b6dac, v86
	v_sub_f32_e32 v82, v85, v82
	v_fmaak_f32 v83, v86, v83, 0x3f2aaada
	v_sub_f32_e32 v65, v65, v82
	v_ldexp_f32 v87, v85, 1
	v_mul_f32_e32 v85, v85, v86
	v_mov_b32_e32 v82, 0x3f317218
	v_pk_mul_f32 v[82:83], v[84:85], v[82:83]
	v_ldexp_f32 v65, v65, 1
	v_fma_f32 v85, v84, s9, -v82
	v_fmamk_f32 v86, v84, 0xb102e308, v85
	v_pk_add_f32 v[84:85], v[82:83], v[86:87]
	v_mov_b32_e32 v100, v82
	v_sub_f32_e32 v87, v85, v87
	v_sub_f32_e32 v87, v83, v87
	v_add_f32_e32 v101, v65, v87
	v_pk_add_f32 v[82:83], v[84:85], v[82:83] neg_lo:[0,1] neg_hi:[0,1]
	v_pk_add_f32 v[102:103], v[84:85], v[100:101]
	v_mov_b32_e32 v87, v84
	v_mov_b32_e32 v83, v103
	v_pk_add_f32 v[112:113], v[86:87], v[82:83] neg_lo:[0,1] neg_hi:[0,1]
	v_pk_add_f32 v[82:83], v[86:87], v[82:83]
	v_mov_b32_e32 v100, v101
	v_mov_b32_e32 v86, v83
	v_pk_add_f32 v[114:115], v[86:87], v[84:85] neg_lo:[0,1] neg_hi:[0,1]
	v_mov_b32_e32 v82, v103
	v_mov_b32_e32 v65, v114
	v_pk_add_f32 v[116:117], v[102:103], v[64:65] neg_lo:[0,1] neg_hi:[0,1]
	v_mov_b32_e32 v102, v85
	v_mov_b32_e32 v103, v114
	;; [unrolled: 1-line block ×3, first 2 shown]
	v_pk_add_f32 v[82:83], v[82:83], v[102:103] neg_lo:[0,1] neg_hi:[0,1]
	v_mov_b32_e32 v101, v84
	v_pk_add_f32 v[82:83], v[100:101], v[82:83] neg_lo:[0,1] neg_hi:[0,1]
	v_mov_b32_e32 v116, v112
	v_pk_add_f32 v[84:85], v[116:117], v[82:83]
	s_mov_b32 s9, 0x33800000
	v_mov_b32_e32 v100, v85
	v_pk_add_f32 v[100:101], v[84:85], v[100:101]
	v_cmp_lt_f32_e64 s[10:11], |v81|, s9
	v_pk_add_f32 v[86:87], v[86:87], v[100:101]
	v_mov_b32_e32 v83, v100
	v_mov_b32_e32 v85, v86
	v_pk_add_f32 v[102:103], v[84:85], v[112:113] neg_lo:[0,1] neg_hi:[0,1]
	s_or_b64 vcc, vcc, s[10:11]
	v_sub_f32_e32 v65, v84, v102
	v_pk_add_f32 v[82:83], v[82:83], v[102:103] neg_lo:[0,1] neg_hi:[0,1]
	v_sub_f32_e32 v65, v112, v65
	v_add_f32_e32 v65, v82, v65
	v_add_f32_e32 v65, v65, v83
	;; [unrolled: 1-line block ×3, first 2 shown]
	v_cndmask_b32_e32 v65, v65, v81, vcc
	v_add_f32_e32 v64, v64, v65
	v_cvt_f16_f32_e32 v99, v64
	v_cvt_f32_f16_e32 v100, v99
	v_mov_b32_e32 v81, v99
.LBB388_262:
	s_or_b64 exec, exec, s[6:7]
	v_max_f32_e32 v64, v96, v96
	v_max_f32_e32 v65, v100, v100
	v_min_f32_e32 v82, v65, v64
	v_cmp_u_f16_e32 vcc, v99, v99
	v_max_f32_e32 v64, v65, v64
	s_nop 0
	v_cndmask_b32_e32 v82, v82, v100, vcc
	v_cndmask_b32_e32 v64, v64, v100, vcc
	v_cndmask_b32_e64 v82, v82, v96, s[48:49]
	v_cndmask_b32_e64 v65, v64, v96, s[48:49]
	v_cmp_neq_f32_e32 vcc, v82, v65
	v_cmp_class_f32_e64 s[6:7], v82, s8
	s_or_b64 s[8:9], vcc, s[6:7]
	v_mov_b32_e32 v64, v81
	s_and_saveexec_b64 s[6:7], s[8:9]
	s_cbranch_execz .LBB388_264
; %bb.263:
	v_sub_f32_e32 v64, v82, v65
	s_mov_b32 s8, 0x3fb8aa3b
	v_mul_f32_e32 v82, 0x3fb8aa3b, v64
	v_fma_f32 v83, v64, s8, -v82
	v_rndne_f32_e32 v84, v82
	v_fmamk_f32 v83, v64, 0x32a5705f, v83
	v_sub_f32_e32 v82, v82, v84
	v_add_f32_e32 v82, v82, v83
	v_exp_f32_e32 v82, v82
	v_cvt_i32_f32_e32 v83, v84
	s_mov_b32 s8, 0xc2ce8ed0
	v_cmp_ngt_f32_e32 vcc, s8, v64
	s_mov_b32 s8, 0x42b17218
	v_ldexp_f32 v82, v82, v83
	v_cndmask_b32_e32 v82, 0, v82, vcc
	v_mov_b32_e32 v83, 0x7f800000
	v_cmp_nlt_f32_e32 vcc, s8, v64
	s_mov_b32 s8, 0x3f2aaaab
	s_mov_b32 s9, 0x7f800000
	v_cndmask_b32_e32 v96, v83, v82, vcc
	v_add_f32_e32 v64, 1.0, v96
	v_add_f32_e32 v82, -1.0, v64
	v_sub_f32_e32 v83, v82, v64
	v_add_f32_e32 v83, 1.0, v83
	v_sub_f32_e32 v82, v96, v82
	v_add_f32_e32 v84, v82, v83
	v_frexp_mant_f32_e32 v85, v64
	v_cvt_f64_f32_e32 v[82:83], v64
	v_frexp_exp_i32_f64_e32 v82, v[82:83]
	v_cmp_gt_f32_e32 vcc, s8, v85
	s_mov_b32 s8, 0x3f317218
	s_nop 0
	v_subbrev_co_u32_e32 v99, vcc, 0, v82, vcc
	v_sub_u32_e32 v82, 0, v99
	v_ldexp_f32 v64, v64, v82
	v_ldexp_f32 v82, v84, v82
	v_add_f32_e32 v84, -1.0, v64
	v_add_f32_e32 v83, 1.0, v84
	v_sub_f32_e32 v83, v64, v83
	v_add_f32_e32 v85, v82, v83
	v_add_f32_e32 v83, 1.0, v64
	v_add_f32_e32 v86, -1.0, v83
	v_sub_f32_e32 v64, v64, v86
	v_add_f32_e32 v64, v82, v64
	v_add_f32_e32 v102, v83, v64
	v_rcp_f32_e32 v103, v102
	v_sub_f32_e32 v82, v83, v102
	v_add_f32_e32 v83, v84, v85
	v_add_f32_e32 v64, v64, v82
	v_mul_f32_e32 v113, v83, v103
	v_sub_f32_e32 v82, v84, v83
	v_mul_f32_e32 v84, v102, v113
	v_fma_f32 v86, v113, v102, -v84
	v_fmac_f32_e32 v86, v113, v64
	v_add_f32_e32 v112, v85, v82
	v_add_f32_e32 v82, v84, v86
	v_sub_f32_e32 v85, v83, v82
	v_pk_add_f32 v[100:101], v[82:83], v[84:85] neg_lo:[0,1] neg_hi:[0,1]
	v_mov_b32_e32 v87, v82
	v_pk_add_f32 v[82:83], v[100:101], v[86:87] neg_lo:[0,1] neg_hi:[0,1]
	v_cmp_eq_f32_e32 vcc, s9, v96
	v_add_f32_e32 v83, v112, v83
	v_add_f32_e32 v82, v82, v83
	;; [unrolled: 1-line block ×3, first 2 shown]
	v_mul_f32_e32 v112, v103, v83
	v_mul_f32_e32 v84, v102, v112
	v_fma_f32 v86, v112, v102, -v84
	v_fmac_f32_e32 v86, v112, v64
	v_sub_f32_e32 v64, v85, v83
	v_add_f32_e32 v64, v82, v64
	v_add_f32_e32 v82, v84, v86
	v_sub_f32_e32 v85, v83, v82
	v_pk_add_f32 v[100:101], v[82:83], v[84:85] neg_lo:[0,1] neg_hi:[0,1]
	v_mov_b32_e32 v87, v82
	v_pk_add_f32 v[82:83], v[100:101], v[86:87] neg_lo:[0,1] neg_hi:[0,1]
	v_cvt_f32_i32_e32 v84, v99
	v_add_f32_e32 v64, v64, v83
	v_add_f32_e32 v64, v82, v64
	;; [unrolled: 1-line block ×4, first 2 shown]
	v_sub_f32_e32 v83, v82, v113
	v_mul_f32_e32 v64, v103, v64
	v_sub_f32_e32 v83, v112, v83
	v_add_f32_e32 v64, v83, v64
	v_add_f32_e32 v85, v82, v64
	v_mul_f32_e32 v86, v85, v85
	v_mov_b32_e32 v83, 0x3ecc95a3
	v_fmac_f32_e32 v83, 0x3e9b6dac, v86
	v_sub_f32_e32 v82, v85, v82
	v_fmaak_f32 v83, v86, v83, 0x3f2aaada
	v_sub_f32_e32 v64, v64, v82
	v_ldexp_f32 v87, v85, 1
	v_mul_f32_e32 v85, v85, v86
	v_mov_b32_e32 v82, 0x3f317218
	v_pk_mul_f32 v[82:83], v[84:85], v[82:83]
	v_ldexp_f32 v64, v64, 1
	v_fma_f32 v85, v84, s8, -v82
	v_fmamk_f32 v86, v84, 0xb102e308, v85
	v_pk_add_f32 v[84:85], v[82:83], v[86:87]
	v_mov_b32_e32 v100, v82
	v_sub_f32_e32 v87, v85, v87
	v_sub_f32_e32 v87, v83, v87
	v_add_f32_e32 v101, v64, v87
	v_pk_add_f32 v[82:83], v[84:85], v[82:83] neg_lo:[0,1] neg_hi:[0,1]
	v_pk_add_f32 v[102:103], v[84:85], v[100:101]
	v_mov_b32_e32 v87, v84
	v_mov_b32_e32 v83, v103
	v_pk_add_f32 v[112:113], v[86:87], v[82:83] neg_lo:[0,1] neg_hi:[0,1]
	v_pk_add_f32 v[82:83], v[86:87], v[82:83]
	s_mov_b32 s8, 0x33800000
	v_mov_b32_e32 v64, v83
	v_pk_add_f32 v[86:87], v[64:65], v[84:85] neg_lo:[0,1] neg_hi:[0,1]
	v_mov_b32_e32 v82, v103
	v_mov_b32_e32 v87, v86
	v_pk_add_f32 v[114:115], v[102:103], v[86:87] neg_lo:[0,1] neg_hi:[0,1]
	v_mov_b32_e32 v102, v85
	v_mov_b32_e32 v103, v86
	;; [unrolled: 1-line block ×3, first 2 shown]
	v_pk_add_f32 v[82:83], v[82:83], v[102:103] neg_lo:[0,1] neg_hi:[0,1]
	v_mov_b32_e32 v86, v101
	v_mov_b32_e32 v87, v84
	v_pk_add_f32 v[82:83], v[86:87], v[82:83] neg_lo:[0,1] neg_hi:[0,1]
	v_mov_b32_e32 v114, v112
	v_pk_add_f32 v[84:85], v[114:115], v[82:83]
	v_cmp_lt_f32_e64 s[8:9], |v96|, s8
	v_mov_b32_e32 v86, v85
	v_pk_add_f32 v[86:87], v[84:85], v[86:87]
	s_or_b64 vcc, vcc, s[8:9]
	v_pk_add_f32 v[100:101], v[64:65], v[86:87]
	v_mov_b32_e32 v83, v86
	v_mov_b32_e32 v85, v100
	v_pk_add_f32 v[102:103], v[84:85], v[112:113] neg_lo:[0,1] neg_hi:[0,1]
	s_nop 0
	v_sub_f32_e32 v64, v84, v102
	v_pk_add_f32 v[82:83], v[82:83], v[102:103] neg_lo:[0,1] neg_hi:[0,1]
	v_sub_f32_e32 v64, v112, v64
	v_add_f32_e32 v64, v82, v64
	v_add_f32_e32 v64, v64, v83
	;; [unrolled: 1-line block ×3, first 2 shown]
	v_cndmask_b32_e32 v64, v64, v96, vcc
	v_add_f32_e32 v64, v65, v64
	v_cvt_f16_f32_e32 v99, v64
	v_cvt_f32_f16_e32 v100, v99
	v_mov_b32_e32 v64, v99
.LBB388_264:
	s_or_b64 exec, exec, s[6:7]
	v_max_f32_e32 v65, v97, v97
	v_max_f32_e32 v83, v100, v100
	v_min_f32_e32 v82, v83, v65
	v_cmp_u_f16_e32 vcc, v99, v99
	v_max_f32_e32 v65, v83, v65
	s_movk_i32 s8, 0x1f8
	v_cndmask_b32_e32 v82, v82, v100, vcc
	v_cndmask_b32_e32 v65, v65, v100, vcc
	v_cndmask_b32_e64 v82, v82, v97, s[50:51]
	v_cndmask_b32_e64 v65, v65, v97, s[50:51]
	v_cmp_neq_f32_e32 vcc, v82, v65
	v_cmp_class_f32_e64 s[6:7], v82, s8
	s_or_b64 s[10:11], vcc, s[6:7]
	v_mov_b32_e32 v83, v64
	s_and_saveexec_b64 s[6:7], s[10:11]
	s_cbranch_execz .LBB388_266
; %bb.265:
	v_sub_f32_e32 v82, v82, v65
	s_mov_b32 s9, 0x3fb8aa3b
	v_mul_f32_e32 v83, 0x3fb8aa3b, v82
	v_fma_f32 v84, v82, s9, -v83
	v_rndne_f32_e32 v85, v83
	v_fmamk_f32 v84, v82, 0x32a5705f, v84
	v_sub_f32_e32 v83, v83, v85
	v_add_f32_e32 v83, v83, v84
	v_exp_f32_e32 v83, v83
	v_cvt_i32_f32_e32 v84, v85
	s_mov_b32 s9, 0xc2ce8ed0
	v_cmp_ngt_f32_e32 vcc, s9, v82
	s_mov_b32 s9, 0x42b17218
	v_ldexp_f32 v83, v83, v84
	v_cndmask_b32_e32 v83, 0, v83, vcc
	v_mov_b32_e32 v84, 0x7f800000
	v_cmp_nlt_f32_e32 vcc, s9, v82
	s_mov_b32 s9, 0x3f2aaaab
	s_mov_b32 s10, 0x7f800000
	v_cndmask_b32_e32 v99, v84, v83, vcc
	v_add_f32_e32 v84, 1.0, v99
	v_add_f32_e32 v82, -1.0, v84
	v_sub_f32_e32 v83, v82, v84
	v_add_f32_e32 v83, 1.0, v83
	v_sub_f32_e32 v82, v99, v82
	v_add_f32_e32 v85, v82, v83
	v_frexp_mant_f32_e32 v86, v84
	v_cvt_f64_f32_e32 v[82:83], v84
	v_frexp_exp_i32_f64_e32 v82, v[82:83]
	v_cmp_gt_f32_e32 vcc, s9, v86
	s_mov_b32 s9, 0x3f317218
	s_nop 0
	v_subbrev_co_u32_e32 v100, vcc, 0, v82, vcc
	v_sub_u32_e32 v82, 0, v100
	v_ldexp_f32 v83, v84, v82
	v_add_f32_e32 v84, -1.0, v83
	v_add_f32_e32 v86, 1.0, v83
	v_ldexp_f32 v82, v85, v82
	v_add_f32_e32 v85, 1.0, v84
	v_add_f32_e32 v87, -1.0, v86
	v_sub_f32_e32 v85, v83, v85
	v_sub_f32_e32 v83, v83, v87
	v_add_f32_e32 v85, v82, v85
	v_add_f32_e32 v82, v82, v83
	v_add_f32_e32 v101, v86, v82
	v_rcp_f32_e32 v103, v101
	v_sub_f32_e32 v83, v86, v101
	v_add_f32_e32 v102, v82, v83
	v_add_f32_e32 v83, v84, v85
	v_mul_f32_e32 v113, v83, v103
	v_sub_f32_e32 v82, v84, v83
	v_mul_f32_e32 v84, v101, v113
	v_fma_f32 v86, v113, v101, -v84
	v_fmac_f32_e32 v86, v113, v102
	v_add_f32_e32 v112, v85, v82
	v_add_f32_e32 v82, v84, v86
	v_sub_f32_e32 v85, v83, v82
	v_pk_add_f32 v[96:97], v[82:83], v[84:85] neg_lo:[0,1] neg_hi:[0,1]
	v_mov_b32_e32 v87, v82
	v_pk_add_f32 v[82:83], v[96:97], v[86:87] neg_lo:[0,1] neg_hi:[0,1]
	v_cmp_eq_f32_e32 vcc, s10, v99
	v_add_f32_e32 v83, v112, v83
	v_add_f32_e32 v82, v82, v83
	;; [unrolled: 1-line block ×3, first 2 shown]
	v_mul_f32_e32 v112, v103, v83
	v_mul_f32_e32 v84, v101, v112
	v_fma_f32 v86, v112, v101, -v84
	v_fmac_f32_e32 v86, v112, v102
	v_sub_f32_e32 v85, v85, v83
	v_add_f32_e32 v101, v82, v85
	v_add_f32_e32 v82, v84, v86
	v_sub_f32_e32 v85, v83, v82
	v_pk_add_f32 v[96:97], v[82:83], v[84:85] neg_lo:[0,1] neg_hi:[0,1]
	v_mov_b32_e32 v87, v82
	v_pk_add_f32 v[82:83], v[96:97], v[86:87] neg_lo:[0,1] neg_hi:[0,1]
	v_cvt_f32_i32_e32 v84, v100
	v_add_f32_e32 v83, v101, v83
	v_add_f32_e32 v82, v82, v83
	;; [unrolled: 1-line block ×4, first 2 shown]
	v_sub_f32_e32 v83, v85, v113
	v_mul_f32_e32 v82, v103, v82
	v_sub_f32_e32 v83, v112, v83
	v_add_f32_e32 v82, v83, v82
	v_add_f32_e32 v86, v85, v82
	v_mul_f32_e32 v96, v86, v86
	v_mov_b32_e32 v83, 0x3ecc95a3
	v_sub_f32_e32 v85, v86, v85
	v_fmac_f32_e32 v83, 0x3e9b6dac, v96
	v_sub_f32_e32 v82, v82, v85
	v_fmaak_f32 v83, v96, v83, 0x3f2aaada
	v_ldexp_f32 v97, v82, 1
	v_mul_f32_e32 v85, v86, v96
	v_mov_b32_e32 v82, 0x3f317218
	v_pk_mul_f32 v[82:83], v[84:85], v[82:83]
	v_ldexp_f32 v87, v86, 1
	v_fma_f32 v85, v84, s9, -v82
	v_fmamk_f32 v86, v84, 0xb102e308, v85
	v_pk_add_f32 v[84:85], v[82:83], v[86:87]
	v_mov_b32_e32 v96, v82
	v_sub_f32_e32 v87, v85, v87
	v_sub_f32_e32 v87, v83, v87
	v_add_f32_e32 v97, v97, v87
	v_pk_add_f32 v[82:83], v[84:85], v[82:83] neg_lo:[0,1] neg_hi:[0,1]
	v_pk_add_f32 v[100:101], v[84:85], v[96:97]
	v_mov_b32_e32 v87, v84
	v_mov_b32_e32 v83, v101
	v_pk_add_f32 v[102:103], v[86:87], v[82:83] neg_lo:[0,1] neg_hi:[0,1]
	v_pk_add_f32 v[82:83], v[86:87], v[82:83]
	v_mov_b32_e32 v96, v97
	v_mov_b32_e32 v86, v83
	v_pk_add_f32 v[112:113], v[86:87], v[84:85] neg_lo:[0,1] neg_hi:[0,1]
	v_mov_b32_e32 v82, v101
	v_mov_b32_e32 v87, v112
	v_pk_add_f32 v[114:115], v[100:101], v[86:87] neg_lo:[0,1] neg_hi:[0,1]
	v_mov_b32_e32 v100, v85
	v_mov_b32_e32 v101, v112
	;; [unrolled: 1-line block ×3, first 2 shown]
	v_pk_add_f32 v[82:83], v[82:83], v[100:101] neg_lo:[0,1] neg_hi:[0,1]
	v_mov_b32_e32 v97, v84
	v_pk_add_f32 v[82:83], v[96:97], v[82:83] neg_lo:[0,1] neg_hi:[0,1]
	v_mov_b32_e32 v114, v102
	v_pk_add_f32 v[84:85], v[114:115], v[82:83]
	s_mov_b32 s9, 0x33800000
	v_mov_b32_e32 v96, v85
	v_pk_add_f32 v[96:97], v[84:85], v[96:97]
	v_cmp_lt_f32_e64 s[10:11], |v99|, s9
	v_pk_add_f32 v[86:87], v[86:87], v[96:97]
	v_mov_b32_e32 v83, v96
	v_mov_b32_e32 v85, v86
	v_pk_add_f32 v[100:101], v[84:85], v[102:103] neg_lo:[0,1] neg_hi:[0,1]
	s_or_b64 vcc, vcc, s[10:11]
	v_sub_f32_e32 v84, v84, v100
	v_pk_add_f32 v[82:83], v[82:83], v[100:101] neg_lo:[0,1] neg_hi:[0,1]
	v_sub_f32_e32 v84, v102, v84
	v_add_f32_e32 v82, v82, v84
	v_add_f32_e32 v82, v82, v83
	;; [unrolled: 1-line block ×3, first 2 shown]
	v_cndmask_b32_e32 v82, v82, v99, vcc
	v_add_f32_e32 v65, v65, v82
	v_cvt_f16_f32_e32 v99, v65
	v_cvt_f32_f16_e32 v100, v99
	v_mov_b32_e32 v83, v99
.LBB388_266:
	s_or_b64 exec, exec, s[6:7]
	v_max_f32_e32 v65, v98, v98
	v_max_f32_e32 v82, v100, v100
	v_min_f32_e32 v84, v82, v65
	v_cmp_u_f16_e32 vcc, v99, v99
	v_max_f32_e32 v65, v82, v65
	s_nop 0
	v_cndmask_b32_e32 v84, v84, v100, vcc
	v_cndmask_b32_e32 v65, v65, v100, vcc
	v_cndmask_b32_e64 v84, v84, v98, s[52:53]
	v_cndmask_b32_e64 v82, v65, v98, s[52:53]
	v_cmp_neq_f32_e32 vcc, v84, v82
	v_cmp_class_f32_e64 s[6:7], v84, s8
	s_or_b64 s[8:9], vcc, s[6:7]
	v_mov_b32_e32 v65, v83
	s_and_saveexec_b64 s[6:7], s[8:9]
	s_cbranch_execz .LBB388_268
; %bb.267:
	v_sub_f32_e32 v65, v84, v82
	s_mov_b32 s8, 0x3fb8aa3b
	v_mul_f32_e32 v84, 0x3fb8aa3b, v65
	v_fma_f32 v85, v65, s8, -v84
	v_rndne_f32_e32 v86, v84
	v_fmamk_f32 v85, v65, 0x32a5705f, v85
	v_sub_f32_e32 v84, v84, v86
	v_add_f32_e32 v84, v84, v85
	v_exp_f32_e32 v84, v84
	v_cvt_i32_f32_e32 v85, v86
	s_mov_b32 s8, 0xc2ce8ed0
	v_cmp_ngt_f32_e32 vcc, s8, v65
	s_mov_b32 s8, 0x42b17218
	v_ldexp_f32 v84, v84, v85
	v_cndmask_b32_e32 v84, 0, v84, vcc
	v_mov_b32_e32 v85, 0x7f800000
	v_cmp_nlt_f32_e32 vcc, s8, v65
	s_mov_b32 s8, 0x3f2aaaab
	s_mov_b32 s9, 0x7f800000
	v_cndmask_b32_e32 v116, v85, v84, vcc
	v_add_f32_e32 v65, 1.0, v116
	v_add_f32_e32 v84, -1.0, v65
	v_sub_f32_e32 v85, v84, v65
	v_add_f32_e32 v85, 1.0, v85
	v_sub_f32_e32 v84, v116, v84
	v_add_f32_e32 v86, v84, v85
	v_frexp_mant_f32_e32 v87, v65
	v_cvt_f64_f32_e32 v[84:85], v65
	v_frexp_exp_i32_f64_e32 v84, v[84:85]
	v_cmp_gt_f32_e32 vcc, s8, v87
	s_mov_b32 s8, 0x3f317218
	s_nop 0
	v_subbrev_co_u32_e32 v100, vcc, 0, v84, vcc
	v_sub_u32_e32 v84, 0, v100
	v_ldexp_f32 v65, v65, v84
	v_ldexp_f32 v84, v86, v84
	v_add_f32_e32 v86, -1.0, v65
	v_add_f32_e32 v85, 1.0, v86
	v_sub_f32_e32 v85, v65, v85
	v_add_f32_e32 v87, v84, v85
	v_add_f32_e32 v85, 1.0, v65
	v_add_f32_e32 v96, -1.0, v85
	v_sub_f32_e32 v65, v65, v96
	v_add_f32_e32 v65, v84, v65
	v_add_f32_e32 v101, v85, v65
	v_rcp_f32_e32 v102, v101
	v_sub_f32_e32 v84, v85, v101
	v_add_f32_e32 v85, v86, v87
	v_add_f32_e32 v65, v65, v84
	v_mul_f32_e32 v112, v85, v102
	v_sub_f32_e32 v84, v86, v85
	v_mul_f32_e32 v86, v101, v112
	v_fma_f32 v96, v112, v101, -v86
	v_fmac_f32_e32 v96, v112, v65
	v_add_f32_e32 v103, v87, v84
	v_add_f32_e32 v84, v86, v96
	v_sub_f32_e32 v87, v85, v84
	v_pk_add_f32 v[98:99], v[84:85], v[86:87] neg_lo:[0,1] neg_hi:[0,1]
	v_mov_b32_e32 v97, v84
	v_pk_add_f32 v[84:85], v[98:99], v[96:97] neg_lo:[0,1] neg_hi:[0,1]
	v_cmp_eq_f32_e32 vcc, s9, v116
	v_add_f32_e32 v85, v103, v85
	v_add_f32_e32 v84, v84, v85
	;; [unrolled: 1-line block ×3, first 2 shown]
	v_mul_f32_e32 v103, v102, v85
	v_mul_f32_e32 v86, v101, v103
	v_fma_f32 v96, v103, v101, -v86
	v_fmac_f32_e32 v96, v103, v65
	v_sub_f32_e32 v65, v87, v85
	v_add_f32_e32 v65, v84, v65
	v_add_f32_e32 v84, v86, v96
	v_sub_f32_e32 v87, v85, v84
	v_pk_add_f32 v[98:99], v[84:85], v[86:87] neg_lo:[0,1] neg_hi:[0,1]
	v_mov_b32_e32 v97, v84
	v_pk_add_f32 v[84:85], v[98:99], v[96:97] neg_lo:[0,1] neg_hi:[0,1]
	v_cvt_f32_i32_e32 v86, v100
	v_add_f32_e32 v65, v65, v85
	v_add_f32_e32 v65, v84, v65
	;; [unrolled: 1-line block ×4, first 2 shown]
	v_sub_f32_e32 v85, v84, v112
	v_mul_f32_e32 v65, v102, v65
	v_sub_f32_e32 v85, v103, v85
	v_add_f32_e32 v65, v85, v65
	v_add_f32_e32 v87, v84, v65
	v_mul_f32_e32 v96, v87, v87
	v_mov_b32_e32 v85, 0x3ecc95a3
	v_fmac_f32_e32 v85, 0x3e9b6dac, v96
	v_sub_f32_e32 v84, v87, v84
	v_fmaak_f32 v85, v96, v85, 0x3f2aaada
	v_sub_f32_e32 v65, v65, v84
	v_ldexp_f32 v97, v87, 1
	v_mul_f32_e32 v87, v87, v96
	v_mov_b32_e32 v84, 0x3f317218
	v_pk_mul_f32 v[84:85], v[86:87], v[84:85]
	v_ldexp_f32 v65, v65, 1
	v_fma_f32 v87, v86, s8, -v84
	v_fmamk_f32 v96, v86, 0xb102e308, v87
	v_pk_add_f32 v[86:87], v[84:85], v[96:97]
	v_mov_b32_e32 v98, v84
	v_sub_f32_e32 v97, v87, v97
	v_sub_f32_e32 v97, v85, v97
	v_add_f32_e32 v99, v65, v97
	v_pk_add_f32 v[84:85], v[86:87], v[84:85] neg_lo:[0,1] neg_hi:[0,1]
	v_pk_add_f32 v[100:101], v[86:87], v[98:99]
	v_mov_b32_e32 v97, v86
	v_mov_b32_e32 v85, v101
	v_pk_add_f32 v[102:103], v[96:97], v[84:85] neg_lo:[0,1] neg_hi:[0,1]
	v_pk_add_f32 v[84:85], v[96:97], v[84:85]
	v_mov_b32_e32 v98, v99
	v_mov_b32_e32 v96, v85
	v_pk_add_f32 v[112:113], v[96:97], v[86:87] neg_lo:[0,1] neg_hi:[0,1]
	v_mov_b32_e32 v84, v101
	v_mov_b32_e32 v65, v112
	v_pk_add_f32 v[114:115], v[100:101], v[64:65] neg_lo:[0,1] neg_hi:[0,1]
	v_mov_b32_e32 v100, v87
	v_mov_b32_e32 v101, v112
	;; [unrolled: 1-line block ×3, first 2 shown]
	v_pk_add_f32 v[84:85], v[84:85], v[100:101] neg_lo:[0,1] neg_hi:[0,1]
	v_mov_b32_e32 v99, v86
	v_pk_add_f32 v[84:85], v[98:99], v[84:85] neg_lo:[0,1] neg_hi:[0,1]
	v_mov_b32_e32 v114, v102
	v_pk_add_f32 v[86:87], v[114:115], v[84:85]
	s_mov_b32 s8, 0x33800000
	v_mov_b32_e32 v98, v87
	v_pk_add_f32 v[98:99], v[86:87], v[98:99]
	v_cmp_lt_f32_e64 s[8:9], |v116|, s8
	v_pk_add_f32 v[96:97], v[96:97], v[98:99]
	v_mov_b32_e32 v85, v98
	v_mov_b32_e32 v87, v96
	v_pk_add_f32 v[100:101], v[86:87], v[102:103] neg_lo:[0,1] neg_hi:[0,1]
	s_or_b64 vcc, vcc, s[8:9]
	v_sub_f32_e32 v65, v86, v100
	v_pk_add_f32 v[84:85], v[84:85], v[100:101] neg_lo:[0,1] neg_hi:[0,1]
	v_sub_f32_e32 v65, v102, v65
	v_add_f32_e32 v65, v84, v65
	v_add_f32_e32 v65, v65, v85
	;; [unrolled: 1-line block ×3, first 2 shown]
	v_cndmask_b32_e32 v65, v65, v116, vcc
	v_add_f32_e32 v65, v82, v65
	v_cvt_f16_f32_e32 v65, v65
.LBB388_268:
	s_or_b64 exec, exec, s[6:7]
	s_branch .LBB388_413
.LBB388_269:
                                        ; implicit-def: $vgpr30
                                        ; implicit-def: $vgpr31
                                        ; implicit-def: $vgpr36
                                        ; implicit-def: $vgpr37
                                        ; implicit-def: $vgpr38
                                        ; implicit-def: $vgpr39
                                        ; implicit-def: $vgpr48
                                        ; implicit-def: $vgpr66
                                        ; implicit-def: $vgpr67
                                        ; implicit-def: $vgpr49
                                        ; implicit-def: $vgpr68
                                        ; implicit-def: $vgpr50
                                        ; implicit-def: $vgpr69
                                        ; implicit-def: $vgpr51
                                        ; implicit-def: $vgpr70
                                        ; implicit-def: $vgpr53
                                        ; implicit-def: $vgpr71
                                        ; implicit-def: $vgpr54
                                        ; implicit-def: $vgpr80
                                        ; implicit-def: $vgpr55
                                        ; implicit-def: $vgpr81
                                        ; implicit-def: $vgpr64
                                        ; implicit-def: $vgpr83
                                        ; implicit-def: $vgpr65
	s_cbranch_execz .LBB388_413
; %bb.270:
	v_cmp_ne_u64_e32 vcc, 0, v[6:7]
	s_and_b64 s[6:7], s[4:5], vcc
	v_mov_b32_e32 v30, v24
	s_and_saveexec_b64 s[4:5], s[6:7]
	s_cbranch_execz .LBB388_274
; %bb.271:
	flat_load_ushort v30, v[2:3]
	v_cvt_f32_f16_e32 v2, v24
	s_movk_i32 s6, 0x1f8
	s_waitcnt vmcnt(0) lgkmcnt(0)
	v_cvt_f32_f16_e32 v3, v30
	v_cmp_u_f16_e32 vcc, v30, v30
	v_min_f32_e32 v6, v3, v2
	v_max_f32_e32 v7, v3, v2
	v_cndmask_b32_e32 v6, v6, v3, vcc
	v_cndmask_b32_e32 v7, v7, v3, vcc
	v_cmp_u_f16_e32 vcc, v24, v24
	s_nop 1
	v_cndmask_b32_e32 v3, v6, v2, vcc
	v_cndmask_b32_e32 v2, v7, v2, vcc
	v_cmp_neq_f32_e32 vcc, v3, v2
	v_cmp_class_f32_e64 s[6:7], v3, s6
	s_or_b64 s[8:9], vcc, s[6:7]
	s_and_saveexec_b64 s[6:7], s[8:9]
	s_cbranch_execz .LBB388_273
; %bb.272:
	v_sub_f32_e32 v3, v3, v2
	s_mov_b32 s8, 0x3fb8aa3b
	v_mul_f32_e32 v6, 0x3fb8aa3b, v3
	v_fma_f32 v7, v3, s8, -v6
	v_rndne_f32_e32 v30, v6
	v_fmamk_f32 v7, v3, 0x32a5705f, v7
	v_sub_f32_e32 v6, v6, v30
	v_add_f32_e32 v6, v6, v7
	v_exp_f32_e32 v6, v6
	v_cvt_i32_f32_e32 v7, v30
	s_mov_b32 s8, 0xc2ce8ed0
	v_cmp_ngt_f32_e32 vcc, s8, v3
	s_mov_b32 s8, 0x42b17218
	v_ldexp_f32 v6, v6, v7
	v_cndmask_b32_e32 v6, 0, v6, vcc
	v_mov_b32_e32 v7, 0x7f800000
	v_cmp_nlt_f32_e32 vcc, s8, v3
	s_mov_b32 s8, 0x3f2aaaab
	s_mov_b32 s9, 0x7f800000
	v_cndmask_b32_e32 v53, v7, v6, vcc
	v_add_f32_e32 v3, 1.0, v53
	v_add_f32_e32 v6, -1.0, v3
	v_sub_f32_e32 v7, v6, v3
	v_add_f32_e32 v7, 1.0, v7
	v_sub_f32_e32 v6, v53, v6
	v_add_f32_e32 v30, v6, v7
	v_frexp_mant_f32_e32 v31, v3
	v_cvt_f64_f32_e32 v[6:7], v3
	v_frexp_exp_i32_f64_e32 v6, v[6:7]
	v_cmp_gt_f32_e32 vcc, s8, v31
	s_mov_b32 s8, 0x3f317218
	s_nop 0
	v_subbrev_co_u32_e32 v48, vcc, 0, v6, vcc
	v_sub_u32_e32 v6, 0, v48
	v_ldexp_f32 v3, v3, v6
	v_ldexp_f32 v6, v30, v6
	v_add_f32_e32 v30, -1.0, v3
	v_add_f32_e32 v7, 1.0, v30
	v_sub_f32_e32 v7, v3, v7
	v_add_f32_e32 v31, v6, v7
	v_add_f32_e32 v7, 1.0, v3
	v_add_f32_e32 v36, -1.0, v7
	v_sub_f32_e32 v3, v3, v36
	v_add_f32_e32 v3, v6, v3
	v_add_f32_e32 v49, v7, v3
	v_rcp_f32_e32 v50, v49
	v_sub_f32_e32 v6, v7, v49
	v_add_f32_e32 v7, v30, v31
	v_add_f32_e32 v3, v3, v6
	v_mul_f32_e32 v54, v7, v50
	v_sub_f32_e32 v6, v30, v7
	v_mul_f32_e32 v30, v49, v54
	v_fma_f32 v36, v54, v49, -v30
	v_fmac_f32_e32 v36, v54, v3
	v_add_f32_e32 v51, v31, v6
	v_add_f32_e32 v6, v30, v36
	v_sub_f32_e32 v31, v7, v6
	v_pk_add_f32 v[38:39], v[6:7], v[30:31] neg_lo:[0,1] neg_hi:[0,1]
	v_mov_b32_e32 v37, v6
	v_pk_add_f32 v[6:7], v[38:39], v[36:37] neg_lo:[0,1] neg_hi:[0,1]
	v_cmp_eq_f32_e32 vcc, s9, v53
	v_add_f32_e32 v7, v51, v7
	v_add_f32_e32 v6, v6, v7
	;; [unrolled: 1-line block ×3, first 2 shown]
	v_mul_f32_e32 v51, v50, v7
	v_mul_f32_e32 v30, v49, v51
	v_fma_f32 v36, v51, v49, -v30
	v_fmac_f32_e32 v36, v51, v3
	v_sub_f32_e32 v3, v31, v7
	v_add_f32_e32 v3, v6, v3
	v_add_f32_e32 v6, v30, v36
	v_sub_f32_e32 v31, v7, v6
	v_pk_add_f32 v[38:39], v[6:7], v[30:31] neg_lo:[0,1] neg_hi:[0,1]
	v_mov_b32_e32 v37, v6
	v_pk_add_f32 v[6:7], v[38:39], v[36:37] neg_lo:[0,1] neg_hi:[0,1]
	v_cvt_f32_i32_e32 v30, v48
	v_add_f32_e32 v3, v3, v7
	v_add_f32_e32 v3, v6, v3
	;; [unrolled: 1-line block ×4, first 2 shown]
	v_sub_f32_e32 v7, v6, v54
	v_mul_f32_e32 v3, v50, v3
	v_sub_f32_e32 v7, v51, v7
	v_add_f32_e32 v3, v7, v3
	v_add_f32_e32 v31, v6, v3
	v_mul_f32_e32 v36, v31, v31
	v_mov_b32_e32 v7, 0x3ecc95a3
	v_fmac_f32_e32 v7, 0x3e9b6dac, v36
	v_sub_f32_e32 v6, v31, v6
	v_fmaak_f32 v7, v36, v7, 0x3f2aaada
	v_sub_f32_e32 v3, v3, v6
	v_ldexp_f32 v37, v31, 1
	v_mul_f32_e32 v31, v31, v36
	v_mov_b32_e32 v6, 0x3f317218
	v_pk_mul_f32 v[6:7], v[30:31], v[6:7]
	v_ldexp_f32 v3, v3, 1
	v_fma_f32 v31, v30, s8, -v6
	v_fmamk_f32 v36, v30, 0xb102e308, v31
	v_pk_add_f32 v[30:31], v[6:7], v[36:37]
	v_mov_b32_e32 v38, v6
	v_sub_f32_e32 v37, v31, v37
	v_sub_f32_e32 v37, v7, v37
	v_add_f32_e32 v39, v3, v37
	v_pk_add_f32 v[6:7], v[30:31], v[6:7] neg_lo:[0,1] neg_hi:[0,1]
	v_pk_add_f32 v[48:49], v[30:31], v[38:39]
	v_mov_b32_e32 v37, v30
	v_mov_b32_e32 v7, v49
	v_pk_add_f32 v[50:51], v[36:37], v[6:7] neg_lo:[0,1] neg_hi:[0,1]
	v_pk_add_f32 v[6:7], v[36:37], v[6:7]
	v_mov_b32_e32 v38, v39
	v_mov_b32_e32 v36, v7
	v_pk_add_f32 v[54:55], v[36:37], v[30:31] neg_lo:[0,1] neg_hi:[0,1]
	v_mov_b32_e32 v6, v49
	v_mov_b32_e32 v3, v54
	v_pk_add_f32 v[64:65], v[48:49], v[2:3] neg_lo:[0,1] neg_hi:[0,1]
	v_mov_b32_e32 v48, v31
	v_mov_b32_e32 v49, v54
	;; [unrolled: 1-line block ×3, first 2 shown]
	v_pk_add_f32 v[6:7], v[6:7], v[48:49] neg_lo:[0,1] neg_hi:[0,1]
	v_mov_b32_e32 v39, v30
	v_pk_add_f32 v[6:7], v[38:39], v[6:7] neg_lo:[0,1] neg_hi:[0,1]
	v_mov_b32_e32 v64, v50
	v_pk_add_f32 v[30:31], v[64:65], v[6:7]
	s_mov_b32 s8, 0x33800000
	v_mov_b32_e32 v38, v31
	v_pk_add_f32 v[38:39], v[30:31], v[38:39]
	v_cmp_lt_f32_e64 s[8:9], |v53|, s8
	v_pk_add_f32 v[36:37], v[36:37], v[38:39]
	v_mov_b32_e32 v7, v38
	v_mov_b32_e32 v31, v36
	v_pk_add_f32 v[48:49], v[30:31], v[50:51] neg_lo:[0,1] neg_hi:[0,1]
	s_or_b64 vcc, vcc, s[8:9]
	v_sub_f32_e32 v3, v30, v48
	v_pk_add_f32 v[6:7], v[6:7], v[48:49] neg_lo:[0,1] neg_hi:[0,1]
	v_sub_f32_e32 v3, v50, v3
	v_add_f32_e32 v3, v6, v3
	v_add_f32_e32 v3, v3, v7
	;; [unrolled: 1-line block ×3, first 2 shown]
	v_cndmask_b32_e32 v3, v3, v53, vcc
	v_add_f32_e32 v2, v2, v3
	v_cvt_f16_f32_e32 v30, v2
.LBB388_273:
	s_or_b64 exec, exec, s[6:7]
.LBB388_274:
	s_or_b64 exec, exec, s[4:5]
	v_cvt_f32_f16_e32 v2, v30
	v_cmp_u_f16_e64 s[50:51], v30, v30
	v_cmp_u_f16_sdwa vcc, v24, v24 src0_sel:WORD_1 src1_sel:WORD_1
	s_movk_i32 s8, 0x1f8
	v_min_f32_e32 v31, v2, v33
	v_max_f32_e32 v36, v2, v33
	v_cndmask_b32_e64 v3, v31, v2, s[50:51]
	v_cndmask_b32_e32 v6, v3, v33, vcc
	v_cndmask_b32_e64 v3, v36, v2, s[50:51]
	v_cndmask_b32_e32 v3, v3, v33, vcc
	v_cmp_neq_f32_e64 s[4:5], v6, v3
	v_cmp_class_f32_e64 s[6:7], v6, s8
	s_or_b64 s[4:5], s[4:5], s[6:7]
	v_mov_b32_e32 v38, v2
	v_mov_b32_e32 v37, v30
	s_and_saveexec_b64 s[6:7], s[4:5]
	s_cbranch_execz .LBB388_276
; %bb.275:
	v_sub_f32_e32 v6, v6, v3
	s_mov_b32 s4, 0x3fb8aa3b
	v_mul_f32_e32 v7, 0x3fb8aa3b, v6
	v_fma_f32 v24, v6, s4, -v7
	v_rndne_f32_e32 v37, v7
	v_fmamk_f32 v24, v6, 0x32a5705f, v24
	v_sub_f32_e32 v7, v7, v37
	v_add_f32_e32 v7, v7, v24
	v_exp_f32_e32 v7, v7
	v_cvt_i32_f32_e32 v24, v37
	s_mov_b32 s4, 0xc2ce8ed0
	v_cmp_ngt_f32_e64 s[4:5], s4, v6
	s_mov_b32 s9, 0x7f800000
	v_ldexp_f32 v7, v7, v24
	v_cndmask_b32_e64 v7, 0, v7, s[4:5]
	s_mov_b32 s4, 0x42b17218
	v_mov_b32_e32 v24, 0x7f800000
	v_cmp_nlt_f32_e64 s[4:5], s4, v6
	s_nop 1
	v_cndmask_b32_e64 v53, v24, v7, s[4:5]
	v_add_f32_e32 v24, 1.0, v53
	v_add_f32_e32 v6, -1.0, v24
	v_sub_f32_e32 v7, v6, v24
	v_add_f32_e32 v7, 1.0, v7
	v_sub_f32_e32 v6, v53, v6
	v_add_f32_e32 v37, v6, v7
	v_frexp_mant_f32_e32 v38, v24
	s_mov_b32 s4, 0x3f2aaaab
	v_cvt_f64_f32_e32 v[6:7], v24
	v_frexp_exp_i32_f64_e32 v6, v[6:7]
	v_cmp_gt_f32_e64 s[4:5], s4, v38
	s_nop 1
	v_subbrev_co_u32_e64 v54, s[4:5], 0, v6, s[4:5]
	v_sub_u32_e32 v6, 0, v54
	v_ldexp_f32 v7, v24, v6
	v_add_f32_e32 v24, -1.0, v7
	v_add_f32_e32 v38, 1.0, v7
	v_ldexp_f32 v6, v37, v6
	v_add_f32_e32 v37, 1.0, v24
	v_add_f32_e32 v39, -1.0, v38
	v_sub_f32_e32 v37, v7, v37
	v_sub_f32_e32 v7, v7, v39
	v_add_f32_e32 v37, v6, v37
	v_add_f32_e32 v6, v6, v7
	;; [unrolled: 1-line block ×3, first 2 shown]
	v_rcp_f32_e32 v65, v55
	v_sub_f32_e32 v7, v38, v55
	v_add_f32_e32 v64, v6, v7
	v_add_f32_e32 v7, v24, v37
	v_sub_f32_e32 v6, v24, v7
	v_add_f32_e32 v24, v37, v6
	v_mul_f32_e32 v37, v7, v65
	v_mul_f32_e32 v38, v55, v37
	v_fma_f32 v48, v37, v55, -v38
	v_fmac_f32_e32 v48, v37, v64
	v_add_f32_e32 v6, v38, v48
	v_sub_f32_e32 v39, v7, v6
	v_pk_add_f32 v[50:51], v[6:7], v[38:39] neg_lo:[0,1] neg_hi:[0,1]
	v_mov_b32_e32 v49, v6
	v_pk_add_f32 v[6:7], v[50:51], v[48:49] neg_lo:[0,1] neg_hi:[0,1]
	s_mov_b32 s4, 0x3f317218
	v_add_f32_e32 v7, v24, v7
	v_add_f32_e32 v6, v6, v7
	;; [unrolled: 1-line block ×3, first 2 shown]
	v_mul_f32_e32 v24, v65, v7
	v_mul_f32_e32 v38, v55, v24
	v_fma_f32 v48, v24, v55, -v38
	v_fmac_f32_e32 v48, v24, v64
	v_sub_f32_e32 v39, v39, v7
	v_add_f32_e32 v55, v6, v39
	v_add_f32_e32 v6, v38, v48
	v_sub_f32_e32 v39, v7, v6
	v_pk_add_f32 v[50:51], v[6:7], v[38:39] neg_lo:[0,1] neg_hi:[0,1]
	v_mov_b32_e32 v49, v6
	v_pk_add_f32 v[6:7], v[50:51], v[48:49] neg_lo:[0,1] neg_hi:[0,1]
	v_cvt_f32_i32_e32 v38, v54
	v_add_f32_e32 v7, v55, v7
	v_add_f32_e32 v6, v6, v7
	;; [unrolled: 1-line block ×4, first 2 shown]
	v_sub_f32_e32 v7, v39, v37
	v_mul_f32_e32 v6, v65, v6
	v_sub_f32_e32 v7, v24, v7
	v_add_f32_e32 v6, v7, v6
	v_add_f32_e32 v24, v39, v6
	v_mul_f32_e32 v37, v24, v24
	v_mov_b32_e32 v7, 0x3ecc95a3
	v_sub_f32_e32 v39, v24, v39
	v_fmac_f32_e32 v7, 0x3e9b6dac, v37
	v_sub_f32_e32 v6, v6, v39
	v_fmaak_f32 v7, v37, v7, 0x3f2aaada
	v_ldexp_f32 v50, v6, 1
	v_mul_f32_e32 v39, v24, v37
	v_mov_b32_e32 v6, 0x3f317218
	v_pk_mul_f32 v[6:7], v[38:39], v[6:7]
	v_ldexp_f32 v49, v24, 1
	v_fma_f32 v24, v38, s4, -v6
	v_fmamk_f32 v48, v38, 0xb102e308, v24
	v_pk_add_f32 v[38:39], v[6:7], v[48:49]
	v_cmp_eq_f32_e64 s[4:5], s9, v53
	v_sub_f32_e32 v24, v39, v49
	v_sub_f32_e32 v24, v7, v24
	v_add_f32_e32 v51, v50, v24
	v_mov_b32_e32 v50, v6
	v_pk_add_f32 v[6:7], v[38:39], v[6:7] neg_lo:[0,1] neg_hi:[0,1]
	v_pk_add_f32 v[54:55], v[38:39], v[50:51]
	v_mov_b32_e32 v49, v38
	v_mov_b32_e32 v7, v55
	v_pk_add_f32 v[64:65], v[48:49], v[6:7] neg_lo:[0,1] neg_hi:[0,1]
	v_pk_add_f32 v[6:7], v[48:49], v[6:7]
	s_mov_b32 s9, 0x33800000
	v_mov_b32_e32 v24, v7
	v_pk_add_f32 v[48:49], v[24:25], v[38:39] neg_lo:[0,1] neg_hi:[0,1]
	v_mov_b32_e32 v6, v55
	v_mov_b32_e32 v37, v48
	v_pk_add_f32 v[66:67], v[54:55], v[36:37] neg_lo:[0,1] neg_hi:[0,1]
	v_mov_b32_e32 v54, v39
	v_mov_b32_e32 v55, v48
	;; [unrolled: 1-line block ×3, first 2 shown]
	v_pk_add_f32 v[6:7], v[6:7], v[54:55] neg_lo:[0,1] neg_hi:[0,1]
	v_mov_b32_e32 v48, v51
	v_mov_b32_e32 v49, v38
	v_pk_add_f32 v[6:7], v[48:49], v[6:7] neg_lo:[0,1] neg_hi:[0,1]
	v_mov_b32_e32 v66, v64
	v_pk_add_f32 v[38:39], v[66:67], v[6:7]
	v_cmp_lt_f32_e64 s[10:11], |v53|, s9
	v_mov_b32_e32 v48, v39
	v_pk_add_f32 v[48:49], v[38:39], v[48:49]
	s_or_b64 s[4:5], s[4:5], s[10:11]
	v_pk_add_f32 v[50:51], v[24:25], v[48:49]
	v_mov_b32_e32 v7, v48
	v_mov_b32_e32 v39, v50
	v_pk_add_f32 v[54:55], v[38:39], v[64:65] neg_lo:[0,1] neg_hi:[0,1]
	s_nop 0
	v_sub_f32_e32 v24, v38, v54
	v_pk_add_f32 v[6:7], v[6:7], v[54:55] neg_lo:[0,1] neg_hi:[0,1]
	v_sub_f32_e32 v24, v64, v24
	v_add_f32_e32 v6, v6, v24
	v_add_f32_e32 v6, v6, v7
	;; [unrolled: 1-line block ×3, first 2 shown]
	v_cndmask_b32_e64 v6, v6, v53, s[4:5]
	v_add_f32_e32 v3, v3, v6
	v_cvt_f16_f32_e32 v37, v3
	v_cvt_f32_f16_e32 v38, v37
.LBB388_276:
	s_or_b64 exec, exec, s[6:7]
	v_cvt_f32_f16_e32 v3, v25
	v_max_f32_e32 v6, v38, v38
	v_cmp_u_f16_e64 s[6:7], v37, v37
	v_cmp_u_f16_e64 s[4:5], v25, v25
	v_min_f32_e32 v7, v6, v3
	v_max_f32_e32 v6, v6, v3
	v_cndmask_b32_e64 v7, v7, v38, s[6:7]
	v_cndmask_b32_e64 v6, v6, v38, s[6:7]
	;; [unrolled: 1-line block ×4, first 2 shown]
	v_cmp_neq_f32_e64 s[6:7], v7, v6
	v_cmp_class_f32_e64 s[8:9], v7, s8
	s_or_b64 s[6:7], s[6:7], s[8:9]
	s_and_saveexec_b64 s[8:9], s[6:7]
	s_cbranch_execz .LBB388_278
; %bb.277:
	v_sub_f32_e32 v7, v7, v6
	s_mov_b32 s6, 0x3fb8aa3b
	v_mul_f32_e32 v24, 0x3fb8aa3b, v7
	v_fma_f32 v37, v7, s6, -v24
	v_rndne_f32_e32 v38, v24
	v_fmamk_f32 v37, v7, 0x32a5705f, v37
	v_sub_f32_e32 v24, v24, v38
	v_add_f32_e32 v24, v24, v37
	v_exp_f32_e32 v24, v24
	v_cvt_i32_f32_e32 v37, v38
	s_mov_b32 s6, 0xc2ce8ed0
	v_cmp_ngt_f32_e64 s[6:7], s6, v7
	s_mov_b32 s10, 0x7f800000
	v_ldexp_f32 v24, v24, v37
	v_cndmask_b32_e64 v24, 0, v24, s[6:7]
	s_mov_b32 s6, 0x42b17218
	v_mov_b32_e32 v37, 0x7f800000
	v_cmp_nlt_f32_e64 s[6:7], s6, v7
	s_nop 1
	v_cndmask_b32_e64 v37, v37, v24, s[6:7]
	v_add_f32_e32 v7, 1.0, v37
	v_add_f32_e32 v24, -1.0, v7
	v_sub_f32_e32 v38, v24, v7
	v_add_f32_e32 v38, 1.0, v38
	v_sub_f32_e32 v24, v37, v24
	v_add_f32_e32 v24, v24, v38
	v_frexp_mant_f32_e32 v48, v7
	s_mov_b32 s6, 0x3f2aaaab
	v_cvt_f64_f32_e32 v[38:39], v7
	v_frexp_exp_i32_f64_e32 v38, v[38:39]
	v_cmp_gt_f32_e64 s[6:7], s6, v48
	s_nop 1
	v_subbrev_co_u32_e64 v53, s[6:7], 0, v38, s[6:7]
	v_sub_u32_e32 v38, 0, v53
	v_ldexp_f32 v7, v7, v38
	v_ldexp_f32 v24, v24, v38
	v_add_f32_e32 v38, -1.0, v7
	v_add_f32_e32 v39, 1.0, v38
	v_sub_f32_e32 v39, v7, v39
	v_add_f32_e32 v48, v24, v39
	v_add_f32_e32 v39, 1.0, v7
	v_add_f32_e32 v49, -1.0, v39
	v_sub_f32_e32 v7, v7, v49
	v_add_f32_e32 v7, v24, v7
	v_add_f32_e32 v24, v39, v7
	v_rcp_f32_e32 v64, v24
	v_sub_f32_e32 v39, v39, v24
	v_add_f32_e32 v7, v7, v39
	v_add_f32_e32 v39, v38, v48
	v_sub_f32_e32 v38, v38, v39
	v_mul_f32_e32 v66, v39, v64
	v_add_f32_e32 v65, v48, v38
	v_mul_f32_e32 v48, v24, v66
	v_fma_f32 v50, v66, v24, -v48
	v_fmac_f32_e32 v50, v66, v7
	v_add_f32_e32 v38, v48, v50
	v_sub_f32_e32 v49, v39, v38
	v_pk_add_f32 v[54:55], v[38:39], v[48:49] neg_lo:[0,1] neg_hi:[0,1]
	v_mov_b32_e32 v51, v38
	v_pk_add_f32 v[38:39], v[54:55], v[50:51] neg_lo:[0,1] neg_hi:[0,1]
	s_mov_b32 s6, 0x3f317218
	v_add_f32_e32 v39, v65, v39
	v_add_f32_e32 v38, v38, v39
	;; [unrolled: 1-line block ×3, first 2 shown]
	v_mul_f32_e32 v65, v64, v39
	v_mul_f32_e32 v48, v24, v65
	v_fma_f32 v50, v65, v24, -v48
	v_fmac_f32_e32 v50, v65, v7
	v_sub_f32_e32 v7, v49, v39
	v_add_f32_e32 v7, v38, v7
	v_add_f32_e32 v38, v48, v50
	v_sub_f32_e32 v49, v39, v38
	v_pk_add_f32 v[54:55], v[38:39], v[48:49] neg_lo:[0,1] neg_hi:[0,1]
	v_mov_b32_e32 v51, v38
	v_pk_add_f32 v[38:39], v[54:55], v[50:51] neg_lo:[0,1] neg_hi:[0,1]
	v_add_f32_e32 v24, v66, v65
	v_add_f32_e32 v7, v7, v39
	;; [unrolled: 1-line block ×4, first 2 shown]
	v_sub_f32_e32 v38, v24, v66
	v_mul_f32_e32 v7, v64, v7
	v_sub_f32_e32 v38, v65, v38
	v_add_f32_e32 v7, v38, v7
	v_add_f32_e32 v38, v24, v7
	v_cvt_f32_i32_e32 v48, v53
	v_mul_f32_e32 v49, v38, v38
	v_mov_b32_e32 v39, 0x3ecc95a3
	v_fmac_f32_e32 v39, 0x3e9b6dac, v49
	v_fmaak_f32 v39, v49, v39, 0x3f2aaada
	v_sub_f32_e32 v24, v38, v24
	v_ldexp_f32 v51, v38, 1
	v_mul_f32_e32 v49, v38, v49
	v_mov_b32_e32 v38, 0x3f317218
	v_pk_mul_f32 v[38:39], v[48:49], v[38:39]
	v_sub_f32_e32 v7, v7, v24
	v_fma_f32 v24, v48, s6, -v38
	v_fmamk_f32 v50, v48, 0xb102e308, v24
	v_pk_add_f32 v[48:49], v[38:39], v[50:51]
	v_ldexp_f32 v7, v7, 1
	v_sub_f32_e32 v24, v49, v51
	v_sub_f32_e32 v24, v39, v24
	v_add_f32_e32 v55, v7, v24
	v_mov_b32_e32 v54, v38
	v_pk_add_f32 v[38:39], v[48:49], v[38:39] neg_lo:[0,1] neg_hi:[0,1]
	v_pk_add_f32 v[64:65], v[48:49], v[54:55]
	v_mov_b32_e32 v51, v48
	v_mov_b32_e32 v39, v65
	v_pk_add_f32 v[66:67], v[50:51], v[38:39] neg_lo:[0,1] neg_hi:[0,1]
	v_pk_add_f32 v[38:39], v[50:51], v[38:39]
	v_cmp_eq_f32_e64 s[6:7], s10, v37
	v_mov_b32_e32 v24, v39
	v_pk_add_f32 v[50:51], v[24:25], v[48:49] neg_lo:[0,1] neg_hi:[0,1]
	v_mov_b32_e32 v38, v65
	v_mov_b32_e32 v7, v50
	v_pk_add_f32 v[68:69], v[64:65], v[6:7] neg_lo:[0,1] neg_hi:[0,1]
	v_mov_b32_e32 v64, v49
	v_mov_b32_e32 v65, v50
	;; [unrolled: 1-line block ×3, first 2 shown]
	v_pk_add_f32 v[38:39], v[38:39], v[64:65] neg_lo:[0,1] neg_hi:[0,1]
	v_mov_b32_e32 v50, v55
	v_mov_b32_e32 v51, v48
	v_pk_add_f32 v[38:39], v[50:51], v[38:39] neg_lo:[0,1] neg_hi:[0,1]
	v_mov_b32_e32 v68, v66
	v_pk_add_f32 v[48:49], v[68:69], v[38:39]
	s_mov_b32 s10, 0x33800000
	v_mov_b32_e32 v50, v49
	v_pk_add_f32 v[50:51], v[48:49], v[50:51]
	v_cmp_lt_f32_e64 s[10:11], |v37|, s10
	v_pk_add_f32 v[54:55], v[24:25], v[50:51]
	v_mov_b32_e32 v39, v50
	v_mov_b32_e32 v49, v54
	v_pk_add_f32 v[64:65], v[48:49], v[66:67] neg_lo:[0,1] neg_hi:[0,1]
	s_or_b64 s[6:7], s[6:7], s[10:11]
	v_sub_f32_e32 v7, v48, v64
	v_pk_add_f32 v[38:39], v[38:39], v[64:65] neg_lo:[0,1] neg_hi:[0,1]
	v_sub_f32_e32 v7, v66, v7
	v_add_f32_e32 v7, v38, v7
	v_add_f32_e32 v7, v7, v39
	;; [unrolled: 1-line block ×3, first 2 shown]
	v_cndmask_b32_e64 v7, v7, v37, s[6:7]
	v_add_f32_e32 v6, v6, v7
	v_cvt_f16_f32_e32 v37, v6
	v_cvt_f32_f16_e32 v38, v37
.LBB388_278:
	s_or_b64 exec, exec, s[8:9]
	v_cvt_f32_f16_sdwa v6, v25 dst_sel:DWORD dst_unused:UNUSED_PAD src0_sel:WORD_1
	v_max_f32_e32 v7, v38, v38
	v_cmp_u_f16_e64 s[8:9], v37, v37
	v_cmp_u_f16_sdwa s[6:7], v25, v25 src0_sel:WORD_1 src1_sel:WORD_1
	v_min_f32_e32 v24, v7, v6
	v_max_f32_e32 v7, v7, v6
	v_cndmask_b32_e64 v24, v24, v38, s[8:9]
	v_cndmask_b32_e64 v7, v7, v38, s[8:9]
	;; [unrolled: 1-line block ×4, first 2 shown]
	s_movk_i32 s12, 0x1f8
	v_cmp_neq_f32_e64 s[8:9], v24, v7
	v_cmp_class_f32_e64 s[10:11], v24, s12
	s_or_b64 s[8:9], s[8:9], s[10:11]
	s_and_saveexec_b64 s[10:11], s[8:9]
	s_cbranch_execz .LBB388_280
; %bb.279:
	v_sub_f32_e32 v24, v24, v7
	s_mov_b32 s8, 0x3fb8aa3b
	v_mul_f32_e32 v25, 0x3fb8aa3b, v24
	v_fma_f32 v37, v24, s8, -v25
	v_rndne_f32_e32 v38, v25
	v_fmamk_f32 v37, v24, 0x32a5705f, v37
	v_sub_f32_e32 v25, v25, v38
	v_add_f32_e32 v25, v25, v37
	v_exp_f32_e32 v25, v25
	v_cvt_i32_f32_e32 v37, v38
	s_mov_b32 s8, 0xc2ce8ed0
	v_cmp_ngt_f32_e64 s[8:9], s8, v24
	s_mov_b32 s13, 0x7f800000
	v_ldexp_f32 v25, v25, v37
	v_cndmask_b32_e64 v25, 0, v25, s[8:9]
	s_mov_b32 s8, 0x42b17218
	v_mov_b32_e32 v37, 0x7f800000
	v_cmp_nlt_f32_e64 s[8:9], s8, v24
	s_nop 1
	v_cndmask_b32_e64 v53, v37, v25, s[8:9]
	v_add_f32_e32 v37, 1.0, v53
	v_add_f32_e32 v24, -1.0, v37
	v_sub_f32_e32 v25, v24, v37
	v_add_f32_e32 v25, 1.0, v25
	v_sub_f32_e32 v24, v53, v24
	v_add_f32_e32 v38, v24, v25
	v_frexp_mant_f32_e32 v39, v37
	s_mov_b32 s8, 0x3f2aaaab
	v_cvt_f64_f32_e32 v[24:25], v37
	v_frexp_exp_i32_f64_e32 v24, v[24:25]
	v_cmp_gt_f32_e64 s[8:9], s8, v39
	s_nop 1
	v_subbrev_co_u32_e64 v54, s[8:9], 0, v24, s[8:9]
	v_sub_u32_e32 v24, 0, v54
	v_ldexp_f32 v25, v37, v24
	v_add_f32_e32 v37, -1.0, v25
	v_add_f32_e32 v39, 1.0, v25
	v_ldexp_f32 v24, v38, v24
	v_add_f32_e32 v38, 1.0, v37
	v_add_f32_e32 v48, -1.0, v39
	v_sub_f32_e32 v38, v25, v38
	v_sub_f32_e32 v25, v25, v48
	v_add_f32_e32 v38, v24, v38
	v_add_f32_e32 v24, v24, v25
	;; [unrolled: 1-line block ×3, first 2 shown]
	v_rcp_f32_e32 v65, v55
	v_sub_f32_e32 v25, v39, v55
	v_add_f32_e32 v64, v24, v25
	v_add_f32_e32 v25, v37, v38
	v_sub_f32_e32 v24, v37, v25
	v_mul_f32_e32 v66, v25, v65
	v_add_f32_e32 v37, v38, v24
	v_mul_f32_e32 v38, v55, v66
	v_fma_f32 v48, v66, v55, -v38
	v_fmac_f32_e32 v48, v66, v64
	v_add_f32_e32 v24, v38, v48
	v_sub_f32_e32 v39, v25, v24
	v_pk_add_f32 v[50:51], v[24:25], v[38:39] neg_lo:[0,1] neg_hi:[0,1]
	v_mov_b32_e32 v49, v24
	v_pk_add_f32 v[24:25], v[50:51], v[48:49] neg_lo:[0,1] neg_hi:[0,1]
	s_mov_b32 s8, 0x3f317218
	v_add_f32_e32 v25, v37, v25
	v_add_f32_e32 v24, v24, v25
	;; [unrolled: 1-line block ×3, first 2 shown]
	v_mul_f32_e32 v37, v65, v25
	v_mul_f32_e32 v38, v55, v37
	v_fma_f32 v48, v37, v55, -v38
	v_fmac_f32_e32 v48, v37, v64
	v_sub_f32_e32 v39, v39, v25
	v_add_f32_e32 v55, v24, v39
	v_add_f32_e32 v24, v38, v48
	v_sub_f32_e32 v39, v25, v24
	v_pk_add_f32 v[50:51], v[24:25], v[38:39] neg_lo:[0,1] neg_hi:[0,1]
	v_mov_b32_e32 v49, v24
	v_pk_add_f32 v[24:25], v[50:51], v[48:49] neg_lo:[0,1] neg_hi:[0,1]
	v_cvt_f32_i32_e32 v38, v54
	v_add_f32_e32 v25, v55, v25
	v_add_f32_e32 v24, v24, v25
	;; [unrolled: 1-line block ×4, first 2 shown]
	v_sub_f32_e32 v25, v39, v66
	v_mul_f32_e32 v24, v65, v24
	v_sub_f32_e32 v25, v37, v25
	v_add_f32_e32 v24, v25, v24
	v_add_f32_e32 v37, v39, v24
	v_mul_f32_e32 v48, v37, v37
	v_mov_b32_e32 v25, 0x3ecc95a3
	v_sub_f32_e32 v39, v37, v39
	v_fmac_f32_e32 v25, 0x3e9b6dac, v48
	v_sub_f32_e32 v24, v24, v39
	v_fmaak_f32 v25, v48, v25, 0x3f2aaada
	v_ldexp_f32 v50, v24, 1
	v_mul_f32_e32 v39, v37, v48
	v_mov_b32_e32 v24, 0x3f317218
	v_pk_mul_f32 v[24:25], v[38:39], v[24:25]
	v_ldexp_f32 v49, v37, 1
	v_fma_f32 v37, v38, s8, -v24
	v_fmamk_f32 v48, v38, 0xb102e308, v37
	v_pk_add_f32 v[38:39], v[24:25], v[48:49]
	v_cmp_eq_f32_e64 s[8:9], s13, v53
	v_sub_f32_e32 v37, v39, v49
	v_sub_f32_e32 v37, v25, v37
	v_add_f32_e32 v51, v50, v37
	v_mov_b32_e32 v50, v24
	v_pk_add_f32 v[24:25], v[38:39], v[24:25] neg_lo:[0,1] neg_hi:[0,1]
	v_pk_add_f32 v[54:55], v[38:39], v[50:51]
	v_mov_b32_e32 v49, v38
	v_mov_b32_e32 v25, v55
	v_pk_add_f32 v[64:65], v[48:49], v[24:25] neg_lo:[0,1] neg_hi:[0,1]
	v_pk_add_f32 v[24:25], v[48:49], v[24:25]
	v_mov_b32_e32 v50, v51
	v_mov_b32_e32 v48, v25
	v_pk_add_f32 v[66:67], v[48:49], v[38:39] neg_lo:[0,1] neg_hi:[0,1]
	v_mov_b32_e32 v24, v55
	v_mov_b32_e32 v37, v66
	v_pk_add_f32 v[68:69], v[54:55], v[36:37] neg_lo:[0,1] neg_hi:[0,1]
	v_mov_b32_e32 v54, v39
	v_mov_b32_e32 v55, v66
	v_mov_b32_e32 v65, v25
	v_pk_add_f32 v[24:25], v[24:25], v[54:55] neg_lo:[0,1] neg_hi:[0,1]
	v_mov_b32_e32 v51, v38
	v_pk_add_f32 v[24:25], v[50:51], v[24:25] neg_lo:[0,1] neg_hi:[0,1]
	v_mov_b32_e32 v68, v64
	v_pk_add_f32 v[38:39], v[68:69], v[24:25]
	s_mov_b32 s13, 0x33800000
	v_mov_b32_e32 v50, v39
	v_pk_add_f32 v[50:51], v[38:39], v[50:51]
	v_cmp_lt_f32_e64 s[14:15], |v53|, s13
	v_pk_add_f32 v[48:49], v[48:49], v[50:51]
	v_mov_b32_e32 v25, v50
	v_mov_b32_e32 v39, v48
	v_pk_add_f32 v[54:55], v[38:39], v[64:65] neg_lo:[0,1] neg_hi:[0,1]
	s_or_b64 s[8:9], s[8:9], s[14:15]
	v_sub_f32_e32 v37, v38, v54
	v_pk_add_f32 v[24:25], v[24:25], v[54:55] neg_lo:[0,1] neg_hi:[0,1]
	v_sub_f32_e32 v37, v64, v37
	v_add_f32_e32 v24, v24, v37
	v_add_f32_e32 v24, v24, v25
	;; [unrolled: 1-line block ×3, first 2 shown]
	v_cndmask_b32_e64 v24, v24, v53, s[8:9]
	v_add_f32_e32 v7, v7, v24
	v_cvt_f16_f32_e32 v37, v7
	v_cvt_f32_f16_e32 v38, v37
.LBB388_280:
	s_or_b64 exec, exec, s[10:11]
	v_cvt_f32_f16_e32 v7, v26
	v_max_f32_e32 v24, v38, v38
	v_cmp_u_f16_e64 s[10:11], v37, v37
	v_cmp_u_f16_e64 s[8:9], v26, v26
	v_min_f32_e32 v25, v24, v7
	v_max_f32_e32 v24, v24, v7
	v_cndmask_b32_e64 v25, v25, v38, s[10:11]
	v_cndmask_b32_e64 v24, v24, v38, s[10:11]
	;; [unrolled: 1-line block ×4, first 2 shown]
	v_cmp_neq_f32_e64 s[10:11], v25, v24
	v_cmp_class_f32_e64 s[12:13], v25, s12
	s_or_b64 s[10:11], s[10:11], s[12:13]
	s_and_saveexec_b64 s[12:13], s[10:11]
	s_cbranch_execz .LBB388_282
; %bb.281:
	v_sub_f32_e32 v25, v25, v24
	s_mov_b32 s10, 0x3fb8aa3b
	v_mul_f32_e32 v37, 0x3fb8aa3b, v25
	v_fma_f32 v38, v25, s10, -v37
	v_rndne_f32_e32 v39, v37
	v_fmamk_f32 v38, v25, 0x32a5705f, v38
	v_sub_f32_e32 v37, v37, v39
	v_add_f32_e32 v37, v37, v38
	v_exp_f32_e32 v37, v37
	v_cvt_i32_f32_e32 v38, v39
	s_mov_b32 s10, 0xc2ce8ed0
	v_cmp_ngt_f32_e64 s[10:11], s10, v25
	s_mov_b32 s14, 0x7f800000
	v_ldexp_f32 v37, v37, v38
	v_cndmask_b32_e64 v37, 0, v37, s[10:11]
	s_mov_b32 s10, 0x42b17218
	v_mov_b32_e32 v38, 0x7f800000
	v_cmp_nlt_f32_e64 s[10:11], s10, v25
	s_nop 1
	v_cndmask_b32_e64 v37, v38, v37, s[10:11]
	v_add_f32_e32 v25, 1.0, v37
	v_add_f32_e32 v38, -1.0, v25
	v_sub_f32_e32 v39, v38, v25
	v_add_f32_e32 v39, 1.0, v39
	v_sub_f32_e32 v38, v37, v38
	v_add_f32_e32 v48, v38, v39
	v_frexp_mant_f32_e32 v49, v25
	s_mov_b32 s10, 0x3f2aaaab
	v_cvt_f64_f32_e32 v[38:39], v25
	v_frexp_exp_i32_f64_e32 v38, v[38:39]
	v_cmp_gt_f32_e64 s[10:11], s10, v49
	s_nop 1
	v_subbrev_co_u32_e64 v53, s[10:11], 0, v38, s[10:11]
	v_sub_u32_e32 v38, 0, v53
	v_ldexp_f32 v25, v25, v38
	v_ldexp_f32 v38, v48, v38
	v_add_f32_e32 v48, -1.0, v25
	v_add_f32_e32 v39, 1.0, v48
	v_sub_f32_e32 v39, v25, v39
	v_add_f32_e32 v49, v38, v39
	v_add_f32_e32 v39, 1.0, v25
	v_add_f32_e32 v50, -1.0, v39
	v_sub_f32_e32 v25, v25, v50
	v_add_f32_e32 v25, v38, v25
	v_add_f32_e32 v64, v39, v25
	v_rcp_f32_e32 v65, v64
	v_sub_f32_e32 v38, v39, v64
	v_add_f32_e32 v39, v48, v49
	v_add_f32_e32 v25, v25, v38
	v_mul_f32_e32 v67, v39, v65
	v_sub_f32_e32 v38, v48, v39
	v_mul_f32_e32 v48, v64, v67
	v_fma_f32 v50, v67, v64, -v48
	v_fmac_f32_e32 v50, v67, v25
	v_add_f32_e32 v66, v49, v38
	v_add_f32_e32 v38, v48, v50
	v_sub_f32_e32 v49, v39, v38
	v_pk_add_f32 v[54:55], v[38:39], v[48:49] neg_lo:[0,1] neg_hi:[0,1]
	v_mov_b32_e32 v51, v38
	v_pk_add_f32 v[38:39], v[54:55], v[50:51] neg_lo:[0,1] neg_hi:[0,1]
	s_mov_b32 s10, 0x3f317218
	v_add_f32_e32 v39, v66, v39
	v_add_f32_e32 v38, v38, v39
	;; [unrolled: 1-line block ×3, first 2 shown]
	v_mul_f32_e32 v66, v65, v39
	v_mul_f32_e32 v48, v64, v66
	v_fma_f32 v50, v66, v64, -v48
	v_fmac_f32_e32 v50, v66, v25
	v_sub_f32_e32 v25, v49, v39
	v_add_f32_e32 v25, v38, v25
	v_add_f32_e32 v38, v48, v50
	v_sub_f32_e32 v49, v39, v38
	v_pk_add_f32 v[54:55], v[38:39], v[48:49] neg_lo:[0,1] neg_hi:[0,1]
	v_mov_b32_e32 v51, v38
	v_pk_add_f32 v[38:39], v[54:55], v[50:51] neg_lo:[0,1] neg_hi:[0,1]
	v_cvt_f32_i32_e32 v48, v53
	v_add_f32_e32 v25, v25, v39
	v_add_f32_e32 v25, v38, v25
	;; [unrolled: 1-line block ×4, first 2 shown]
	v_sub_f32_e32 v39, v38, v67
	v_mul_f32_e32 v25, v65, v25
	v_sub_f32_e32 v39, v66, v39
	v_add_f32_e32 v25, v39, v25
	v_add_f32_e32 v49, v38, v25
	v_mul_f32_e32 v50, v49, v49
	v_mov_b32_e32 v39, 0x3ecc95a3
	v_fmac_f32_e32 v39, 0x3e9b6dac, v50
	v_sub_f32_e32 v38, v49, v38
	v_fmaak_f32 v39, v50, v39, 0x3f2aaada
	v_sub_f32_e32 v25, v25, v38
	v_ldexp_f32 v51, v49, 1
	v_mul_f32_e32 v49, v49, v50
	v_mov_b32_e32 v38, 0x3f317218
	v_pk_mul_f32 v[38:39], v[48:49], v[38:39]
	v_ldexp_f32 v25, v25, 1
	v_fma_f32 v49, v48, s10, -v38
	v_fmamk_f32 v50, v48, 0xb102e308, v49
	v_pk_add_f32 v[48:49], v[38:39], v[50:51]
	v_mov_b32_e32 v54, v38
	v_sub_f32_e32 v51, v49, v51
	v_sub_f32_e32 v51, v39, v51
	v_add_f32_e32 v55, v25, v51
	v_pk_add_f32 v[38:39], v[48:49], v[38:39] neg_lo:[0,1] neg_hi:[0,1]
	v_pk_add_f32 v[64:65], v[48:49], v[54:55]
	v_mov_b32_e32 v51, v48
	v_mov_b32_e32 v39, v65
	v_pk_add_f32 v[66:67], v[50:51], v[38:39] neg_lo:[0,1] neg_hi:[0,1]
	v_pk_add_f32 v[38:39], v[50:51], v[38:39]
	v_mov_b32_e32 v54, v55
	v_mov_b32_e32 v50, v39
	v_pk_add_f32 v[68:69], v[50:51], v[48:49] neg_lo:[0,1] neg_hi:[0,1]
	v_mov_b32_e32 v38, v65
	v_mov_b32_e32 v25, v68
	v_pk_add_f32 v[70:71], v[64:65], v[24:25] neg_lo:[0,1] neg_hi:[0,1]
	v_mov_b32_e32 v64, v49
	v_mov_b32_e32 v65, v68
	;; [unrolled: 1-line block ×3, first 2 shown]
	v_pk_add_f32 v[38:39], v[38:39], v[64:65] neg_lo:[0,1] neg_hi:[0,1]
	v_mov_b32_e32 v55, v48
	v_pk_add_f32 v[38:39], v[54:55], v[38:39] neg_lo:[0,1] neg_hi:[0,1]
	v_mov_b32_e32 v70, v66
	v_pk_add_f32 v[48:49], v[70:71], v[38:39]
	v_cmp_eq_f32_e64 s[10:11], s14, v37
	v_mov_b32_e32 v54, v49
	v_pk_add_f32 v[54:55], v[48:49], v[54:55]
	s_mov_b32 s14, 0x33800000
	v_pk_add_f32 v[50:51], v[50:51], v[54:55]
	v_mov_b32_e32 v39, v54
	v_mov_b32_e32 v49, v50
	v_pk_add_f32 v[64:65], v[48:49], v[66:67] neg_lo:[0,1] neg_hi:[0,1]
	v_cmp_lt_f32_e64 s[14:15], |v37|, s14
	v_sub_f32_e32 v25, v48, v64
	v_pk_add_f32 v[38:39], v[38:39], v[64:65] neg_lo:[0,1] neg_hi:[0,1]
	v_sub_f32_e32 v25, v66, v25
	v_add_f32_e32 v25, v38, v25
	v_add_f32_e32 v25, v25, v39
	;; [unrolled: 1-line block ×3, first 2 shown]
	s_or_b64 s[10:11], s[10:11], s[14:15]
	v_cndmask_b32_e64 v25, v25, v37, s[10:11]
	v_add_f32_e32 v24, v24, v25
	v_cvt_f16_f32_e32 v37, v24
	v_cvt_f32_f16_e32 v38, v37
.LBB388_282:
	s_or_b64 exec, exec, s[12:13]
	v_cvt_f32_f16_sdwa v24, v26 dst_sel:DWORD dst_unused:UNUSED_PAD src0_sel:WORD_1
	v_max_f32_e32 v25, v38, v38
	v_cmp_u_f16_e64 s[12:13], v37, v37
	v_cmp_u_f16_sdwa s[10:11], v26, v26 src0_sel:WORD_1 src1_sel:WORD_1
	v_min_f32_e32 v39, v25, v24
	v_max_f32_e32 v25, v25, v24
	v_cndmask_b32_e64 v39, v39, v38, s[12:13]
	v_cndmask_b32_e64 v25, v25, v38, s[12:13]
	;; [unrolled: 1-line block ×4, first 2 shown]
	s_movk_i32 s16, 0x1f8
	v_cmp_neq_f32_e64 s[12:13], v26, v25
	v_cmp_class_f32_e64 s[14:15], v26, s16
	s_or_b64 s[12:13], s[12:13], s[14:15]
	s_and_saveexec_b64 s[14:15], s[12:13]
	s_cbranch_execz .LBB388_284
; %bb.283:
	v_sub_f32_e32 v26, v26, v25
	s_mov_b32 s12, 0x3fb8aa3b
	v_mul_f32_e32 v37, 0x3fb8aa3b, v26
	v_fma_f32 v38, v26, s12, -v37
	v_rndne_f32_e32 v39, v37
	v_fmamk_f32 v38, v26, 0x32a5705f, v38
	v_sub_f32_e32 v37, v37, v39
	v_add_f32_e32 v37, v37, v38
	v_exp_f32_e32 v37, v37
	v_cvt_i32_f32_e32 v38, v39
	s_mov_b32 s12, 0xc2ce8ed0
	v_cmp_ngt_f32_e64 s[12:13], s12, v26
	s_mov_b32 s17, 0x7f800000
	v_ldexp_f32 v37, v37, v38
	v_cndmask_b32_e64 v37, 0, v37, s[12:13]
	s_mov_b32 s12, 0x42b17218
	v_mov_b32_e32 v38, 0x7f800000
	v_cmp_nlt_f32_e64 s[12:13], s12, v26
	s_nop 1
	v_cndmask_b32_e64 v53, v38, v37, s[12:13]
	v_add_f32_e32 v26, 1.0, v53
	v_add_f32_e32 v37, -1.0, v26
	v_sub_f32_e32 v38, v37, v26
	v_add_f32_e32 v38, 1.0, v38
	v_sub_f32_e32 v37, v53, v37
	v_add_f32_e32 v37, v37, v38
	v_frexp_mant_f32_e32 v48, v26
	s_mov_b32 s12, 0x3f2aaaab
	v_cvt_f64_f32_e32 v[38:39], v26
	v_frexp_exp_i32_f64_e32 v38, v[38:39]
	v_cmp_gt_f32_e64 s[12:13], s12, v48
	s_nop 1
	v_subbrev_co_u32_e64 v64, s[12:13], 0, v38, s[12:13]
	v_sub_u32_e32 v38, 0, v64
	v_ldexp_f32 v26, v26, v38
	v_ldexp_f32 v37, v37, v38
	v_add_f32_e32 v38, -1.0, v26
	v_add_f32_e32 v39, 1.0, v38
	v_sub_f32_e32 v39, v26, v39
	v_add_f32_e32 v48, v37, v39
	v_add_f32_e32 v39, 1.0, v26
	v_add_f32_e32 v49, -1.0, v39
	v_sub_f32_e32 v26, v26, v49
	v_add_f32_e32 v26, v37, v26
	v_add_f32_e32 v37, v39, v26
	v_rcp_f32_e32 v65, v37
	v_sub_f32_e32 v39, v39, v37
	v_add_f32_e32 v26, v26, v39
	v_add_f32_e32 v39, v38, v48
	v_sub_f32_e32 v38, v38, v39
	v_mul_f32_e32 v67, v39, v65
	v_add_f32_e32 v66, v48, v38
	v_mul_f32_e32 v48, v37, v67
	v_fma_f32 v50, v67, v37, -v48
	v_fmac_f32_e32 v50, v67, v26
	v_add_f32_e32 v38, v48, v50
	v_sub_f32_e32 v49, v39, v38
	v_pk_add_f32 v[54:55], v[38:39], v[48:49] neg_lo:[0,1] neg_hi:[0,1]
	v_mov_b32_e32 v51, v38
	v_pk_add_f32 v[38:39], v[54:55], v[50:51] neg_lo:[0,1] neg_hi:[0,1]
	s_mov_b32 s12, 0x3f317218
	v_add_f32_e32 v39, v66, v39
	v_add_f32_e32 v38, v38, v39
	;; [unrolled: 1-line block ×3, first 2 shown]
	v_mul_f32_e32 v66, v65, v39
	v_mul_f32_e32 v48, v37, v66
	v_fma_f32 v50, v66, v37, -v48
	v_fmac_f32_e32 v50, v66, v26
	v_sub_f32_e32 v26, v49, v39
	v_add_f32_e32 v26, v38, v26
	v_add_f32_e32 v38, v48, v50
	v_sub_f32_e32 v49, v39, v38
	v_pk_add_f32 v[54:55], v[38:39], v[48:49] neg_lo:[0,1] neg_hi:[0,1]
	v_mov_b32_e32 v51, v38
	v_pk_add_f32 v[38:39], v[54:55], v[50:51] neg_lo:[0,1] neg_hi:[0,1]
	v_add_f32_e32 v37, v67, v66
	v_add_f32_e32 v26, v26, v39
	;; [unrolled: 1-line block ×4, first 2 shown]
	v_sub_f32_e32 v38, v37, v67
	v_mul_f32_e32 v26, v65, v26
	v_sub_f32_e32 v38, v66, v38
	v_add_f32_e32 v26, v38, v26
	v_add_f32_e32 v38, v37, v26
	v_cvt_f32_i32_e32 v48, v64
	v_mul_f32_e32 v49, v38, v38
	v_mov_b32_e32 v39, 0x3ecc95a3
	v_fmac_f32_e32 v39, 0x3e9b6dac, v49
	v_fmaak_f32 v39, v49, v39, 0x3f2aaada
	v_sub_f32_e32 v37, v38, v37
	v_ldexp_f32 v51, v38, 1
	v_mul_f32_e32 v49, v38, v49
	v_mov_b32_e32 v38, 0x3f317218
	v_pk_mul_f32 v[38:39], v[48:49], v[38:39]
	v_sub_f32_e32 v26, v26, v37
	v_fma_f32 v37, v48, s12, -v38
	v_fmamk_f32 v50, v48, 0xb102e308, v37
	v_pk_add_f32 v[48:49], v[38:39], v[50:51]
	v_ldexp_f32 v26, v26, 1
	v_sub_f32_e32 v37, v49, v51
	v_sub_f32_e32 v37, v39, v37
	v_add_f32_e32 v55, v26, v37
	v_mov_b32_e32 v54, v38
	v_pk_add_f32 v[38:39], v[48:49], v[38:39] neg_lo:[0,1] neg_hi:[0,1]
	v_pk_add_f32 v[64:65], v[48:49], v[54:55]
	v_mov_b32_e32 v51, v48
	v_mov_b32_e32 v39, v65
	v_pk_add_f32 v[66:67], v[50:51], v[38:39] neg_lo:[0,1] neg_hi:[0,1]
	v_pk_add_f32 v[38:39], v[50:51], v[38:39]
	v_cmp_eq_f32_e64 s[12:13], s17, v53
	v_mov_b32_e32 v26, v39
	v_pk_add_f32 v[50:51], v[26:27], v[48:49] neg_lo:[0,1] neg_hi:[0,1]
	v_mov_b32_e32 v38, v65
	v_mov_b32_e32 v37, v50
	v_pk_add_f32 v[68:69], v[64:65], v[36:37] neg_lo:[0,1] neg_hi:[0,1]
	v_mov_b32_e32 v64, v49
	v_mov_b32_e32 v65, v50
	;; [unrolled: 1-line block ×3, first 2 shown]
	v_pk_add_f32 v[38:39], v[38:39], v[64:65] neg_lo:[0,1] neg_hi:[0,1]
	v_mov_b32_e32 v50, v55
	v_mov_b32_e32 v51, v48
	v_pk_add_f32 v[38:39], v[50:51], v[38:39] neg_lo:[0,1] neg_hi:[0,1]
	v_mov_b32_e32 v68, v66
	v_pk_add_f32 v[48:49], v[68:69], v[38:39]
	s_mov_b32 s17, 0x33800000
	v_mov_b32_e32 v50, v49
	v_pk_add_f32 v[50:51], v[48:49], v[50:51]
	v_cmp_lt_f32_e64 s[18:19], |v53|, s17
	v_pk_add_f32 v[54:55], v[26:27], v[50:51]
	v_mov_b32_e32 v39, v50
	v_mov_b32_e32 v49, v54
	v_pk_add_f32 v[64:65], v[48:49], v[66:67] neg_lo:[0,1] neg_hi:[0,1]
	s_or_b64 s[12:13], s[12:13], s[18:19]
	v_sub_f32_e32 v26, v48, v64
	v_pk_add_f32 v[38:39], v[38:39], v[64:65] neg_lo:[0,1] neg_hi:[0,1]
	v_sub_f32_e32 v26, v66, v26
	v_add_f32_e32 v26, v38, v26
	v_add_f32_e32 v26, v26, v39
	;; [unrolled: 1-line block ×3, first 2 shown]
	v_cndmask_b32_e64 v26, v26, v53, s[12:13]
	v_add_f32_e32 v25, v25, v26
	v_cvt_f16_f32_e32 v37, v25
	v_cvt_f32_f16_e32 v38, v37
.LBB388_284:
	s_or_b64 exec, exec, s[14:15]
	v_cvt_f32_f16_e32 v25, v27
	v_max_f32_e32 v26, v38, v38
	v_cmp_u_f16_e64 s[14:15], v37, v37
	v_cmp_u_f16_e64 s[12:13], v27, v27
	v_min_f32_e32 v39, v26, v25
	v_max_f32_e32 v26, v26, v25
	v_cndmask_b32_e64 v39, v39, v38, s[14:15]
	v_cndmask_b32_e64 v26, v26, v38, s[14:15]
	;; [unrolled: 1-line block ×4, first 2 shown]
	v_cmp_neq_f32_e64 s[14:15], v39, v26
	v_cmp_class_f32_e64 s[16:17], v39, s16
	s_or_b64 s[14:15], s[14:15], s[16:17]
	s_and_saveexec_b64 s[16:17], s[14:15]
	s_cbranch_execz .LBB388_286
; %bb.285:
	v_sub_f32_e32 v37, v39, v26
	s_mov_b32 s14, 0x3fb8aa3b
	v_mul_f32_e32 v38, 0x3fb8aa3b, v37
	v_fma_f32 v39, v37, s14, -v38
	v_rndne_f32_e32 v48, v38
	v_fmamk_f32 v39, v37, 0x32a5705f, v39
	v_sub_f32_e32 v38, v38, v48
	v_add_f32_e32 v38, v38, v39
	v_exp_f32_e32 v38, v38
	v_cvt_i32_f32_e32 v39, v48
	s_mov_b32 s14, 0xc2ce8ed0
	v_cmp_ngt_f32_e64 s[14:15], s14, v37
	s_mov_b32 s18, 0x7f800000
	v_ldexp_f32 v38, v38, v39
	v_cndmask_b32_e64 v38, 0, v38, s[14:15]
	s_mov_b32 s14, 0x42b17218
	v_mov_b32_e32 v39, 0x7f800000
	v_cmp_nlt_f32_e64 s[14:15], s14, v37
	s_nop 1
	v_cndmask_b32_e64 v53, v39, v38, s[14:15]
	v_add_f32_e32 v37, 1.0, v53
	v_add_f32_e32 v38, -1.0, v37
	v_sub_f32_e32 v39, v38, v37
	v_add_f32_e32 v39, 1.0, v39
	v_sub_f32_e32 v38, v53, v38
	v_add_f32_e32 v48, v38, v39
	v_frexp_mant_f32_e32 v49, v37
	s_mov_b32 s14, 0x3f2aaaab
	v_cvt_f64_f32_e32 v[38:39], v37
	v_frexp_exp_i32_f64_e32 v38, v[38:39]
	v_cmp_gt_f32_e64 s[14:15], s14, v49
	s_nop 1
	v_subbrev_co_u32_e64 v64, s[14:15], 0, v38, s[14:15]
	v_sub_u32_e32 v38, 0, v64
	v_ldexp_f32 v37, v37, v38
	v_ldexp_f32 v38, v48, v38
	v_add_f32_e32 v48, -1.0, v37
	v_add_f32_e32 v39, 1.0, v48
	v_sub_f32_e32 v39, v37, v39
	v_add_f32_e32 v49, v38, v39
	v_add_f32_e32 v39, 1.0, v37
	v_add_f32_e32 v50, -1.0, v39
	v_sub_f32_e32 v37, v37, v50
	v_add_f32_e32 v37, v38, v37
	v_add_f32_e32 v65, v39, v37
	v_rcp_f32_e32 v66, v65
	v_sub_f32_e32 v38, v39, v65
	v_add_f32_e32 v39, v48, v49
	v_add_f32_e32 v37, v37, v38
	v_mul_f32_e32 v68, v39, v66
	v_sub_f32_e32 v38, v48, v39
	v_mul_f32_e32 v48, v65, v68
	v_fma_f32 v50, v68, v65, -v48
	v_fmac_f32_e32 v50, v68, v37
	v_add_f32_e32 v67, v49, v38
	v_add_f32_e32 v38, v48, v50
	v_sub_f32_e32 v49, v39, v38
	v_pk_add_f32 v[54:55], v[38:39], v[48:49] neg_lo:[0,1] neg_hi:[0,1]
	v_mov_b32_e32 v51, v38
	v_pk_add_f32 v[38:39], v[54:55], v[50:51] neg_lo:[0,1] neg_hi:[0,1]
	s_mov_b32 s14, 0x3f317218
	v_add_f32_e32 v39, v67, v39
	v_add_f32_e32 v38, v38, v39
	;; [unrolled: 1-line block ×3, first 2 shown]
	v_mul_f32_e32 v67, v66, v39
	v_mul_f32_e32 v48, v65, v67
	v_fma_f32 v50, v67, v65, -v48
	v_fmac_f32_e32 v50, v67, v37
	v_sub_f32_e32 v37, v49, v39
	v_add_f32_e32 v37, v38, v37
	v_add_f32_e32 v38, v48, v50
	v_sub_f32_e32 v49, v39, v38
	v_pk_add_f32 v[54:55], v[38:39], v[48:49] neg_lo:[0,1] neg_hi:[0,1]
	v_mov_b32_e32 v51, v38
	v_pk_add_f32 v[38:39], v[54:55], v[50:51] neg_lo:[0,1] neg_hi:[0,1]
	v_cvt_f32_i32_e32 v48, v64
	v_add_f32_e32 v37, v37, v39
	v_add_f32_e32 v37, v38, v37
	;; [unrolled: 1-line block ×4, first 2 shown]
	v_sub_f32_e32 v39, v38, v68
	v_mul_f32_e32 v37, v66, v37
	v_sub_f32_e32 v39, v67, v39
	v_add_f32_e32 v37, v39, v37
	v_add_f32_e32 v49, v38, v37
	v_mul_f32_e32 v50, v49, v49
	v_mov_b32_e32 v39, 0x3ecc95a3
	v_fmac_f32_e32 v39, 0x3e9b6dac, v50
	v_sub_f32_e32 v38, v49, v38
	v_fmaak_f32 v39, v50, v39, 0x3f2aaada
	v_sub_f32_e32 v37, v37, v38
	v_ldexp_f32 v51, v49, 1
	v_mul_f32_e32 v49, v49, v50
	v_mov_b32_e32 v38, 0x3f317218
	v_pk_mul_f32 v[38:39], v[48:49], v[38:39]
	v_ldexp_f32 v37, v37, 1
	v_fma_f32 v49, v48, s14, -v38
	v_fmamk_f32 v50, v48, 0xb102e308, v49
	v_pk_add_f32 v[48:49], v[38:39], v[50:51]
	v_mov_b32_e32 v54, v38
	v_sub_f32_e32 v51, v49, v51
	v_sub_f32_e32 v51, v39, v51
	v_add_f32_e32 v55, v37, v51
	v_pk_add_f32 v[38:39], v[48:49], v[38:39] neg_lo:[0,1] neg_hi:[0,1]
	v_pk_add_f32 v[64:65], v[48:49], v[54:55]
	v_mov_b32_e32 v51, v48
	v_mov_b32_e32 v39, v65
	v_pk_add_f32 v[66:67], v[50:51], v[38:39] neg_lo:[0,1] neg_hi:[0,1]
	v_pk_add_f32 v[38:39], v[50:51], v[38:39]
	v_mov_b32_e32 v54, v55
	v_mov_b32_e32 v50, v39
	v_pk_add_f32 v[68:69], v[50:51], v[48:49] neg_lo:[0,1] neg_hi:[0,1]
	v_mov_b32_e32 v38, v65
	v_mov_b32_e32 v37, v68
	v_pk_add_f32 v[70:71], v[64:65], v[36:37] neg_lo:[0,1] neg_hi:[0,1]
	v_mov_b32_e32 v64, v49
	v_mov_b32_e32 v65, v68
	;; [unrolled: 1-line block ×3, first 2 shown]
	v_pk_add_f32 v[38:39], v[38:39], v[64:65] neg_lo:[0,1] neg_hi:[0,1]
	v_mov_b32_e32 v55, v48
	v_pk_add_f32 v[38:39], v[54:55], v[38:39] neg_lo:[0,1] neg_hi:[0,1]
	v_mov_b32_e32 v70, v66
	v_pk_add_f32 v[48:49], v[70:71], v[38:39]
	v_cmp_eq_f32_e64 s[14:15], s18, v53
	v_mov_b32_e32 v54, v49
	v_pk_add_f32 v[54:55], v[48:49], v[54:55]
	s_mov_b32 s18, 0x33800000
	v_pk_add_f32 v[50:51], v[50:51], v[54:55]
	v_mov_b32_e32 v39, v54
	v_mov_b32_e32 v49, v50
	v_pk_add_f32 v[64:65], v[48:49], v[66:67] neg_lo:[0,1] neg_hi:[0,1]
	v_cmp_lt_f32_e64 s[18:19], |v53|, s18
	v_sub_f32_e32 v37, v48, v64
	v_pk_add_f32 v[38:39], v[38:39], v[64:65] neg_lo:[0,1] neg_hi:[0,1]
	v_sub_f32_e32 v37, v66, v37
	v_add_f32_e32 v37, v38, v37
	v_add_f32_e32 v37, v37, v39
	;; [unrolled: 1-line block ×3, first 2 shown]
	s_or_b64 s[14:15], s[14:15], s[18:19]
	v_cndmask_b32_e64 v37, v37, v53, s[14:15]
	v_add_f32_e32 v26, v26, v37
	v_cvt_f16_f32_e32 v37, v26
	v_cvt_f32_f16_e32 v38, v37
.LBB388_286:
	s_or_b64 exec, exec, s[16:17]
	v_cvt_f32_f16_sdwa v26, v27 dst_sel:DWORD dst_unused:UNUSED_PAD src0_sel:WORD_1
	v_max_f32_e32 v48, v38, v38
	v_cmp_u_f16_e64 s[16:17], v37, v37
	v_cmp_u_f16_sdwa s[14:15], v27, v27 src0_sel:WORD_1 src1_sel:WORD_1
	v_min_f32_e32 v39, v48, v26
	v_max_f32_e32 v27, v48, v26
	v_cndmask_b32_e64 v39, v39, v38, s[16:17]
	v_cndmask_b32_e64 v27, v27, v38, s[16:17]
	;; [unrolled: 1-line block ×4, first 2 shown]
	s_movk_i32 s20, 0x1f8
	v_cmp_neq_f32_e64 s[16:17], v39, v27
	v_cmp_class_f32_e64 s[18:19], v39, s20
	s_or_b64 s[16:17], s[16:17], s[18:19]
	s_and_saveexec_b64 s[18:19], s[16:17]
	s_cbranch_execz .LBB388_288
; %bb.287:
	v_sub_f32_e32 v37, v39, v27
	s_mov_b32 s16, 0x3fb8aa3b
	v_mul_f32_e32 v38, 0x3fb8aa3b, v37
	v_fma_f32 v39, v37, s16, -v38
	v_rndne_f32_e32 v48, v38
	v_fmamk_f32 v39, v37, 0x32a5705f, v39
	v_sub_f32_e32 v38, v38, v48
	v_add_f32_e32 v38, v38, v39
	v_exp_f32_e32 v38, v38
	v_cvt_i32_f32_e32 v39, v48
	s_mov_b32 s16, 0xc2ce8ed0
	v_cmp_ngt_f32_e64 s[16:17], s16, v37
	s_mov_b32 s21, 0x7f800000
	v_ldexp_f32 v38, v38, v39
	v_cndmask_b32_e64 v38, 0, v38, s[16:17]
	s_mov_b32 s16, 0x42b17218
	v_mov_b32_e32 v39, 0x7f800000
	v_cmp_nlt_f32_e64 s[16:17], s16, v37
	s_nop 1
	v_cndmask_b32_e64 v53, v39, v38, s[16:17]
	v_add_f32_e32 v37, 1.0, v53
	v_add_f32_e32 v38, -1.0, v37
	v_sub_f32_e32 v39, v38, v37
	v_add_f32_e32 v39, 1.0, v39
	v_sub_f32_e32 v38, v53, v38
	v_add_f32_e32 v48, v38, v39
	v_frexp_mant_f32_e32 v49, v37
	s_mov_b32 s16, 0x3f2aaaab
	v_cvt_f64_f32_e32 v[38:39], v37
	v_frexp_exp_i32_f64_e32 v38, v[38:39]
	v_cmp_gt_f32_e64 s[16:17], s16, v49
	s_nop 1
	v_subbrev_co_u32_e64 v64, s[16:17], 0, v38, s[16:17]
	v_sub_u32_e32 v38, 0, v64
	v_ldexp_f32 v37, v37, v38
	v_ldexp_f32 v38, v48, v38
	v_add_f32_e32 v48, -1.0, v37
	v_add_f32_e32 v39, 1.0, v48
	v_sub_f32_e32 v39, v37, v39
	v_add_f32_e32 v49, v38, v39
	v_add_f32_e32 v39, 1.0, v37
	v_add_f32_e32 v50, -1.0, v39
	v_sub_f32_e32 v37, v37, v50
	v_add_f32_e32 v37, v38, v37
	v_add_f32_e32 v65, v39, v37
	v_rcp_f32_e32 v66, v65
	v_sub_f32_e32 v38, v39, v65
	v_add_f32_e32 v39, v48, v49
	v_add_f32_e32 v37, v37, v38
	v_mul_f32_e32 v68, v39, v66
	v_sub_f32_e32 v38, v48, v39
	v_mul_f32_e32 v48, v65, v68
	v_fma_f32 v50, v68, v65, -v48
	v_fmac_f32_e32 v50, v68, v37
	v_add_f32_e32 v67, v49, v38
	v_add_f32_e32 v38, v48, v50
	v_sub_f32_e32 v49, v39, v38
	v_pk_add_f32 v[54:55], v[38:39], v[48:49] neg_lo:[0,1] neg_hi:[0,1]
	v_mov_b32_e32 v51, v38
	v_pk_add_f32 v[38:39], v[54:55], v[50:51] neg_lo:[0,1] neg_hi:[0,1]
	s_mov_b32 s16, 0x3f317218
	v_add_f32_e32 v39, v67, v39
	v_add_f32_e32 v38, v38, v39
	;; [unrolled: 1-line block ×3, first 2 shown]
	v_mul_f32_e32 v67, v66, v39
	v_mul_f32_e32 v48, v65, v67
	v_fma_f32 v50, v67, v65, -v48
	v_fmac_f32_e32 v50, v67, v37
	v_sub_f32_e32 v37, v49, v39
	v_add_f32_e32 v37, v38, v37
	v_add_f32_e32 v38, v48, v50
	v_sub_f32_e32 v49, v39, v38
	v_pk_add_f32 v[54:55], v[38:39], v[48:49] neg_lo:[0,1] neg_hi:[0,1]
	v_mov_b32_e32 v51, v38
	v_pk_add_f32 v[38:39], v[54:55], v[50:51] neg_lo:[0,1] neg_hi:[0,1]
	v_cvt_f32_i32_e32 v48, v64
	v_add_f32_e32 v37, v37, v39
	v_add_f32_e32 v37, v38, v37
	;; [unrolled: 1-line block ×4, first 2 shown]
	v_sub_f32_e32 v39, v38, v68
	v_mul_f32_e32 v37, v66, v37
	v_sub_f32_e32 v39, v67, v39
	v_add_f32_e32 v37, v39, v37
	v_add_f32_e32 v49, v38, v37
	v_mul_f32_e32 v50, v49, v49
	v_mov_b32_e32 v39, 0x3ecc95a3
	v_fmac_f32_e32 v39, 0x3e9b6dac, v50
	v_sub_f32_e32 v38, v49, v38
	v_fmaak_f32 v39, v50, v39, 0x3f2aaada
	v_sub_f32_e32 v37, v37, v38
	v_ldexp_f32 v51, v49, 1
	v_mul_f32_e32 v49, v49, v50
	v_mov_b32_e32 v38, 0x3f317218
	v_pk_mul_f32 v[38:39], v[48:49], v[38:39]
	v_ldexp_f32 v37, v37, 1
	v_fma_f32 v49, v48, s16, -v38
	v_fmamk_f32 v50, v48, 0xb102e308, v49
	v_pk_add_f32 v[48:49], v[38:39], v[50:51]
	v_mov_b32_e32 v54, v38
	v_sub_f32_e32 v51, v49, v51
	v_sub_f32_e32 v51, v39, v51
	v_add_f32_e32 v55, v37, v51
	v_pk_add_f32 v[38:39], v[48:49], v[38:39] neg_lo:[0,1] neg_hi:[0,1]
	v_pk_add_f32 v[64:65], v[48:49], v[54:55]
	v_mov_b32_e32 v51, v48
	v_mov_b32_e32 v39, v65
	v_pk_add_f32 v[66:67], v[50:51], v[38:39] neg_lo:[0,1] neg_hi:[0,1]
	v_pk_add_f32 v[38:39], v[50:51], v[38:39]
	v_mov_b32_e32 v54, v55
	v_mov_b32_e32 v50, v39
	v_pk_add_f32 v[68:69], v[50:51], v[48:49] neg_lo:[0,1] neg_hi:[0,1]
	v_mov_b32_e32 v38, v65
	v_mov_b32_e32 v37, v68
	v_pk_add_f32 v[70:71], v[64:65], v[36:37] neg_lo:[0,1] neg_hi:[0,1]
	v_mov_b32_e32 v64, v49
	v_mov_b32_e32 v65, v68
	;; [unrolled: 1-line block ×3, first 2 shown]
	v_pk_add_f32 v[38:39], v[38:39], v[64:65] neg_lo:[0,1] neg_hi:[0,1]
	v_mov_b32_e32 v55, v48
	v_pk_add_f32 v[38:39], v[54:55], v[38:39] neg_lo:[0,1] neg_hi:[0,1]
	v_mov_b32_e32 v70, v66
	v_pk_add_f32 v[48:49], v[70:71], v[38:39]
	v_cmp_eq_f32_e64 s[16:17], s21, v53
	v_mov_b32_e32 v54, v49
	v_pk_add_f32 v[54:55], v[48:49], v[54:55]
	s_mov_b32 s21, 0x33800000
	v_pk_add_f32 v[50:51], v[50:51], v[54:55]
	v_mov_b32_e32 v39, v54
	v_mov_b32_e32 v49, v50
	v_pk_add_f32 v[64:65], v[48:49], v[66:67] neg_lo:[0,1] neg_hi:[0,1]
	v_cmp_lt_f32_e64 s[22:23], |v53|, s21
	v_sub_f32_e32 v37, v48, v64
	v_pk_add_f32 v[38:39], v[38:39], v[64:65] neg_lo:[0,1] neg_hi:[0,1]
	v_sub_f32_e32 v37, v66, v37
	v_add_f32_e32 v37, v38, v37
	v_add_f32_e32 v37, v37, v39
	;; [unrolled: 1-line block ×3, first 2 shown]
	s_or_b64 s[16:17], s[16:17], s[22:23]
	v_cndmask_b32_e64 v37, v37, v53, s[16:17]
	v_add_f32_e32 v27, v27, v37
	v_cvt_f16_f32_e32 v37, v27
	v_cvt_f32_f16_e32 v38, v37
.LBB388_288:
	s_or_b64 exec, exec, s[18:19]
	v_cvt_f32_f16_e32 v27, v20
	v_max_f32_e32 v39, v38, v38
	v_cmp_u_f16_e64 s[18:19], v37, v37
	v_cmp_u_f16_e64 s[16:17], v20, v20
	v_min_f32_e32 v48, v39, v27
	v_max_f32_e32 v39, v39, v27
	v_cndmask_b32_e64 v48, v48, v38, s[18:19]
	v_cndmask_b32_e64 v39, v39, v38, s[18:19]
	;; [unrolled: 1-line block ×4, first 2 shown]
	v_cmp_neq_f32_e64 s[18:19], v48, v39
	v_cmp_class_f32_e64 s[20:21], v48, s20
	s_or_b64 s[18:19], s[18:19], s[20:21]
	s_and_saveexec_b64 s[20:21], s[18:19]
	s_cbranch_execz .LBB388_290
; %bb.289:
	v_sub_f32_e32 v37, v48, v39
	s_mov_b32 s18, 0x3fb8aa3b
	v_mul_f32_e32 v38, 0x3fb8aa3b, v37
	v_fma_f32 v48, v37, s18, -v38
	v_rndne_f32_e32 v49, v38
	v_fmamk_f32 v48, v37, 0x32a5705f, v48
	v_sub_f32_e32 v38, v38, v49
	v_add_f32_e32 v38, v38, v48
	v_exp_f32_e32 v38, v38
	v_cvt_i32_f32_e32 v48, v49
	s_mov_b32 s18, 0xc2ce8ed0
	v_cmp_ngt_f32_e64 s[18:19], s18, v37
	s_mov_b32 s22, 0x7f800000
	v_ldexp_f32 v38, v38, v48
	v_cndmask_b32_e64 v38, 0, v38, s[18:19]
	s_mov_b32 s18, 0x42b17218
	v_mov_b32_e32 v48, 0x7f800000
	v_cmp_nlt_f32_e64 s[18:19], s18, v37
	s_nop 1
	v_cndmask_b32_e64 v53, v48, v38, s[18:19]
	v_add_f32_e32 v37, 1.0, v53
	v_add_f32_e32 v38, -1.0, v37
	v_sub_f32_e32 v48, v38, v37
	v_add_f32_e32 v48, 1.0, v48
	v_sub_f32_e32 v38, v53, v38
	v_add_f32_e32 v38, v38, v48
	v_frexp_mant_f32_e32 v50, v37
	s_mov_b32 s18, 0x3f2aaaab
	v_cvt_f64_f32_e32 v[48:49], v37
	v_frexp_exp_i32_f64_e32 v48, v[48:49]
	v_cmp_gt_f32_e64 s[18:19], s18, v50
	s_nop 1
	v_subbrev_co_u32_e64 v66, s[18:19], 0, v48, s[18:19]
	v_sub_u32_e32 v48, 0, v66
	v_ldexp_f32 v37, v37, v48
	v_ldexp_f32 v38, v38, v48
	v_add_f32_e32 v48, -1.0, v37
	v_add_f32_e32 v49, 1.0, v48
	v_sub_f32_e32 v49, v37, v49
	v_add_f32_e32 v50, v38, v49
	v_add_f32_e32 v49, 1.0, v37
	v_add_f32_e32 v51, -1.0, v49
	v_sub_f32_e32 v37, v37, v51
	v_add_f32_e32 v37, v38, v37
	v_add_f32_e32 v38, v49, v37
	v_rcp_f32_e32 v67, v38
	v_sub_f32_e32 v49, v49, v38
	v_add_f32_e32 v37, v37, v49
	v_add_f32_e32 v49, v48, v50
	v_sub_f32_e32 v48, v48, v49
	v_mul_f32_e32 v69, v49, v67
	v_add_f32_e32 v68, v50, v48
	v_mul_f32_e32 v50, v38, v69
	v_fma_f32 v54, v69, v38, -v50
	v_fmac_f32_e32 v54, v69, v37
	v_add_f32_e32 v48, v50, v54
	v_sub_f32_e32 v51, v49, v48
	v_pk_add_f32 v[64:65], v[48:49], v[50:51] neg_lo:[0,1] neg_hi:[0,1]
	v_mov_b32_e32 v55, v48
	v_pk_add_f32 v[48:49], v[64:65], v[54:55] neg_lo:[0,1] neg_hi:[0,1]
	s_mov_b32 s18, 0x3f317218
	v_add_f32_e32 v49, v68, v49
	v_add_f32_e32 v48, v48, v49
	;; [unrolled: 1-line block ×3, first 2 shown]
	v_mul_f32_e32 v68, v67, v49
	v_mul_f32_e32 v50, v38, v68
	v_fma_f32 v54, v68, v38, -v50
	v_fmac_f32_e32 v54, v68, v37
	v_sub_f32_e32 v37, v51, v49
	v_add_f32_e32 v37, v48, v37
	v_add_f32_e32 v48, v50, v54
	v_sub_f32_e32 v51, v49, v48
	v_pk_add_f32 v[64:65], v[48:49], v[50:51] neg_lo:[0,1] neg_hi:[0,1]
	v_mov_b32_e32 v55, v48
	v_pk_add_f32 v[48:49], v[64:65], v[54:55] neg_lo:[0,1] neg_hi:[0,1]
	v_add_f32_e32 v38, v69, v68
	v_add_f32_e32 v37, v37, v49
	;; [unrolled: 1-line block ×4, first 2 shown]
	v_sub_f32_e32 v48, v38, v69
	v_mul_f32_e32 v37, v67, v37
	v_sub_f32_e32 v48, v68, v48
	v_add_f32_e32 v37, v48, v37
	v_add_f32_e32 v48, v38, v37
	v_cvt_f32_i32_e32 v50, v66
	v_mul_f32_e32 v51, v48, v48
	v_mov_b32_e32 v49, 0x3ecc95a3
	v_fmac_f32_e32 v49, 0x3e9b6dac, v51
	v_fmaak_f32 v49, v51, v49, 0x3f2aaada
	v_sub_f32_e32 v38, v48, v38
	v_ldexp_f32 v55, v48, 1
	v_mul_f32_e32 v51, v48, v51
	v_mov_b32_e32 v48, 0x3f317218
	v_pk_mul_f32 v[48:49], v[50:51], v[48:49]
	v_sub_f32_e32 v37, v37, v38
	v_fma_f32 v38, v50, s18, -v48
	v_fmamk_f32 v54, v50, 0xb102e308, v38
	v_pk_add_f32 v[50:51], v[48:49], v[54:55]
	v_ldexp_f32 v37, v37, 1
	v_sub_f32_e32 v38, v51, v55
	v_sub_f32_e32 v38, v49, v38
	v_add_f32_e32 v65, v37, v38
	v_mov_b32_e32 v64, v48
	v_pk_add_f32 v[48:49], v[50:51], v[48:49] neg_lo:[0,1] neg_hi:[0,1]
	v_pk_add_f32 v[66:67], v[50:51], v[64:65]
	v_mov_b32_e32 v55, v50
	v_mov_b32_e32 v49, v67
	v_pk_add_f32 v[68:69], v[54:55], v[48:49] neg_lo:[0,1] neg_hi:[0,1]
	v_pk_add_f32 v[48:49], v[54:55], v[48:49]
	v_cmp_eq_f32_e64 s[18:19], s22, v53
	v_mov_b32_e32 v38, v49
	v_pk_add_f32 v[54:55], v[38:39], v[50:51] neg_lo:[0,1] neg_hi:[0,1]
	v_mov_b32_e32 v48, v67
	v_mov_b32_e32 v37, v54
	v_pk_add_f32 v[70:71], v[66:67], v[36:37] neg_lo:[0,1] neg_hi:[0,1]
	v_mov_b32_e32 v66, v51
	v_mov_b32_e32 v67, v54
	;; [unrolled: 1-line block ×3, first 2 shown]
	v_pk_add_f32 v[48:49], v[48:49], v[66:67] neg_lo:[0,1] neg_hi:[0,1]
	v_mov_b32_e32 v54, v65
	v_mov_b32_e32 v55, v50
	v_pk_add_f32 v[48:49], v[54:55], v[48:49] neg_lo:[0,1] neg_hi:[0,1]
	v_mov_b32_e32 v70, v68
	v_pk_add_f32 v[50:51], v[70:71], v[48:49]
	s_mov_b32 s22, 0x33800000
	v_mov_b32_e32 v54, v51
	v_pk_add_f32 v[54:55], v[50:51], v[54:55]
	v_cmp_lt_f32_e64 s[22:23], |v53|, s22
	v_pk_add_f32 v[64:65], v[38:39], v[54:55]
	v_mov_b32_e32 v49, v54
	v_mov_b32_e32 v51, v64
	v_pk_add_f32 v[66:67], v[50:51], v[68:69] neg_lo:[0,1] neg_hi:[0,1]
	s_or_b64 s[18:19], s[18:19], s[22:23]
	v_sub_f32_e32 v37, v50, v66
	v_pk_add_f32 v[48:49], v[48:49], v[66:67] neg_lo:[0,1] neg_hi:[0,1]
	v_sub_f32_e32 v37, v68, v37
	v_add_f32_e32 v37, v48, v37
	v_add_f32_e32 v37, v37, v49
	;; [unrolled: 1-line block ×3, first 2 shown]
	v_cndmask_b32_e64 v37, v37, v53, s[18:19]
	v_add_f32_e32 v37, v39, v37
	v_cvt_f16_f32_e32 v37, v37
	v_cvt_f32_f16_e32 v38, v37
.LBB388_290:
	s_or_b64 exec, exec, s[20:21]
	v_cvt_f32_f16_sdwa v49, v20 dst_sel:DWORD dst_unused:UNUSED_PAD src0_sel:WORD_1
	v_max_f32_e32 v48, v38, v38
	v_cmp_u_f16_e64 s[20:21], v37, v37
	v_cmp_u_f16_sdwa s[18:19], v20, v20 src0_sel:WORD_1 src1_sel:WORD_1
	v_min_f32_e32 v39, v48, v49
	v_max_f32_e32 v20, v48, v49
	v_cndmask_b32_e64 v39, v39, v38, s[20:21]
	v_cndmask_b32_e64 v20, v20, v38, s[20:21]
	v_cndmask_b32_e64 v39, v39, v49, s[18:19]
	v_cndmask_b32_e64 v20, v20, v49, s[18:19]
	s_movk_i32 s24, 0x1f8
	v_cmp_neq_f32_e64 s[20:21], v39, v20
	v_cmp_class_f32_e64 s[22:23], v39, s24
	s_or_b64 s[20:21], s[20:21], s[22:23]
	s_and_saveexec_b64 s[22:23], s[20:21]
	s_cbranch_execz .LBB388_292
; %bb.291:
	v_sub_f32_e32 v37, v39, v20
	s_mov_b32 s20, 0x3fb8aa3b
	v_mul_f32_e32 v38, 0x3fb8aa3b, v37
	v_fma_f32 v39, v37, s20, -v38
	v_rndne_f32_e32 v48, v38
	v_fmamk_f32 v39, v37, 0x32a5705f, v39
	v_sub_f32_e32 v38, v38, v48
	v_add_f32_e32 v38, v38, v39
	v_exp_f32_e32 v38, v38
	v_cvt_i32_f32_e32 v39, v48
	s_mov_b32 s20, 0xc2ce8ed0
	v_cmp_ngt_f32_e64 s[20:21], s20, v37
	s_mov_b32 s25, 0x7f800000
	v_ldexp_f32 v38, v38, v39
	v_cndmask_b32_e64 v38, 0, v38, s[20:21]
	s_mov_b32 s20, 0x42b17218
	v_mov_b32_e32 v39, 0x7f800000
	v_cmp_nlt_f32_e64 s[20:21], s20, v37
	s_nop 1
	v_cndmask_b32_e64 v53, v39, v38, s[20:21]
	v_add_f32_e32 v37, 1.0, v53
	v_add_f32_e32 v38, -1.0, v37
	v_sub_f32_e32 v39, v38, v37
	v_add_f32_e32 v39, 1.0, v39
	v_sub_f32_e32 v38, v53, v38
	v_add_f32_e32 v48, v38, v39
	v_frexp_mant_f32_e32 v50, v37
	s_mov_b32 s20, 0x3f2aaaab
	v_cvt_f64_f32_e32 v[38:39], v37
	v_frexp_exp_i32_f64_e32 v38, v[38:39]
	v_cmp_gt_f32_e64 s[20:21], s20, v50
	s_nop 1
	v_subbrev_co_u32_e64 v66, s[20:21], 0, v38, s[20:21]
	v_sub_u32_e32 v38, 0, v66
	v_ldexp_f32 v37, v37, v38
	v_ldexp_f32 v38, v48, v38
	v_add_f32_e32 v48, -1.0, v37
	v_add_f32_e32 v39, 1.0, v48
	v_sub_f32_e32 v39, v37, v39
	v_add_f32_e32 v50, v38, v39
	v_add_f32_e32 v39, 1.0, v37
	v_add_f32_e32 v51, -1.0, v39
	v_sub_f32_e32 v37, v37, v51
	v_add_f32_e32 v37, v38, v37
	v_add_f32_e32 v67, v39, v37
	v_rcp_f32_e32 v68, v67
	v_sub_f32_e32 v38, v39, v67
	v_add_f32_e32 v39, v48, v50
	v_add_f32_e32 v37, v37, v38
	v_sub_f32_e32 v38, v48, v39
	v_mul_f32_e32 v69, v39, v68
	v_add_f32_e32 v48, v50, v38
	v_mul_f32_e32 v50, v67, v69
	v_fma_f32 v54, v69, v67, -v50
	v_fmac_f32_e32 v54, v69, v37
	v_add_f32_e32 v38, v50, v54
	v_sub_f32_e32 v51, v39, v38
	v_pk_add_f32 v[64:65], v[38:39], v[50:51] neg_lo:[0,1] neg_hi:[0,1]
	v_mov_b32_e32 v55, v38
	v_pk_add_f32 v[38:39], v[64:65], v[54:55] neg_lo:[0,1] neg_hi:[0,1]
	s_mov_b32 s20, 0x3f317218
	v_add_f32_e32 v39, v48, v39
	v_add_f32_e32 v38, v38, v39
	;; [unrolled: 1-line block ×3, first 2 shown]
	v_mul_f32_e32 v48, v68, v39
	v_mul_f32_e32 v50, v67, v48
	v_fma_f32 v54, v48, v67, -v50
	v_fmac_f32_e32 v54, v48, v37
	v_sub_f32_e32 v37, v51, v39
	v_add_f32_e32 v37, v38, v37
	v_add_f32_e32 v38, v50, v54
	v_sub_f32_e32 v51, v39, v38
	v_pk_add_f32 v[64:65], v[38:39], v[50:51] neg_lo:[0,1] neg_hi:[0,1]
	v_mov_b32_e32 v55, v38
	v_pk_add_f32 v[38:39], v[64:65], v[54:55] neg_lo:[0,1] neg_hi:[0,1]
	v_cvt_f32_i32_e32 v50, v66
	v_add_f32_e32 v37, v37, v39
	v_add_f32_e32 v37, v38, v37
	;; [unrolled: 1-line block ×4, first 2 shown]
	v_sub_f32_e32 v39, v38, v69
	v_mul_f32_e32 v37, v68, v37
	v_sub_f32_e32 v39, v48, v39
	v_add_f32_e32 v37, v39, v37
	v_add_f32_e32 v48, v38, v37
	v_mul_f32_e32 v51, v48, v48
	v_mov_b32_e32 v39, 0x3ecc95a3
	v_fmac_f32_e32 v39, 0x3e9b6dac, v51
	v_sub_f32_e32 v38, v48, v38
	v_fmaak_f32 v39, v51, v39, 0x3f2aaada
	v_sub_f32_e32 v37, v37, v38
	v_mul_f32_e32 v51, v48, v51
	v_mov_b32_e32 v38, 0x3f317218
	v_pk_mul_f32 v[38:39], v[50:51], v[38:39]
	v_ldexp_f32 v55, v48, 1
	v_fma_f32 v48, v50, s20, -v38
	v_fmamk_f32 v54, v50, 0xb102e308, v48
	v_pk_add_f32 v[50:51], v[38:39], v[54:55]
	v_ldexp_f32 v37, v37, 1
	v_sub_f32_e32 v48, v51, v55
	v_sub_f32_e32 v48, v39, v48
	v_add_f32_e32 v65, v37, v48
	v_mov_b32_e32 v64, v38
	v_pk_add_f32 v[38:39], v[50:51], v[38:39] neg_lo:[0,1] neg_hi:[0,1]
	v_pk_add_f32 v[66:67], v[50:51], v[64:65]
	v_mov_b32_e32 v55, v50
	v_mov_b32_e32 v39, v67
	v_pk_add_f32 v[68:69], v[54:55], v[38:39] neg_lo:[0,1] neg_hi:[0,1]
	v_pk_add_f32 v[38:39], v[54:55], v[38:39]
	v_cmp_eq_f32_e64 s[20:21], s25, v53
	v_mov_b32_e32 v48, v39
	v_pk_add_f32 v[54:55], v[48:49], v[50:51] neg_lo:[0,1] neg_hi:[0,1]
	v_mov_b32_e32 v38, v67
	v_mov_b32_e32 v37, v54
	v_pk_add_f32 v[70:71], v[66:67], v[36:37] neg_lo:[0,1] neg_hi:[0,1]
	v_mov_b32_e32 v66, v51
	v_mov_b32_e32 v67, v54
	;; [unrolled: 1-line block ×3, first 2 shown]
	v_pk_add_f32 v[38:39], v[38:39], v[66:67] neg_lo:[0,1] neg_hi:[0,1]
	v_mov_b32_e32 v54, v65
	v_mov_b32_e32 v55, v50
	v_pk_add_f32 v[38:39], v[54:55], v[38:39] neg_lo:[0,1] neg_hi:[0,1]
	v_mov_b32_e32 v70, v68
	v_pk_add_f32 v[50:51], v[70:71], v[38:39]
	s_mov_b32 s25, 0x33800000
	v_mov_b32_e32 v54, v51
	v_pk_add_f32 v[54:55], v[50:51], v[54:55]
	v_cmp_lt_f32_e64 s[26:27], |v53|, s25
	v_pk_add_f32 v[64:65], v[48:49], v[54:55]
	v_mov_b32_e32 v39, v54
	v_mov_b32_e32 v51, v64
	v_pk_add_f32 v[66:67], v[50:51], v[68:69] neg_lo:[0,1] neg_hi:[0,1]
	s_or_b64 s[20:21], s[20:21], s[26:27]
	v_sub_f32_e32 v37, v50, v66
	v_pk_add_f32 v[38:39], v[38:39], v[66:67] neg_lo:[0,1] neg_hi:[0,1]
	v_sub_f32_e32 v37, v68, v37
	v_add_f32_e32 v37, v38, v37
	v_add_f32_e32 v37, v37, v39
	;; [unrolled: 1-line block ×3, first 2 shown]
	v_cndmask_b32_e64 v37, v37, v53, s[20:21]
	v_add_f32_e32 v20, v20, v37
	v_cvt_f16_f32_e32 v37, v20
	v_cvt_f32_f16_e32 v38, v37
.LBB388_292:
	s_or_b64 exec, exec, s[22:23]
	v_cvt_f32_f16_e32 v20, v21
	v_max_f32_e32 v39, v38, v38
	v_cmp_u_f16_e64 s[22:23], v37, v37
	v_cmp_u_f16_e64 s[20:21], v21, v21
	v_min_f32_e32 v48, v39, v20
	v_max_f32_e32 v39, v39, v20
	v_cndmask_b32_e64 v48, v48, v38, s[22:23]
	v_cndmask_b32_e64 v39, v39, v38, s[22:23]
	;; [unrolled: 1-line block ×4, first 2 shown]
	v_cmp_neq_f32_e64 s[22:23], v48, v39
	v_cmp_class_f32_e64 s[24:25], v48, s24
	s_or_b64 s[22:23], s[22:23], s[24:25]
	s_and_saveexec_b64 s[24:25], s[22:23]
	s_cbranch_execz .LBB388_294
; %bb.293:
	v_sub_f32_e32 v37, v48, v39
	s_mov_b32 s22, 0x3fb8aa3b
	v_mul_f32_e32 v38, 0x3fb8aa3b, v37
	v_fma_f32 v48, v37, s22, -v38
	v_rndne_f32_e32 v50, v38
	v_fmamk_f32 v48, v37, 0x32a5705f, v48
	v_sub_f32_e32 v38, v38, v50
	v_add_f32_e32 v38, v38, v48
	v_exp_f32_e32 v38, v38
	v_cvt_i32_f32_e32 v48, v50
	s_mov_b32 s22, 0xc2ce8ed0
	v_cmp_ngt_f32_e64 s[22:23], s22, v37
	s_mov_b32 s26, 0x7f800000
	v_ldexp_f32 v38, v38, v48
	v_cndmask_b32_e64 v38, 0, v38, s[22:23]
	s_mov_b32 s22, 0x42b17218
	v_mov_b32_e32 v48, 0x7f800000
	v_cmp_nlt_f32_e64 s[22:23], s22, v37
	s_nop 1
	v_cndmask_b32_e64 v53, v48, v38, s[22:23]
	v_add_f32_e32 v37, 1.0, v53
	v_add_f32_e32 v38, -1.0, v37
	v_sub_f32_e32 v48, v38, v37
	v_add_f32_e32 v48, 1.0, v48
	v_sub_f32_e32 v38, v53, v38
	v_add_f32_e32 v38, v38, v48
	v_frexp_mant_f32_e32 v48, v37
	s_mov_b32 s22, 0x3f2aaaab
	v_cvt_f64_f32_e32 v[50:51], v37
	v_frexp_exp_i32_f64_e32 v50, v[50:51]
	v_cmp_gt_f32_e64 s[22:23], s22, v48
	s_nop 1
	v_subbrev_co_u32_e64 v48, s[22:23], 0, v50, s[22:23]
	v_sub_u32_e32 v50, 0, v48
	v_ldexp_f32 v37, v37, v50
	v_ldexp_f32 v38, v38, v50
	v_add_f32_e32 v50, -1.0, v37
	v_add_f32_e32 v51, 1.0, v50
	v_sub_f32_e32 v51, v37, v51
	v_add_f32_e32 v54, v38, v51
	v_add_f32_e32 v51, 1.0, v37
	v_add_f32_e32 v55, -1.0, v51
	v_sub_f32_e32 v37, v37, v55
	v_add_f32_e32 v37, v38, v37
	v_add_f32_e32 v38, v51, v37
	v_rcp_f32_e32 v68, v38
	v_sub_f32_e32 v51, v51, v38
	v_add_f32_e32 v37, v37, v51
	v_add_f32_e32 v51, v50, v54
	v_sub_f32_e32 v50, v50, v51
	v_mul_f32_e32 v70, v51, v68
	v_add_f32_e32 v69, v54, v50
	v_mul_f32_e32 v54, v38, v70
	v_fma_f32 v64, v70, v38, -v54
	v_fmac_f32_e32 v64, v70, v37
	v_add_f32_e32 v50, v54, v64
	v_sub_f32_e32 v55, v51, v50
	v_pk_add_f32 v[66:67], v[50:51], v[54:55] neg_lo:[0,1] neg_hi:[0,1]
	v_mov_b32_e32 v65, v50
	v_pk_add_f32 v[50:51], v[66:67], v[64:65] neg_lo:[0,1] neg_hi:[0,1]
	s_mov_b32 s22, 0x3f317218
	v_add_f32_e32 v51, v69, v51
	v_add_f32_e32 v50, v50, v51
	;; [unrolled: 1-line block ×3, first 2 shown]
	v_mul_f32_e32 v69, v68, v51
	v_mul_f32_e32 v54, v38, v69
	v_fma_f32 v64, v69, v38, -v54
	v_fmac_f32_e32 v64, v69, v37
	v_sub_f32_e32 v37, v55, v51
	v_add_f32_e32 v37, v50, v37
	v_add_f32_e32 v50, v54, v64
	v_sub_f32_e32 v55, v51, v50
	v_pk_add_f32 v[66:67], v[50:51], v[54:55] neg_lo:[0,1] neg_hi:[0,1]
	v_mov_b32_e32 v65, v50
	v_pk_add_f32 v[50:51], v[66:67], v[64:65] neg_lo:[0,1] neg_hi:[0,1]
	v_add_f32_e32 v38, v70, v69
	v_add_f32_e32 v37, v37, v51
	;; [unrolled: 1-line block ×4, first 2 shown]
	v_sub_f32_e32 v50, v38, v70
	v_mul_f32_e32 v37, v68, v37
	v_sub_f32_e32 v50, v69, v50
	v_add_f32_e32 v37, v50, v37
	v_add_f32_e32 v50, v38, v37
	v_cvt_f32_i32_e32 v54, v48
	v_mul_f32_e32 v55, v50, v50
	v_mov_b32_e32 v51, 0x3ecc95a3
	v_fmac_f32_e32 v51, 0x3e9b6dac, v55
	v_fmaak_f32 v51, v55, v51, 0x3f2aaada
	v_sub_f32_e32 v38, v50, v38
	v_ldexp_f32 v65, v50, 1
	v_mul_f32_e32 v55, v50, v55
	v_mov_b32_e32 v50, 0x3f317218
	v_pk_mul_f32 v[50:51], v[54:55], v[50:51]
	v_sub_f32_e32 v37, v37, v38
	v_fma_f32 v38, v54, s22, -v50
	v_fmamk_f32 v64, v54, 0xb102e308, v38
	v_pk_add_f32 v[54:55], v[50:51], v[64:65]
	v_ldexp_f32 v37, v37, 1
	v_sub_f32_e32 v38, v55, v65
	v_sub_f32_e32 v38, v51, v38
	v_add_f32_e32 v67, v37, v38
	v_mov_b32_e32 v66, v50
	v_pk_add_f32 v[50:51], v[54:55], v[50:51] neg_lo:[0,1] neg_hi:[0,1]
	v_pk_add_f32 v[68:69], v[54:55], v[66:67]
	v_mov_b32_e32 v65, v54
	v_mov_b32_e32 v51, v69
	v_pk_add_f32 v[70:71], v[64:65], v[50:51] neg_lo:[0,1] neg_hi:[0,1]
	v_pk_add_f32 v[50:51], v[64:65], v[50:51]
	v_cmp_eq_f32_e64 s[22:23], s26, v53
	v_mov_b32_e32 v38, v51
	v_pk_add_f32 v[64:65], v[38:39], v[54:55] neg_lo:[0,1] neg_hi:[0,1]
	v_mov_b32_e32 v50, v69
	v_mov_b32_e32 v37, v64
	v_pk_add_f32 v[80:81], v[68:69], v[36:37] neg_lo:[0,1] neg_hi:[0,1]
	v_mov_b32_e32 v68, v55
	v_mov_b32_e32 v69, v64
	;; [unrolled: 1-line block ×3, first 2 shown]
	v_pk_add_f32 v[50:51], v[50:51], v[68:69] neg_lo:[0,1] neg_hi:[0,1]
	v_mov_b32_e32 v64, v67
	v_mov_b32_e32 v65, v54
	v_pk_add_f32 v[50:51], v[64:65], v[50:51] neg_lo:[0,1] neg_hi:[0,1]
	v_mov_b32_e32 v80, v70
	v_pk_add_f32 v[54:55], v[80:81], v[50:51]
	s_mov_b32 s26, 0x33800000
	v_mov_b32_e32 v48, v55
	v_pk_add_f32 v[64:65], v[54:55], v[48:49]
	v_cmp_lt_f32_e64 s[26:27], |v53|, s26
	v_pk_add_f32 v[66:67], v[38:39], v[64:65]
	v_mov_b32_e32 v51, v64
	v_mov_b32_e32 v55, v66
	v_pk_add_f32 v[68:69], v[54:55], v[70:71] neg_lo:[0,1] neg_hi:[0,1]
	s_or_b64 s[22:23], s[22:23], s[26:27]
	v_sub_f32_e32 v37, v54, v68
	v_pk_add_f32 v[50:51], v[50:51], v[68:69] neg_lo:[0,1] neg_hi:[0,1]
	v_sub_f32_e32 v37, v70, v37
	v_add_f32_e32 v37, v50, v37
	v_add_f32_e32 v37, v37, v51
	;; [unrolled: 1-line block ×3, first 2 shown]
	v_cndmask_b32_e64 v37, v37, v53, s[22:23]
	v_add_f32_e32 v37, v39, v37
	v_cvt_f16_f32_e32 v37, v37
	v_cvt_f32_f16_e32 v38, v37
.LBB388_294:
	s_or_b64 exec, exec, s[24:25]
	v_cvt_f32_f16_sdwa v50, v21 dst_sel:DWORD dst_unused:UNUSED_PAD src0_sel:WORD_1
	v_max_f32_e32 v48, v38, v38
	v_cmp_u_f16_e64 s[24:25], v37, v37
	v_cmp_u_f16_sdwa s[22:23], v21, v21 src0_sel:WORD_1 src1_sel:WORD_1
	v_min_f32_e32 v39, v48, v50
	v_max_f32_e32 v21, v48, v50
	v_cndmask_b32_e64 v39, v39, v38, s[24:25]
	v_cndmask_b32_e64 v21, v21, v38, s[24:25]
	;; [unrolled: 1-line block ×4, first 2 shown]
	s_movk_i32 s28, 0x1f8
	v_cmp_neq_f32_e64 s[24:25], v39, v21
	v_cmp_class_f32_e64 s[26:27], v39, s28
	s_or_b64 s[24:25], s[24:25], s[26:27]
	s_and_saveexec_b64 s[26:27], s[24:25]
	s_cbranch_execz .LBB388_296
; %bb.295:
	v_sub_f32_e32 v37, v39, v21
	s_mov_b32 s24, 0x3fb8aa3b
	v_mul_f32_e32 v38, 0x3fb8aa3b, v37
	v_fma_f32 v39, v37, s24, -v38
	v_rndne_f32_e32 v48, v38
	v_fmamk_f32 v39, v37, 0x32a5705f, v39
	v_sub_f32_e32 v38, v38, v48
	v_add_f32_e32 v38, v38, v39
	v_exp_f32_e32 v38, v38
	v_cvt_i32_f32_e32 v39, v48
	s_mov_b32 s24, 0xc2ce8ed0
	v_cmp_ngt_f32_e64 s[24:25], s24, v37
	s_mov_b32 s29, 0x7f800000
	v_ldexp_f32 v38, v38, v39
	v_cndmask_b32_e64 v38, 0, v38, s[24:25]
	s_mov_b32 s24, 0x42b17218
	v_mov_b32_e32 v39, 0x7f800000
	v_cmp_nlt_f32_e64 s[24:25], s24, v37
	s_nop 1
	v_cndmask_b32_e64 v51, v39, v38, s[24:25]
	v_add_f32_e32 v37, 1.0, v51
	v_add_f32_e32 v38, -1.0, v37
	v_sub_f32_e32 v39, v38, v37
	v_add_f32_e32 v39, 1.0, v39
	v_sub_f32_e32 v38, v51, v38
	v_add_f32_e32 v48, v38, v39
	v_frexp_mant_f32_e32 v53, v37
	s_mov_b32 s24, 0x3f2aaaab
	v_cvt_f64_f32_e32 v[38:39], v37
	v_frexp_exp_i32_f64_e32 v38, v[38:39]
	v_cmp_gt_f32_e64 s[24:25], s24, v53
	s_nop 1
	v_subbrev_co_u32_e64 v53, s[24:25], 0, v38, s[24:25]
	v_sub_u32_e32 v38, 0, v53
	v_ldexp_f32 v37, v37, v38
	v_ldexp_f32 v38, v48, v38
	v_add_f32_e32 v48, -1.0, v37
	v_add_f32_e32 v39, 1.0, v48
	v_sub_f32_e32 v39, v37, v39
	v_add_f32_e32 v54, v38, v39
	v_add_f32_e32 v39, 1.0, v37
	v_add_f32_e32 v55, -1.0, v39
	v_sub_f32_e32 v37, v37, v55
	v_add_f32_e32 v37, v38, v37
	v_add_f32_e32 v68, v39, v37
	v_rcp_f32_e32 v69, v68
	v_sub_f32_e32 v38, v39, v68
	v_add_f32_e32 v39, v48, v54
	v_add_f32_e32 v37, v37, v38
	v_sub_f32_e32 v38, v48, v39
	v_mul_f32_e32 v70, v39, v69
	v_add_f32_e32 v48, v54, v38
	v_mul_f32_e32 v54, v68, v70
	v_fma_f32 v64, v70, v68, -v54
	v_fmac_f32_e32 v64, v70, v37
	v_add_f32_e32 v38, v54, v64
	v_sub_f32_e32 v55, v39, v38
	v_pk_add_f32 v[66:67], v[38:39], v[54:55] neg_lo:[0,1] neg_hi:[0,1]
	v_mov_b32_e32 v65, v38
	v_pk_add_f32 v[38:39], v[66:67], v[64:65] neg_lo:[0,1] neg_hi:[0,1]
	s_mov_b32 s24, 0x3f317218
	v_add_f32_e32 v39, v48, v39
	v_add_f32_e32 v38, v38, v39
	;; [unrolled: 1-line block ×3, first 2 shown]
	v_mul_f32_e32 v48, v69, v39
	v_mul_f32_e32 v54, v68, v48
	v_fma_f32 v64, v48, v68, -v54
	v_fmac_f32_e32 v64, v48, v37
	v_sub_f32_e32 v37, v55, v39
	v_add_f32_e32 v37, v38, v37
	v_add_f32_e32 v38, v54, v64
	v_sub_f32_e32 v55, v39, v38
	v_pk_add_f32 v[66:67], v[38:39], v[54:55] neg_lo:[0,1] neg_hi:[0,1]
	v_mov_b32_e32 v65, v38
	v_pk_add_f32 v[38:39], v[66:67], v[64:65] neg_lo:[0,1] neg_hi:[0,1]
	v_cvt_f32_i32_e32 v54, v53
	v_add_f32_e32 v37, v37, v39
	v_add_f32_e32 v37, v38, v37
	;; [unrolled: 1-line block ×4, first 2 shown]
	v_sub_f32_e32 v39, v38, v70
	v_mul_f32_e32 v37, v69, v37
	v_sub_f32_e32 v39, v48, v39
	v_add_f32_e32 v37, v39, v37
	v_add_f32_e32 v48, v38, v37
	v_mul_f32_e32 v55, v48, v48
	v_mov_b32_e32 v39, 0x3ecc95a3
	v_fmac_f32_e32 v39, 0x3e9b6dac, v55
	v_sub_f32_e32 v38, v48, v38
	v_fmaak_f32 v39, v55, v39, 0x3f2aaada
	v_sub_f32_e32 v37, v37, v38
	v_mul_f32_e32 v55, v48, v55
	v_mov_b32_e32 v38, 0x3f317218
	v_pk_mul_f32 v[38:39], v[54:55], v[38:39]
	v_ldexp_f32 v65, v48, 1
	v_fma_f32 v48, v54, s24, -v38
	v_fmamk_f32 v64, v54, 0xb102e308, v48
	v_pk_add_f32 v[54:55], v[38:39], v[64:65]
	v_ldexp_f32 v37, v37, 1
	v_sub_f32_e32 v48, v55, v65
	v_sub_f32_e32 v48, v39, v48
	v_add_f32_e32 v67, v37, v48
	v_mov_b32_e32 v66, v38
	v_pk_add_f32 v[38:39], v[54:55], v[38:39] neg_lo:[0,1] neg_hi:[0,1]
	v_pk_add_f32 v[68:69], v[54:55], v[66:67]
	v_mov_b32_e32 v65, v54
	v_mov_b32_e32 v39, v69
	v_pk_add_f32 v[70:71], v[64:65], v[38:39] neg_lo:[0,1] neg_hi:[0,1]
	v_pk_add_f32 v[38:39], v[64:65], v[38:39]
	v_cmp_eq_f32_e64 s[24:25], s29, v51
	v_mov_b32_e32 v48, v39
	v_pk_add_f32 v[64:65], v[48:49], v[54:55] neg_lo:[0,1] neg_hi:[0,1]
	v_mov_b32_e32 v38, v69
	v_mov_b32_e32 v37, v64
	v_pk_add_f32 v[80:81], v[68:69], v[36:37] neg_lo:[0,1] neg_hi:[0,1]
	v_mov_b32_e32 v68, v55
	v_mov_b32_e32 v69, v64
	;; [unrolled: 1-line block ×3, first 2 shown]
	v_pk_add_f32 v[38:39], v[38:39], v[68:69] neg_lo:[0,1] neg_hi:[0,1]
	v_mov_b32_e32 v64, v67
	v_mov_b32_e32 v65, v54
	v_pk_add_f32 v[38:39], v[64:65], v[38:39] neg_lo:[0,1] neg_hi:[0,1]
	v_mov_b32_e32 v80, v70
	v_pk_add_f32 v[54:55], v[80:81], v[38:39]
	s_mov_b32 s29, 0x33800000
	v_mov_b32_e32 v64, v55
	v_pk_add_f32 v[64:65], v[54:55], v[64:65]
	v_cmp_lt_f32_e64 s[30:31], |v51|, s29
	v_pk_add_f32 v[66:67], v[48:49], v[64:65]
	v_mov_b32_e32 v39, v64
	v_mov_b32_e32 v55, v66
	v_pk_add_f32 v[68:69], v[54:55], v[70:71] neg_lo:[0,1] neg_hi:[0,1]
	s_or_b64 s[24:25], s[24:25], s[30:31]
	v_sub_f32_e32 v37, v54, v68
	v_pk_add_f32 v[38:39], v[38:39], v[68:69] neg_lo:[0,1] neg_hi:[0,1]
	v_sub_f32_e32 v37, v70, v37
	v_add_f32_e32 v37, v38, v37
	v_add_f32_e32 v37, v37, v39
	;; [unrolled: 1-line block ×3, first 2 shown]
	v_cndmask_b32_e64 v37, v37, v51, s[24:25]
	v_add_f32_e32 v21, v21, v37
	v_cvt_f16_f32_e32 v37, v21
	v_cvt_f32_f16_e32 v38, v37
.LBB388_296:
	s_or_b64 exec, exec, s[26:27]
	v_cvt_f32_f16_e32 v21, v22
	v_max_f32_e32 v39, v38, v38
	v_cmp_u_f16_e64 s[26:27], v37, v37
	v_cmp_u_f16_e64 s[24:25], v22, v22
	v_min_f32_e32 v48, v39, v21
	v_max_f32_e32 v39, v39, v21
	v_cndmask_b32_e64 v48, v48, v38, s[26:27]
	v_cndmask_b32_e64 v39, v39, v38, s[26:27]
	;; [unrolled: 1-line block ×4, first 2 shown]
	v_cmp_neq_f32_e64 s[26:27], v48, v39
	v_cmp_class_f32_e64 s[28:29], v48, s28
	s_or_b64 s[26:27], s[26:27], s[28:29]
	s_and_saveexec_b64 s[28:29], s[26:27]
	s_cbranch_execz .LBB388_298
; %bb.297:
	v_sub_f32_e32 v37, v48, v39
	s_mov_b32 s26, 0x3fb8aa3b
	v_mul_f32_e32 v38, 0x3fb8aa3b, v37
	v_fma_f32 v48, v37, s26, -v38
	v_rndne_f32_e32 v51, v38
	v_fmamk_f32 v48, v37, 0x32a5705f, v48
	v_sub_f32_e32 v38, v38, v51
	v_add_f32_e32 v38, v38, v48
	v_exp_f32_e32 v38, v38
	v_cvt_i32_f32_e32 v48, v51
	s_mov_b32 s26, 0xc2ce8ed0
	v_cmp_ngt_f32_e64 s[26:27], s26, v37
	s_mov_b32 s30, 0x7f800000
	v_ldexp_f32 v38, v38, v48
	v_cndmask_b32_e64 v38, 0, v38, s[26:27]
	s_mov_b32 s26, 0x42b17218
	v_mov_b32_e32 v48, 0x7f800000
	v_cmp_nlt_f32_e64 s[26:27], s26, v37
	s_nop 1
	v_cndmask_b32_e64 v51, v48, v38, s[26:27]
	v_add_f32_e32 v37, 1.0, v51
	v_add_f32_e32 v38, -1.0, v37
	v_sub_f32_e32 v48, v38, v37
	v_add_f32_e32 v48, 1.0, v48
	v_sub_f32_e32 v38, v51, v38
	v_add_f32_e32 v38, v38, v48
	v_frexp_mant_f32_e32 v48, v37
	s_mov_b32 s26, 0x3f2aaaab
	v_cvt_f64_f32_e32 v[54:55], v37
	v_frexp_exp_i32_f64_e32 v53, v[54:55]
	v_cmp_gt_f32_e64 s[26:27], s26, v48
	s_nop 1
	v_subbrev_co_u32_e64 v48, s[26:27], 0, v53, s[26:27]
	v_sub_u32_e32 v53, 0, v48
	v_ldexp_f32 v37, v37, v53
	v_ldexp_f32 v38, v38, v53
	v_add_f32_e32 v53, -1.0, v37
	v_add_f32_e32 v55, 1.0, v37
	v_add_f32_e32 v54, 1.0, v53
	v_add_f32_e32 v64, -1.0, v55
	v_sub_f32_e32 v54, v37, v54
	v_sub_f32_e32 v37, v37, v64
	v_add_f32_e32 v37, v38, v37
	v_add_f32_e32 v54, v38, v54
	;; [unrolled: 1-line block ×3, first 2 shown]
	v_rcp_f32_e32 v70, v38
	v_sub_f32_e32 v55, v55, v38
	v_add_f32_e32 v37, v37, v55
	v_add_f32_e32 v55, v53, v54
	v_mul_f32_e32 v71, v55, v70
	v_mul_f32_e32 v64, v38, v71
	v_fma_f32 v66, v71, v38, -v64
	v_sub_f32_e32 v53, v53, v55
	v_fmac_f32_e32 v66, v71, v37
	v_add_f32_e32 v53, v54, v53
	v_add_f32_e32 v54, v64, v66
	v_sub_f32_e32 v65, v55, v54
	v_pk_add_f32 v[68:69], v[54:55], v[64:65] neg_lo:[0,1] neg_hi:[0,1]
	v_mov_b32_e32 v67, v54
	v_pk_add_f32 v[54:55], v[68:69], v[66:67] neg_lo:[0,1] neg_hi:[0,1]
	s_mov_b32 s26, 0x3f317218
	v_add_f32_e32 v53, v53, v55
	v_add_f32_e32 v53, v54, v53
	;; [unrolled: 1-line block ×3, first 2 shown]
	v_mul_f32_e32 v80, v70, v55
	v_mul_f32_e32 v64, v38, v80
	v_fma_f32 v66, v80, v38, -v64
	v_fmac_f32_e32 v66, v80, v37
	v_add_f32_e32 v54, v64, v66
	v_sub_f32_e32 v37, v65, v55
	v_sub_f32_e32 v65, v55, v54
	v_pk_add_f32 v[68:69], v[54:55], v[64:65] neg_lo:[0,1] neg_hi:[0,1]
	v_mov_b32_e32 v67, v54
	v_add_f32_e32 v37, v53, v37
	v_pk_add_f32 v[54:55], v[68:69], v[66:67] neg_lo:[0,1] neg_hi:[0,1]
	v_add_f32_e32 v38, v71, v80
	v_add_f32_e32 v37, v37, v55
	;; [unrolled: 1-line block ×4, first 2 shown]
	v_sub_f32_e32 v53, v38, v71
	v_mul_f32_e32 v37, v70, v37
	v_sub_f32_e32 v53, v80, v53
	v_add_f32_e32 v37, v53, v37
	v_add_f32_e32 v53, v38, v37
	v_cvt_f32_i32_e32 v64, v48
	v_mul_f32_e32 v54, v53, v53
	v_mov_b32_e32 v55, 0x3ecc95a3
	v_fmac_f32_e32 v55, 0x3e9b6dac, v54
	v_fmaak_f32 v55, v54, v55, 0x3f2aaada
	v_mul_f32_e32 v65, v53, v54
	v_mov_b32_e32 v54, 0x3f317218
	v_sub_f32_e32 v38, v53, v38
	v_pk_mul_f32 v[54:55], v[64:65], v[54:55]
	v_sub_f32_e32 v37, v37, v38
	v_fma_f32 v38, v64, s26, -v54
	v_ldexp_f32 v67, v53, 1
	v_fmamk_f32 v66, v64, 0xb102e308, v38
	v_pk_add_f32 v[64:65], v[54:55], v[66:67]
	v_ldexp_f32 v37, v37, 1
	v_sub_f32_e32 v38, v65, v67
	v_sub_f32_e32 v38, v55, v38
	v_add_f32_e32 v69, v37, v38
	v_mov_b32_e32 v68, v54
	v_pk_add_f32 v[54:55], v[64:65], v[54:55] neg_lo:[0,1] neg_hi:[0,1]
	v_pk_add_f32 v[70:71], v[64:65], v[68:69]
	v_mov_b32_e32 v67, v64
	v_mov_b32_e32 v55, v71
	v_pk_add_f32 v[80:81], v[66:67], v[54:55] neg_lo:[0,1] neg_hi:[0,1]
	v_pk_add_f32 v[54:55], v[66:67], v[54:55]
	v_cmp_eq_f32_e64 s[26:27], s30, v51
	v_mov_b32_e32 v38, v55
	v_pk_add_f32 v[66:67], v[38:39], v[64:65] neg_lo:[0,1] neg_hi:[0,1]
	v_mov_b32_e32 v54, v71
	v_mov_b32_e32 v37, v66
	v_pk_add_f32 v[82:83], v[70:71], v[36:37] neg_lo:[0,1] neg_hi:[0,1]
	v_mov_b32_e32 v70, v65
	v_mov_b32_e32 v71, v66
	;; [unrolled: 1-line block ×3, first 2 shown]
	v_pk_add_f32 v[54:55], v[54:55], v[70:71] neg_lo:[0,1] neg_hi:[0,1]
	v_mov_b32_e32 v66, v69
	v_mov_b32_e32 v67, v64
	v_pk_add_f32 v[54:55], v[66:67], v[54:55] neg_lo:[0,1] neg_hi:[0,1]
	v_mov_b32_e32 v82, v80
	v_pk_add_f32 v[64:65], v[82:83], v[54:55]
	s_mov_b32 s30, 0x33800000
	v_mov_b32_e32 v48, v65
	v_pk_add_f32 v[66:67], v[64:65], v[48:49]
	v_cmp_lt_f32_e64 s[30:31], |v51|, s30
	v_pk_add_f32 v[68:69], v[38:39], v[66:67]
	v_mov_b32_e32 v55, v66
	v_mov_b32_e32 v65, v68
	v_pk_add_f32 v[70:71], v[64:65], v[80:81] neg_lo:[0,1] neg_hi:[0,1]
	s_or_b64 s[26:27], s[26:27], s[30:31]
	v_sub_f32_e32 v37, v64, v70
	v_pk_add_f32 v[54:55], v[54:55], v[70:71] neg_lo:[0,1] neg_hi:[0,1]
	v_sub_f32_e32 v37, v80, v37
	v_add_f32_e32 v37, v54, v37
	v_add_f32_e32 v37, v37, v55
	;; [unrolled: 1-line block ×3, first 2 shown]
	v_cndmask_b32_e64 v37, v37, v51, s[26:27]
	v_add_f32_e32 v37, v39, v37
	v_cvt_f16_f32_e32 v37, v37
	v_cvt_f32_f16_e32 v38, v37
.LBB388_298:
	s_or_b64 exec, exec, s[28:29]
	v_cvt_f32_f16_sdwa v51, v22 dst_sel:DWORD dst_unused:UNUSED_PAD src0_sel:WORD_1
	v_max_f32_e32 v48, v38, v38
	v_cmp_u_f16_e64 s[28:29], v37, v37
	v_cmp_u_f16_sdwa s[26:27], v22, v22 src0_sel:WORD_1 src1_sel:WORD_1
	v_min_f32_e32 v39, v48, v51
	v_max_f32_e32 v22, v48, v51
	v_cndmask_b32_e64 v39, v39, v38, s[28:29]
	v_cndmask_b32_e64 v22, v22, v38, s[28:29]
	;; [unrolled: 1-line block ×4, first 2 shown]
	s_movk_i32 s34, 0x1f8
	v_cmp_neq_f32_e64 s[28:29], v39, v22
	v_cmp_class_f32_e64 s[30:31], v39, s34
	s_or_b64 s[28:29], s[28:29], s[30:31]
	s_and_saveexec_b64 s[30:31], s[28:29]
	s_cbranch_execz .LBB388_300
; %bb.299:
	v_sub_f32_e32 v37, v39, v22
	s_mov_b32 s28, 0x3fb8aa3b
	v_mul_f32_e32 v38, 0x3fb8aa3b, v37
	v_fma_f32 v39, v37, s28, -v38
	v_rndne_f32_e32 v48, v38
	v_fmamk_f32 v39, v37, 0x32a5705f, v39
	v_sub_f32_e32 v38, v38, v48
	v_add_f32_e32 v38, v38, v39
	v_exp_f32_e32 v38, v38
	v_cvt_i32_f32_e32 v39, v48
	s_mov_b32 s28, 0xc2ce8ed0
	v_cmp_ngt_f32_e64 s[28:29], s28, v37
	s_mov_b32 s35, 0x7f800000
	v_ldexp_f32 v38, v38, v39
	v_cndmask_b32_e64 v38, 0, v38, s[28:29]
	s_mov_b32 s28, 0x42b17218
	v_mov_b32_e32 v39, 0x7f800000
	v_cmp_nlt_f32_e64 s[28:29], s28, v37
	s_nop 1
	v_cndmask_b32_e64 v53, v39, v38, s[28:29]
	v_add_f32_e32 v37, 1.0, v53
	v_add_f32_e32 v38, -1.0, v37
	v_sub_f32_e32 v39, v38, v37
	v_add_f32_e32 v39, 1.0, v39
	v_sub_f32_e32 v38, v53, v38
	v_add_f32_e32 v48, v38, v39
	v_frexp_mant_f32_e32 v54, v37
	s_mov_b32 s28, 0x3f2aaaab
	v_cvt_f64_f32_e32 v[38:39], v37
	v_frexp_exp_i32_f64_e32 v38, v[38:39]
	v_cmp_gt_f32_e64 s[28:29], s28, v54
	s_nop 1
	v_subbrev_co_u32_e64 v68, s[28:29], 0, v38, s[28:29]
	v_sub_u32_e32 v38, 0, v68
	v_ldexp_f32 v37, v37, v38
	v_ldexp_f32 v38, v48, v38
	v_add_f32_e32 v48, -1.0, v37
	v_add_f32_e32 v39, 1.0, v48
	v_sub_f32_e32 v39, v37, v39
	v_add_f32_e32 v54, v38, v39
	v_add_f32_e32 v39, 1.0, v37
	v_add_f32_e32 v55, -1.0, v39
	v_sub_f32_e32 v37, v37, v55
	v_add_f32_e32 v37, v38, v37
	v_add_f32_e32 v69, v39, v37
	v_rcp_f32_e32 v70, v69
	v_sub_f32_e32 v38, v39, v69
	v_add_f32_e32 v39, v48, v54
	v_add_f32_e32 v37, v37, v38
	v_sub_f32_e32 v38, v48, v39
	v_mul_f32_e32 v71, v39, v70
	v_add_f32_e32 v48, v54, v38
	v_mul_f32_e32 v54, v69, v71
	v_fma_f32 v64, v71, v69, -v54
	v_fmac_f32_e32 v64, v71, v37
	v_add_f32_e32 v38, v54, v64
	v_sub_f32_e32 v55, v39, v38
	v_pk_add_f32 v[66:67], v[38:39], v[54:55] neg_lo:[0,1] neg_hi:[0,1]
	v_mov_b32_e32 v65, v38
	v_pk_add_f32 v[38:39], v[66:67], v[64:65] neg_lo:[0,1] neg_hi:[0,1]
	s_mov_b32 s28, 0x3f317218
	v_add_f32_e32 v39, v48, v39
	v_add_f32_e32 v38, v38, v39
	;; [unrolled: 1-line block ×3, first 2 shown]
	v_mul_f32_e32 v48, v70, v39
	v_mul_f32_e32 v54, v69, v48
	v_fma_f32 v64, v48, v69, -v54
	v_fmac_f32_e32 v64, v48, v37
	v_sub_f32_e32 v37, v55, v39
	v_add_f32_e32 v37, v38, v37
	v_add_f32_e32 v38, v54, v64
	v_sub_f32_e32 v55, v39, v38
	v_pk_add_f32 v[66:67], v[38:39], v[54:55] neg_lo:[0,1] neg_hi:[0,1]
	v_mov_b32_e32 v65, v38
	v_pk_add_f32 v[38:39], v[66:67], v[64:65] neg_lo:[0,1] neg_hi:[0,1]
	v_cvt_f32_i32_e32 v54, v68
	v_add_f32_e32 v37, v37, v39
	v_add_f32_e32 v37, v38, v37
	;; [unrolled: 1-line block ×4, first 2 shown]
	v_sub_f32_e32 v39, v38, v71
	v_mul_f32_e32 v37, v70, v37
	v_sub_f32_e32 v39, v48, v39
	v_add_f32_e32 v37, v39, v37
	v_add_f32_e32 v48, v38, v37
	v_mul_f32_e32 v55, v48, v48
	v_mov_b32_e32 v39, 0x3ecc95a3
	v_fmac_f32_e32 v39, 0x3e9b6dac, v55
	v_sub_f32_e32 v38, v48, v38
	v_fmaak_f32 v39, v55, v39, 0x3f2aaada
	v_sub_f32_e32 v37, v37, v38
	v_mul_f32_e32 v55, v48, v55
	v_mov_b32_e32 v38, 0x3f317218
	v_pk_mul_f32 v[38:39], v[54:55], v[38:39]
	v_ldexp_f32 v65, v48, 1
	v_fma_f32 v48, v54, s28, -v38
	v_fmamk_f32 v64, v54, 0xb102e308, v48
	v_pk_add_f32 v[54:55], v[38:39], v[64:65]
	v_ldexp_f32 v37, v37, 1
	v_sub_f32_e32 v48, v55, v65
	v_sub_f32_e32 v48, v39, v48
	v_add_f32_e32 v67, v37, v48
	v_mov_b32_e32 v66, v38
	v_pk_add_f32 v[38:39], v[54:55], v[38:39] neg_lo:[0,1] neg_hi:[0,1]
	v_pk_add_f32 v[68:69], v[54:55], v[66:67]
	v_mov_b32_e32 v65, v54
	v_mov_b32_e32 v39, v69
	v_pk_add_f32 v[70:71], v[64:65], v[38:39] neg_lo:[0,1] neg_hi:[0,1]
	v_pk_add_f32 v[38:39], v[64:65], v[38:39]
	v_cmp_eq_f32_e64 s[28:29], s35, v53
	v_mov_b32_e32 v48, v39
	v_pk_add_f32 v[64:65], v[48:49], v[54:55] neg_lo:[0,1] neg_hi:[0,1]
	v_mov_b32_e32 v38, v69
	v_mov_b32_e32 v37, v64
	v_pk_add_f32 v[80:81], v[68:69], v[36:37] neg_lo:[0,1] neg_hi:[0,1]
	v_mov_b32_e32 v68, v55
	v_mov_b32_e32 v69, v64
	;; [unrolled: 1-line block ×3, first 2 shown]
	v_pk_add_f32 v[38:39], v[38:39], v[68:69] neg_lo:[0,1] neg_hi:[0,1]
	v_mov_b32_e32 v64, v67
	v_mov_b32_e32 v65, v54
	v_pk_add_f32 v[38:39], v[64:65], v[38:39] neg_lo:[0,1] neg_hi:[0,1]
	v_mov_b32_e32 v80, v70
	v_pk_add_f32 v[54:55], v[80:81], v[38:39]
	s_mov_b32 s35, 0x33800000
	v_mov_b32_e32 v64, v55
	v_pk_add_f32 v[64:65], v[54:55], v[64:65]
	v_cmp_lt_f32_e64 s[36:37], |v53|, s35
	v_pk_add_f32 v[66:67], v[48:49], v[64:65]
	v_mov_b32_e32 v39, v64
	v_mov_b32_e32 v55, v66
	v_pk_add_f32 v[68:69], v[54:55], v[70:71] neg_lo:[0,1] neg_hi:[0,1]
	s_or_b64 s[28:29], s[28:29], s[36:37]
	v_sub_f32_e32 v37, v54, v68
	v_pk_add_f32 v[38:39], v[38:39], v[68:69] neg_lo:[0,1] neg_hi:[0,1]
	v_sub_f32_e32 v37, v70, v37
	v_add_f32_e32 v37, v38, v37
	v_add_f32_e32 v37, v37, v39
	;; [unrolled: 1-line block ×3, first 2 shown]
	v_cndmask_b32_e64 v37, v37, v53, s[28:29]
	v_add_f32_e32 v22, v22, v37
	v_cvt_f16_f32_e32 v37, v22
	v_cvt_f32_f16_e32 v38, v37
.LBB388_300:
	s_or_b64 exec, exec, s[30:31]
	v_cvt_f32_f16_e32 v22, v23
	v_max_f32_e32 v39, v38, v38
	v_cmp_u_f16_e64 s[30:31], v37, v37
	v_cmp_u_f16_e64 s[28:29], v23, v23
	v_min_f32_e32 v48, v39, v22
	v_max_f32_e32 v39, v39, v22
	v_cndmask_b32_e64 v48, v48, v38, s[30:31]
	v_cndmask_b32_e64 v39, v39, v38, s[30:31]
	;; [unrolled: 1-line block ×4, first 2 shown]
	v_cmp_neq_f32_e64 s[30:31], v48, v39
	v_cmp_class_f32_e64 s[34:35], v48, s34
	s_or_b64 s[30:31], s[30:31], s[34:35]
	s_and_saveexec_b64 s[34:35], s[30:31]
	s_cbranch_execz .LBB388_302
; %bb.301:
	v_sub_f32_e32 v37, v48, v39
	s_mov_b32 s30, 0x3fb8aa3b
	v_mul_f32_e32 v38, 0x3fb8aa3b, v37
	v_fma_f32 v48, v37, s30, -v38
	v_rndne_f32_e32 v53, v38
	v_fmamk_f32 v48, v37, 0x32a5705f, v48
	v_sub_f32_e32 v38, v38, v53
	v_add_f32_e32 v38, v38, v48
	v_exp_f32_e32 v38, v38
	v_cvt_i32_f32_e32 v48, v53
	s_mov_b32 s30, 0xc2ce8ed0
	v_cmp_ngt_f32_e64 s[30:31], s30, v37
	s_mov_b32 s36, 0x7f800000
	v_ldexp_f32 v38, v38, v48
	v_cndmask_b32_e64 v38, 0, v38, s[30:31]
	s_mov_b32 s30, 0x42b17218
	v_mov_b32_e32 v48, 0x7f800000
	v_cmp_nlt_f32_e64 s[30:31], s30, v37
	s_nop 1
	v_cndmask_b32_e64 v53, v48, v38, s[30:31]
	v_add_f32_e32 v37, 1.0, v53
	v_add_f32_e32 v38, -1.0, v37
	v_sub_f32_e32 v48, v38, v37
	v_add_f32_e32 v48, 1.0, v48
	v_sub_f32_e32 v38, v53, v38
	v_add_f32_e32 v38, v38, v48
	v_frexp_mant_f32_e32 v48, v37
	s_mov_b32 s30, 0x3f2aaaab
	v_cvt_f64_f32_e32 v[54:55], v37
	v_frexp_exp_i32_f64_e32 v54, v[54:55]
	v_cmp_gt_f32_e64 s[30:31], s30, v48
	s_nop 1
	v_subbrev_co_u32_e64 v48, s[30:31], 0, v54, s[30:31]
	v_sub_u32_e32 v54, 0, v48
	v_ldexp_f32 v37, v37, v54
	v_ldexp_f32 v38, v38, v54
	v_add_f32_e32 v54, -1.0, v37
	v_add_f32_e32 v55, 1.0, v54
	v_sub_f32_e32 v55, v37, v55
	v_add_f32_e32 v64, v38, v55
	v_add_f32_e32 v55, 1.0, v37
	v_add_f32_e32 v65, -1.0, v55
	v_sub_f32_e32 v37, v37, v65
	v_add_f32_e32 v37, v38, v37
	v_add_f32_e32 v38, v55, v37
	v_rcp_f32_e32 v70, v38
	v_sub_f32_e32 v55, v55, v38
	v_add_f32_e32 v37, v37, v55
	v_add_f32_e32 v55, v54, v64
	v_sub_f32_e32 v54, v54, v55
	v_mul_f32_e32 v80, v55, v70
	v_add_f32_e32 v71, v64, v54
	v_mul_f32_e32 v64, v38, v80
	v_fma_f32 v66, v80, v38, -v64
	v_fmac_f32_e32 v66, v80, v37
	v_add_f32_e32 v54, v64, v66
	v_sub_f32_e32 v65, v55, v54
	v_pk_add_f32 v[68:69], v[54:55], v[64:65] neg_lo:[0,1] neg_hi:[0,1]
	v_mov_b32_e32 v67, v54
	v_pk_add_f32 v[54:55], v[68:69], v[66:67] neg_lo:[0,1] neg_hi:[0,1]
	s_mov_b32 s30, 0x3f317218
	v_add_f32_e32 v55, v71, v55
	v_add_f32_e32 v54, v54, v55
	;; [unrolled: 1-line block ×3, first 2 shown]
	v_mul_f32_e32 v71, v70, v55
	v_mul_f32_e32 v64, v38, v71
	v_fma_f32 v66, v71, v38, -v64
	v_fmac_f32_e32 v66, v71, v37
	v_sub_f32_e32 v37, v65, v55
	v_add_f32_e32 v37, v54, v37
	v_add_f32_e32 v54, v64, v66
	v_sub_f32_e32 v65, v55, v54
	v_pk_add_f32 v[68:69], v[54:55], v[64:65] neg_lo:[0,1] neg_hi:[0,1]
	v_mov_b32_e32 v67, v54
	v_pk_add_f32 v[54:55], v[68:69], v[66:67] neg_lo:[0,1] neg_hi:[0,1]
	v_add_f32_e32 v38, v80, v71
	v_add_f32_e32 v37, v37, v55
	;; [unrolled: 1-line block ×4, first 2 shown]
	v_sub_f32_e32 v54, v38, v80
	v_mul_f32_e32 v37, v70, v37
	v_sub_f32_e32 v54, v71, v54
	v_add_f32_e32 v37, v54, v37
	v_add_f32_e32 v54, v38, v37
	v_cvt_f32_i32_e32 v64, v48
	v_mul_f32_e32 v65, v54, v54
	v_mov_b32_e32 v55, 0x3ecc95a3
	v_fmac_f32_e32 v55, 0x3e9b6dac, v65
	v_fmaak_f32 v55, v65, v55, 0x3f2aaada
	v_sub_f32_e32 v38, v54, v38
	v_ldexp_f32 v67, v54, 1
	v_mul_f32_e32 v65, v54, v65
	v_mov_b32_e32 v54, 0x3f317218
	v_pk_mul_f32 v[54:55], v[64:65], v[54:55]
	v_sub_f32_e32 v37, v37, v38
	v_fma_f32 v38, v64, s30, -v54
	v_fmamk_f32 v66, v64, 0xb102e308, v38
	v_pk_add_f32 v[64:65], v[54:55], v[66:67]
	v_ldexp_f32 v37, v37, 1
	v_sub_f32_e32 v38, v65, v67
	v_sub_f32_e32 v38, v55, v38
	v_add_f32_e32 v69, v37, v38
	v_mov_b32_e32 v68, v54
	v_pk_add_f32 v[54:55], v[64:65], v[54:55] neg_lo:[0,1] neg_hi:[0,1]
	v_pk_add_f32 v[70:71], v[64:65], v[68:69]
	v_mov_b32_e32 v67, v64
	v_mov_b32_e32 v55, v71
	v_pk_add_f32 v[80:81], v[66:67], v[54:55] neg_lo:[0,1] neg_hi:[0,1]
	v_pk_add_f32 v[54:55], v[66:67], v[54:55]
	v_cmp_eq_f32_e64 s[30:31], s36, v53
	v_mov_b32_e32 v38, v55
	v_pk_add_f32 v[66:67], v[38:39], v[64:65] neg_lo:[0,1] neg_hi:[0,1]
	v_mov_b32_e32 v54, v71
	v_mov_b32_e32 v37, v66
	v_pk_add_f32 v[82:83], v[70:71], v[36:37] neg_lo:[0,1] neg_hi:[0,1]
	v_mov_b32_e32 v70, v65
	v_mov_b32_e32 v71, v66
	v_mov_b32_e32 v81, v55
	v_pk_add_f32 v[54:55], v[54:55], v[70:71] neg_lo:[0,1] neg_hi:[0,1]
	v_mov_b32_e32 v66, v69
	v_mov_b32_e32 v67, v64
	v_pk_add_f32 v[54:55], v[66:67], v[54:55] neg_lo:[0,1] neg_hi:[0,1]
	v_mov_b32_e32 v82, v80
	v_pk_add_f32 v[64:65], v[82:83], v[54:55]
	s_mov_b32 s36, 0x33800000
	v_mov_b32_e32 v48, v65
	v_pk_add_f32 v[66:67], v[64:65], v[48:49]
	v_cmp_lt_f32_e64 s[36:37], |v53|, s36
	v_pk_add_f32 v[68:69], v[38:39], v[66:67]
	v_mov_b32_e32 v55, v66
	v_mov_b32_e32 v65, v68
	v_pk_add_f32 v[70:71], v[64:65], v[80:81] neg_lo:[0,1] neg_hi:[0,1]
	s_or_b64 s[30:31], s[30:31], s[36:37]
	v_sub_f32_e32 v37, v64, v70
	v_pk_add_f32 v[54:55], v[54:55], v[70:71] neg_lo:[0,1] neg_hi:[0,1]
	v_sub_f32_e32 v37, v80, v37
	v_add_f32_e32 v37, v54, v37
	v_add_f32_e32 v37, v37, v55
	;; [unrolled: 1-line block ×3, first 2 shown]
	v_cndmask_b32_e64 v37, v37, v53, s[30:31]
	v_add_f32_e32 v37, v39, v37
	v_cvt_f16_f32_e32 v37, v37
	v_cvt_f32_f16_e32 v38, v37
.LBB388_302:
	s_or_b64 exec, exec, s[34:35]
	v_cvt_f32_f16_sdwa v53, v23 dst_sel:DWORD dst_unused:UNUSED_PAD src0_sel:WORD_1
	v_max_f32_e32 v48, v38, v38
	v_cmp_u_f16_e64 s[34:35], v37, v37
	v_cmp_u_f16_sdwa s[30:31], v23, v23 src0_sel:WORD_1 src1_sel:WORD_1
	v_min_f32_e32 v39, v48, v53
	v_max_f32_e32 v23, v48, v53
	v_cndmask_b32_e64 v39, v39, v38, s[34:35]
	v_cndmask_b32_e64 v23, v23, v38, s[34:35]
	;; [unrolled: 1-line block ×4, first 2 shown]
	s_movk_i32 s38, 0x1f8
	v_cmp_neq_f32_e64 s[34:35], v39, v23
	v_cmp_class_f32_e64 s[36:37], v39, s38
	s_or_b64 s[34:35], s[34:35], s[36:37]
	s_and_saveexec_b64 s[36:37], s[34:35]
	s_cbranch_execz .LBB388_304
; %bb.303:
	v_sub_f32_e32 v37, v39, v23
	s_mov_b32 s34, 0x3fb8aa3b
	v_mul_f32_e32 v38, 0x3fb8aa3b, v37
	v_fma_f32 v39, v37, s34, -v38
	v_rndne_f32_e32 v48, v38
	v_fmamk_f32 v39, v37, 0x32a5705f, v39
	v_sub_f32_e32 v38, v38, v48
	v_add_f32_e32 v38, v38, v39
	v_exp_f32_e32 v38, v38
	v_cvt_i32_f32_e32 v39, v48
	s_mov_b32 s34, 0xc2ce8ed0
	v_cmp_ngt_f32_e64 s[34:35], s34, v37
	s_mov_b32 s39, 0x7f800000
	v_ldexp_f32 v38, v38, v39
	v_cndmask_b32_e64 v38, 0, v38, s[34:35]
	s_mov_b32 s34, 0x42b17218
	v_mov_b32_e32 v39, 0x7f800000
	v_cmp_nlt_f32_e64 s[34:35], s34, v37
	s_nop 1
	v_cndmask_b32_e64 v82, v39, v38, s[34:35]
	v_add_f32_e32 v37, 1.0, v82
	v_add_f32_e32 v38, -1.0, v37
	v_sub_f32_e32 v39, v38, v37
	v_add_f32_e32 v39, 1.0, v39
	v_sub_f32_e32 v38, v82, v38
	v_add_f32_e32 v48, v38, v39
	v_frexp_mant_f32_e32 v54, v37
	s_mov_b32 s34, 0x3f2aaaab
	v_cvt_f64_f32_e32 v[38:39], v37
	v_frexp_exp_i32_f64_e32 v38, v[38:39]
	v_cmp_gt_f32_e64 s[34:35], s34, v54
	s_nop 1
	v_subbrev_co_u32_e64 v68, s[34:35], 0, v38, s[34:35]
	v_sub_u32_e32 v38, 0, v68
	v_ldexp_f32 v37, v37, v38
	v_ldexp_f32 v38, v48, v38
	v_add_f32_e32 v48, -1.0, v37
	v_add_f32_e32 v39, 1.0, v48
	v_sub_f32_e32 v39, v37, v39
	v_add_f32_e32 v54, v38, v39
	v_add_f32_e32 v39, 1.0, v37
	v_add_f32_e32 v55, -1.0, v39
	v_sub_f32_e32 v37, v37, v55
	v_add_f32_e32 v37, v38, v37
	v_add_f32_e32 v69, v39, v37
	v_rcp_f32_e32 v70, v69
	v_sub_f32_e32 v38, v39, v69
	v_add_f32_e32 v39, v48, v54
	v_add_f32_e32 v37, v37, v38
	v_sub_f32_e32 v38, v48, v39
	v_mul_f32_e32 v71, v39, v70
	v_add_f32_e32 v48, v54, v38
	v_mul_f32_e32 v54, v69, v71
	v_fma_f32 v64, v71, v69, -v54
	v_fmac_f32_e32 v64, v71, v37
	v_add_f32_e32 v38, v54, v64
	v_sub_f32_e32 v55, v39, v38
	v_pk_add_f32 v[66:67], v[38:39], v[54:55] neg_lo:[0,1] neg_hi:[0,1]
	v_mov_b32_e32 v65, v38
	v_pk_add_f32 v[38:39], v[66:67], v[64:65] neg_lo:[0,1] neg_hi:[0,1]
	s_mov_b32 s34, 0x3f317218
	v_add_f32_e32 v39, v48, v39
	v_add_f32_e32 v38, v38, v39
	;; [unrolled: 1-line block ×3, first 2 shown]
	v_mul_f32_e32 v48, v70, v39
	v_mul_f32_e32 v54, v69, v48
	v_fma_f32 v64, v48, v69, -v54
	v_fmac_f32_e32 v64, v48, v37
	v_sub_f32_e32 v37, v55, v39
	v_add_f32_e32 v37, v38, v37
	v_add_f32_e32 v38, v54, v64
	v_sub_f32_e32 v55, v39, v38
	v_pk_add_f32 v[66:67], v[38:39], v[54:55] neg_lo:[0,1] neg_hi:[0,1]
	v_mov_b32_e32 v65, v38
	v_pk_add_f32 v[38:39], v[66:67], v[64:65] neg_lo:[0,1] neg_hi:[0,1]
	v_cvt_f32_i32_e32 v54, v68
	v_add_f32_e32 v37, v37, v39
	v_add_f32_e32 v37, v38, v37
	;; [unrolled: 1-line block ×4, first 2 shown]
	v_sub_f32_e32 v39, v38, v71
	v_mul_f32_e32 v37, v70, v37
	v_sub_f32_e32 v39, v48, v39
	v_add_f32_e32 v37, v39, v37
	v_add_f32_e32 v48, v38, v37
	v_mul_f32_e32 v55, v48, v48
	v_mov_b32_e32 v39, 0x3ecc95a3
	v_fmac_f32_e32 v39, 0x3e9b6dac, v55
	v_sub_f32_e32 v38, v48, v38
	v_fmaak_f32 v39, v55, v39, 0x3f2aaada
	v_sub_f32_e32 v37, v37, v38
	v_mul_f32_e32 v55, v48, v55
	v_mov_b32_e32 v38, 0x3f317218
	v_pk_mul_f32 v[38:39], v[54:55], v[38:39]
	v_ldexp_f32 v65, v48, 1
	v_fma_f32 v48, v54, s34, -v38
	v_fmamk_f32 v64, v54, 0xb102e308, v48
	v_pk_add_f32 v[54:55], v[38:39], v[64:65]
	v_ldexp_f32 v37, v37, 1
	v_sub_f32_e32 v48, v55, v65
	v_sub_f32_e32 v48, v39, v48
	v_add_f32_e32 v67, v37, v48
	v_mov_b32_e32 v66, v38
	v_pk_add_f32 v[38:39], v[54:55], v[38:39] neg_lo:[0,1] neg_hi:[0,1]
	v_pk_add_f32 v[68:69], v[54:55], v[66:67]
	v_mov_b32_e32 v65, v54
	v_mov_b32_e32 v39, v69
	v_pk_add_f32 v[70:71], v[64:65], v[38:39] neg_lo:[0,1] neg_hi:[0,1]
	v_pk_add_f32 v[38:39], v[64:65], v[38:39]
	v_cmp_eq_f32_e64 s[34:35], s39, v82
	v_mov_b32_e32 v48, v39
	v_pk_add_f32 v[64:65], v[48:49], v[54:55] neg_lo:[0,1] neg_hi:[0,1]
	v_mov_b32_e32 v38, v69
	v_mov_b32_e32 v37, v64
	v_pk_add_f32 v[80:81], v[68:69], v[36:37] neg_lo:[0,1] neg_hi:[0,1]
	v_mov_b32_e32 v68, v55
	v_mov_b32_e32 v69, v64
	;; [unrolled: 1-line block ×3, first 2 shown]
	v_pk_add_f32 v[38:39], v[38:39], v[68:69] neg_lo:[0,1] neg_hi:[0,1]
	v_mov_b32_e32 v64, v67
	v_mov_b32_e32 v65, v54
	v_pk_add_f32 v[38:39], v[64:65], v[38:39] neg_lo:[0,1] neg_hi:[0,1]
	v_mov_b32_e32 v80, v70
	v_pk_add_f32 v[54:55], v[80:81], v[38:39]
	s_mov_b32 s39, 0x33800000
	v_mov_b32_e32 v64, v55
	v_pk_add_f32 v[64:65], v[54:55], v[64:65]
	v_cmp_lt_f32_e64 s[40:41], |v82|, s39
	v_pk_add_f32 v[66:67], v[48:49], v[64:65]
	v_mov_b32_e32 v39, v64
	v_mov_b32_e32 v55, v66
	v_pk_add_f32 v[68:69], v[54:55], v[70:71] neg_lo:[0,1] neg_hi:[0,1]
	s_or_b64 s[34:35], s[34:35], s[40:41]
	v_sub_f32_e32 v37, v54, v68
	v_pk_add_f32 v[38:39], v[38:39], v[68:69] neg_lo:[0,1] neg_hi:[0,1]
	v_sub_f32_e32 v37, v70, v37
	v_add_f32_e32 v37, v38, v37
	v_add_f32_e32 v37, v37, v39
	;; [unrolled: 1-line block ×3, first 2 shown]
	v_cndmask_b32_e64 v37, v37, v82, s[34:35]
	v_add_f32_e32 v23, v23, v37
	v_cvt_f16_f32_e32 v37, v23
	v_cvt_f32_f16_e32 v38, v37
.LBB388_304:
	s_or_b64 exec, exec, s[36:37]
	v_cvt_f32_f16_e32 v23, v16
	v_max_f32_e32 v39, v38, v38
	v_cmp_u_f16_e64 s[36:37], v37, v37
	v_cmp_u_f16_e64 s[34:35], v16, v16
	v_min_f32_e32 v48, v39, v23
	v_max_f32_e32 v39, v39, v23
	v_cndmask_b32_e64 v48, v48, v38, s[36:37]
	v_cndmask_b32_e64 v39, v39, v38, s[36:37]
	;; [unrolled: 1-line block ×4, first 2 shown]
	v_cmp_neq_f32_e64 s[36:37], v48, v39
	v_cmp_class_f32_e64 s[38:39], v48, s38
	s_or_b64 s[36:37], s[36:37], s[38:39]
	s_and_saveexec_b64 s[38:39], s[36:37]
	s_cbranch_execz .LBB388_306
; %bb.305:
	v_sub_f32_e32 v37, v48, v39
	s_mov_b32 s36, 0x3fb8aa3b
	v_mul_f32_e32 v38, 0x3fb8aa3b, v37
	v_fma_f32 v48, v37, s36, -v38
	v_rndne_f32_e32 v54, v38
	v_fmamk_f32 v48, v37, 0x32a5705f, v48
	v_sub_f32_e32 v38, v38, v54
	v_add_f32_e32 v38, v38, v48
	v_exp_f32_e32 v38, v38
	v_cvt_i32_f32_e32 v48, v54
	s_mov_b32 s36, 0xc2ce8ed0
	v_cmp_ngt_f32_e64 s[36:37], s36, v37
	s_mov_b32 s40, 0x7f800000
	v_ldexp_f32 v38, v38, v48
	v_cndmask_b32_e64 v38, 0, v38, s[36:37]
	s_mov_b32 s36, 0x42b17218
	v_mov_b32_e32 v48, 0x7f800000
	v_cmp_nlt_f32_e64 s[36:37], s36, v37
	s_nop 1
	v_cndmask_b32_e64 v84, v48, v38, s[36:37]
	v_add_f32_e32 v37, 1.0, v84
	v_add_f32_e32 v38, -1.0, v37
	v_sub_f32_e32 v48, v38, v37
	v_add_f32_e32 v48, 1.0, v48
	v_sub_f32_e32 v38, v84, v38
	v_add_f32_e32 v38, v38, v48
	v_frexp_mant_f32_e32 v48, v37
	s_mov_b32 s36, 0x3f2aaaab
	v_cvt_f64_f32_e32 v[54:55], v37
	v_frexp_exp_i32_f64_e32 v54, v[54:55]
	v_cmp_gt_f32_e64 s[36:37], s36, v48
	s_nop 1
	v_subbrev_co_u32_e64 v48, s[36:37], 0, v54, s[36:37]
	v_sub_u32_e32 v54, 0, v48
	v_ldexp_f32 v37, v37, v54
	v_ldexp_f32 v38, v38, v54
	v_add_f32_e32 v54, -1.0, v37
	v_add_f32_e32 v55, 1.0, v54
	v_sub_f32_e32 v55, v37, v55
	v_add_f32_e32 v64, v38, v55
	v_add_f32_e32 v55, 1.0, v37
	v_add_f32_e32 v65, -1.0, v55
	v_sub_f32_e32 v37, v37, v65
	v_add_f32_e32 v37, v38, v37
	v_add_f32_e32 v38, v55, v37
	v_rcp_f32_e32 v70, v38
	v_sub_f32_e32 v55, v55, v38
	v_add_f32_e32 v37, v37, v55
	v_add_f32_e32 v55, v54, v64
	v_sub_f32_e32 v54, v54, v55
	v_mul_f32_e32 v80, v55, v70
	v_add_f32_e32 v71, v64, v54
	v_mul_f32_e32 v64, v38, v80
	v_fma_f32 v66, v80, v38, -v64
	v_fmac_f32_e32 v66, v80, v37
	v_add_f32_e32 v54, v64, v66
	v_sub_f32_e32 v65, v55, v54
	v_pk_add_f32 v[68:69], v[54:55], v[64:65] neg_lo:[0,1] neg_hi:[0,1]
	v_mov_b32_e32 v67, v54
	v_pk_add_f32 v[54:55], v[68:69], v[66:67] neg_lo:[0,1] neg_hi:[0,1]
	s_mov_b32 s36, 0x3f317218
	v_add_f32_e32 v55, v71, v55
	v_add_f32_e32 v54, v54, v55
	;; [unrolled: 1-line block ×3, first 2 shown]
	v_mul_f32_e32 v71, v70, v55
	v_mul_f32_e32 v64, v38, v71
	v_fma_f32 v66, v71, v38, -v64
	v_fmac_f32_e32 v66, v71, v37
	v_sub_f32_e32 v37, v65, v55
	v_add_f32_e32 v37, v54, v37
	v_add_f32_e32 v54, v64, v66
	v_sub_f32_e32 v65, v55, v54
	v_pk_add_f32 v[68:69], v[54:55], v[64:65] neg_lo:[0,1] neg_hi:[0,1]
	v_mov_b32_e32 v67, v54
	v_pk_add_f32 v[54:55], v[68:69], v[66:67] neg_lo:[0,1] neg_hi:[0,1]
	v_add_f32_e32 v38, v80, v71
	v_add_f32_e32 v37, v37, v55
	;; [unrolled: 1-line block ×4, first 2 shown]
	v_sub_f32_e32 v54, v38, v80
	v_mul_f32_e32 v37, v70, v37
	v_sub_f32_e32 v54, v71, v54
	v_add_f32_e32 v37, v54, v37
	v_add_f32_e32 v54, v38, v37
	v_cvt_f32_i32_e32 v64, v48
	v_mul_f32_e32 v65, v54, v54
	v_mov_b32_e32 v55, 0x3ecc95a3
	v_fmac_f32_e32 v55, 0x3e9b6dac, v65
	v_fmaak_f32 v55, v65, v55, 0x3f2aaada
	v_sub_f32_e32 v38, v54, v38
	v_ldexp_f32 v67, v54, 1
	v_mul_f32_e32 v65, v54, v65
	v_mov_b32_e32 v54, 0x3f317218
	v_pk_mul_f32 v[54:55], v[64:65], v[54:55]
	v_sub_f32_e32 v37, v37, v38
	v_fma_f32 v38, v64, s36, -v54
	v_fmamk_f32 v66, v64, 0xb102e308, v38
	v_pk_add_f32 v[64:65], v[54:55], v[66:67]
	v_ldexp_f32 v37, v37, 1
	v_sub_f32_e32 v38, v65, v67
	v_sub_f32_e32 v38, v55, v38
	v_add_f32_e32 v69, v37, v38
	v_mov_b32_e32 v68, v54
	v_pk_add_f32 v[54:55], v[64:65], v[54:55] neg_lo:[0,1] neg_hi:[0,1]
	v_pk_add_f32 v[70:71], v[64:65], v[68:69]
	v_mov_b32_e32 v67, v64
	v_mov_b32_e32 v55, v71
	v_pk_add_f32 v[80:81], v[66:67], v[54:55] neg_lo:[0,1] neg_hi:[0,1]
	v_pk_add_f32 v[54:55], v[66:67], v[54:55]
	v_cmp_eq_f32_e64 s[36:37], s40, v84
	v_mov_b32_e32 v38, v55
	v_pk_add_f32 v[66:67], v[38:39], v[64:65] neg_lo:[0,1] neg_hi:[0,1]
	v_mov_b32_e32 v54, v71
	v_mov_b32_e32 v37, v66
	v_pk_add_f32 v[82:83], v[70:71], v[36:37] neg_lo:[0,1] neg_hi:[0,1]
	v_mov_b32_e32 v70, v65
	v_mov_b32_e32 v71, v66
	;; [unrolled: 1-line block ×3, first 2 shown]
	v_pk_add_f32 v[54:55], v[54:55], v[70:71] neg_lo:[0,1] neg_hi:[0,1]
	v_mov_b32_e32 v66, v69
	v_mov_b32_e32 v67, v64
	v_pk_add_f32 v[54:55], v[66:67], v[54:55] neg_lo:[0,1] neg_hi:[0,1]
	v_mov_b32_e32 v82, v80
	v_pk_add_f32 v[64:65], v[82:83], v[54:55]
	s_mov_b32 s40, 0x33800000
	v_mov_b32_e32 v48, v65
	v_pk_add_f32 v[66:67], v[64:65], v[48:49]
	v_cmp_lt_f32_e64 s[40:41], |v84|, s40
	v_pk_add_f32 v[68:69], v[38:39], v[66:67]
	v_mov_b32_e32 v55, v66
	v_mov_b32_e32 v65, v68
	v_pk_add_f32 v[70:71], v[64:65], v[80:81] neg_lo:[0,1] neg_hi:[0,1]
	s_or_b64 s[36:37], s[36:37], s[40:41]
	v_sub_f32_e32 v37, v64, v70
	v_pk_add_f32 v[54:55], v[54:55], v[70:71] neg_lo:[0,1] neg_hi:[0,1]
	v_sub_f32_e32 v37, v80, v37
	v_add_f32_e32 v37, v54, v37
	v_add_f32_e32 v37, v37, v55
	;; [unrolled: 1-line block ×3, first 2 shown]
	v_cndmask_b32_e64 v37, v37, v84, s[36:37]
	v_add_f32_e32 v37, v39, v37
	v_cvt_f16_f32_e32 v37, v37
	v_cvt_f32_f16_e32 v38, v37
.LBB388_306:
	s_or_b64 exec, exec, s[38:39]
	v_cvt_f32_f16_sdwa v54, v16 dst_sel:DWORD dst_unused:UNUSED_PAD src0_sel:WORD_1
	v_max_f32_e32 v48, v38, v38
	v_cmp_u_f16_e64 s[38:39], v37, v37
	v_cmp_u_f16_sdwa s[36:37], v16, v16 src0_sel:WORD_1 src1_sel:WORD_1
	v_min_f32_e32 v39, v48, v54
	v_max_f32_e32 v16, v48, v54
	v_cndmask_b32_e64 v39, v39, v38, s[38:39]
	v_cndmask_b32_e64 v16, v16, v38, s[38:39]
	;; [unrolled: 1-line block ×4, first 2 shown]
	s_movk_i32 s42, 0x1f8
	v_cmp_neq_f32_e64 s[38:39], v39, v16
	v_cmp_class_f32_e64 s[40:41], v39, s42
	s_or_b64 s[38:39], s[38:39], s[40:41]
	s_and_saveexec_b64 s[40:41], s[38:39]
	s_cbranch_execz .LBB388_308
; %bb.307:
	v_sub_f32_e32 v37, v39, v16
	s_mov_b32 s38, 0x3fb8aa3b
	v_mul_f32_e32 v38, 0x3fb8aa3b, v37
	v_fma_f32 v39, v37, s38, -v38
	v_rndne_f32_e32 v48, v38
	v_fmamk_f32 v39, v37, 0x32a5705f, v39
	v_sub_f32_e32 v38, v38, v48
	v_add_f32_e32 v38, v38, v39
	v_exp_f32_e32 v38, v38
	v_cvt_i32_f32_e32 v39, v48
	s_mov_b32 s38, 0xc2ce8ed0
	v_cmp_ngt_f32_e64 s[38:39], s38, v37
	s_mov_b32 s43, 0x7f800000
	v_ldexp_f32 v38, v38, v39
	v_cndmask_b32_e64 v38, 0, v38, s[38:39]
	s_mov_b32 s38, 0x42b17218
	v_mov_b32_e32 v39, 0x7f800000
	v_cmp_nlt_f32_e64 s[38:39], s38, v37
	s_nop 1
	v_cndmask_b32_e64 v55, v39, v38, s[38:39]
	v_add_f32_e32 v37, 1.0, v55
	v_add_f32_e32 v38, -1.0, v37
	v_sub_f32_e32 v39, v38, v37
	v_add_f32_e32 v39, 1.0, v39
	v_sub_f32_e32 v38, v55, v38
	v_add_f32_e32 v48, v38, v39
	v_frexp_mant_f32_e32 v64, v37
	s_mov_b32 s38, 0x3f2aaaab
	v_cvt_f64_f32_e32 v[38:39], v37
	v_frexp_exp_i32_f64_e32 v38, v[38:39]
	v_cmp_gt_f32_e64 s[38:39], s38, v64
	s_nop 1
	v_subbrev_co_u32_e64 v70, s[38:39], 0, v38, s[38:39]
	v_sub_u32_e32 v38, 0, v70
	v_ldexp_f32 v37, v37, v38
	v_ldexp_f32 v38, v48, v38
	v_add_f32_e32 v48, -1.0, v37
	v_add_f32_e32 v39, 1.0, v48
	v_sub_f32_e32 v39, v37, v39
	v_add_f32_e32 v64, v38, v39
	v_add_f32_e32 v39, 1.0, v37
	v_add_f32_e32 v65, -1.0, v39
	v_sub_f32_e32 v37, v37, v65
	v_add_f32_e32 v37, v38, v37
	v_add_f32_e32 v71, v39, v37
	v_rcp_f32_e32 v80, v71
	v_sub_f32_e32 v38, v39, v71
	v_add_f32_e32 v39, v48, v64
	v_add_f32_e32 v37, v37, v38
	v_sub_f32_e32 v38, v48, v39
	v_mul_f32_e32 v81, v39, v80
	v_add_f32_e32 v48, v64, v38
	v_mul_f32_e32 v64, v71, v81
	v_fma_f32 v66, v81, v71, -v64
	v_fmac_f32_e32 v66, v81, v37
	v_add_f32_e32 v38, v64, v66
	v_sub_f32_e32 v65, v39, v38
	v_pk_add_f32 v[68:69], v[38:39], v[64:65] neg_lo:[0,1] neg_hi:[0,1]
	v_mov_b32_e32 v67, v38
	v_pk_add_f32 v[38:39], v[68:69], v[66:67] neg_lo:[0,1] neg_hi:[0,1]
	s_mov_b32 s38, 0x3f317218
	v_add_f32_e32 v39, v48, v39
	v_add_f32_e32 v38, v38, v39
	v_add_f32_e32 v39, v65, v38
	v_mul_f32_e32 v48, v80, v39
	v_mul_f32_e32 v64, v71, v48
	v_fma_f32 v66, v48, v71, -v64
	v_fmac_f32_e32 v66, v48, v37
	v_sub_f32_e32 v37, v65, v39
	v_add_f32_e32 v37, v38, v37
	v_add_f32_e32 v38, v64, v66
	v_sub_f32_e32 v65, v39, v38
	v_pk_add_f32 v[68:69], v[38:39], v[64:65] neg_lo:[0,1] neg_hi:[0,1]
	v_mov_b32_e32 v67, v38
	v_pk_add_f32 v[38:39], v[68:69], v[66:67] neg_lo:[0,1] neg_hi:[0,1]
	v_cvt_f32_i32_e32 v64, v70
	v_add_f32_e32 v37, v37, v39
	v_add_f32_e32 v37, v38, v37
	;; [unrolled: 1-line block ×4, first 2 shown]
	v_sub_f32_e32 v39, v38, v81
	v_mul_f32_e32 v37, v80, v37
	v_sub_f32_e32 v39, v48, v39
	v_add_f32_e32 v37, v39, v37
	v_add_f32_e32 v48, v38, v37
	v_mul_f32_e32 v65, v48, v48
	v_mov_b32_e32 v39, 0x3ecc95a3
	v_fmac_f32_e32 v39, 0x3e9b6dac, v65
	v_sub_f32_e32 v38, v48, v38
	v_fmaak_f32 v39, v65, v39, 0x3f2aaada
	v_sub_f32_e32 v37, v37, v38
	v_mul_f32_e32 v65, v48, v65
	v_mov_b32_e32 v38, 0x3f317218
	v_pk_mul_f32 v[38:39], v[64:65], v[38:39]
	v_ldexp_f32 v67, v48, 1
	v_fma_f32 v48, v64, s38, -v38
	v_fmamk_f32 v66, v64, 0xb102e308, v48
	v_pk_add_f32 v[64:65], v[38:39], v[66:67]
	v_ldexp_f32 v37, v37, 1
	v_sub_f32_e32 v48, v65, v67
	v_sub_f32_e32 v48, v39, v48
	v_add_f32_e32 v69, v37, v48
	v_mov_b32_e32 v68, v38
	v_pk_add_f32 v[38:39], v[64:65], v[38:39] neg_lo:[0,1] neg_hi:[0,1]
	v_pk_add_f32 v[70:71], v[64:65], v[68:69]
	v_mov_b32_e32 v67, v64
	v_mov_b32_e32 v39, v71
	v_pk_add_f32 v[80:81], v[66:67], v[38:39] neg_lo:[0,1] neg_hi:[0,1]
	v_pk_add_f32 v[38:39], v[66:67], v[38:39]
	v_cmp_eq_f32_e64 s[38:39], s43, v55
	v_mov_b32_e32 v48, v39
	v_pk_add_f32 v[66:67], v[48:49], v[64:65] neg_lo:[0,1] neg_hi:[0,1]
	v_mov_b32_e32 v38, v71
	v_mov_b32_e32 v37, v66
	v_pk_add_f32 v[82:83], v[70:71], v[36:37] neg_lo:[0,1] neg_hi:[0,1]
	v_mov_b32_e32 v70, v65
	v_mov_b32_e32 v71, v66
	;; [unrolled: 1-line block ×3, first 2 shown]
	v_pk_add_f32 v[38:39], v[38:39], v[70:71] neg_lo:[0,1] neg_hi:[0,1]
	v_mov_b32_e32 v66, v69
	v_mov_b32_e32 v67, v64
	v_pk_add_f32 v[38:39], v[66:67], v[38:39] neg_lo:[0,1] neg_hi:[0,1]
	v_mov_b32_e32 v82, v80
	v_pk_add_f32 v[64:65], v[82:83], v[38:39]
	s_mov_b32 s43, 0x33800000
	v_mov_b32_e32 v66, v65
	v_pk_add_f32 v[66:67], v[64:65], v[66:67]
	v_cmp_lt_f32_e64 s[44:45], |v55|, s43
	v_pk_add_f32 v[68:69], v[48:49], v[66:67]
	v_mov_b32_e32 v39, v66
	v_mov_b32_e32 v65, v68
	v_pk_add_f32 v[70:71], v[64:65], v[80:81] neg_lo:[0,1] neg_hi:[0,1]
	s_or_b64 s[38:39], s[38:39], s[44:45]
	v_sub_f32_e32 v37, v64, v70
	v_pk_add_f32 v[38:39], v[38:39], v[70:71] neg_lo:[0,1] neg_hi:[0,1]
	v_sub_f32_e32 v37, v80, v37
	v_add_f32_e32 v37, v38, v37
	v_add_f32_e32 v37, v37, v39
	;; [unrolled: 1-line block ×3, first 2 shown]
	v_cndmask_b32_e64 v37, v37, v55, s[38:39]
	v_add_f32_e32 v16, v16, v37
	v_cvt_f16_f32_e32 v37, v16
	v_cvt_f32_f16_e32 v38, v37
.LBB388_308:
	s_or_b64 exec, exec, s[40:41]
	v_cvt_f32_f16_e32 v16, v17
	v_max_f32_e32 v39, v38, v38
	v_cmp_u_f16_e64 s[40:41], v37, v37
	v_cmp_u_f16_e64 s[38:39], v17, v17
	v_min_f32_e32 v48, v39, v16
	v_max_f32_e32 v39, v39, v16
	v_cndmask_b32_e64 v48, v48, v38, s[40:41]
	v_cndmask_b32_e64 v39, v39, v38, s[40:41]
	;; [unrolled: 1-line block ×4, first 2 shown]
	v_cmp_neq_f32_e64 s[40:41], v48, v39
	v_cmp_class_f32_e64 s[42:43], v48, s42
	s_or_b64 s[40:41], s[40:41], s[42:43]
	s_and_saveexec_b64 s[42:43], s[40:41]
	s_cbranch_execz .LBB388_310
; %bb.309:
	v_sub_f32_e32 v37, v48, v39
	s_mov_b32 s40, 0x3fb8aa3b
	v_mul_f32_e32 v38, 0x3fb8aa3b, v37
	v_fma_f32 v48, v37, s40, -v38
	v_rndne_f32_e32 v55, v38
	v_fmamk_f32 v48, v37, 0x32a5705f, v48
	v_sub_f32_e32 v38, v38, v55
	v_add_f32_e32 v38, v38, v48
	v_exp_f32_e32 v38, v38
	v_cvt_i32_f32_e32 v48, v55
	s_mov_b32 s40, 0xc2ce8ed0
	v_cmp_ngt_f32_e64 s[40:41], s40, v37
	s_mov_b32 s44, 0x7f800000
	v_ldexp_f32 v38, v38, v48
	v_cndmask_b32_e64 v38, 0, v38, s[40:41]
	s_mov_b32 s40, 0x42b17218
	v_mov_b32_e32 v48, 0x7f800000
	v_cmp_nlt_f32_e64 s[40:41], s40, v37
	s_nop 1
	v_cndmask_b32_e64 v55, v48, v38, s[40:41]
	v_add_f32_e32 v37, 1.0, v55
	v_add_f32_e32 v38, -1.0, v37
	v_sub_f32_e32 v48, v38, v37
	v_add_f32_e32 v48, 1.0, v48
	v_sub_f32_e32 v38, v55, v38
	v_add_f32_e32 v38, v38, v48
	v_frexp_mant_f32_e32 v48, v37
	s_mov_b32 s40, 0x3f2aaaab
	v_cvt_f64_f32_e32 v[64:65], v37
	v_frexp_exp_i32_f64_e32 v64, v[64:65]
	v_cmp_gt_f32_e64 s[40:41], s40, v48
	s_nop 1
	v_subbrev_co_u32_e64 v48, s[40:41], 0, v64, s[40:41]
	v_sub_u32_e32 v64, 0, v48
	v_ldexp_f32 v37, v37, v64
	v_ldexp_f32 v38, v38, v64
	v_add_f32_e32 v64, -1.0, v37
	v_add_f32_e32 v65, 1.0, v64
	v_sub_f32_e32 v65, v37, v65
	v_add_f32_e32 v66, v38, v65
	v_add_f32_e32 v65, 1.0, v37
	v_add_f32_e32 v67, -1.0, v65
	v_sub_f32_e32 v37, v37, v67
	v_add_f32_e32 v37, v38, v37
	v_add_f32_e32 v38, v65, v37
	v_rcp_f32_e32 v80, v38
	v_sub_f32_e32 v65, v65, v38
	v_add_f32_e32 v37, v37, v65
	v_add_f32_e32 v65, v64, v66
	v_sub_f32_e32 v64, v64, v65
	v_mul_f32_e32 v82, v65, v80
	v_add_f32_e32 v81, v66, v64
	v_mul_f32_e32 v66, v38, v82
	v_fma_f32 v68, v82, v38, -v66
	v_fmac_f32_e32 v68, v82, v37
	v_add_f32_e32 v64, v66, v68
	v_sub_f32_e32 v67, v65, v64
	v_pk_add_f32 v[70:71], v[64:65], v[66:67] neg_lo:[0,1] neg_hi:[0,1]
	v_mov_b32_e32 v69, v64
	v_pk_add_f32 v[64:65], v[70:71], v[68:69] neg_lo:[0,1] neg_hi:[0,1]
	s_mov_b32 s40, 0x3f317218
	v_add_f32_e32 v65, v81, v65
	v_add_f32_e32 v64, v64, v65
	;; [unrolled: 1-line block ×3, first 2 shown]
	v_mul_f32_e32 v81, v80, v65
	v_mul_f32_e32 v66, v38, v81
	v_fma_f32 v68, v81, v38, -v66
	v_fmac_f32_e32 v68, v81, v37
	v_sub_f32_e32 v37, v67, v65
	v_add_f32_e32 v37, v64, v37
	v_add_f32_e32 v64, v66, v68
	v_sub_f32_e32 v67, v65, v64
	v_pk_add_f32 v[70:71], v[64:65], v[66:67] neg_lo:[0,1] neg_hi:[0,1]
	v_mov_b32_e32 v69, v64
	v_pk_add_f32 v[64:65], v[70:71], v[68:69] neg_lo:[0,1] neg_hi:[0,1]
	v_add_f32_e32 v38, v82, v81
	v_add_f32_e32 v37, v37, v65
	;; [unrolled: 1-line block ×4, first 2 shown]
	v_sub_f32_e32 v64, v38, v82
	v_mul_f32_e32 v37, v80, v37
	v_sub_f32_e32 v64, v81, v64
	v_add_f32_e32 v37, v64, v37
	v_add_f32_e32 v64, v38, v37
	v_cvt_f32_i32_e32 v66, v48
	v_mul_f32_e32 v67, v64, v64
	v_mov_b32_e32 v65, 0x3ecc95a3
	v_fmac_f32_e32 v65, 0x3e9b6dac, v67
	v_fmaak_f32 v65, v67, v65, 0x3f2aaada
	v_sub_f32_e32 v38, v64, v38
	v_ldexp_f32 v69, v64, 1
	v_mul_f32_e32 v67, v64, v67
	v_mov_b32_e32 v64, 0x3f317218
	v_pk_mul_f32 v[64:65], v[66:67], v[64:65]
	v_sub_f32_e32 v37, v37, v38
	v_fma_f32 v38, v66, s40, -v64
	v_fmamk_f32 v68, v66, 0xb102e308, v38
	v_pk_add_f32 v[66:67], v[64:65], v[68:69]
	v_ldexp_f32 v37, v37, 1
	v_sub_f32_e32 v38, v67, v69
	v_sub_f32_e32 v38, v65, v38
	v_add_f32_e32 v71, v37, v38
	v_mov_b32_e32 v70, v64
	v_pk_add_f32 v[64:65], v[66:67], v[64:65] neg_lo:[0,1] neg_hi:[0,1]
	v_pk_add_f32 v[80:81], v[66:67], v[70:71]
	v_mov_b32_e32 v69, v66
	v_mov_b32_e32 v65, v81
	v_pk_add_f32 v[82:83], v[68:69], v[64:65] neg_lo:[0,1] neg_hi:[0,1]
	v_pk_add_f32 v[64:65], v[68:69], v[64:65]
	v_cmp_eq_f32_e64 s[40:41], s44, v55
	v_mov_b32_e32 v38, v65
	v_pk_add_f32 v[68:69], v[38:39], v[66:67] neg_lo:[0,1] neg_hi:[0,1]
	v_mov_b32_e32 v64, v81
	v_mov_b32_e32 v37, v68
	v_pk_add_f32 v[84:85], v[80:81], v[36:37] neg_lo:[0,1] neg_hi:[0,1]
	v_mov_b32_e32 v80, v67
	v_mov_b32_e32 v81, v68
	;; [unrolled: 1-line block ×3, first 2 shown]
	v_pk_add_f32 v[64:65], v[64:65], v[80:81] neg_lo:[0,1] neg_hi:[0,1]
	v_mov_b32_e32 v68, v71
	v_mov_b32_e32 v69, v66
	v_pk_add_f32 v[64:65], v[68:69], v[64:65] neg_lo:[0,1] neg_hi:[0,1]
	v_mov_b32_e32 v84, v82
	v_pk_add_f32 v[66:67], v[84:85], v[64:65]
	s_mov_b32 s44, 0x33800000
	v_mov_b32_e32 v48, v67
	v_pk_add_f32 v[68:69], v[66:67], v[48:49]
	v_cmp_lt_f32_e64 s[44:45], |v55|, s44
	v_pk_add_f32 v[70:71], v[38:39], v[68:69]
	v_mov_b32_e32 v65, v68
	v_mov_b32_e32 v67, v70
	v_pk_add_f32 v[80:81], v[66:67], v[82:83] neg_lo:[0,1] neg_hi:[0,1]
	s_or_b64 s[40:41], s[40:41], s[44:45]
	v_sub_f32_e32 v37, v66, v80
	v_pk_add_f32 v[64:65], v[64:65], v[80:81] neg_lo:[0,1] neg_hi:[0,1]
	v_sub_f32_e32 v37, v82, v37
	v_add_f32_e32 v37, v64, v37
	v_add_f32_e32 v37, v37, v65
	;; [unrolled: 1-line block ×3, first 2 shown]
	v_cndmask_b32_e64 v37, v37, v55, s[40:41]
	v_add_f32_e32 v37, v39, v37
	v_cvt_f16_f32_e32 v37, v37
	v_cvt_f32_f16_e32 v38, v37
.LBB388_310:
	s_or_b64 exec, exec, s[42:43]
	v_cvt_f32_f16_sdwa v55, v17 dst_sel:DWORD dst_unused:UNUSED_PAD src0_sel:WORD_1
	v_max_f32_e32 v48, v38, v38
	v_cmp_u_f16_e64 s[42:43], v37, v37
	v_cmp_u_f16_sdwa s[40:41], v17, v17 src0_sel:WORD_1 src1_sel:WORD_1
	v_min_f32_e32 v39, v48, v55
	v_max_f32_e32 v17, v48, v55
	v_cndmask_b32_e64 v39, v39, v38, s[42:43]
	v_cndmask_b32_e64 v17, v17, v38, s[42:43]
	;; [unrolled: 1-line block ×4, first 2 shown]
	s_movk_i32 s46, 0x1f8
	v_cmp_neq_f32_e64 s[42:43], v39, v17
	v_cmp_class_f32_e64 s[44:45], v39, s46
	s_or_b64 s[42:43], s[42:43], s[44:45]
	s_and_saveexec_b64 s[44:45], s[42:43]
	s_cbranch_execz .LBB388_312
; %bb.311:
	v_sub_f32_e32 v37, v39, v17
	s_mov_b32 s42, 0x3fb8aa3b
	v_mul_f32_e32 v38, 0x3fb8aa3b, v37
	v_fma_f32 v39, v37, s42, -v38
	v_rndne_f32_e32 v48, v38
	v_fmamk_f32 v39, v37, 0x32a5705f, v39
	v_sub_f32_e32 v38, v38, v48
	v_add_f32_e32 v38, v38, v39
	v_exp_f32_e32 v38, v38
	v_cvt_i32_f32_e32 v39, v48
	s_mov_b32 s42, 0xc2ce8ed0
	v_cmp_ngt_f32_e64 s[42:43], s42, v37
	s_mov_b32 s47, 0x7f800000
	v_ldexp_f32 v38, v38, v39
	v_cndmask_b32_e64 v38, 0, v38, s[42:43]
	s_mov_b32 s42, 0x42b17218
	v_mov_b32_e32 v39, 0x7f800000
	v_cmp_nlt_f32_e64 s[42:43], s42, v37
	s_nop 1
	v_cndmask_b32_e64 v84, v39, v38, s[42:43]
	v_add_f32_e32 v37, 1.0, v84
	v_add_f32_e32 v38, -1.0, v37
	v_sub_f32_e32 v39, v38, v37
	v_add_f32_e32 v39, 1.0, v39
	v_sub_f32_e32 v38, v84, v38
	v_add_f32_e32 v48, v38, v39
	v_frexp_mant_f32_e32 v64, v37
	s_mov_b32 s42, 0x3f2aaaab
	v_cvt_f64_f32_e32 v[38:39], v37
	v_frexp_exp_i32_f64_e32 v38, v[38:39]
	v_cmp_gt_f32_e64 s[42:43], s42, v64
	s_nop 1
	v_subbrev_co_u32_e64 v70, s[42:43], 0, v38, s[42:43]
	v_sub_u32_e32 v38, 0, v70
	v_ldexp_f32 v37, v37, v38
	v_ldexp_f32 v38, v48, v38
	v_add_f32_e32 v48, -1.0, v37
	v_add_f32_e32 v39, 1.0, v48
	v_sub_f32_e32 v39, v37, v39
	v_add_f32_e32 v64, v38, v39
	v_add_f32_e32 v39, 1.0, v37
	v_add_f32_e32 v65, -1.0, v39
	v_sub_f32_e32 v37, v37, v65
	v_add_f32_e32 v37, v38, v37
	v_add_f32_e32 v71, v39, v37
	v_rcp_f32_e32 v80, v71
	v_sub_f32_e32 v38, v39, v71
	v_add_f32_e32 v39, v48, v64
	v_add_f32_e32 v37, v37, v38
	v_sub_f32_e32 v38, v48, v39
	v_mul_f32_e32 v81, v39, v80
	v_add_f32_e32 v48, v64, v38
	v_mul_f32_e32 v64, v71, v81
	v_fma_f32 v66, v81, v71, -v64
	v_fmac_f32_e32 v66, v81, v37
	v_add_f32_e32 v38, v64, v66
	v_sub_f32_e32 v65, v39, v38
	v_pk_add_f32 v[68:69], v[38:39], v[64:65] neg_lo:[0,1] neg_hi:[0,1]
	v_mov_b32_e32 v67, v38
	v_pk_add_f32 v[38:39], v[68:69], v[66:67] neg_lo:[0,1] neg_hi:[0,1]
	s_mov_b32 s42, 0x3f317218
	v_add_f32_e32 v39, v48, v39
	v_add_f32_e32 v38, v38, v39
	;; [unrolled: 1-line block ×3, first 2 shown]
	v_mul_f32_e32 v48, v80, v39
	v_mul_f32_e32 v64, v71, v48
	v_fma_f32 v66, v48, v71, -v64
	v_fmac_f32_e32 v66, v48, v37
	v_sub_f32_e32 v37, v65, v39
	v_add_f32_e32 v37, v38, v37
	v_add_f32_e32 v38, v64, v66
	v_sub_f32_e32 v65, v39, v38
	v_pk_add_f32 v[68:69], v[38:39], v[64:65] neg_lo:[0,1] neg_hi:[0,1]
	v_mov_b32_e32 v67, v38
	v_pk_add_f32 v[38:39], v[68:69], v[66:67] neg_lo:[0,1] neg_hi:[0,1]
	v_cvt_f32_i32_e32 v64, v70
	v_add_f32_e32 v37, v37, v39
	v_add_f32_e32 v37, v38, v37
	;; [unrolled: 1-line block ×4, first 2 shown]
	v_sub_f32_e32 v39, v38, v81
	v_mul_f32_e32 v37, v80, v37
	v_sub_f32_e32 v39, v48, v39
	v_add_f32_e32 v37, v39, v37
	v_add_f32_e32 v48, v38, v37
	v_mul_f32_e32 v65, v48, v48
	v_mov_b32_e32 v39, 0x3ecc95a3
	v_fmac_f32_e32 v39, 0x3e9b6dac, v65
	v_sub_f32_e32 v38, v48, v38
	v_fmaak_f32 v39, v65, v39, 0x3f2aaada
	v_sub_f32_e32 v37, v37, v38
	v_mul_f32_e32 v65, v48, v65
	v_mov_b32_e32 v38, 0x3f317218
	v_pk_mul_f32 v[38:39], v[64:65], v[38:39]
	v_ldexp_f32 v67, v48, 1
	v_fma_f32 v48, v64, s42, -v38
	v_fmamk_f32 v66, v64, 0xb102e308, v48
	v_pk_add_f32 v[64:65], v[38:39], v[66:67]
	v_ldexp_f32 v37, v37, 1
	v_sub_f32_e32 v48, v65, v67
	v_sub_f32_e32 v48, v39, v48
	v_add_f32_e32 v69, v37, v48
	v_mov_b32_e32 v68, v38
	v_pk_add_f32 v[38:39], v[64:65], v[38:39] neg_lo:[0,1] neg_hi:[0,1]
	v_pk_add_f32 v[70:71], v[64:65], v[68:69]
	v_mov_b32_e32 v67, v64
	v_mov_b32_e32 v39, v71
	v_pk_add_f32 v[80:81], v[66:67], v[38:39] neg_lo:[0,1] neg_hi:[0,1]
	v_pk_add_f32 v[38:39], v[66:67], v[38:39]
	v_cmp_eq_f32_e64 s[42:43], s47, v84
	v_mov_b32_e32 v48, v39
	v_pk_add_f32 v[66:67], v[48:49], v[64:65] neg_lo:[0,1] neg_hi:[0,1]
	v_mov_b32_e32 v38, v71
	v_mov_b32_e32 v37, v66
	v_pk_add_f32 v[82:83], v[70:71], v[36:37] neg_lo:[0,1] neg_hi:[0,1]
	v_mov_b32_e32 v70, v65
	v_mov_b32_e32 v71, v66
	;; [unrolled: 1-line block ×3, first 2 shown]
	v_pk_add_f32 v[38:39], v[38:39], v[70:71] neg_lo:[0,1] neg_hi:[0,1]
	v_mov_b32_e32 v66, v69
	v_mov_b32_e32 v67, v64
	v_pk_add_f32 v[38:39], v[66:67], v[38:39] neg_lo:[0,1] neg_hi:[0,1]
	v_mov_b32_e32 v82, v80
	v_pk_add_f32 v[64:65], v[82:83], v[38:39]
	s_mov_b32 s47, 0x33800000
	v_mov_b32_e32 v66, v65
	v_pk_add_f32 v[66:67], v[64:65], v[66:67]
	v_cmp_lt_f32_e64 s[48:49], |v84|, s47
	v_pk_add_f32 v[68:69], v[48:49], v[66:67]
	v_mov_b32_e32 v39, v66
	v_mov_b32_e32 v65, v68
	v_pk_add_f32 v[70:71], v[64:65], v[80:81] neg_lo:[0,1] neg_hi:[0,1]
	s_or_b64 s[42:43], s[42:43], s[48:49]
	v_sub_f32_e32 v37, v64, v70
	v_pk_add_f32 v[38:39], v[38:39], v[70:71] neg_lo:[0,1] neg_hi:[0,1]
	v_sub_f32_e32 v37, v80, v37
	v_add_f32_e32 v37, v38, v37
	v_add_f32_e32 v37, v37, v39
	;; [unrolled: 1-line block ×3, first 2 shown]
	v_cndmask_b32_e64 v37, v37, v84, s[42:43]
	v_add_f32_e32 v17, v17, v37
	v_cvt_f16_f32_e32 v37, v17
	v_cvt_f32_f16_e32 v38, v37
.LBB388_312:
	s_or_b64 exec, exec, s[44:45]
	v_cvt_f32_f16_e32 v17, v18
	v_max_f32_e32 v39, v38, v38
	v_cmp_u_f16_e64 s[44:45], v37, v37
	v_cmp_u_f16_e64 s[42:43], v18, v18
	v_min_f32_e32 v48, v39, v17
	v_max_f32_e32 v39, v39, v17
	v_cndmask_b32_e64 v48, v48, v38, s[44:45]
	v_cndmask_b32_e64 v39, v39, v38, s[44:45]
	;; [unrolled: 1-line block ×4, first 2 shown]
	v_cmp_neq_f32_e64 s[44:45], v48, v39
	v_cmp_class_f32_e64 s[46:47], v48, s46
	s_or_b64 s[44:45], s[44:45], s[46:47]
	s_and_saveexec_b64 s[46:47], s[44:45]
	s_cbranch_execz .LBB388_314
; %bb.313:
	v_sub_f32_e32 v37, v48, v39
	s_mov_b32 s44, 0x3fb8aa3b
	v_mul_f32_e32 v38, 0x3fb8aa3b, v37
	v_fma_f32 v48, v37, s44, -v38
	v_rndne_f32_e32 v64, v38
	v_fmamk_f32 v48, v37, 0x32a5705f, v48
	v_sub_f32_e32 v38, v38, v64
	v_add_f32_e32 v38, v38, v48
	v_exp_f32_e32 v38, v38
	v_cvt_i32_f32_e32 v48, v64
	s_mov_b32 s44, 0xc2ce8ed0
	v_cmp_ngt_f32_e64 s[44:45], s44, v37
	s_mov_b32 s48, 0x7f800000
	v_ldexp_f32 v38, v38, v48
	v_cndmask_b32_e64 v38, 0, v38, s[44:45]
	s_mov_b32 s44, 0x42b17218
	v_mov_b32_e32 v48, 0x7f800000
	v_cmp_nlt_f32_e64 s[44:45], s44, v37
	s_nop 1
	v_cndmask_b32_e64 v86, v48, v38, s[44:45]
	v_add_f32_e32 v37, 1.0, v86
	v_add_f32_e32 v38, -1.0, v37
	v_sub_f32_e32 v48, v38, v37
	v_add_f32_e32 v48, 1.0, v48
	v_sub_f32_e32 v38, v86, v38
	v_add_f32_e32 v38, v38, v48
	v_frexp_mant_f32_e32 v48, v37
	s_mov_b32 s44, 0x3f2aaaab
	v_cvt_f64_f32_e32 v[64:65], v37
	v_frexp_exp_i32_f64_e32 v64, v[64:65]
	v_cmp_gt_f32_e64 s[44:45], s44, v48
	s_nop 1
	v_subbrev_co_u32_e64 v48, s[44:45], 0, v64, s[44:45]
	v_sub_u32_e32 v64, 0, v48
	v_ldexp_f32 v37, v37, v64
	v_ldexp_f32 v38, v38, v64
	v_add_f32_e32 v64, -1.0, v37
	v_add_f32_e32 v65, 1.0, v64
	v_sub_f32_e32 v65, v37, v65
	v_add_f32_e32 v66, v38, v65
	v_add_f32_e32 v65, 1.0, v37
	v_add_f32_e32 v67, -1.0, v65
	v_sub_f32_e32 v37, v37, v67
	v_add_f32_e32 v37, v38, v37
	v_add_f32_e32 v38, v65, v37
	v_rcp_f32_e32 v80, v38
	v_sub_f32_e32 v65, v65, v38
	v_add_f32_e32 v37, v37, v65
	v_add_f32_e32 v65, v64, v66
	v_sub_f32_e32 v64, v64, v65
	v_mul_f32_e32 v82, v65, v80
	v_add_f32_e32 v81, v66, v64
	v_mul_f32_e32 v66, v38, v82
	v_fma_f32 v68, v82, v38, -v66
	v_fmac_f32_e32 v68, v82, v37
	v_add_f32_e32 v64, v66, v68
	v_sub_f32_e32 v67, v65, v64
	v_pk_add_f32 v[70:71], v[64:65], v[66:67] neg_lo:[0,1] neg_hi:[0,1]
	v_mov_b32_e32 v69, v64
	v_pk_add_f32 v[64:65], v[70:71], v[68:69] neg_lo:[0,1] neg_hi:[0,1]
	s_mov_b32 s44, 0x3f317218
	v_add_f32_e32 v65, v81, v65
	v_add_f32_e32 v64, v64, v65
	;; [unrolled: 1-line block ×3, first 2 shown]
	v_mul_f32_e32 v81, v80, v65
	v_mul_f32_e32 v66, v38, v81
	v_fma_f32 v68, v81, v38, -v66
	v_fmac_f32_e32 v68, v81, v37
	v_sub_f32_e32 v37, v67, v65
	v_add_f32_e32 v37, v64, v37
	v_add_f32_e32 v64, v66, v68
	v_sub_f32_e32 v67, v65, v64
	v_pk_add_f32 v[70:71], v[64:65], v[66:67] neg_lo:[0,1] neg_hi:[0,1]
	v_mov_b32_e32 v69, v64
	v_pk_add_f32 v[64:65], v[70:71], v[68:69] neg_lo:[0,1] neg_hi:[0,1]
	v_add_f32_e32 v38, v82, v81
	v_add_f32_e32 v37, v37, v65
	;; [unrolled: 1-line block ×4, first 2 shown]
	v_sub_f32_e32 v64, v38, v82
	v_mul_f32_e32 v37, v80, v37
	v_sub_f32_e32 v64, v81, v64
	v_add_f32_e32 v37, v64, v37
	v_add_f32_e32 v64, v38, v37
	v_cvt_f32_i32_e32 v66, v48
	v_mul_f32_e32 v67, v64, v64
	v_mov_b32_e32 v65, 0x3ecc95a3
	v_fmac_f32_e32 v65, 0x3e9b6dac, v67
	v_fmaak_f32 v65, v67, v65, 0x3f2aaada
	v_sub_f32_e32 v38, v64, v38
	v_ldexp_f32 v69, v64, 1
	v_mul_f32_e32 v67, v64, v67
	v_mov_b32_e32 v64, 0x3f317218
	v_pk_mul_f32 v[64:65], v[66:67], v[64:65]
	v_sub_f32_e32 v37, v37, v38
	v_fma_f32 v38, v66, s44, -v64
	v_fmamk_f32 v68, v66, 0xb102e308, v38
	v_pk_add_f32 v[66:67], v[64:65], v[68:69]
	v_ldexp_f32 v37, v37, 1
	v_sub_f32_e32 v38, v67, v69
	v_sub_f32_e32 v38, v65, v38
	v_add_f32_e32 v71, v37, v38
	v_mov_b32_e32 v70, v64
	v_pk_add_f32 v[64:65], v[66:67], v[64:65] neg_lo:[0,1] neg_hi:[0,1]
	v_pk_add_f32 v[80:81], v[66:67], v[70:71]
	v_mov_b32_e32 v69, v66
	v_mov_b32_e32 v65, v81
	v_pk_add_f32 v[82:83], v[68:69], v[64:65] neg_lo:[0,1] neg_hi:[0,1]
	v_pk_add_f32 v[64:65], v[68:69], v[64:65]
	v_cmp_eq_f32_e64 s[44:45], s48, v86
	v_mov_b32_e32 v38, v65
	v_pk_add_f32 v[68:69], v[38:39], v[66:67] neg_lo:[0,1] neg_hi:[0,1]
	v_mov_b32_e32 v64, v81
	v_mov_b32_e32 v37, v68
	v_pk_add_f32 v[84:85], v[80:81], v[36:37] neg_lo:[0,1] neg_hi:[0,1]
	v_mov_b32_e32 v80, v67
	v_mov_b32_e32 v81, v68
	;; [unrolled: 1-line block ×3, first 2 shown]
	v_pk_add_f32 v[64:65], v[64:65], v[80:81] neg_lo:[0,1] neg_hi:[0,1]
	v_mov_b32_e32 v68, v71
	v_mov_b32_e32 v69, v66
	v_pk_add_f32 v[64:65], v[68:69], v[64:65] neg_lo:[0,1] neg_hi:[0,1]
	v_mov_b32_e32 v84, v82
	v_pk_add_f32 v[66:67], v[84:85], v[64:65]
	s_mov_b32 s48, 0x33800000
	v_mov_b32_e32 v48, v67
	v_pk_add_f32 v[68:69], v[66:67], v[48:49]
	v_cmp_lt_f32_e64 s[48:49], |v86|, s48
	v_pk_add_f32 v[70:71], v[38:39], v[68:69]
	v_mov_b32_e32 v65, v68
	v_mov_b32_e32 v67, v70
	v_pk_add_f32 v[80:81], v[66:67], v[82:83] neg_lo:[0,1] neg_hi:[0,1]
	s_or_b64 s[44:45], s[44:45], s[48:49]
	v_sub_f32_e32 v37, v66, v80
	v_pk_add_f32 v[64:65], v[64:65], v[80:81] neg_lo:[0,1] neg_hi:[0,1]
	v_sub_f32_e32 v37, v82, v37
	v_add_f32_e32 v37, v64, v37
	v_add_f32_e32 v37, v37, v65
	;; [unrolled: 1-line block ×3, first 2 shown]
	v_cndmask_b32_e64 v37, v37, v86, s[44:45]
	v_add_f32_e32 v37, v39, v37
	v_cvt_f16_f32_e32 v37, v37
	v_cvt_f32_f16_e32 v38, v37
.LBB388_314:
	s_or_b64 exec, exec, s[46:47]
	v_cvt_f32_f16_sdwa v64, v18 dst_sel:DWORD dst_unused:UNUSED_PAD src0_sel:WORD_1
	v_max_f32_e32 v48, v38, v38
	v_cmp_u_f16_e64 s[46:47], v37, v37
	v_cmp_u_f16_sdwa s[44:45], v18, v18 src0_sel:WORD_1 src1_sel:WORD_1
	v_min_f32_e32 v39, v48, v64
	v_max_f32_e32 v18, v48, v64
	v_cndmask_b32_e64 v39, v39, v38, s[46:47]
	v_cndmask_b32_e64 v18, v18, v38, s[46:47]
	;; [unrolled: 1-line block ×4, first 2 shown]
	s_movk_i32 s52, 0x1f8
	v_cmp_neq_f32_e64 s[46:47], v39, v18
	v_cmp_class_f32_e64 s[48:49], v39, s52
	s_or_b64 s[46:47], s[46:47], s[48:49]
	s_and_saveexec_b64 s[48:49], s[46:47]
	s_cbranch_execz .LBB388_316
; %bb.315:
	v_sub_f32_e32 v37, v39, v18
	s_mov_b32 s46, 0x3fb8aa3b
	v_mul_f32_e32 v38, 0x3fb8aa3b, v37
	v_fma_f32 v39, v37, s46, -v38
	v_rndne_f32_e32 v48, v38
	v_fmamk_f32 v39, v37, 0x32a5705f, v39
	v_sub_f32_e32 v38, v38, v48
	v_add_f32_e32 v38, v38, v39
	v_exp_f32_e32 v38, v38
	v_cvt_i32_f32_e32 v39, v48
	s_mov_b32 s46, 0xc2ce8ed0
	v_cmp_ngt_f32_e64 s[46:47], s46, v37
	s_mov_b32 s53, 0x7f800000
	v_ldexp_f32 v38, v38, v39
	v_cndmask_b32_e64 v38, 0, v38, s[46:47]
	s_mov_b32 s46, 0x42b17218
	v_mov_b32_e32 v39, 0x7f800000
	v_cmp_nlt_f32_e64 s[46:47], s46, v37
	s_nop 1
	v_cndmask_b32_e64 v65, v39, v38, s[46:47]
	v_add_f32_e32 v37, 1.0, v65
	v_add_f32_e32 v38, -1.0, v37
	v_sub_f32_e32 v39, v38, v37
	v_add_f32_e32 v39, 1.0, v39
	v_sub_f32_e32 v38, v65, v38
	v_add_f32_e32 v48, v38, v39
	v_frexp_mant_f32_e32 v66, v37
	s_mov_b32 s46, 0x3f2aaaab
	v_cvt_f64_f32_e32 v[38:39], v37
	v_frexp_exp_i32_f64_e32 v38, v[38:39]
	v_cmp_gt_f32_e64 s[46:47], s46, v66
	s_nop 1
	v_subbrev_co_u32_e64 v80, s[46:47], 0, v38, s[46:47]
	v_sub_u32_e32 v38, 0, v80
	v_ldexp_f32 v37, v37, v38
	v_ldexp_f32 v38, v48, v38
	v_add_f32_e32 v48, -1.0, v37
	v_add_f32_e32 v39, 1.0, v48
	v_sub_f32_e32 v39, v37, v39
	v_add_f32_e32 v66, v38, v39
	v_add_f32_e32 v39, 1.0, v37
	v_add_f32_e32 v67, -1.0, v39
	v_sub_f32_e32 v37, v37, v67
	v_add_f32_e32 v37, v38, v37
	v_add_f32_e32 v81, v39, v37
	v_rcp_f32_e32 v82, v81
	v_sub_f32_e32 v38, v39, v81
	v_add_f32_e32 v39, v48, v66
	v_add_f32_e32 v37, v37, v38
	v_sub_f32_e32 v38, v48, v39
	v_mul_f32_e32 v83, v39, v82
	v_add_f32_e32 v48, v66, v38
	v_mul_f32_e32 v66, v81, v83
	v_fma_f32 v68, v83, v81, -v66
	v_fmac_f32_e32 v68, v83, v37
	v_add_f32_e32 v38, v66, v68
	v_sub_f32_e32 v67, v39, v38
	v_pk_add_f32 v[70:71], v[38:39], v[66:67] neg_lo:[0,1] neg_hi:[0,1]
	v_mov_b32_e32 v69, v38
	v_pk_add_f32 v[38:39], v[70:71], v[68:69] neg_lo:[0,1] neg_hi:[0,1]
	s_mov_b32 s46, 0x3f317218
	v_add_f32_e32 v39, v48, v39
	v_add_f32_e32 v38, v38, v39
	;; [unrolled: 1-line block ×3, first 2 shown]
	v_mul_f32_e32 v48, v82, v39
	v_mul_f32_e32 v66, v81, v48
	v_fma_f32 v68, v48, v81, -v66
	v_fmac_f32_e32 v68, v48, v37
	v_sub_f32_e32 v37, v67, v39
	v_add_f32_e32 v37, v38, v37
	v_add_f32_e32 v38, v66, v68
	v_sub_f32_e32 v67, v39, v38
	v_pk_add_f32 v[70:71], v[38:39], v[66:67] neg_lo:[0,1] neg_hi:[0,1]
	v_mov_b32_e32 v69, v38
	v_pk_add_f32 v[38:39], v[70:71], v[68:69] neg_lo:[0,1] neg_hi:[0,1]
	v_cvt_f32_i32_e32 v66, v80
	v_add_f32_e32 v37, v37, v39
	v_add_f32_e32 v37, v38, v37
	;; [unrolled: 1-line block ×4, first 2 shown]
	v_sub_f32_e32 v39, v38, v83
	v_mul_f32_e32 v37, v82, v37
	v_sub_f32_e32 v39, v48, v39
	v_add_f32_e32 v37, v39, v37
	v_add_f32_e32 v48, v38, v37
	v_mul_f32_e32 v67, v48, v48
	v_mov_b32_e32 v39, 0x3ecc95a3
	v_fmac_f32_e32 v39, 0x3e9b6dac, v67
	v_sub_f32_e32 v38, v48, v38
	v_fmaak_f32 v39, v67, v39, 0x3f2aaada
	v_sub_f32_e32 v37, v37, v38
	v_mul_f32_e32 v67, v48, v67
	v_mov_b32_e32 v38, 0x3f317218
	v_pk_mul_f32 v[38:39], v[66:67], v[38:39]
	v_ldexp_f32 v69, v48, 1
	v_fma_f32 v48, v66, s46, -v38
	v_fmamk_f32 v68, v66, 0xb102e308, v48
	v_pk_add_f32 v[66:67], v[38:39], v[68:69]
	v_ldexp_f32 v37, v37, 1
	v_sub_f32_e32 v48, v67, v69
	v_sub_f32_e32 v48, v39, v48
	v_add_f32_e32 v71, v37, v48
	v_mov_b32_e32 v70, v38
	v_pk_add_f32 v[38:39], v[66:67], v[38:39] neg_lo:[0,1] neg_hi:[0,1]
	v_pk_add_f32 v[80:81], v[66:67], v[70:71]
	v_mov_b32_e32 v69, v66
	v_mov_b32_e32 v39, v81
	v_pk_add_f32 v[82:83], v[68:69], v[38:39] neg_lo:[0,1] neg_hi:[0,1]
	v_pk_add_f32 v[38:39], v[68:69], v[38:39]
	v_cmp_eq_f32_e64 s[46:47], s53, v65
	v_mov_b32_e32 v48, v39
	v_pk_add_f32 v[68:69], v[48:49], v[66:67] neg_lo:[0,1] neg_hi:[0,1]
	v_mov_b32_e32 v38, v81
	v_mov_b32_e32 v37, v68
	v_pk_add_f32 v[84:85], v[80:81], v[36:37] neg_lo:[0,1] neg_hi:[0,1]
	v_mov_b32_e32 v80, v67
	v_mov_b32_e32 v81, v68
	;; [unrolled: 1-line block ×3, first 2 shown]
	v_pk_add_f32 v[38:39], v[38:39], v[80:81] neg_lo:[0,1] neg_hi:[0,1]
	v_mov_b32_e32 v68, v71
	v_mov_b32_e32 v69, v66
	v_pk_add_f32 v[38:39], v[68:69], v[38:39] neg_lo:[0,1] neg_hi:[0,1]
	v_mov_b32_e32 v84, v82
	v_pk_add_f32 v[66:67], v[84:85], v[38:39]
	s_mov_b32 s53, 0x33800000
	v_mov_b32_e32 v68, v67
	v_pk_add_f32 v[68:69], v[66:67], v[68:69]
	v_cmp_lt_f32_e64 s[54:55], |v65|, s53
	v_pk_add_f32 v[70:71], v[48:49], v[68:69]
	v_mov_b32_e32 v39, v68
	v_mov_b32_e32 v67, v70
	v_pk_add_f32 v[80:81], v[66:67], v[82:83] neg_lo:[0,1] neg_hi:[0,1]
	s_or_b64 s[46:47], s[46:47], s[54:55]
	v_sub_f32_e32 v37, v66, v80
	v_pk_add_f32 v[38:39], v[38:39], v[80:81] neg_lo:[0,1] neg_hi:[0,1]
	v_sub_f32_e32 v37, v82, v37
	v_add_f32_e32 v37, v38, v37
	v_add_f32_e32 v37, v37, v39
	;; [unrolled: 1-line block ×3, first 2 shown]
	v_cndmask_b32_e64 v37, v37, v65, s[46:47]
	v_add_f32_e32 v18, v18, v37
	v_cvt_f16_f32_e32 v37, v18
	v_cvt_f32_f16_e32 v38, v37
.LBB388_316:
	s_or_b64 exec, exec, s[48:49]
	v_cvt_f32_f16_e32 v18, v19
	v_max_f32_e32 v39, v38, v38
	v_cmp_u_f16_e64 s[48:49], v37, v37
	v_cmp_u_f16_e64 s[46:47], v19, v19
	v_min_f32_e32 v48, v39, v18
	v_max_f32_e32 v39, v39, v18
	v_cndmask_b32_e64 v48, v48, v38, s[48:49]
	v_cndmask_b32_e64 v39, v39, v38, s[48:49]
	;; [unrolled: 1-line block ×4, first 2 shown]
	v_cmp_neq_f32_e64 s[48:49], v48, v39
	v_cmp_class_f32_e64 s[52:53], v48, s52
	s_or_b64 s[48:49], s[48:49], s[52:53]
	s_and_saveexec_b64 s[52:53], s[48:49]
	s_cbranch_execz .LBB388_318
; %bb.317:
	v_sub_f32_e32 v37, v48, v39
	s_mov_b32 s48, 0x3fb8aa3b
	v_mul_f32_e32 v38, 0x3fb8aa3b, v37
	v_fma_f32 v48, v37, s48, -v38
	v_rndne_f32_e32 v65, v38
	v_fmamk_f32 v48, v37, 0x32a5705f, v48
	v_sub_f32_e32 v38, v38, v65
	v_add_f32_e32 v38, v38, v48
	v_exp_f32_e32 v38, v38
	v_cvt_i32_f32_e32 v48, v65
	s_mov_b32 s48, 0xc2ce8ed0
	v_cmp_ngt_f32_e64 s[48:49], s48, v37
	s_mov_b32 s54, 0x7f800000
	v_ldexp_f32 v38, v38, v48
	v_cndmask_b32_e64 v38, 0, v38, s[48:49]
	s_mov_b32 s48, 0x42b17218
	v_mov_b32_e32 v48, 0x7f800000
	v_cmp_nlt_f32_e64 s[48:49], s48, v37
	s_nop 1
	v_cndmask_b32_e64 v65, v48, v38, s[48:49]
	v_add_f32_e32 v37, 1.0, v65
	v_add_f32_e32 v38, -1.0, v37
	v_sub_f32_e32 v48, v38, v37
	v_add_f32_e32 v48, 1.0, v48
	v_sub_f32_e32 v38, v65, v38
	v_add_f32_e32 v38, v38, v48
	v_frexp_mant_f32_e32 v48, v37
	s_mov_b32 s48, 0x3f2aaaab
	v_cvt_f64_f32_e32 v[66:67], v37
	v_frexp_exp_i32_f64_e32 v66, v[66:67]
	v_cmp_gt_f32_e64 s[48:49], s48, v48
	s_nop 1
	v_subbrev_co_u32_e64 v48, s[48:49], 0, v66, s[48:49]
	v_sub_u32_e32 v66, 0, v48
	v_ldexp_f32 v37, v37, v66
	v_ldexp_f32 v38, v38, v66
	v_add_f32_e32 v66, -1.0, v37
	v_add_f32_e32 v67, 1.0, v66
	v_sub_f32_e32 v67, v37, v67
	v_add_f32_e32 v68, v38, v67
	v_add_f32_e32 v67, 1.0, v37
	v_add_f32_e32 v69, -1.0, v67
	v_sub_f32_e32 v37, v37, v69
	v_add_f32_e32 v37, v38, v37
	v_add_f32_e32 v38, v67, v37
	v_rcp_f32_e32 v82, v38
	v_sub_f32_e32 v67, v67, v38
	v_add_f32_e32 v37, v37, v67
	v_add_f32_e32 v67, v66, v68
	v_sub_f32_e32 v66, v66, v67
	v_mul_f32_e32 v84, v67, v82
	v_add_f32_e32 v83, v68, v66
	v_mul_f32_e32 v68, v38, v84
	v_fma_f32 v70, v84, v38, -v68
	v_fmac_f32_e32 v70, v84, v37
	v_add_f32_e32 v66, v68, v70
	v_sub_f32_e32 v69, v67, v66
	v_pk_add_f32 v[80:81], v[66:67], v[68:69] neg_lo:[0,1] neg_hi:[0,1]
	v_mov_b32_e32 v71, v66
	v_pk_add_f32 v[66:67], v[80:81], v[70:71] neg_lo:[0,1] neg_hi:[0,1]
	s_mov_b32 s48, 0x3f317218
	v_add_f32_e32 v67, v83, v67
	v_add_f32_e32 v66, v66, v67
	;; [unrolled: 1-line block ×3, first 2 shown]
	v_mul_f32_e32 v83, v82, v67
	v_mul_f32_e32 v68, v38, v83
	v_fma_f32 v70, v83, v38, -v68
	v_fmac_f32_e32 v70, v83, v37
	v_sub_f32_e32 v37, v69, v67
	v_add_f32_e32 v37, v66, v37
	v_add_f32_e32 v66, v68, v70
	v_sub_f32_e32 v69, v67, v66
	v_pk_add_f32 v[80:81], v[66:67], v[68:69] neg_lo:[0,1] neg_hi:[0,1]
	v_mov_b32_e32 v71, v66
	v_pk_add_f32 v[66:67], v[80:81], v[70:71] neg_lo:[0,1] neg_hi:[0,1]
	v_add_f32_e32 v38, v84, v83
	v_add_f32_e32 v37, v37, v67
	;; [unrolled: 1-line block ×4, first 2 shown]
	v_sub_f32_e32 v66, v38, v84
	v_mul_f32_e32 v37, v82, v37
	v_sub_f32_e32 v66, v83, v66
	v_add_f32_e32 v37, v66, v37
	v_add_f32_e32 v66, v38, v37
	v_cvt_f32_i32_e32 v68, v48
	v_mul_f32_e32 v69, v66, v66
	v_mov_b32_e32 v67, 0x3ecc95a3
	v_fmac_f32_e32 v67, 0x3e9b6dac, v69
	v_fmaak_f32 v67, v69, v67, 0x3f2aaada
	v_sub_f32_e32 v38, v66, v38
	v_ldexp_f32 v71, v66, 1
	v_mul_f32_e32 v69, v66, v69
	v_mov_b32_e32 v66, 0x3f317218
	v_pk_mul_f32 v[66:67], v[68:69], v[66:67]
	v_sub_f32_e32 v37, v37, v38
	v_fma_f32 v38, v68, s48, -v66
	v_fmamk_f32 v70, v68, 0xb102e308, v38
	v_pk_add_f32 v[68:69], v[66:67], v[70:71]
	v_ldexp_f32 v37, v37, 1
	v_sub_f32_e32 v38, v69, v71
	v_sub_f32_e32 v38, v67, v38
	v_add_f32_e32 v81, v37, v38
	v_mov_b32_e32 v80, v66
	v_pk_add_f32 v[66:67], v[68:69], v[66:67] neg_lo:[0,1] neg_hi:[0,1]
	v_pk_add_f32 v[82:83], v[68:69], v[80:81]
	v_mov_b32_e32 v71, v68
	v_mov_b32_e32 v67, v83
	v_pk_add_f32 v[84:85], v[70:71], v[66:67] neg_lo:[0,1] neg_hi:[0,1]
	v_pk_add_f32 v[66:67], v[70:71], v[66:67]
	v_cmp_eq_f32_e64 s[48:49], s54, v65
	v_mov_b32_e32 v38, v67
	v_pk_add_f32 v[70:71], v[38:39], v[68:69] neg_lo:[0,1] neg_hi:[0,1]
	v_mov_b32_e32 v66, v83
	v_mov_b32_e32 v37, v70
	v_pk_add_f32 v[86:87], v[82:83], v[36:37] neg_lo:[0,1] neg_hi:[0,1]
	v_mov_b32_e32 v82, v69
	v_mov_b32_e32 v83, v70
	;; [unrolled: 1-line block ×3, first 2 shown]
	v_pk_add_f32 v[66:67], v[66:67], v[82:83] neg_lo:[0,1] neg_hi:[0,1]
	v_mov_b32_e32 v70, v81
	v_mov_b32_e32 v71, v68
	v_pk_add_f32 v[66:67], v[70:71], v[66:67] neg_lo:[0,1] neg_hi:[0,1]
	v_mov_b32_e32 v86, v84
	v_pk_add_f32 v[68:69], v[86:87], v[66:67]
	s_mov_b32 s54, 0x33800000
	v_mov_b32_e32 v48, v69
	v_pk_add_f32 v[70:71], v[68:69], v[48:49]
	v_cmp_lt_f32_e64 s[54:55], |v65|, s54
	v_pk_add_f32 v[80:81], v[38:39], v[70:71]
	v_mov_b32_e32 v67, v70
	v_mov_b32_e32 v69, v80
	v_pk_add_f32 v[82:83], v[68:69], v[84:85] neg_lo:[0,1] neg_hi:[0,1]
	s_or_b64 s[48:49], s[48:49], s[54:55]
	v_sub_f32_e32 v37, v68, v82
	v_pk_add_f32 v[66:67], v[66:67], v[82:83] neg_lo:[0,1] neg_hi:[0,1]
	v_sub_f32_e32 v37, v84, v37
	v_add_f32_e32 v37, v66, v37
	v_add_f32_e32 v37, v37, v67
	;; [unrolled: 1-line block ×3, first 2 shown]
	v_cndmask_b32_e64 v37, v37, v65, s[48:49]
	v_add_f32_e32 v37, v39, v37
	v_cvt_f16_f32_e32 v37, v37
	v_cvt_f32_f16_e32 v38, v37
.LBB388_318:
	s_or_b64 exec, exec, s[52:53]
	v_cvt_f32_f16_sdwa v65, v19 dst_sel:DWORD dst_unused:UNUSED_PAD src0_sel:WORD_1
	v_max_f32_e32 v48, v38, v38
	v_cmp_u_f16_e64 s[52:53], v37, v37
	v_cmp_u_f16_sdwa s[48:49], v19, v19 src0_sel:WORD_1 src1_sel:WORD_1
	v_min_f32_e32 v39, v48, v65
	v_max_f32_e32 v19, v48, v65
	v_cndmask_b32_e64 v39, v39, v38, s[52:53]
	v_cndmask_b32_e64 v19, v19, v38, s[52:53]
	v_cndmask_b32_e64 v39, v39, v65, s[48:49]
	v_cndmask_b32_e64 v19, v19, v65, s[48:49]
	s_movk_i32 s54, 0x1f8
	v_cmp_neq_f32_e64 s[52:53], v39, v19
	v_cmp_class_f32_e64 s[54:55], v39, s54
	s_or_b64 s[52:53], s[52:53], s[54:55]
	s_and_saveexec_b64 s[54:55], s[52:53]
	s_cbranch_execz .LBB388_320
; %bb.319:
	v_sub_f32_e32 v37, v39, v19
	s_mov_b32 s52, 0x3fb8aa3b
	v_mul_f32_e32 v38, 0x3fb8aa3b, v37
	v_fma_f32 v39, v37, s52, -v38
	v_rndne_f32_e32 v48, v38
	v_fmamk_f32 v39, v37, 0x32a5705f, v39
	v_sub_f32_e32 v38, v38, v48
	v_add_f32_e32 v38, v38, v39
	v_exp_f32_e32 v38, v38
	v_cvt_i32_f32_e32 v39, v48
	s_mov_b32 s52, 0xc2ce8ed0
	v_cmp_ngt_f32_e64 s[52:53], s52, v37
	s_mov_b32 s56, 0x7f800000
	v_ldexp_f32 v38, v38, v39
	v_cndmask_b32_e64 v38, 0, v38, s[52:53]
	s_mov_b32 s52, 0x42b17218
	v_mov_b32_e32 v39, 0x7f800000
	v_cmp_nlt_f32_e64 s[52:53], s52, v37
	s_nop 1
	v_cndmask_b32_e64 v86, v39, v38, s[52:53]
	v_add_f32_e32 v37, 1.0, v86
	v_add_f32_e32 v38, -1.0, v37
	v_sub_f32_e32 v39, v38, v37
	v_add_f32_e32 v39, 1.0, v39
	v_sub_f32_e32 v38, v86, v38
	v_add_f32_e32 v48, v38, v39
	v_frexp_mant_f32_e32 v66, v37
	s_mov_b32 s52, 0x3f2aaaab
	v_cvt_f64_f32_e32 v[38:39], v37
	v_frexp_exp_i32_f64_e32 v38, v[38:39]
	v_cmp_gt_f32_e64 s[52:53], s52, v66
	s_nop 1
	v_subbrev_co_u32_e64 v80, s[52:53], 0, v38, s[52:53]
	v_sub_u32_e32 v38, 0, v80
	v_ldexp_f32 v37, v37, v38
	v_ldexp_f32 v38, v48, v38
	v_add_f32_e32 v48, -1.0, v37
	v_add_f32_e32 v39, 1.0, v48
	v_sub_f32_e32 v39, v37, v39
	v_add_f32_e32 v66, v38, v39
	v_add_f32_e32 v39, 1.0, v37
	v_add_f32_e32 v67, -1.0, v39
	v_sub_f32_e32 v37, v37, v67
	v_add_f32_e32 v37, v38, v37
	v_add_f32_e32 v81, v39, v37
	v_rcp_f32_e32 v82, v81
	v_sub_f32_e32 v38, v39, v81
	v_add_f32_e32 v39, v48, v66
	v_add_f32_e32 v37, v37, v38
	v_sub_f32_e32 v38, v48, v39
	v_mul_f32_e32 v83, v39, v82
	v_add_f32_e32 v48, v66, v38
	v_mul_f32_e32 v66, v81, v83
	v_fma_f32 v68, v83, v81, -v66
	v_fmac_f32_e32 v68, v83, v37
	v_add_f32_e32 v38, v66, v68
	v_sub_f32_e32 v67, v39, v38
	v_pk_add_f32 v[70:71], v[38:39], v[66:67] neg_lo:[0,1] neg_hi:[0,1]
	v_mov_b32_e32 v69, v38
	v_pk_add_f32 v[38:39], v[70:71], v[68:69] neg_lo:[0,1] neg_hi:[0,1]
	s_mov_b32 s52, 0x3f317218
	v_add_f32_e32 v39, v48, v39
	v_add_f32_e32 v38, v38, v39
	v_add_f32_e32 v39, v67, v38
	v_mul_f32_e32 v48, v82, v39
	v_mul_f32_e32 v66, v81, v48
	v_fma_f32 v68, v48, v81, -v66
	v_fmac_f32_e32 v68, v48, v37
	v_sub_f32_e32 v37, v67, v39
	v_add_f32_e32 v37, v38, v37
	v_add_f32_e32 v38, v66, v68
	v_sub_f32_e32 v67, v39, v38
	v_pk_add_f32 v[70:71], v[38:39], v[66:67] neg_lo:[0,1] neg_hi:[0,1]
	v_mov_b32_e32 v69, v38
	v_pk_add_f32 v[38:39], v[70:71], v[68:69] neg_lo:[0,1] neg_hi:[0,1]
	v_cvt_f32_i32_e32 v66, v80
	v_add_f32_e32 v37, v37, v39
	v_add_f32_e32 v37, v38, v37
	;; [unrolled: 1-line block ×4, first 2 shown]
	v_sub_f32_e32 v39, v38, v83
	v_mul_f32_e32 v37, v82, v37
	v_sub_f32_e32 v39, v48, v39
	v_add_f32_e32 v37, v39, v37
	v_add_f32_e32 v48, v38, v37
	v_mul_f32_e32 v67, v48, v48
	v_mov_b32_e32 v39, 0x3ecc95a3
	v_fmac_f32_e32 v39, 0x3e9b6dac, v67
	v_sub_f32_e32 v38, v48, v38
	v_fmaak_f32 v39, v67, v39, 0x3f2aaada
	v_sub_f32_e32 v37, v37, v38
	v_mul_f32_e32 v67, v48, v67
	v_mov_b32_e32 v38, 0x3f317218
	v_pk_mul_f32 v[38:39], v[66:67], v[38:39]
	v_ldexp_f32 v69, v48, 1
	v_fma_f32 v48, v66, s52, -v38
	v_fmamk_f32 v68, v66, 0xb102e308, v48
	v_pk_add_f32 v[66:67], v[38:39], v[68:69]
	v_ldexp_f32 v37, v37, 1
	v_sub_f32_e32 v48, v67, v69
	v_sub_f32_e32 v48, v39, v48
	v_add_f32_e32 v71, v37, v48
	v_mov_b32_e32 v70, v38
	v_pk_add_f32 v[38:39], v[66:67], v[38:39] neg_lo:[0,1] neg_hi:[0,1]
	v_pk_add_f32 v[80:81], v[66:67], v[70:71]
	v_mov_b32_e32 v69, v66
	v_mov_b32_e32 v39, v81
	v_pk_add_f32 v[82:83], v[68:69], v[38:39] neg_lo:[0,1] neg_hi:[0,1]
	v_pk_add_f32 v[38:39], v[68:69], v[38:39]
	v_cmp_eq_f32_e64 s[52:53], s56, v86
	v_mov_b32_e32 v48, v39
	v_pk_add_f32 v[68:69], v[48:49], v[66:67] neg_lo:[0,1] neg_hi:[0,1]
	v_mov_b32_e32 v38, v81
	v_mov_b32_e32 v37, v68
	v_pk_add_f32 v[84:85], v[80:81], v[36:37] neg_lo:[0,1] neg_hi:[0,1]
	v_mov_b32_e32 v80, v67
	v_mov_b32_e32 v81, v68
	;; [unrolled: 1-line block ×3, first 2 shown]
	v_pk_add_f32 v[38:39], v[38:39], v[80:81] neg_lo:[0,1] neg_hi:[0,1]
	v_mov_b32_e32 v68, v71
	v_mov_b32_e32 v69, v66
	v_pk_add_f32 v[38:39], v[68:69], v[38:39] neg_lo:[0,1] neg_hi:[0,1]
	v_mov_b32_e32 v84, v82
	v_pk_add_f32 v[66:67], v[84:85], v[38:39]
	s_mov_b32 s56, 0x33800000
	v_mov_b32_e32 v68, v67
	v_pk_add_f32 v[68:69], v[66:67], v[68:69]
	v_cmp_lt_f32_e64 s[56:57], |v86|, s56
	v_pk_add_f32 v[70:71], v[48:49], v[68:69]
	v_mov_b32_e32 v39, v68
	v_mov_b32_e32 v67, v70
	v_pk_add_f32 v[80:81], v[66:67], v[82:83] neg_lo:[0,1] neg_hi:[0,1]
	s_or_b64 s[52:53], s[52:53], s[56:57]
	v_sub_f32_e32 v37, v66, v80
	v_pk_add_f32 v[38:39], v[38:39], v[80:81] neg_lo:[0,1] neg_hi:[0,1]
	v_sub_f32_e32 v37, v82, v37
	v_add_f32_e32 v37, v38, v37
	v_add_f32_e32 v37, v37, v39
	;; [unrolled: 1-line block ×3, first 2 shown]
	v_cndmask_b32_e64 v37, v37, v86, s[52:53]
	v_add_f32_e32 v19, v19, v37
	v_cvt_f16_f32_e32 v37, v19
.LBB388_320:
	s_or_b64 exec, exec, s[54:55]
	v_mbcnt_lo_u32_b32 v19, -1, 0
	v_mbcnt_hi_u32_b32 v19, -1, v19
	v_and_b32_e32 v38, 15, v19
	v_and_b32_e32 v39, 0xffff, v37
	v_cmp_ne_u32_e64 s[52:53], 0, v38
	s_nop 0
	v_mov_b32_dpp v48, v39 row_shr:1 row_mask:0xf bank_mask:0xf
	s_and_saveexec_b64 s[56:57], s[52:53]
	s_cbranch_execz .LBB388_324
; %bb.321:
	v_cvt_f32_f16_e32 v66, v48
	v_cvt_f32_f16_e32 v67, v37
	v_cmp_u_f16_e64 s[52:53], v48, v48
	v_cmp_u_f16_e64 s[54:55], v37, v37
	v_min_f32_e32 v39, v66, v67
	v_max_f32_e32 v37, v66, v67
	v_cndmask_b32_e64 v39, v39, v66, s[52:53]
	v_cndmask_b32_e64 v37, v37, v66, s[52:53]
	;; [unrolled: 1-line block ×4, first 2 shown]
	s_movk_i32 s54, 0x1f8
	v_cmp_neq_f32_e64 s[52:53], v39, v37
	v_cmp_class_f32_e64 s[54:55], v39, s54
	s_or_b64 s[52:53], s[52:53], s[54:55]
	s_and_saveexec_b64 s[54:55], s[52:53]
	s_cbranch_execz .LBB388_323
; %bb.322:
	v_sub_f32_e32 v39, v39, v37
	s_mov_b32 s52, 0x3fb8aa3b
	v_mul_f32_e32 v48, 0x3fb8aa3b, v39
	v_fma_f32 v66, v39, s52, -v48
	v_rndne_f32_e32 v67, v48
	v_fmamk_f32 v66, v39, 0x32a5705f, v66
	v_sub_f32_e32 v48, v48, v67
	v_add_f32_e32 v48, v48, v66
	v_exp_f32_e32 v48, v48
	v_cvt_i32_f32_e32 v66, v67
	s_mov_b32 s52, 0xc2ce8ed0
	v_cmp_ngt_f32_e64 s[52:53], s52, v39
	s_mov_b32 s58, 0x7f800000
	v_ldexp_f32 v48, v48, v66
	v_cndmask_b32_e64 v48, 0, v48, s[52:53]
	s_mov_b32 s52, 0x42b17218
	v_mov_b32_e32 v66, 0x7f800000
	v_cmp_nlt_f32_e64 s[52:53], s52, v39
	s_nop 1
	v_cndmask_b32_e64 v96, v66, v48, s[52:53]
	v_add_f32_e32 v39, 1.0, v96
	v_add_f32_e32 v48, -1.0, v39
	v_sub_f32_e32 v66, v48, v39
	v_add_f32_e32 v66, 1.0, v66
	v_sub_f32_e32 v48, v96, v48
	v_add_f32_e32 v48, v48, v66
	v_frexp_mant_f32_e32 v68, v39
	s_mov_b32 s52, 0x3f2aaaab
	v_cvt_f64_f32_e32 v[66:67], v39
	v_frexp_exp_i32_f64_e32 v66, v[66:67]
	v_cmp_gt_f32_e64 s[52:53], s52, v68
	s_nop 1
	v_subbrev_co_u32_e64 v82, s[52:53], 0, v66, s[52:53]
	v_sub_u32_e32 v66, 0, v82
	v_ldexp_f32 v39, v39, v66
	v_ldexp_f32 v48, v48, v66
	v_add_f32_e32 v66, -1.0, v39
	v_add_f32_e32 v67, 1.0, v66
	v_sub_f32_e32 v67, v39, v67
	v_add_f32_e32 v68, v48, v67
	v_add_f32_e32 v67, 1.0, v39
	v_add_f32_e32 v69, -1.0, v67
	v_sub_f32_e32 v39, v39, v69
	v_add_f32_e32 v39, v48, v39
	v_add_f32_e32 v48, v67, v39
	v_rcp_f32_e32 v83, v48
	v_sub_f32_e32 v67, v67, v48
	v_add_f32_e32 v39, v39, v67
	v_add_f32_e32 v67, v66, v68
	v_sub_f32_e32 v66, v66, v67
	v_mul_f32_e32 v85, v67, v83
	v_add_f32_e32 v84, v68, v66
	v_mul_f32_e32 v68, v48, v85
	v_fma_f32 v70, v85, v48, -v68
	v_fmac_f32_e32 v70, v85, v39
	v_add_f32_e32 v66, v68, v70
	v_sub_f32_e32 v69, v67, v66
	v_pk_add_f32 v[80:81], v[66:67], v[68:69] neg_lo:[0,1] neg_hi:[0,1]
	v_mov_b32_e32 v71, v66
	v_pk_add_f32 v[66:67], v[80:81], v[70:71] neg_lo:[0,1] neg_hi:[0,1]
	s_mov_b32 s52, 0x3f317218
	v_add_f32_e32 v67, v84, v67
	v_add_f32_e32 v66, v66, v67
	;; [unrolled: 1-line block ×3, first 2 shown]
	v_mul_f32_e32 v84, v83, v67
	v_mul_f32_e32 v68, v48, v84
	v_fma_f32 v70, v84, v48, -v68
	v_fmac_f32_e32 v70, v84, v39
	v_sub_f32_e32 v39, v69, v67
	v_add_f32_e32 v39, v66, v39
	v_add_f32_e32 v66, v68, v70
	v_sub_f32_e32 v69, v67, v66
	v_pk_add_f32 v[80:81], v[66:67], v[68:69] neg_lo:[0,1] neg_hi:[0,1]
	v_mov_b32_e32 v71, v66
	v_pk_add_f32 v[66:67], v[80:81], v[70:71] neg_lo:[0,1] neg_hi:[0,1]
	v_add_f32_e32 v48, v85, v84
	v_add_f32_e32 v39, v39, v67
	;; [unrolled: 1-line block ×4, first 2 shown]
	v_sub_f32_e32 v66, v48, v85
	v_mul_f32_e32 v39, v83, v39
	v_sub_f32_e32 v66, v84, v66
	v_add_f32_e32 v39, v66, v39
	v_add_f32_e32 v66, v48, v39
	v_cvt_f32_i32_e32 v68, v82
	v_mul_f32_e32 v69, v66, v66
	v_mov_b32_e32 v67, 0x3ecc95a3
	v_fmac_f32_e32 v67, 0x3e9b6dac, v69
	v_fmaak_f32 v67, v69, v67, 0x3f2aaada
	v_sub_f32_e32 v48, v66, v48
	v_ldexp_f32 v71, v66, 1
	v_mul_f32_e32 v69, v66, v69
	v_mov_b32_e32 v66, 0x3f317218
	v_pk_mul_f32 v[66:67], v[68:69], v[66:67]
	v_sub_f32_e32 v39, v39, v48
	v_fma_f32 v48, v68, s52, -v66
	v_fmamk_f32 v70, v68, 0xb102e308, v48
	v_pk_add_f32 v[68:69], v[66:67], v[70:71]
	v_ldexp_f32 v39, v39, 1
	v_sub_f32_e32 v48, v69, v71
	v_sub_f32_e32 v48, v67, v48
	v_add_f32_e32 v81, v39, v48
	v_mov_b32_e32 v80, v66
	v_pk_add_f32 v[66:67], v[68:69], v[66:67] neg_lo:[0,1] neg_hi:[0,1]
	v_pk_add_f32 v[82:83], v[68:69], v[80:81]
	v_mov_b32_e32 v71, v68
	v_mov_b32_e32 v67, v83
	v_pk_add_f32 v[84:85], v[70:71], v[66:67] neg_lo:[0,1] neg_hi:[0,1]
	v_pk_add_f32 v[66:67], v[70:71], v[66:67]
	v_cmp_eq_f32_e64 s[52:53], s58, v96
	v_mov_b32_e32 v48, v67
	v_pk_add_f32 v[70:71], v[48:49], v[68:69] neg_lo:[0,1] neg_hi:[0,1]
	v_mov_b32_e32 v66, v83
	v_mov_b32_e32 v39, v70
	v_pk_add_f32 v[86:87], v[82:83], v[38:39] neg_lo:[0,1] neg_hi:[0,1]
	v_mov_b32_e32 v82, v69
	v_mov_b32_e32 v83, v70
	;; [unrolled: 1-line block ×3, first 2 shown]
	v_pk_add_f32 v[66:67], v[66:67], v[82:83] neg_lo:[0,1] neg_hi:[0,1]
	v_mov_b32_e32 v70, v81
	v_mov_b32_e32 v71, v68
	v_pk_add_f32 v[66:67], v[70:71], v[66:67] neg_lo:[0,1] neg_hi:[0,1]
	v_mov_b32_e32 v86, v84
	v_pk_add_f32 v[68:69], v[86:87], v[66:67]
	s_mov_b32 s58, 0x33800000
	v_mov_b32_e32 v70, v69
	v_pk_add_f32 v[70:71], v[68:69], v[70:71]
	v_cmp_lt_f32_e64 s[58:59], |v96|, s58
	v_pk_add_f32 v[80:81], v[48:49], v[70:71]
	v_mov_b32_e32 v67, v70
	v_mov_b32_e32 v69, v80
	v_pk_add_f32 v[82:83], v[68:69], v[84:85] neg_lo:[0,1] neg_hi:[0,1]
	s_or_b64 s[52:53], s[52:53], s[58:59]
	v_sub_f32_e32 v39, v68, v82
	v_pk_add_f32 v[66:67], v[66:67], v[82:83] neg_lo:[0,1] neg_hi:[0,1]
	v_sub_f32_e32 v39, v84, v39
	v_add_f32_e32 v39, v66, v39
	v_add_f32_e32 v39, v39, v67
	;; [unrolled: 1-line block ×3, first 2 shown]
	v_cndmask_b32_e64 v39, v39, v96, s[52:53]
	v_add_f32_e32 v37, v37, v39
	v_cvt_f16_f32_e32 v48, v37
.LBB388_323:
	s_or_b64 exec, exec, s[54:55]
	v_and_b32_e32 v39, 0xffff, v48
	v_mov_b32_e32 v37, v48
.LBB388_324:
	s_or_b64 exec, exec, s[56:57]
	v_mov_b32_dpp v48, v39 row_shr:2 row_mask:0xf bank_mask:0xf
	v_cmp_lt_u32_e64 s[52:53], 1, v38
	s_and_saveexec_b64 s[56:57], s[52:53]
	s_cbranch_execz .LBB388_328
; %bb.325:
	v_cvt_f32_f16_e32 v66, v48
	v_cvt_f32_f16_e32 v67, v37
	v_cmp_u_f16_e64 s[52:53], v48, v48
	v_cmp_u_f16_e64 s[54:55], v37, v37
	v_min_f32_e32 v39, v66, v67
	v_max_f32_e32 v37, v66, v67
	v_cndmask_b32_e64 v39, v39, v66, s[52:53]
	v_cndmask_b32_e64 v37, v37, v66, s[52:53]
	;; [unrolled: 1-line block ×4, first 2 shown]
	s_movk_i32 s54, 0x1f8
	v_cmp_neq_f32_e64 s[52:53], v39, v37
	v_cmp_class_f32_e64 s[54:55], v39, s54
	s_or_b64 s[52:53], s[52:53], s[54:55]
	s_and_saveexec_b64 s[54:55], s[52:53]
	s_cbranch_execz .LBB388_327
; %bb.326:
	v_sub_f32_e32 v39, v39, v37
	s_mov_b32 s52, 0x3fb8aa3b
	v_mul_f32_e32 v48, 0x3fb8aa3b, v39
	v_fma_f32 v66, v39, s52, -v48
	v_rndne_f32_e32 v67, v48
	v_fmamk_f32 v66, v39, 0x32a5705f, v66
	v_sub_f32_e32 v48, v48, v67
	v_add_f32_e32 v48, v48, v66
	v_exp_f32_e32 v48, v48
	v_cvt_i32_f32_e32 v66, v67
	s_mov_b32 s52, 0xc2ce8ed0
	v_cmp_ngt_f32_e64 s[52:53], s52, v39
	s_mov_b32 s58, 0x7f800000
	v_ldexp_f32 v48, v48, v66
	v_cndmask_b32_e64 v48, 0, v48, s[52:53]
	s_mov_b32 s52, 0x42b17218
	v_mov_b32_e32 v66, 0x7f800000
	v_cmp_nlt_f32_e64 s[52:53], s52, v39
	s_nop 1
	v_cndmask_b32_e64 v96, v66, v48, s[52:53]
	v_add_f32_e32 v39, 1.0, v96
	v_add_f32_e32 v48, -1.0, v39
	v_sub_f32_e32 v66, v48, v39
	v_add_f32_e32 v66, 1.0, v66
	v_sub_f32_e32 v48, v96, v48
	v_add_f32_e32 v48, v48, v66
	v_frexp_mant_f32_e32 v68, v39
	s_mov_b32 s52, 0x3f2aaaab
	v_cvt_f64_f32_e32 v[66:67], v39
	v_frexp_exp_i32_f64_e32 v66, v[66:67]
	v_cmp_gt_f32_e64 s[52:53], s52, v68
	s_nop 1
	v_subbrev_co_u32_e64 v82, s[52:53], 0, v66, s[52:53]
	v_sub_u32_e32 v66, 0, v82
	v_ldexp_f32 v39, v39, v66
	v_ldexp_f32 v48, v48, v66
	v_add_f32_e32 v66, -1.0, v39
	v_add_f32_e32 v67, 1.0, v66
	v_sub_f32_e32 v67, v39, v67
	v_add_f32_e32 v68, v48, v67
	v_add_f32_e32 v67, 1.0, v39
	v_add_f32_e32 v69, -1.0, v67
	v_sub_f32_e32 v39, v39, v69
	v_add_f32_e32 v39, v48, v39
	v_add_f32_e32 v48, v67, v39
	v_rcp_f32_e32 v83, v48
	v_sub_f32_e32 v67, v67, v48
	v_add_f32_e32 v39, v39, v67
	v_add_f32_e32 v67, v66, v68
	v_sub_f32_e32 v66, v66, v67
	v_mul_f32_e32 v85, v67, v83
	v_add_f32_e32 v84, v68, v66
	v_mul_f32_e32 v68, v48, v85
	v_fma_f32 v70, v85, v48, -v68
	v_fmac_f32_e32 v70, v85, v39
	v_add_f32_e32 v66, v68, v70
	v_sub_f32_e32 v69, v67, v66
	v_pk_add_f32 v[80:81], v[66:67], v[68:69] neg_lo:[0,1] neg_hi:[0,1]
	v_mov_b32_e32 v71, v66
	v_pk_add_f32 v[66:67], v[80:81], v[70:71] neg_lo:[0,1] neg_hi:[0,1]
	s_mov_b32 s52, 0x3f317218
	v_add_f32_e32 v67, v84, v67
	v_add_f32_e32 v66, v66, v67
	;; [unrolled: 1-line block ×3, first 2 shown]
	v_mul_f32_e32 v84, v83, v67
	v_mul_f32_e32 v68, v48, v84
	v_fma_f32 v70, v84, v48, -v68
	v_fmac_f32_e32 v70, v84, v39
	v_sub_f32_e32 v39, v69, v67
	v_add_f32_e32 v39, v66, v39
	v_add_f32_e32 v66, v68, v70
	v_sub_f32_e32 v69, v67, v66
	v_pk_add_f32 v[80:81], v[66:67], v[68:69] neg_lo:[0,1] neg_hi:[0,1]
	v_mov_b32_e32 v71, v66
	v_pk_add_f32 v[66:67], v[80:81], v[70:71] neg_lo:[0,1] neg_hi:[0,1]
	v_add_f32_e32 v48, v85, v84
	v_add_f32_e32 v39, v39, v67
	;; [unrolled: 1-line block ×4, first 2 shown]
	v_sub_f32_e32 v66, v48, v85
	v_mul_f32_e32 v39, v83, v39
	v_sub_f32_e32 v66, v84, v66
	v_add_f32_e32 v39, v66, v39
	v_add_f32_e32 v66, v48, v39
	v_cvt_f32_i32_e32 v68, v82
	v_mul_f32_e32 v69, v66, v66
	v_mov_b32_e32 v67, 0x3ecc95a3
	v_fmac_f32_e32 v67, 0x3e9b6dac, v69
	v_fmaak_f32 v67, v69, v67, 0x3f2aaada
	v_sub_f32_e32 v48, v66, v48
	v_ldexp_f32 v71, v66, 1
	v_mul_f32_e32 v69, v66, v69
	v_mov_b32_e32 v66, 0x3f317218
	v_pk_mul_f32 v[66:67], v[68:69], v[66:67]
	v_sub_f32_e32 v39, v39, v48
	v_fma_f32 v48, v68, s52, -v66
	v_fmamk_f32 v70, v68, 0xb102e308, v48
	v_pk_add_f32 v[68:69], v[66:67], v[70:71]
	v_ldexp_f32 v39, v39, 1
	v_sub_f32_e32 v48, v69, v71
	v_sub_f32_e32 v48, v67, v48
	v_add_f32_e32 v81, v39, v48
	v_mov_b32_e32 v80, v66
	v_pk_add_f32 v[66:67], v[68:69], v[66:67] neg_lo:[0,1] neg_hi:[0,1]
	v_pk_add_f32 v[82:83], v[68:69], v[80:81]
	v_mov_b32_e32 v71, v68
	v_mov_b32_e32 v67, v83
	v_pk_add_f32 v[84:85], v[70:71], v[66:67] neg_lo:[0,1] neg_hi:[0,1]
	v_pk_add_f32 v[66:67], v[70:71], v[66:67]
	v_cmp_eq_f32_e64 s[52:53], s58, v96
	v_mov_b32_e32 v48, v67
	v_pk_add_f32 v[70:71], v[48:49], v[68:69] neg_lo:[0,1] neg_hi:[0,1]
	v_mov_b32_e32 v66, v83
	v_mov_b32_e32 v39, v70
	v_pk_add_f32 v[86:87], v[82:83], v[38:39] neg_lo:[0,1] neg_hi:[0,1]
	v_mov_b32_e32 v82, v69
	v_mov_b32_e32 v83, v70
	;; [unrolled: 1-line block ×3, first 2 shown]
	v_pk_add_f32 v[66:67], v[66:67], v[82:83] neg_lo:[0,1] neg_hi:[0,1]
	v_mov_b32_e32 v70, v81
	v_mov_b32_e32 v71, v68
	v_pk_add_f32 v[66:67], v[70:71], v[66:67] neg_lo:[0,1] neg_hi:[0,1]
	v_mov_b32_e32 v86, v84
	v_pk_add_f32 v[68:69], v[86:87], v[66:67]
	s_mov_b32 s58, 0x33800000
	v_mov_b32_e32 v70, v69
	v_pk_add_f32 v[70:71], v[68:69], v[70:71]
	v_cmp_lt_f32_e64 s[58:59], |v96|, s58
	v_pk_add_f32 v[80:81], v[48:49], v[70:71]
	v_mov_b32_e32 v67, v70
	v_mov_b32_e32 v69, v80
	v_pk_add_f32 v[82:83], v[68:69], v[84:85] neg_lo:[0,1] neg_hi:[0,1]
	s_or_b64 s[52:53], s[52:53], s[58:59]
	v_sub_f32_e32 v39, v68, v82
	v_pk_add_f32 v[66:67], v[66:67], v[82:83] neg_lo:[0,1] neg_hi:[0,1]
	v_sub_f32_e32 v39, v84, v39
	v_add_f32_e32 v39, v66, v39
	v_add_f32_e32 v39, v39, v67
	;; [unrolled: 1-line block ×3, first 2 shown]
	v_cndmask_b32_e64 v39, v39, v96, s[52:53]
	v_add_f32_e32 v37, v37, v39
	v_cvt_f16_f32_e32 v48, v37
.LBB388_327:
	s_or_b64 exec, exec, s[54:55]
	v_and_b32_e32 v39, 0xffff, v48
	v_mov_b32_e32 v37, v48
.LBB388_328:
	s_or_b64 exec, exec, s[56:57]
	v_mov_b32_dpp v48, v39 row_shr:4 row_mask:0xf bank_mask:0xf
	v_cmp_lt_u32_e64 s[52:53], 3, v38
	s_and_saveexec_b64 s[56:57], s[52:53]
	s_cbranch_execz .LBB388_332
; %bb.329:
	v_cvt_f32_f16_e32 v66, v48
	v_cvt_f32_f16_e32 v67, v37
	v_cmp_u_f16_e64 s[52:53], v48, v48
	v_cmp_u_f16_e64 s[54:55], v37, v37
	v_min_f32_e32 v39, v66, v67
	v_max_f32_e32 v37, v66, v67
	v_cndmask_b32_e64 v39, v39, v66, s[52:53]
	v_cndmask_b32_e64 v37, v37, v66, s[52:53]
	;; [unrolled: 1-line block ×4, first 2 shown]
	s_movk_i32 s54, 0x1f8
	v_cmp_neq_f32_e64 s[52:53], v39, v37
	v_cmp_class_f32_e64 s[54:55], v39, s54
	s_or_b64 s[52:53], s[52:53], s[54:55]
	s_and_saveexec_b64 s[54:55], s[52:53]
	s_cbranch_execz .LBB388_331
; %bb.330:
	v_sub_f32_e32 v39, v39, v37
	s_mov_b32 s52, 0x3fb8aa3b
	v_mul_f32_e32 v48, 0x3fb8aa3b, v39
	v_fma_f32 v66, v39, s52, -v48
	v_rndne_f32_e32 v67, v48
	v_fmamk_f32 v66, v39, 0x32a5705f, v66
	v_sub_f32_e32 v48, v48, v67
	v_add_f32_e32 v48, v48, v66
	v_exp_f32_e32 v48, v48
	v_cvt_i32_f32_e32 v66, v67
	s_mov_b32 s52, 0xc2ce8ed0
	v_cmp_ngt_f32_e64 s[52:53], s52, v39
	s_mov_b32 s58, 0x7f800000
	v_ldexp_f32 v48, v48, v66
	v_cndmask_b32_e64 v48, 0, v48, s[52:53]
	s_mov_b32 s52, 0x42b17218
	v_mov_b32_e32 v66, 0x7f800000
	v_cmp_nlt_f32_e64 s[52:53], s52, v39
	s_nop 1
	v_cndmask_b32_e64 v96, v66, v48, s[52:53]
	v_add_f32_e32 v39, 1.0, v96
	v_add_f32_e32 v48, -1.0, v39
	v_sub_f32_e32 v66, v48, v39
	v_add_f32_e32 v66, 1.0, v66
	v_sub_f32_e32 v48, v96, v48
	v_add_f32_e32 v48, v48, v66
	v_frexp_mant_f32_e32 v68, v39
	s_mov_b32 s52, 0x3f2aaaab
	v_cvt_f64_f32_e32 v[66:67], v39
	v_frexp_exp_i32_f64_e32 v66, v[66:67]
	v_cmp_gt_f32_e64 s[52:53], s52, v68
	s_nop 1
	v_subbrev_co_u32_e64 v82, s[52:53], 0, v66, s[52:53]
	v_sub_u32_e32 v66, 0, v82
	v_ldexp_f32 v39, v39, v66
	v_ldexp_f32 v48, v48, v66
	v_add_f32_e32 v66, -1.0, v39
	v_add_f32_e32 v67, 1.0, v66
	v_sub_f32_e32 v67, v39, v67
	v_add_f32_e32 v68, v48, v67
	v_add_f32_e32 v67, 1.0, v39
	v_add_f32_e32 v69, -1.0, v67
	v_sub_f32_e32 v39, v39, v69
	v_add_f32_e32 v39, v48, v39
	v_add_f32_e32 v48, v67, v39
	v_rcp_f32_e32 v83, v48
	v_sub_f32_e32 v67, v67, v48
	v_add_f32_e32 v39, v39, v67
	v_add_f32_e32 v67, v66, v68
	v_sub_f32_e32 v66, v66, v67
	v_mul_f32_e32 v85, v67, v83
	v_add_f32_e32 v84, v68, v66
	v_mul_f32_e32 v68, v48, v85
	v_fma_f32 v70, v85, v48, -v68
	v_fmac_f32_e32 v70, v85, v39
	v_add_f32_e32 v66, v68, v70
	v_sub_f32_e32 v69, v67, v66
	v_pk_add_f32 v[80:81], v[66:67], v[68:69] neg_lo:[0,1] neg_hi:[0,1]
	v_mov_b32_e32 v71, v66
	v_pk_add_f32 v[66:67], v[80:81], v[70:71] neg_lo:[0,1] neg_hi:[0,1]
	s_mov_b32 s52, 0x3f317218
	v_add_f32_e32 v67, v84, v67
	v_add_f32_e32 v66, v66, v67
	;; [unrolled: 1-line block ×3, first 2 shown]
	v_mul_f32_e32 v84, v83, v67
	v_mul_f32_e32 v68, v48, v84
	v_fma_f32 v70, v84, v48, -v68
	v_fmac_f32_e32 v70, v84, v39
	v_sub_f32_e32 v39, v69, v67
	v_add_f32_e32 v39, v66, v39
	v_add_f32_e32 v66, v68, v70
	v_sub_f32_e32 v69, v67, v66
	v_pk_add_f32 v[80:81], v[66:67], v[68:69] neg_lo:[0,1] neg_hi:[0,1]
	v_mov_b32_e32 v71, v66
	v_pk_add_f32 v[66:67], v[80:81], v[70:71] neg_lo:[0,1] neg_hi:[0,1]
	v_add_f32_e32 v48, v85, v84
	v_add_f32_e32 v39, v39, v67
	;; [unrolled: 1-line block ×4, first 2 shown]
	v_sub_f32_e32 v66, v48, v85
	v_mul_f32_e32 v39, v83, v39
	v_sub_f32_e32 v66, v84, v66
	v_add_f32_e32 v39, v66, v39
	v_add_f32_e32 v66, v48, v39
	v_cvt_f32_i32_e32 v68, v82
	v_mul_f32_e32 v69, v66, v66
	v_mov_b32_e32 v67, 0x3ecc95a3
	v_fmac_f32_e32 v67, 0x3e9b6dac, v69
	v_fmaak_f32 v67, v69, v67, 0x3f2aaada
	v_sub_f32_e32 v48, v66, v48
	v_ldexp_f32 v71, v66, 1
	v_mul_f32_e32 v69, v66, v69
	v_mov_b32_e32 v66, 0x3f317218
	v_pk_mul_f32 v[66:67], v[68:69], v[66:67]
	v_sub_f32_e32 v39, v39, v48
	v_fma_f32 v48, v68, s52, -v66
	v_fmamk_f32 v70, v68, 0xb102e308, v48
	v_pk_add_f32 v[68:69], v[66:67], v[70:71]
	v_ldexp_f32 v39, v39, 1
	v_sub_f32_e32 v48, v69, v71
	v_sub_f32_e32 v48, v67, v48
	v_add_f32_e32 v81, v39, v48
	v_mov_b32_e32 v80, v66
	v_pk_add_f32 v[66:67], v[68:69], v[66:67] neg_lo:[0,1] neg_hi:[0,1]
	v_pk_add_f32 v[82:83], v[68:69], v[80:81]
	v_mov_b32_e32 v71, v68
	v_mov_b32_e32 v67, v83
	v_pk_add_f32 v[84:85], v[70:71], v[66:67] neg_lo:[0,1] neg_hi:[0,1]
	v_pk_add_f32 v[66:67], v[70:71], v[66:67]
	v_cmp_eq_f32_e64 s[52:53], s58, v96
	v_mov_b32_e32 v48, v67
	v_pk_add_f32 v[70:71], v[48:49], v[68:69] neg_lo:[0,1] neg_hi:[0,1]
	v_mov_b32_e32 v66, v83
	v_mov_b32_e32 v39, v70
	v_pk_add_f32 v[86:87], v[82:83], v[38:39] neg_lo:[0,1] neg_hi:[0,1]
	v_mov_b32_e32 v82, v69
	v_mov_b32_e32 v83, v70
	;; [unrolled: 1-line block ×3, first 2 shown]
	v_pk_add_f32 v[66:67], v[66:67], v[82:83] neg_lo:[0,1] neg_hi:[0,1]
	v_mov_b32_e32 v70, v81
	v_mov_b32_e32 v71, v68
	v_pk_add_f32 v[66:67], v[70:71], v[66:67] neg_lo:[0,1] neg_hi:[0,1]
	v_mov_b32_e32 v86, v84
	v_pk_add_f32 v[68:69], v[86:87], v[66:67]
	s_mov_b32 s58, 0x33800000
	v_mov_b32_e32 v70, v69
	v_pk_add_f32 v[70:71], v[68:69], v[70:71]
	v_cmp_lt_f32_e64 s[58:59], |v96|, s58
	v_pk_add_f32 v[80:81], v[48:49], v[70:71]
	v_mov_b32_e32 v67, v70
	v_mov_b32_e32 v69, v80
	v_pk_add_f32 v[82:83], v[68:69], v[84:85] neg_lo:[0,1] neg_hi:[0,1]
	s_or_b64 s[52:53], s[52:53], s[58:59]
	v_sub_f32_e32 v39, v68, v82
	v_pk_add_f32 v[66:67], v[66:67], v[82:83] neg_lo:[0,1] neg_hi:[0,1]
	v_sub_f32_e32 v39, v84, v39
	v_add_f32_e32 v39, v66, v39
	v_add_f32_e32 v39, v39, v67
	;; [unrolled: 1-line block ×3, first 2 shown]
	v_cndmask_b32_e64 v39, v39, v96, s[52:53]
	v_add_f32_e32 v37, v37, v39
	v_cvt_f16_f32_e32 v48, v37
.LBB388_331:
	s_or_b64 exec, exec, s[54:55]
	v_and_b32_e32 v39, 0xffff, v48
	v_mov_b32_e32 v37, v48
.LBB388_332:
	s_or_b64 exec, exec, s[56:57]
	v_mov_b32_dpp v48, v39 row_shr:8 row_mask:0xf bank_mask:0xf
	v_cmp_lt_u32_e64 s[52:53], 7, v38
	s_and_saveexec_b64 s[56:57], s[52:53]
	s_cbranch_execz .LBB388_336
; %bb.333:
	v_cvt_f32_f16_e32 v39, v48
	v_cvt_f32_f16_e32 v66, v37
	v_cmp_u_f16_e64 s[52:53], v48, v48
	v_cmp_u_f16_e64 s[54:55], v37, v37
	v_min_f32_e32 v38, v39, v66
	v_max_f32_e32 v37, v39, v66
	v_cndmask_b32_e64 v38, v38, v39, s[52:53]
	v_cndmask_b32_e64 v37, v37, v39, s[52:53]
	;; [unrolled: 1-line block ×4, first 2 shown]
	s_movk_i32 s54, 0x1f8
	v_cmp_neq_f32_e64 s[52:53], v38, v37
	v_cmp_class_f32_e64 s[54:55], v38, s54
	s_or_b64 s[52:53], s[52:53], s[54:55]
	s_and_saveexec_b64 s[54:55], s[52:53]
	s_cbranch_execz .LBB388_335
; %bb.334:
	v_sub_f32_e32 v38, v38, v37
	s_mov_b32 s52, 0x3fb8aa3b
	v_mul_f32_e32 v39, 0x3fb8aa3b, v38
	v_fma_f32 v48, v38, s52, -v39
	v_rndne_f32_e32 v66, v39
	v_fmamk_f32 v48, v38, 0x32a5705f, v48
	v_sub_f32_e32 v39, v39, v66
	v_add_f32_e32 v39, v39, v48
	v_exp_f32_e32 v39, v39
	v_cvt_i32_f32_e32 v48, v66
	s_mov_b32 s52, 0xc2ce8ed0
	v_cmp_ngt_f32_e64 s[52:53], s52, v38
	s_mov_b32 s58, 0x7f800000
	v_ldexp_f32 v39, v39, v48
	v_cndmask_b32_e64 v39, 0, v39, s[52:53]
	s_mov_b32 s52, 0x42b17218
	v_mov_b32_e32 v48, 0x7f800000
	v_cmp_nlt_f32_e64 s[52:53], s52, v38
	s_nop 1
	v_cndmask_b32_e64 v86, v48, v39, s[52:53]
	v_add_f32_e32 v48, 1.0, v86
	v_add_f32_e32 v38, -1.0, v48
	v_sub_f32_e32 v39, v38, v48
	v_add_f32_e32 v39, 1.0, v39
	v_sub_f32_e32 v38, v86, v38
	v_add_f32_e32 v66, v38, v39
	v_frexp_mant_f32_e32 v67, v48
	s_mov_b32 s52, 0x3f2aaaab
	v_cvt_f64_f32_e32 v[38:39], v48
	v_frexp_exp_i32_f64_e32 v38, v[38:39]
	v_cmp_gt_f32_e64 s[52:53], s52, v67
	s_nop 1
	v_subbrev_co_u32_e64 v80, s[52:53], 0, v38, s[52:53]
	v_sub_u32_e32 v38, 0, v80
	v_ldexp_f32 v39, v48, v38
	v_add_f32_e32 v48, -1.0, v39
	v_add_f32_e32 v67, 1.0, v39
	v_ldexp_f32 v38, v66, v38
	v_add_f32_e32 v66, 1.0, v48
	v_add_f32_e32 v68, -1.0, v67
	v_sub_f32_e32 v66, v39, v66
	v_sub_f32_e32 v39, v39, v68
	v_add_f32_e32 v66, v38, v66
	v_add_f32_e32 v38, v38, v39
	;; [unrolled: 1-line block ×3, first 2 shown]
	v_rcp_f32_e32 v83, v81
	v_sub_f32_e32 v39, v67, v81
	v_add_f32_e32 v82, v38, v39
	v_add_f32_e32 v39, v48, v66
	v_sub_f32_e32 v38, v48, v39
	v_mul_f32_e32 v84, v39, v83
	v_add_f32_e32 v48, v66, v38
	v_mul_f32_e32 v66, v81, v84
	v_fma_f32 v68, v84, v81, -v66
	v_fmac_f32_e32 v68, v84, v82
	v_add_f32_e32 v38, v66, v68
	v_sub_f32_e32 v67, v39, v38
	v_pk_add_f32 v[70:71], v[38:39], v[66:67] neg_lo:[0,1] neg_hi:[0,1]
	v_mov_b32_e32 v69, v38
	v_pk_add_f32 v[38:39], v[70:71], v[68:69] neg_lo:[0,1] neg_hi:[0,1]
	s_mov_b32 s52, 0x3f317218
	v_add_f32_e32 v39, v48, v39
	v_add_f32_e32 v38, v38, v39
	;; [unrolled: 1-line block ×3, first 2 shown]
	v_mul_f32_e32 v48, v83, v39
	v_mul_f32_e32 v66, v81, v48
	v_fma_f32 v68, v48, v81, -v66
	v_fmac_f32_e32 v68, v48, v82
	v_sub_f32_e32 v67, v67, v39
	v_add_f32_e32 v81, v38, v67
	v_add_f32_e32 v38, v66, v68
	v_sub_f32_e32 v67, v39, v38
	v_pk_add_f32 v[70:71], v[38:39], v[66:67] neg_lo:[0,1] neg_hi:[0,1]
	v_mov_b32_e32 v69, v38
	v_pk_add_f32 v[38:39], v[70:71], v[68:69] neg_lo:[0,1] neg_hi:[0,1]
	v_cvt_f32_i32_e32 v66, v80
	v_add_f32_e32 v39, v81, v39
	v_add_f32_e32 v38, v38, v39
	;; [unrolled: 1-line block ×4, first 2 shown]
	v_sub_f32_e32 v39, v67, v84
	v_mul_f32_e32 v38, v83, v38
	v_sub_f32_e32 v39, v48, v39
	v_add_f32_e32 v38, v39, v38
	v_add_f32_e32 v48, v67, v38
	v_mul_f32_e32 v68, v48, v48
	v_mov_b32_e32 v39, 0x3ecc95a3
	v_sub_f32_e32 v67, v48, v67
	v_fmac_f32_e32 v39, 0x3e9b6dac, v68
	v_sub_f32_e32 v38, v38, v67
	v_fmaak_f32 v39, v68, v39, 0x3f2aaada
	v_ldexp_f32 v70, v38, 1
	v_mul_f32_e32 v67, v48, v68
	v_mov_b32_e32 v38, 0x3f317218
	v_pk_mul_f32 v[38:39], v[66:67], v[38:39]
	v_ldexp_f32 v69, v48, 1
	v_fma_f32 v48, v66, s52, -v38
	v_fmamk_f32 v68, v66, 0xb102e308, v48
	v_pk_add_f32 v[66:67], v[38:39], v[68:69]
	v_cmp_eq_f32_e64 s[52:53], s58, v86
	v_sub_f32_e32 v48, v67, v69
	v_sub_f32_e32 v48, v39, v48
	v_add_f32_e32 v71, v70, v48
	v_mov_b32_e32 v70, v38
	v_pk_add_f32 v[38:39], v[66:67], v[38:39] neg_lo:[0,1] neg_hi:[0,1]
	v_pk_add_f32 v[80:81], v[66:67], v[70:71]
	v_mov_b32_e32 v69, v66
	v_mov_b32_e32 v39, v81
	v_pk_add_f32 v[82:83], v[68:69], v[38:39] neg_lo:[0,1] neg_hi:[0,1]
	v_pk_add_f32 v[38:39], v[68:69], v[38:39]
	s_mov_b32 s58, 0x33800000
	v_mov_b32_e32 v48, v39
	v_pk_add_f32 v[68:69], v[48:49], v[66:67] neg_lo:[0,1] neg_hi:[0,1]
	v_mov_b32_e32 v38, v81
	v_mov_b32_e32 v69, v68
	v_pk_add_f32 v[84:85], v[80:81], v[68:69] neg_lo:[0,1] neg_hi:[0,1]
	v_mov_b32_e32 v80, v67
	v_mov_b32_e32 v81, v68
	;; [unrolled: 1-line block ×3, first 2 shown]
	v_pk_add_f32 v[38:39], v[38:39], v[80:81] neg_lo:[0,1] neg_hi:[0,1]
	v_mov_b32_e32 v68, v71
	v_mov_b32_e32 v69, v66
	v_pk_add_f32 v[38:39], v[68:69], v[38:39] neg_lo:[0,1] neg_hi:[0,1]
	v_mov_b32_e32 v84, v82
	v_pk_add_f32 v[66:67], v[84:85], v[38:39]
	v_cmp_lt_f32_e64 s[58:59], |v86|, s58
	v_mov_b32_e32 v68, v67
	v_pk_add_f32 v[68:69], v[66:67], v[68:69]
	s_or_b64 s[52:53], s[52:53], s[58:59]
	v_pk_add_f32 v[70:71], v[48:49], v[68:69]
	v_mov_b32_e32 v39, v68
	v_mov_b32_e32 v67, v70
	v_pk_add_f32 v[80:81], v[66:67], v[82:83] neg_lo:[0,1] neg_hi:[0,1]
	s_nop 0
	v_sub_f32_e32 v48, v66, v80
	v_pk_add_f32 v[38:39], v[38:39], v[80:81] neg_lo:[0,1] neg_hi:[0,1]
	v_sub_f32_e32 v48, v82, v48
	v_add_f32_e32 v38, v38, v48
	v_add_f32_e32 v38, v38, v39
	;; [unrolled: 1-line block ×3, first 2 shown]
	v_cndmask_b32_e64 v38, v38, v86, s[52:53]
	v_add_f32_e32 v37, v37, v38
	v_cvt_f16_f32_e32 v48, v37
.LBB388_335:
	s_or_b64 exec, exec, s[54:55]
	v_and_b32_e32 v39, 0xffff, v48
	v_mov_b32_e32 v37, v48
.LBB388_336:
	s_or_b64 exec, exec, s[56:57]
	v_and_b32_e32 v48, 16, v19
	v_mov_b32_dpp v38, v39 row_bcast:15 row_mask:0xf bank_mask:0xf
	v_cmp_ne_u32_e64 s[52:53], 0, v48
	s_and_saveexec_b64 s[56:57], s[52:53]
	s_cbranch_execz .LBB388_340
; %bb.337:
	v_cvt_f32_f16_e32 v48, v38
	v_cvt_f32_f16_e32 v66, v37
	v_cmp_u_f16_e64 s[52:53], v38, v38
	v_cmp_u_f16_e64 s[54:55], v37, v37
	v_min_f32_e32 v39, v48, v66
	v_max_f32_e32 v37, v48, v66
	v_cndmask_b32_e64 v39, v39, v48, s[52:53]
	v_cndmask_b32_e64 v37, v37, v48, s[52:53]
	v_cndmask_b32_e64 v39, v39, v66, s[54:55]
	v_cndmask_b32_e64 v37, v37, v66, s[54:55]
	s_movk_i32 s54, 0x1f8
	v_cmp_neq_f32_e64 s[52:53], v39, v37
	v_cmp_class_f32_e64 s[54:55], v39, s54
	s_or_b64 s[52:53], s[52:53], s[54:55]
	s_and_saveexec_b64 s[54:55], s[52:53]
	s_cbranch_execz .LBB388_339
; %bb.338:
	v_sub_f32_e32 v38, v39, v37
	s_mov_b32 s52, 0x3fb8aa3b
	v_mul_f32_e32 v39, 0x3fb8aa3b, v38
	v_fma_f32 v48, v38, s52, -v39
	v_rndne_f32_e32 v66, v39
	v_fmamk_f32 v48, v38, 0x32a5705f, v48
	v_sub_f32_e32 v39, v39, v66
	v_add_f32_e32 v39, v39, v48
	v_exp_f32_e32 v39, v39
	v_cvt_i32_f32_e32 v48, v66
	s_mov_b32 s52, 0xc2ce8ed0
	v_cmp_ngt_f32_e64 s[52:53], s52, v38
	s_mov_b32 s58, 0x7f800000
	v_ldexp_f32 v39, v39, v48
	v_cndmask_b32_e64 v39, 0, v39, s[52:53]
	s_mov_b32 s52, 0x42b17218
	v_mov_b32_e32 v48, 0x7f800000
	v_cmp_nlt_f32_e64 s[52:53], s52, v38
	s_nop 1
	v_cndmask_b32_e64 v86, v48, v39, s[52:53]
	v_add_f32_e32 v48, 1.0, v86
	v_add_f32_e32 v38, -1.0, v48
	v_sub_f32_e32 v39, v38, v48
	v_add_f32_e32 v39, 1.0, v39
	v_sub_f32_e32 v38, v86, v38
	v_add_f32_e32 v66, v38, v39
	v_frexp_mant_f32_e32 v67, v48
	s_mov_b32 s52, 0x3f2aaaab
	v_cvt_f64_f32_e32 v[38:39], v48
	v_frexp_exp_i32_f64_e32 v38, v[38:39]
	v_cmp_gt_f32_e64 s[52:53], s52, v67
	s_nop 1
	v_subbrev_co_u32_e64 v80, s[52:53], 0, v38, s[52:53]
	v_sub_u32_e32 v38, 0, v80
	v_ldexp_f32 v39, v48, v38
	v_add_f32_e32 v48, -1.0, v39
	v_add_f32_e32 v67, 1.0, v39
	v_ldexp_f32 v38, v66, v38
	v_add_f32_e32 v66, 1.0, v48
	v_add_f32_e32 v68, -1.0, v67
	v_sub_f32_e32 v66, v39, v66
	v_sub_f32_e32 v39, v39, v68
	v_add_f32_e32 v66, v38, v66
	v_add_f32_e32 v38, v38, v39
	;; [unrolled: 1-line block ×3, first 2 shown]
	v_rcp_f32_e32 v83, v81
	v_sub_f32_e32 v39, v67, v81
	v_add_f32_e32 v82, v38, v39
	v_add_f32_e32 v39, v48, v66
	v_sub_f32_e32 v38, v48, v39
	v_mul_f32_e32 v84, v39, v83
	v_add_f32_e32 v48, v66, v38
	v_mul_f32_e32 v66, v81, v84
	v_fma_f32 v68, v84, v81, -v66
	v_fmac_f32_e32 v68, v84, v82
	v_add_f32_e32 v38, v66, v68
	v_sub_f32_e32 v67, v39, v38
	v_pk_add_f32 v[70:71], v[38:39], v[66:67] neg_lo:[0,1] neg_hi:[0,1]
	v_mov_b32_e32 v69, v38
	v_pk_add_f32 v[38:39], v[70:71], v[68:69] neg_lo:[0,1] neg_hi:[0,1]
	s_mov_b32 s52, 0x3f317218
	v_add_f32_e32 v39, v48, v39
	v_add_f32_e32 v38, v38, v39
	;; [unrolled: 1-line block ×3, first 2 shown]
	v_mul_f32_e32 v48, v83, v39
	v_mul_f32_e32 v66, v81, v48
	v_fma_f32 v68, v48, v81, -v66
	v_fmac_f32_e32 v68, v48, v82
	v_sub_f32_e32 v67, v67, v39
	v_add_f32_e32 v81, v38, v67
	v_add_f32_e32 v38, v66, v68
	v_sub_f32_e32 v67, v39, v38
	v_pk_add_f32 v[70:71], v[38:39], v[66:67] neg_lo:[0,1] neg_hi:[0,1]
	v_mov_b32_e32 v69, v38
	v_pk_add_f32 v[38:39], v[70:71], v[68:69] neg_lo:[0,1] neg_hi:[0,1]
	v_cvt_f32_i32_e32 v66, v80
	v_add_f32_e32 v39, v81, v39
	v_add_f32_e32 v38, v38, v39
	;; [unrolled: 1-line block ×4, first 2 shown]
	v_sub_f32_e32 v39, v67, v84
	v_mul_f32_e32 v38, v83, v38
	v_sub_f32_e32 v39, v48, v39
	v_add_f32_e32 v38, v39, v38
	v_add_f32_e32 v48, v67, v38
	v_mul_f32_e32 v68, v48, v48
	v_mov_b32_e32 v39, 0x3ecc95a3
	v_sub_f32_e32 v67, v48, v67
	v_fmac_f32_e32 v39, 0x3e9b6dac, v68
	v_sub_f32_e32 v38, v38, v67
	v_fmaak_f32 v39, v68, v39, 0x3f2aaada
	v_ldexp_f32 v70, v38, 1
	v_mul_f32_e32 v67, v48, v68
	v_mov_b32_e32 v38, 0x3f317218
	v_pk_mul_f32 v[38:39], v[66:67], v[38:39]
	v_ldexp_f32 v69, v48, 1
	v_fma_f32 v48, v66, s52, -v38
	v_fmamk_f32 v68, v66, 0xb102e308, v48
	v_pk_add_f32 v[66:67], v[38:39], v[68:69]
	v_cmp_eq_f32_e64 s[52:53], s58, v86
	v_sub_f32_e32 v48, v67, v69
	v_sub_f32_e32 v48, v39, v48
	v_add_f32_e32 v71, v70, v48
	v_mov_b32_e32 v70, v38
	v_pk_add_f32 v[38:39], v[66:67], v[38:39] neg_lo:[0,1] neg_hi:[0,1]
	v_pk_add_f32 v[80:81], v[66:67], v[70:71]
	v_mov_b32_e32 v69, v66
	v_mov_b32_e32 v39, v81
	v_pk_add_f32 v[82:83], v[68:69], v[38:39] neg_lo:[0,1] neg_hi:[0,1]
	v_pk_add_f32 v[38:39], v[68:69], v[38:39]
	s_mov_b32 s58, 0x33800000
	v_mov_b32_e32 v48, v39
	v_pk_add_f32 v[68:69], v[48:49], v[66:67] neg_lo:[0,1] neg_hi:[0,1]
	v_mov_b32_e32 v38, v81
	v_mov_b32_e32 v69, v68
	v_pk_add_f32 v[84:85], v[80:81], v[68:69] neg_lo:[0,1] neg_hi:[0,1]
	v_mov_b32_e32 v80, v67
	v_mov_b32_e32 v81, v68
	;; [unrolled: 1-line block ×3, first 2 shown]
	v_pk_add_f32 v[38:39], v[38:39], v[80:81] neg_lo:[0,1] neg_hi:[0,1]
	v_mov_b32_e32 v68, v71
	v_mov_b32_e32 v69, v66
	v_pk_add_f32 v[38:39], v[68:69], v[38:39] neg_lo:[0,1] neg_hi:[0,1]
	v_mov_b32_e32 v84, v82
	v_pk_add_f32 v[66:67], v[84:85], v[38:39]
	v_cmp_lt_f32_e64 s[58:59], |v86|, s58
	v_mov_b32_e32 v68, v67
	v_pk_add_f32 v[68:69], v[66:67], v[68:69]
	s_or_b64 s[52:53], s[52:53], s[58:59]
	v_pk_add_f32 v[70:71], v[48:49], v[68:69]
	v_mov_b32_e32 v39, v68
	v_mov_b32_e32 v67, v70
	v_pk_add_f32 v[80:81], v[66:67], v[82:83] neg_lo:[0,1] neg_hi:[0,1]
	s_nop 0
	v_sub_f32_e32 v48, v66, v80
	v_pk_add_f32 v[38:39], v[38:39], v[80:81] neg_lo:[0,1] neg_hi:[0,1]
	v_sub_f32_e32 v48, v82, v48
	v_add_f32_e32 v38, v38, v48
	v_add_f32_e32 v38, v38, v39
	;; [unrolled: 1-line block ×3, first 2 shown]
	v_cndmask_b32_e64 v38, v38, v86, s[52:53]
	v_add_f32_e32 v37, v37, v38
	v_cvt_f16_f32_e32 v38, v37
.LBB388_339:
	s_or_b64 exec, exec, s[54:55]
	v_and_b32_e32 v39, 0xffff, v38
	v_mov_b32_e32 v37, v38
.LBB388_340:
	s_or_b64 exec, exec, s[56:57]
	v_mov_b32_dpp v38, v39 row_bcast:31 row_mask:0xf bank_mask:0xf
	v_cmp_lt_u32_e64 s[52:53], 31, v19
	s_and_saveexec_b64 s[56:57], s[52:53]
	s_cbranch_execz .LBB388_344
; %bb.341:
	v_cvt_f32_f16_e32 v48, v38
	v_cvt_f32_f16_e32 v66, v37
	v_cmp_u_f16_e64 s[52:53], v38, v38
	v_cmp_u_f16_e64 s[54:55], v37, v37
	v_min_f32_e32 v39, v48, v66
	v_max_f32_e32 v37, v48, v66
	v_cndmask_b32_e64 v39, v39, v48, s[52:53]
	v_cndmask_b32_e64 v37, v37, v48, s[52:53]
	;; [unrolled: 1-line block ×4, first 2 shown]
	s_movk_i32 s54, 0x1f8
	v_cmp_neq_f32_e64 s[52:53], v39, v37
	v_cmp_class_f32_e64 s[54:55], v39, s54
	s_or_b64 s[52:53], s[52:53], s[54:55]
	s_and_saveexec_b64 s[54:55], s[52:53]
	s_cbranch_execz .LBB388_343
; %bb.342:
	v_sub_f32_e32 v38, v39, v37
	s_mov_b32 s52, 0x3fb8aa3b
	v_mul_f32_e32 v39, 0x3fb8aa3b, v38
	v_fma_f32 v48, v38, s52, -v39
	v_rndne_f32_e32 v66, v39
	v_fmamk_f32 v48, v38, 0x32a5705f, v48
	v_sub_f32_e32 v39, v39, v66
	v_add_f32_e32 v39, v39, v48
	v_exp_f32_e32 v39, v39
	v_cvt_i32_f32_e32 v48, v66
	s_mov_b32 s52, 0xc2ce8ed0
	v_cmp_ngt_f32_e64 s[52:53], s52, v38
	s_mov_b32 s58, 0x7f800000
	v_ldexp_f32 v39, v39, v48
	v_cndmask_b32_e64 v39, 0, v39, s[52:53]
	s_mov_b32 s52, 0x42b17218
	v_mov_b32_e32 v48, 0x7f800000
	v_cmp_nlt_f32_e64 s[52:53], s52, v38
	s_nop 1
	v_cndmask_b32_e64 v86, v48, v39, s[52:53]
	v_add_f32_e32 v48, 1.0, v86
	v_add_f32_e32 v38, -1.0, v48
	v_sub_f32_e32 v39, v38, v48
	v_add_f32_e32 v39, 1.0, v39
	v_sub_f32_e32 v38, v86, v38
	v_add_f32_e32 v66, v38, v39
	v_frexp_mant_f32_e32 v67, v48
	s_mov_b32 s52, 0x3f2aaaab
	v_cvt_f64_f32_e32 v[38:39], v48
	v_frexp_exp_i32_f64_e32 v38, v[38:39]
	v_cmp_gt_f32_e64 s[52:53], s52, v67
	s_nop 1
	v_subbrev_co_u32_e64 v80, s[52:53], 0, v38, s[52:53]
	v_sub_u32_e32 v38, 0, v80
	v_ldexp_f32 v39, v48, v38
	v_add_f32_e32 v48, -1.0, v39
	v_add_f32_e32 v67, 1.0, v39
	v_ldexp_f32 v38, v66, v38
	v_add_f32_e32 v66, 1.0, v48
	v_add_f32_e32 v68, -1.0, v67
	v_sub_f32_e32 v66, v39, v66
	v_sub_f32_e32 v39, v39, v68
	v_add_f32_e32 v66, v38, v66
	v_add_f32_e32 v38, v38, v39
	;; [unrolled: 1-line block ×3, first 2 shown]
	v_rcp_f32_e32 v83, v81
	v_sub_f32_e32 v39, v67, v81
	v_add_f32_e32 v82, v38, v39
	v_add_f32_e32 v39, v48, v66
	v_sub_f32_e32 v38, v48, v39
	v_mul_f32_e32 v84, v39, v83
	v_add_f32_e32 v48, v66, v38
	v_mul_f32_e32 v66, v81, v84
	v_fma_f32 v68, v84, v81, -v66
	v_fmac_f32_e32 v68, v84, v82
	v_add_f32_e32 v38, v66, v68
	v_sub_f32_e32 v67, v39, v38
	v_pk_add_f32 v[70:71], v[38:39], v[66:67] neg_lo:[0,1] neg_hi:[0,1]
	v_mov_b32_e32 v69, v38
	v_pk_add_f32 v[38:39], v[70:71], v[68:69] neg_lo:[0,1] neg_hi:[0,1]
	s_mov_b32 s52, 0x3f317218
	v_add_f32_e32 v39, v48, v39
	v_add_f32_e32 v38, v38, v39
	;; [unrolled: 1-line block ×3, first 2 shown]
	v_mul_f32_e32 v48, v83, v39
	v_mul_f32_e32 v66, v81, v48
	v_fma_f32 v68, v48, v81, -v66
	v_fmac_f32_e32 v68, v48, v82
	v_sub_f32_e32 v67, v67, v39
	v_add_f32_e32 v81, v38, v67
	v_add_f32_e32 v38, v66, v68
	v_sub_f32_e32 v67, v39, v38
	v_pk_add_f32 v[70:71], v[38:39], v[66:67] neg_lo:[0,1] neg_hi:[0,1]
	v_mov_b32_e32 v69, v38
	v_pk_add_f32 v[38:39], v[70:71], v[68:69] neg_lo:[0,1] neg_hi:[0,1]
	v_cvt_f32_i32_e32 v66, v80
	v_add_f32_e32 v39, v81, v39
	v_add_f32_e32 v38, v38, v39
	;; [unrolled: 1-line block ×4, first 2 shown]
	v_sub_f32_e32 v39, v67, v84
	v_mul_f32_e32 v38, v83, v38
	v_sub_f32_e32 v39, v48, v39
	v_add_f32_e32 v38, v39, v38
	v_add_f32_e32 v48, v67, v38
	v_mul_f32_e32 v68, v48, v48
	v_mov_b32_e32 v39, 0x3ecc95a3
	v_sub_f32_e32 v67, v48, v67
	v_fmac_f32_e32 v39, 0x3e9b6dac, v68
	v_sub_f32_e32 v38, v38, v67
	v_fmaak_f32 v39, v68, v39, 0x3f2aaada
	v_ldexp_f32 v70, v38, 1
	v_mul_f32_e32 v67, v48, v68
	v_mov_b32_e32 v38, 0x3f317218
	v_pk_mul_f32 v[38:39], v[66:67], v[38:39]
	v_ldexp_f32 v69, v48, 1
	v_fma_f32 v48, v66, s52, -v38
	v_fmamk_f32 v68, v66, 0xb102e308, v48
	v_pk_add_f32 v[66:67], v[38:39], v[68:69]
	v_cmp_eq_f32_e64 s[52:53], s58, v86
	v_sub_f32_e32 v48, v67, v69
	v_sub_f32_e32 v48, v39, v48
	v_add_f32_e32 v71, v70, v48
	v_mov_b32_e32 v70, v38
	v_pk_add_f32 v[38:39], v[66:67], v[38:39] neg_lo:[0,1] neg_hi:[0,1]
	v_pk_add_f32 v[80:81], v[66:67], v[70:71]
	v_mov_b32_e32 v69, v66
	v_mov_b32_e32 v39, v81
	v_pk_add_f32 v[82:83], v[68:69], v[38:39] neg_lo:[0,1] neg_hi:[0,1]
	v_pk_add_f32 v[38:39], v[68:69], v[38:39]
	s_mov_b32 s58, 0x33800000
	v_mov_b32_e32 v48, v39
	v_pk_add_f32 v[68:69], v[48:49], v[66:67] neg_lo:[0,1] neg_hi:[0,1]
	v_mov_b32_e32 v38, v81
	v_mov_b32_e32 v69, v68
	v_pk_add_f32 v[84:85], v[80:81], v[68:69] neg_lo:[0,1] neg_hi:[0,1]
	v_mov_b32_e32 v80, v67
	v_mov_b32_e32 v81, v68
	;; [unrolled: 1-line block ×3, first 2 shown]
	v_pk_add_f32 v[38:39], v[38:39], v[80:81] neg_lo:[0,1] neg_hi:[0,1]
	v_mov_b32_e32 v68, v71
	v_mov_b32_e32 v69, v66
	v_pk_add_f32 v[38:39], v[68:69], v[38:39] neg_lo:[0,1] neg_hi:[0,1]
	v_mov_b32_e32 v84, v82
	v_pk_add_f32 v[66:67], v[84:85], v[38:39]
	v_cmp_lt_f32_e64 s[58:59], |v86|, s58
	v_mov_b32_e32 v68, v67
	v_pk_add_f32 v[68:69], v[66:67], v[68:69]
	s_or_b64 s[52:53], s[52:53], s[58:59]
	v_pk_add_f32 v[70:71], v[48:49], v[68:69]
	v_mov_b32_e32 v39, v68
	v_mov_b32_e32 v67, v70
	v_pk_add_f32 v[80:81], v[66:67], v[82:83] neg_lo:[0,1] neg_hi:[0,1]
	s_nop 0
	v_sub_f32_e32 v48, v66, v80
	v_pk_add_f32 v[38:39], v[38:39], v[80:81] neg_lo:[0,1] neg_hi:[0,1]
	v_sub_f32_e32 v48, v82, v48
	v_add_f32_e32 v38, v38, v48
	v_add_f32_e32 v38, v38, v39
	;; [unrolled: 1-line block ×3, first 2 shown]
	v_cndmask_b32_e64 v38, v38, v86, s[52:53]
	v_add_f32_e32 v37, v37, v38
	v_cvt_f16_f32_e32 v38, v37
.LBB388_343:
	s_or_b64 exec, exec, s[54:55]
	v_mov_b32_e32 v37, v38
.LBB388_344:
	s_or_b64 exec, exec, s[56:57]
	v_and_b32_e32 v39, 0x3c0, v32
	v_min_u32_e32 v39, 0xc0, v39
	v_or_b32_e32 v39, 63, v39
	v_lshrrev_b32_e32 v38, 6, v32
	v_cmp_eq_u32_e64 s[52:53], v39, v32
	s_and_saveexec_b64 s[54:55], s[52:53]
	s_cbranch_execz .LBB388_346
; %bb.345:
	v_lshlrev_b32_e32 v39, 1, v38
	ds_write_b16 v39, v37
.LBB388_346:
	s_or_b64 exec, exec, s[54:55]
	v_cmp_gt_u32_e64 s[52:53], 4, v32
	s_waitcnt lgkmcnt(0)
	s_barrier
	s_and_saveexec_b64 s[56:57], s[52:53]
	s_cbranch_execz .LBB388_356
; %bb.347:
	ds_read_u16 v48, v0
	v_and_b32_e32 v39, 3, v19
	v_cmp_ne_u32_e64 s[52:53], 0, v39
	s_waitcnt lgkmcnt(0)
	v_and_b32_e32 v67, 0xffff, v48
	s_nop 1
	v_mov_b32_dpp v66, v67 row_shr:1 row_mask:0xf bank_mask:0xf
	s_and_saveexec_b64 s[58:59], s[52:53]
	s_cbranch_execz .LBB388_351
; %bb.348:
	v_cvt_f32_f16_e32 v68, v66
	v_cvt_f32_f16_e32 v69, v48
	v_cmp_u_f16_e64 s[52:53], v66, v66
	v_cmp_u_f16_e64 s[54:55], v48, v48
	v_min_f32_e32 v67, v68, v69
	v_max_f32_e32 v48, v68, v69
	v_cndmask_b32_e64 v67, v67, v68, s[52:53]
	v_cndmask_b32_e64 v48, v48, v68, s[52:53]
	;; [unrolled: 1-line block ×4, first 2 shown]
	s_movk_i32 s54, 0x1f8
	v_cmp_neq_f32_e64 s[52:53], v67, v48
	v_cmp_class_f32_e64 s[54:55], v67, s54
	s_or_b64 s[52:53], s[52:53], s[54:55]
	s_and_saveexec_b64 s[54:55], s[52:53]
	s_cbranch_execz .LBB388_350
; %bb.349:
	v_sub_f32_e32 v66, v67, v48
	s_mov_b32 s52, 0x3fb8aa3b
	v_mul_f32_e32 v67, 0x3fb8aa3b, v66
	v_fma_f32 v68, v66, s52, -v67
	v_rndne_f32_e32 v69, v67
	v_fmamk_f32 v68, v66, 0x32a5705f, v68
	v_sub_f32_e32 v67, v67, v69
	v_add_f32_e32 v67, v67, v68
	v_exp_f32_e32 v67, v67
	v_cvt_i32_f32_e32 v68, v69
	s_mov_b32 s52, 0xc2ce8ed0
	v_cmp_ngt_f32_e64 s[52:53], s52, v66
	s_mov_b32 s60, 0x7f800000
	v_ldexp_f32 v67, v67, v68
	v_cndmask_b32_e64 v67, 0, v67, s[52:53]
	s_mov_b32 s52, 0x42b17218
	v_mov_b32_e32 v68, 0x7f800000
	v_cmp_nlt_f32_e64 s[52:53], s52, v66
	s_nop 1
	v_cndmask_b32_e64 v98, v68, v67, s[52:53]
	v_add_f32_e32 v68, 1.0, v98
	v_add_f32_e32 v66, -1.0, v68
	v_sub_f32_e32 v67, v66, v68
	v_add_f32_e32 v67, 1.0, v67
	v_sub_f32_e32 v66, v98, v66
	v_add_f32_e32 v69, v66, v67
	v_frexp_mant_f32_e32 v70, v68
	s_mov_b32 s52, 0x3f2aaaab
	v_cvt_f64_f32_e32 v[66:67], v68
	v_frexp_exp_i32_f64_e32 v66, v[66:67]
	v_cmp_gt_f32_e64 s[52:53], s52, v70
	s_nop 1
	v_subbrev_co_u32_e64 v82, s[52:53], 0, v66, s[52:53]
	v_sub_u32_e32 v66, 0, v82
	v_ldexp_f32 v67, v68, v66
	v_add_f32_e32 v68, -1.0, v67
	v_add_f32_e32 v70, 1.0, v67
	v_ldexp_f32 v66, v69, v66
	v_add_f32_e32 v69, 1.0, v68
	v_add_f32_e32 v71, -1.0, v70
	v_sub_f32_e32 v69, v67, v69
	v_sub_f32_e32 v67, v67, v71
	v_add_f32_e32 v69, v66, v69
	v_add_f32_e32 v66, v66, v67
	;; [unrolled: 1-line block ×3, first 2 shown]
	v_rcp_f32_e32 v85, v83
	v_sub_f32_e32 v67, v70, v83
	v_add_f32_e32 v84, v66, v67
	v_add_f32_e32 v67, v68, v69
	v_mul_f32_e32 v87, v67, v85
	v_sub_f32_e32 v66, v68, v67
	v_mul_f32_e32 v68, v83, v87
	v_fma_f32 v70, v87, v83, -v68
	v_fmac_f32_e32 v70, v87, v84
	v_add_f32_e32 v86, v69, v66
	v_add_f32_e32 v66, v68, v70
	v_sub_f32_e32 v69, v67, v66
	v_pk_add_f32 v[80:81], v[66:67], v[68:69] neg_lo:[0,1] neg_hi:[0,1]
	v_mov_b32_e32 v71, v66
	v_pk_add_f32 v[66:67], v[80:81], v[70:71] neg_lo:[0,1] neg_hi:[0,1]
	s_mov_b32 s52, 0x3f317218
	v_add_f32_e32 v67, v86, v67
	v_add_f32_e32 v66, v66, v67
	;; [unrolled: 1-line block ×3, first 2 shown]
	v_mul_f32_e32 v86, v85, v67
	v_mul_f32_e32 v68, v83, v86
	v_fma_f32 v70, v86, v83, -v68
	v_fmac_f32_e32 v70, v86, v84
	v_sub_f32_e32 v69, v69, v67
	v_add_f32_e32 v83, v66, v69
	v_add_f32_e32 v66, v68, v70
	v_sub_f32_e32 v69, v67, v66
	v_pk_add_f32 v[80:81], v[66:67], v[68:69] neg_lo:[0,1] neg_hi:[0,1]
	v_mov_b32_e32 v71, v66
	v_pk_add_f32 v[66:67], v[80:81], v[70:71] neg_lo:[0,1] neg_hi:[0,1]
	v_cvt_f32_i32_e32 v68, v82
	v_add_f32_e32 v67, v83, v67
	v_add_f32_e32 v66, v66, v67
	;; [unrolled: 1-line block ×4, first 2 shown]
	v_sub_f32_e32 v67, v69, v87
	v_mul_f32_e32 v66, v85, v66
	v_sub_f32_e32 v67, v86, v67
	v_add_f32_e32 v66, v67, v66
	v_add_f32_e32 v70, v69, v66
	v_mul_f32_e32 v80, v70, v70
	v_mov_b32_e32 v67, 0x3ecc95a3
	v_sub_f32_e32 v69, v70, v69
	v_fmac_f32_e32 v67, 0x3e9b6dac, v80
	v_sub_f32_e32 v66, v66, v69
	v_fmaak_f32 v67, v80, v67, 0x3f2aaada
	v_ldexp_f32 v81, v66, 1
	v_mul_f32_e32 v69, v70, v80
	v_mov_b32_e32 v66, 0x3f317218
	v_pk_mul_f32 v[66:67], v[68:69], v[66:67]
	v_ldexp_f32 v71, v70, 1
	v_fma_f32 v69, v68, s52, -v66
	v_fmamk_f32 v70, v68, 0xb102e308, v69
	v_pk_add_f32 v[68:69], v[66:67], v[70:71]
	v_mov_b32_e32 v80, v66
	v_sub_f32_e32 v71, v69, v71
	v_sub_f32_e32 v71, v67, v71
	v_add_f32_e32 v81, v81, v71
	v_pk_add_f32 v[66:67], v[68:69], v[66:67] neg_lo:[0,1] neg_hi:[0,1]
	v_pk_add_f32 v[82:83], v[68:69], v[80:81]
	v_mov_b32_e32 v71, v68
	v_mov_b32_e32 v67, v83
	v_pk_add_f32 v[84:85], v[70:71], v[66:67] neg_lo:[0,1] neg_hi:[0,1]
	v_pk_add_f32 v[66:67], v[70:71], v[66:67]
	v_mov_b32_e32 v80, v81
	v_mov_b32_e32 v70, v67
	v_pk_add_f32 v[86:87], v[70:71], v[68:69] neg_lo:[0,1] neg_hi:[0,1]
	v_mov_b32_e32 v66, v83
	v_mov_b32_e32 v71, v86
	v_pk_add_f32 v[96:97], v[82:83], v[70:71] neg_lo:[0,1] neg_hi:[0,1]
	v_mov_b32_e32 v82, v69
	v_mov_b32_e32 v83, v86
	;; [unrolled: 1-line block ×3, first 2 shown]
	v_pk_add_f32 v[66:67], v[66:67], v[82:83] neg_lo:[0,1] neg_hi:[0,1]
	v_mov_b32_e32 v81, v68
	v_pk_add_f32 v[66:67], v[80:81], v[66:67] neg_lo:[0,1] neg_hi:[0,1]
	v_mov_b32_e32 v96, v84
	v_pk_add_f32 v[68:69], v[96:97], v[66:67]
	v_cmp_eq_f32_e64 s[52:53], s60, v98
	v_mov_b32_e32 v80, v69
	v_pk_add_f32 v[80:81], v[68:69], v[80:81]
	s_mov_b32 s60, 0x33800000
	v_pk_add_f32 v[70:71], v[70:71], v[80:81]
	v_mov_b32_e32 v67, v80
	v_mov_b32_e32 v69, v70
	v_pk_add_f32 v[82:83], v[68:69], v[84:85] neg_lo:[0,1] neg_hi:[0,1]
	v_cmp_lt_f32_e64 s[60:61], |v98|, s60
	v_sub_f32_e32 v68, v68, v82
	v_pk_add_f32 v[66:67], v[66:67], v[82:83] neg_lo:[0,1] neg_hi:[0,1]
	v_sub_f32_e32 v68, v84, v68
	v_add_f32_e32 v66, v66, v68
	v_add_f32_e32 v66, v66, v67
	;; [unrolled: 1-line block ×3, first 2 shown]
	s_or_b64 s[52:53], s[52:53], s[60:61]
	v_cndmask_b32_e64 v66, v66, v98, s[52:53]
	v_add_f32_e32 v48, v48, v66
	v_cvt_f16_f32_e32 v66, v48
.LBB388_350:
	s_or_b64 exec, exec, s[54:55]
	v_and_b32_e32 v67, 0xffff, v66
	v_mov_b32_e32 v48, v66
.LBB388_351:
	s_or_b64 exec, exec, s[58:59]
	v_mov_b32_dpp v66, v67 row_shr:2 row_mask:0xf bank_mask:0xf
	v_cmp_lt_u32_e64 s[52:53], 1, v39
	s_and_saveexec_b64 s[58:59], s[52:53]
	s_cbranch_execz .LBB388_355
; %bb.352:
	v_cvt_f32_f16_e32 v39, v66
	v_cvt_f32_f16_e32 v67, v48
	v_cmp_u_f16_e64 s[52:53], v66, v66
	v_cmp_u_f16_e64 s[54:55], v48, v48
	v_min_f32_e32 v68, v39, v67
	v_cndmask_b32_e64 v68, v68, v39, s[52:53]
	v_cndmask_b32_e64 v48, v68, v67, s[54:55]
	v_max_f32_e32 v68, v39, v67
	v_cndmask_b32_e64 v39, v68, v39, s[52:53]
	v_cndmask_b32_e64 v39, v39, v67, s[54:55]
	s_movk_i32 s54, 0x1f8
	v_cmp_neq_f32_e64 s[52:53], v48, v39
	v_cmp_class_f32_e64 s[54:55], v48, s54
	s_or_b64 s[52:53], s[52:53], s[54:55]
	s_and_saveexec_b64 s[54:55], s[52:53]
	s_cbranch_execz .LBB388_354
; %bb.353:
	v_sub_f32_e32 v48, v48, v39
	s_mov_b32 s52, 0x3fb8aa3b
	v_mul_f32_e32 v66, 0x3fb8aa3b, v48
	v_fma_f32 v67, v48, s52, -v66
	v_rndne_f32_e32 v68, v66
	v_fmamk_f32 v67, v48, 0x32a5705f, v67
	v_sub_f32_e32 v66, v66, v68
	v_add_f32_e32 v66, v66, v67
	v_exp_f32_e32 v66, v66
	v_cvt_i32_f32_e32 v67, v68
	s_mov_b32 s52, 0xc2ce8ed0
	v_cmp_ngt_f32_e64 s[52:53], s52, v48
	s_mov_b32 s60, 0x7f800000
	v_ldexp_f32 v66, v66, v67
	v_cndmask_b32_e64 v66, 0, v66, s[52:53]
	s_mov_b32 s52, 0x42b17218
	v_mov_b32_e32 v67, 0x7f800000
	v_cmp_nlt_f32_e64 s[52:53], s52, v48
	s_nop 1
	v_cndmask_b32_e64 v96, v67, v66, s[52:53]
	v_add_f32_e32 v48, 1.0, v96
	v_add_f32_e32 v66, -1.0, v48
	v_sub_f32_e32 v67, v66, v48
	v_add_f32_e32 v67, 1.0, v67
	v_sub_f32_e32 v66, v96, v66
	v_add_f32_e32 v68, v66, v67
	v_frexp_mant_f32_e32 v69, v48
	s_mov_b32 s52, 0x3f2aaaab
	v_cvt_f64_f32_e32 v[66:67], v48
	v_frexp_exp_i32_f64_e32 v66, v[66:67]
	v_cmp_gt_f32_e64 s[52:53], s52, v69
	s_nop 1
	v_subbrev_co_u32_e64 v82, s[52:53], 0, v66, s[52:53]
	v_sub_u32_e32 v66, 0, v82
	v_ldexp_f32 v48, v48, v66
	v_ldexp_f32 v66, v68, v66
	v_add_f32_e32 v68, -1.0, v48
	v_add_f32_e32 v67, 1.0, v68
	v_sub_f32_e32 v67, v48, v67
	v_add_f32_e32 v69, v66, v67
	v_add_f32_e32 v67, 1.0, v48
	v_add_f32_e32 v70, -1.0, v67
	v_sub_f32_e32 v48, v48, v70
	v_add_f32_e32 v48, v66, v48
	v_add_f32_e32 v83, v67, v48
	v_rcp_f32_e32 v84, v83
	v_sub_f32_e32 v66, v67, v83
	v_add_f32_e32 v67, v68, v69
	v_add_f32_e32 v48, v48, v66
	v_mul_f32_e32 v86, v67, v84
	v_sub_f32_e32 v66, v68, v67
	v_mul_f32_e32 v68, v83, v86
	v_fma_f32 v70, v86, v83, -v68
	v_fmac_f32_e32 v70, v86, v48
	v_add_f32_e32 v85, v69, v66
	v_add_f32_e32 v66, v68, v70
	v_sub_f32_e32 v69, v67, v66
	v_pk_add_f32 v[80:81], v[66:67], v[68:69] neg_lo:[0,1] neg_hi:[0,1]
	v_mov_b32_e32 v71, v66
	v_pk_add_f32 v[66:67], v[80:81], v[70:71] neg_lo:[0,1] neg_hi:[0,1]
	s_mov_b32 s52, 0x3f317218
	v_add_f32_e32 v67, v85, v67
	v_add_f32_e32 v66, v66, v67
	;; [unrolled: 1-line block ×3, first 2 shown]
	v_mul_f32_e32 v85, v84, v67
	v_mul_f32_e32 v68, v83, v85
	v_fma_f32 v70, v85, v83, -v68
	v_fmac_f32_e32 v70, v85, v48
	v_sub_f32_e32 v48, v69, v67
	v_add_f32_e32 v48, v66, v48
	v_add_f32_e32 v66, v68, v70
	v_sub_f32_e32 v69, v67, v66
	v_pk_add_f32 v[80:81], v[66:67], v[68:69] neg_lo:[0,1] neg_hi:[0,1]
	v_mov_b32_e32 v71, v66
	v_pk_add_f32 v[66:67], v[80:81], v[70:71] neg_lo:[0,1] neg_hi:[0,1]
	v_cvt_f32_i32_e32 v68, v82
	v_add_f32_e32 v48, v48, v67
	v_add_f32_e32 v48, v66, v48
	;; [unrolled: 1-line block ×4, first 2 shown]
	v_sub_f32_e32 v67, v66, v86
	v_mul_f32_e32 v48, v84, v48
	v_sub_f32_e32 v67, v85, v67
	v_add_f32_e32 v48, v67, v48
	v_add_f32_e32 v69, v66, v48
	v_mul_f32_e32 v70, v69, v69
	v_mov_b32_e32 v67, 0x3ecc95a3
	v_fmac_f32_e32 v67, 0x3e9b6dac, v70
	v_sub_f32_e32 v66, v69, v66
	v_fmaak_f32 v67, v70, v67, 0x3f2aaada
	v_sub_f32_e32 v48, v48, v66
	v_ldexp_f32 v71, v69, 1
	v_mul_f32_e32 v69, v69, v70
	v_mov_b32_e32 v66, 0x3f317218
	v_pk_mul_f32 v[66:67], v[68:69], v[66:67]
	v_ldexp_f32 v48, v48, 1
	v_fma_f32 v69, v68, s52, -v66
	v_fmamk_f32 v70, v68, 0xb102e308, v69
	v_pk_add_f32 v[68:69], v[66:67], v[70:71]
	v_mov_b32_e32 v80, v66
	v_sub_f32_e32 v71, v69, v71
	v_sub_f32_e32 v71, v67, v71
	v_add_f32_e32 v81, v48, v71
	v_pk_add_f32 v[66:67], v[68:69], v[66:67] neg_lo:[0,1] neg_hi:[0,1]
	v_pk_add_f32 v[82:83], v[68:69], v[80:81]
	v_mov_b32_e32 v71, v68
	v_mov_b32_e32 v67, v83
	v_pk_add_f32 v[84:85], v[70:71], v[66:67] neg_lo:[0,1] neg_hi:[0,1]
	v_pk_add_f32 v[66:67], v[70:71], v[66:67]
	v_cmp_eq_f32_e64 s[52:53], s60, v96
	v_mov_b32_e32 v48, v67
	v_pk_add_f32 v[70:71], v[48:49], v[68:69] neg_lo:[0,1] neg_hi:[0,1]
	v_mov_b32_e32 v66, v83
	v_mov_b32_e32 v71, v70
	v_pk_add_f32 v[86:87], v[82:83], v[70:71] neg_lo:[0,1] neg_hi:[0,1]
	v_mov_b32_e32 v82, v69
	v_mov_b32_e32 v83, v70
	;; [unrolled: 1-line block ×3, first 2 shown]
	v_pk_add_f32 v[66:67], v[66:67], v[82:83] neg_lo:[0,1] neg_hi:[0,1]
	v_mov_b32_e32 v70, v81
	v_mov_b32_e32 v71, v68
	v_pk_add_f32 v[66:67], v[70:71], v[66:67] neg_lo:[0,1] neg_hi:[0,1]
	v_mov_b32_e32 v86, v84
	v_pk_add_f32 v[68:69], v[86:87], v[66:67]
	s_mov_b32 s60, 0x33800000
	v_mov_b32_e32 v70, v69
	v_pk_add_f32 v[70:71], v[68:69], v[70:71]
	v_cmp_lt_f32_e64 s[60:61], |v96|, s60
	v_pk_add_f32 v[80:81], v[48:49], v[70:71]
	v_mov_b32_e32 v67, v70
	v_mov_b32_e32 v69, v80
	v_pk_add_f32 v[82:83], v[68:69], v[84:85] neg_lo:[0,1] neg_hi:[0,1]
	s_or_b64 s[52:53], s[52:53], s[60:61]
	v_sub_f32_e32 v48, v68, v82
	v_pk_add_f32 v[66:67], v[66:67], v[82:83] neg_lo:[0,1] neg_hi:[0,1]
	v_sub_f32_e32 v48, v84, v48
	v_add_f32_e32 v48, v66, v48
	v_add_f32_e32 v48, v48, v67
	;; [unrolled: 1-line block ×3, first 2 shown]
	v_cndmask_b32_e64 v48, v48, v96, s[52:53]
	v_add_f32_e32 v39, v39, v48
	v_cvt_f16_f32_e32 v66, v39
.LBB388_354:
	s_or_b64 exec, exec, s[54:55]
	v_mov_b32_e32 v48, v66
.LBB388_355:
	s_or_b64 exec, exec, s[58:59]
	ds_write_b16 v0, v48
.LBB388_356:
	s_or_b64 exec, exec, s[56:57]
	v_cmp_lt_u32_e64 s[52:53], 63, v32
	s_waitcnt lgkmcnt(0)
	s_barrier
	s_waitcnt lgkmcnt(0)
                                        ; implicit-def: $vgpr39
	s_and_saveexec_b64 s[54:55], s[52:53]
	s_cbranch_execz .LBB388_360
; %bb.357:
	v_lshl_add_u32 v38, v38, 1, -2
	ds_read_u16 v39, v38
	v_cvt_f32_f16_e32 v38, v37
	s_movk_i32 s56, 0x1f8
	s_waitcnt lgkmcnt(0)
	v_cvt_f32_f16_e32 v48, v39
	v_cmp_u_f16_e64 s[52:53], v39, v39
	v_min_f32_e32 v66, v48, v38
	v_max_f32_e32 v67, v48, v38
	v_cndmask_b32_e64 v66, v66, v48, s[52:53]
	v_cndmask_b32_e64 v67, v67, v48, s[52:53]
	v_cmp_u_f16_e64 s[52:53], v37, v37
	v_mov_b32_e32 v37, v39
	s_nop 0
	v_cndmask_b32_e64 v48, v66, v38, s[52:53]
	v_cndmask_b32_e64 v38, v67, v38, s[52:53]
	v_cmp_neq_f32_e64 s[52:53], v48, v38
	v_cmp_class_f32_e64 s[56:57], v48, s56
	s_or_b64 s[52:53], s[52:53], s[56:57]
	s_and_saveexec_b64 s[56:57], s[52:53]
	s_cbranch_execz .LBB388_359
; %bb.358:
	v_sub_f32_e32 v37, v48, v38
	s_mov_b32 s52, 0x3fb8aa3b
	v_mul_f32_e32 v48, 0x3fb8aa3b, v37
	v_fma_f32 v66, v37, s52, -v48
	v_rndne_f32_e32 v67, v48
	v_fmamk_f32 v66, v37, 0x32a5705f, v66
	v_sub_f32_e32 v48, v48, v67
	v_add_f32_e32 v48, v48, v66
	v_exp_f32_e32 v48, v48
	v_cvt_i32_f32_e32 v66, v67
	s_mov_b32 s52, 0xc2ce8ed0
	v_cmp_ngt_f32_e64 s[52:53], s52, v37
	s_mov_b32 s58, 0x7f800000
	v_ldexp_f32 v48, v48, v66
	v_cndmask_b32_e64 v48, 0, v48, s[52:53]
	s_mov_b32 s52, 0x42b17218
	v_mov_b32_e32 v66, 0x7f800000
	v_cmp_nlt_f32_e64 s[52:53], s52, v37
	s_nop 1
	v_cndmask_b32_e64 v96, v66, v48, s[52:53]
	v_add_f32_e32 v37, 1.0, v96
	v_add_f32_e32 v48, -1.0, v37
	v_sub_f32_e32 v66, v48, v37
	v_add_f32_e32 v66, 1.0, v66
	v_sub_f32_e32 v48, v96, v48
	v_add_f32_e32 v48, v48, v66
	v_frexp_mant_f32_e32 v68, v37
	s_mov_b32 s52, 0x3f2aaaab
	v_cvt_f64_f32_e32 v[66:67], v37
	v_frexp_exp_i32_f64_e32 v66, v[66:67]
	v_cmp_gt_f32_e64 s[52:53], s52, v68
	s_nop 1
	v_subbrev_co_u32_e64 v82, s[52:53], 0, v66, s[52:53]
	v_sub_u32_e32 v66, 0, v82
	v_ldexp_f32 v37, v37, v66
	v_ldexp_f32 v48, v48, v66
	v_add_f32_e32 v66, -1.0, v37
	v_add_f32_e32 v67, 1.0, v66
	v_sub_f32_e32 v67, v37, v67
	v_add_f32_e32 v68, v48, v67
	v_add_f32_e32 v67, 1.0, v37
	v_add_f32_e32 v69, -1.0, v67
	v_sub_f32_e32 v37, v37, v69
	v_add_f32_e32 v37, v48, v37
	v_add_f32_e32 v48, v67, v37
	v_rcp_f32_e32 v83, v48
	v_sub_f32_e32 v67, v67, v48
	v_add_f32_e32 v37, v37, v67
	v_add_f32_e32 v67, v66, v68
	v_sub_f32_e32 v66, v66, v67
	v_mul_f32_e32 v85, v67, v83
	v_add_f32_e32 v84, v68, v66
	v_mul_f32_e32 v68, v48, v85
	v_fma_f32 v70, v85, v48, -v68
	v_fmac_f32_e32 v70, v85, v37
	v_add_f32_e32 v66, v68, v70
	v_sub_f32_e32 v69, v67, v66
	v_pk_add_f32 v[80:81], v[66:67], v[68:69] neg_lo:[0,1] neg_hi:[0,1]
	v_mov_b32_e32 v71, v66
	v_pk_add_f32 v[66:67], v[80:81], v[70:71] neg_lo:[0,1] neg_hi:[0,1]
	s_mov_b32 s52, 0x3f317218
	v_add_f32_e32 v67, v84, v67
	v_add_f32_e32 v66, v66, v67
	;; [unrolled: 1-line block ×3, first 2 shown]
	v_mul_f32_e32 v84, v83, v67
	v_mul_f32_e32 v68, v48, v84
	v_fma_f32 v70, v84, v48, -v68
	v_fmac_f32_e32 v70, v84, v37
	v_sub_f32_e32 v37, v69, v67
	v_add_f32_e32 v37, v66, v37
	v_add_f32_e32 v66, v68, v70
	v_sub_f32_e32 v69, v67, v66
	v_pk_add_f32 v[80:81], v[66:67], v[68:69] neg_lo:[0,1] neg_hi:[0,1]
	v_mov_b32_e32 v71, v66
	v_pk_add_f32 v[66:67], v[80:81], v[70:71] neg_lo:[0,1] neg_hi:[0,1]
	v_add_f32_e32 v48, v85, v84
	v_add_f32_e32 v37, v37, v67
	;; [unrolled: 1-line block ×4, first 2 shown]
	v_sub_f32_e32 v66, v48, v85
	v_mul_f32_e32 v37, v83, v37
	v_sub_f32_e32 v66, v84, v66
	v_add_f32_e32 v37, v66, v37
	v_add_f32_e32 v66, v48, v37
	v_cvt_f32_i32_e32 v68, v82
	v_mul_f32_e32 v69, v66, v66
	v_mov_b32_e32 v67, 0x3ecc95a3
	v_fmac_f32_e32 v67, 0x3e9b6dac, v69
	v_fmaak_f32 v67, v69, v67, 0x3f2aaada
	v_sub_f32_e32 v48, v66, v48
	v_ldexp_f32 v71, v66, 1
	v_mul_f32_e32 v69, v66, v69
	v_mov_b32_e32 v66, 0x3f317218
	v_pk_mul_f32 v[66:67], v[68:69], v[66:67]
	v_sub_f32_e32 v37, v37, v48
	v_fma_f32 v48, v68, s52, -v66
	v_fmamk_f32 v70, v68, 0xb102e308, v48
	v_pk_add_f32 v[68:69], v[66:67], v[70:71]
	v_ldexp_f32 v37, v37, 1
	v_sub_f32_e32 v48, v69, v71
	v_sub_f32_e32 v48, v67, v48
	v_add_f32_e32 v81, v37, v48
	v_mov_b32_e32 v80, v66
	v_pk_add_f32 v[66:67], v[68:69], v[66:67] neg_lo:[0,1] neg_hi:[0,1]
	v_pk_add_f32 v[82:83], v[68:69], v[80:81]
	v_mov_b32_e32 v71, v68
	v_mov_b32_e32 v67, v83
	v_pk_add_f32 v[84:85], v[70:71], v[66:67] neg_lo:[0,1] neg_hi:[0,1]
	v_pk_add_f32 v[66:67], v[70:71], v[66:67]
	v_cmp_eq_f32_e64 s[52:53], s58, v96
	v_mov_b32_e32 v48, v67
	v_pk_add_f32 v[70:71], v[48:49], v[68:69] neg_lo:[0,1] neg_hi:[0,1]
	v_mov_b32_e32 v66, v83
	v_mov_b32_e32 v37, v70
	v_pk_add_f32 v[86:87], v[82:83], v[36:37] neg_lo:[0,1] neg_hi:[0,1]
	v_mov_b32_e32 v82, v69
	v_mov_b32_e32 v83, v70
	;; [unrolled: 1-line block ×3, first 2 shown]
	v_pk_add_f32 v[66:67], v[66:67], v[82:83] neg_lo:[0,1] neg_hi:[0,1]
	v_mov_b32_e32 v70, v81
	v_mov_b32_e32 v71, v68
	v_pk_add_f32 v[66:67], v[70:71], v[66:67] neg_lo:[0,1] neg_hi:[0,1]
	v_mov_b32_e32 v86, v84
	v_pk_add_f32 v[68:69], v[86:87], v[66:67]
	s_mov_b32 s58, 0x33800000
	v_mov_b32_e32 v70, v69
	v_pk_add_f32 v[70:71], v[68:69], v[70:71]
	v_cmp_lt_f32_e64 s[58:59], |v96|, s58
	v_pk_add_f32 v[80:81], v[48:49], v[70:71]
	v_mov_b32_e32 v67, v70
	v_mov_b32_e32 v69, v80
	v_pk_add_f32 v[82:83], v[68:69], v[84:85] neg_lo:[0,1] neg_hi:[0,1]
	s_or_b64 s[52:53], s[52:53], s[58:59]
	v_sub_f32_e32 v37, v68, v82
	v_pk_add_f32 v[66:67], v[66:67], v[82:83] neg_lo:[0,1] neg_hi:[0,1]
	v_sub_f32_e32 v37, v84, v37
	v_add_f32_e32 v37, v66, v37
	v_add_f32_e32 v37, v37, v67
	;; [unrolled: 1-line block ×3, first 2 shown]
	v_cndmask_b32_e64 v37, v37, v96, s[52:53]
	v_add_f32_e32 v37, v38, v37
	v_cvt_f16_f32_e32 v37, v37
.LBB388_359:
	s_or_b64 exec, exec, s[56:57]
.LBB388_360:
	s_or_b64 exec, exec, s[54:55]
	v_add_u32_e32 v38, -1, v19
	v_and_b32_e32 v48, 64, v19
	v_cmp_lt_i32_e64 s[52:53], v38, v48
	v_and_b32_e32 v37, 0xffff, v37
	v_mov_b32_e32 v82, v30
	v_cndmask_b32_e64 v38, v38, v19, s[52:53]
	v_lshlrev_b32_e32 v38, 2, v38
	ds_bpermute_b32 v37, v38, v37
	s_and_saveexec_b64 s[52:53], s[2:3]
	s_cbranch_execz .LBB388_364
; %bb.361:
	v_cmp_eq_u32_e64 s[2:3], 0, v19
	v_max_f32_e32 v36, v2, v2
	s_waitcnt lgkmcnt(0)
	v_cndmask_b32_e64 v30, v37, v39, s[2:3]
	v_cvt_f32_f16_e32 v19, v30
	v_cmp_u_f16_e64 s[2:3], v30, v30
	v_min_f32_e32 v31, v19, v36
	v_max_f32_e32 v36, v19, v36
	v_cndmask_b32_e64 v31, v31, v19, s[2:3]
	v_cndmask_b32_e64 v36, v36, v19, s[2:3]
	;; [unrolled: 1-line block ×4, first 2 shown]
	s_movk_i32 s50, 0x1f8
	v_cmp_neq_f32_e64 s[2:3], v31, v2
	v_cmp_class_f32_e64 s[50:51], v31, s50
	s_or_b64 s[2:3], s[2:3], s[50:51]
	s_and_saveexec_b64 s[50:51], s[2:3]
	s_cbranch_execz .LBB388_363
; %bb.362:
	v_sub_f32_e32 v19, v31, v2
	s_mov_b32 s2, 0x3fb8aa3b
	v_mul_f32_e32 v30, 0x3fb8aa3b, v19
	v_fma_f32 v31, v19, s2, -v30
	v_rndne_f32_e32 v36, v30
	v_fmamk_f32 v31, v19, 0x32a5705f, v31
	v_sub_f32_e32 v30, v30, v36
	v_add_f32_e32 v30, v30, v31
	v_exp_f32_e32 v30, v30
	v_cvt_i32_f32_e32 v31, v36
	s_mov_b32 s2, 0xc2ce8ed0
	v_cmp_ngt_f32_e64 s[2:3], s2, v19
	s_mov_b32 s54, 0x7f800000
	v_ldexp_f32 v30, v30, v31
	v_cndmask_b32_e64 v30, 0, v30, s[2:3]
	s_mov_b32 s2, 0x42b17218
	v_mov_b32_e32 v31, 0x7f800000
	v_cmp_nlt_f32_e64 s[2:3], s2, v19
	s_nop 1
	v_cndmask_b32_e64 v84, v31, v30, s[2:3]
	v_add_f32_e32 v19, 1.0, v84
	v_add_f32_e32 v30, -1.0, v19
	v_sub_f32_e32 v31, v30, v19
	v_add_f32_e32 v31, 1.0, v31
	v_sub_f32_e32 v30, v84, v30
	v_add_f32_e32 v36, v30, v31
	v_frexp_mant_f32_e32 v37, v19
	s_mov_b32 s2, 0x3f2aaaab
	v_cvt_f64_f32_e32 v[30:31], v19
	v_frexp_exp_i32_f64_e32 v30, v[30:31]
	v_cmp_gt_f32_e64 s[2:3], s2, v37
	s_nop 1
	v_subbrev_co_u32_e64 v48, s[2:3], 0, v30, s[2:3]
	v_sub_u32_e32 v30, 0, v48
	v_ldexp_f32 v19, v19, v30
	v_ldexp_f32 v30, v36, v30
	v_add_f32_e32 v36, -1.0, v19
	v_add_f32_e32 v31, 1.0, v36
	v_sub_f32_e32 v31, v19, v31
	v_add_f32_e32 v37, v30, v31
	v_add_f32_e32 v31, 1.0, v19
	v_add_f32_e32 v38, -1.0, v31
	v_sub_f32_e32 v19, v19, v38
	v_add_f32_e32 v19, v30, v19
	v_add_f32_e32 v68, v31, v19
	v_rcp_f32_e32 v69, v68
	v_sub_f32_e32 v30, v31, v68
	v_add_f32_e32 v31, v36, v37
	v_add_f32_e32 v19, v19, v30
	v_mul_f32_e32 v71, v31, v69
	v_sub_f32_e32 v30, v36, v31
	v_mul_f32_e32 v36, v68, v71
	v_fma_f32 v38, v71, v68, -v36
	v_fmac_f32_e32 v38, v71, v19
	v_add_f32_e32 v70, v37, v30
	v_add_f32_e32 v30, v36, v38
	v_sub_f32_e32 v37, v31, v30
	v_pk_add_f32 v[66:67], v[30:31], v[36:37] neg_lo:[0,1] neg_hi:[0,1]
	v_mov_b32_e32 v39, v30
	v_pk_add_f32 v[30:31], v[66:67], v[38:39] neg_lo:[0,1] neg_hi:[0,1]
	s_mov_b32 s2, 0x3f317218
	v_add_f32_e32 v31, v70, v31
	v_add_f32_e32 v30, v30, v31
	;; [unrolled: 1-line block ×3, first 2 shown]
	v_mul_f32_e32 v70, v69, v31
	v_mul_f32_e32 v36, v68, v70
	v_fma_f32 v38, v70, v68, -v36
	v_fmac_f32_e32 v38, v70, v19
	v_sub_f32_e32 v19, v37, v31
	v_add_f32_e32 v19, v30, v19
	v_add_f32_e32 v30, v36, v38
	v_sub_f32_e32 v37, v31, v30
	v_pk_add_f32 v[66:67], v[30:31], v[36:37] neg_lo:[0,1] neg_hi:[0,1]
	v_mov_b32_e32 v39, v30
	v_pk_add_f32 v[30:31], v[66:67], v[38:39] neg_lo:[0,1] neg_hi:[0,1]
	v_cvt_f32_i32_e32 v36, v48
	v_add_f32_e32 v19, v19, v31
	v_add_f32_e32 v19, v30, v19
	;; [unrolled: 1-line block ×4, first 2 shown]
	v_sub_f32_e32 v31, v30, v71
	v_mul_f32_e32 v19, v69, v19
	v_sub_f32_e32 v31, v70, v31
	v_add_f32_e32 v19, v31, v19
	v_add_f32_e32 v37, v30, v19
	v_mul_f32_e32 v38, v37, v37
	v_mov_b32_e32 v31, 0x3ecc95a3
	v_fmac_f32_e32 v31, 0x3e9b6dac, v38
	v_sub_f32_e32 v30, v37, v30
	v_fmaak_f32 v31, v38, v31, 0x3f2aaada
	v_sub_f32_e32 v19, v19, v30
	v_ldexp_f32 v39, v37, 1
	v_mul_f32_e32 v37, v37, v38
	v_mov_b32_e32 v30, 0x3f317218
	v_pk_mul_f32 v[30:31], v[36:37], v[30:31]
	v_ldexp_f32 v19, v19, 1
	v_fma_f32 v37, v36, s2, -v30
	v_fmamk_f32 v38, v36, 0xb102e308, v37
	v_pk_add_f32 v[36:37], v[30:31], v[38:39]
	v_mov_b32_e32 v66, v30
	v_sub_f32_e32 v39, v37, v39
	v_sub_f32_e32 v39, v31, v39
	v_add_f32_e32 v67, v19, v39
	v_pk_add_f32 v[30:31], v[36:37], v[30:31] neg_lo:[0,1] neg_hi:[0,1]
	v_pk_add_f32 v[68:69], v[36:37], v[66:67]
	v_mov_b32_e32 v39, v36
	v_mov_b32_e32 v31, v69
	v_pk_add_f32 v[70:71], v[38:39], v[30:31] neg_lo:[0,1] neg_hi:[0,1]
	v_pk_add_f32 v[30:31], v[38:39], v[30:31]
	v_mov_b32_e32 v66, v67
	v_mov_b32_e32 v38, v31
	v_pk_add_f32 v[80:81], v[38:39], v[36:37] neg_lo:[0,1] neg_hi:[0,1]
	v_mov_b32_e32 v30, v69
	v_mov_b32_e32 v19, v80
	v_pk_add_f32 v[82:83], v[68:69], v[18:19] neg_lo:[0,1] neg_hi:[0,1]
	v_mov_b32_e32 v68, v37
	v_mov_b32_e32 v69, v80
	;; [unrolled: 1-line block ×3, first 2 shown]
	v_pk_add_f32 v[30:31], v[30:31], v[68:69] neg_lo:[0,1] neg_hi:[0,1]
	v_mov_b32_e32 v67, v36
	v_pk_add_f32 v[30:31], v[66:67], v[30:31] neg_lo:[0,1] neg_hi:[0,1]
	v_mov_b32_e32 v82, v70
	v_pk_add_f32 v[36:37], v[82:83], v[30:31]
	v_cmp_eq_f32_e64 s[2:3], s54, v84
	v_mov_b32_e32 v48, v37
	v_pk_add_f32 v[66:67], v[36:37], v[48:49]
	s_mov_b32 s54, 0x33800000
	v_pk_add_f32 v[38:39], v[38:39], v[66:67]
	v_mov_b32_e32 v31, v66
	v_mov_b32_e32 v37, v38
	v_pk_add_f32 v[68:69], v[36:37], v[70:71] neg_lo:[0,1] neg_hi:[0,1]
	v_cmp_lt_f32_e64 s[54:55], |v84|, s54
	v_sub_f32_e32 v19, v36, v68
	v_pk_add_f32 v[30:31], v[30:31], v[68:69] neg_lo:[0,1] neg_hi:[0,1]
	v_sub_f32_e32 v19, v70, v19
	v_add_f32_e32 v19, v30, v19
	v_add_f32_e32 v19, v19, v31
	;; [unrolled: 1-line block ×3, first 2 shown]
	s_or_b64 s[2:3], s[2:3], s[54:55]
	v_cndmask_b32_e64 v19, v19, v84, s[2:3]
	v_add_f32_e32 v2, v2, v19
	v_cvt_f16_f32_e32 v30, v2
	v_cvt_f32_f16_e32 v19, v30
.LBB388_363:
	s_or_b64 exec, exec, s[50:51]
	v_max_f32_e32 v2, v33, v33
	v_max_f32_e32 v36, v19, v19
	v_min_f32_e32 v31, v36, v2
	v_max_f32_e32 v36, v36, v2
	v_mov_b32_e32 v82, v30
	v_mov_b32_e32 v2, v19
	;;#ASMSTART
	;;#ASMEND
.LBB388_364:
	s_or_b64 exec, exec, s[52:53]
	v_cmp_u_f16_e64 s[2:3], v82, v82
	s_movk_i32 s50, 0x1f8
	s_nop 0
	v_cndmask_b32_e64 v19, v31, v2, s[2:3]
	s_waitcnt lgkmcnt(0)
	v_cndmask_b32_e32 v37, v19, v33, vcc
	v_cndmask_b32_e64 v19, v36, v2, s[2:3]
	v_cndmask_b32_e32 v19, v19, v33, vcc
	v_cmp_neq_f32_e32 vcc, v37, v19
	v_cmp_class_f32_e64 s[2:3], v37, s50
	s_or_b64 vcc, vcc, s[2:3]
	v_mov_b32_e32 v31, v30
	s_and_saveexec_b64 s[2:3], vcc
	s_cbranch_execz .LBB388_366
; %bb.365:
	v_sub_f32_e32 v2, v37, v19
	s_mov_b32 s51, 0x3fb8aa3b
	v_mul_f32_e32 v31, 0x3fb8aa3b, v2
	v_fma_f32 v33, v2, s51, -v31
	v_rndne_f32_e32 v36, v31
	v_fmamk_f32 v33, v2, 0x32a5705f, v33
	v_sub_f32_e32 v31, v31, v36
	v_add_f32_e32 v31, v31, v33
	v_exp_f32_e32 v31, v31
	v_cvt_i32_f32_e32 v33, v36
	s_mov_b32 s51, 0xc2ce8ed0
	v_cmp_ngt_f32_e32 vcc, s51, v2
	s_mov_b32 s51, 0x42b17218
	v_ldexp_f32 v31, v31, v33
	v_cndmask_b32_e32 v31, 0, v31, vcc
	v_mov_b32_e32 v33, 0x7f800000
	v_cmp_nlt_f32_e32 vcc, s51, v2
	s_mov_b32 s51, 0x3f2aaaab
	s_mov_b32 s52, 0x7f800000
	v_cndmask_b32_e32 v33, v33, v31, vcc
	v_add_f32_e32 v2, 1.0, v33
	v_add_f32_e32 v31, -1.0, v2
	v_sub_f32_e32 v36, v31, v2
	v_add_f32_e32 v36, 1.0, v36
	v_sub_f32_e32 v31, v33, v31
	v_add_f32_e32 v31, v31, v36
	v_frexp_mant_f32_e32 v38, v2
	v_cvt_f64_f32_e32 v[36:37], v2
	v_frexp_exp_i32_f64_e32 v36, v[36:37]
	v_cmp_gt_f32_e32 vcc, s51, v38
	s_mov_b32 s51, 0x3f317218
	s_nop 0
	v_subbrev_co_u32_e32 v48, vcc, 0, v36, vcc
	v_sub_u32_e32 v36, 0, v48
	v_ldexp_f32 v2, v2, v36
	v_ldexp_f32 v31, v31, v36
	v_add_f32_e32 v36, -1.0, v2
	v_add_f32_e32 v37, 1.0, v36
	v_sub_f32_e32 v37, v2, v37
	v_add_f32_e32 v38, v31, v37
	v_add_f32_e32 v37, 1.0, v2
	v_add_f32_e32 v39, -1.0, v37
	v_sub_f32_e32 v2, v2, v39
	v_add_f32_e32 v2, v31, v2
	v_add_f32_e32 v31, v37, v2
	v_rcp_f32_e32 v70, v31
	v_sub_f32_e32 v37, v37, v31
	v_add_f32_e32 v2, v2, v37
	v_add_f32_e32 v37, v36, v38
	v_sub_f32_e32 v36, v36, v37
	v_mul_f32_e32 v80, v37, v70
	v_add_f32_e32 v71, v38, v36
	v_mul_f32_e32 v38, v31, v80
	v_fma_f32 v66, v80, v31, -v38
	v_fmac_f32_e32 v66, v80, v2
	v_add_f32_e32 v36, v38, v66
	v_sub_f32_e32 v39, v37, v36
	v_pk_add_f32 v[68:69], v[36:37], v[38:39] neg_lo:[0,1] neg_hi:[0,1]
	v_mov_b32_e32 v67, v36
	v_pk_add_f32 v[36:37], v[68:69], v[66:67] neg_lo:[0,1] neg_hi:[0,1]
	v_cmp_eq_f32_e32 vcc, s52, v33
	v_add_f32_e32 v37, v71, v37
	v_add_f32_e32 v36, v36, v37
	;; [unrolled: 1-line block ×3, first 2 shown]
	v_mul_f32_e32 v71, v70, v37
	v_mul_f32_e32 v38, v31, v71
	v_fma_f32 v66, v71, v31, -v38
	v_fmac_f32_e32 v66, v71, v2
	v_sub_f32_e32 v2, v39, v37
	v_add_f32_e32 v2, v36, v2
	v_add_f32_e32 v36, v38, v66
	v_sub_f32_e32 v39, v37, v36
	v_pk_add_f32 v[68:69], v[36:37], v[38:39] neg_lo:[0,1] neg_hi:[0,1]
	v_mov_b32_e32 v67, v36
	v_pk_add_f32 v[36:37], v[68:69], v[66:67] neg_lo:[0,1] neg_hi:[0,1]
	v_add_f32_e32 v31, v80, v71
	v_add_f32_e32 v2, v2, v37
	;; [unrolled: 1-line block ×4, first 2 shown]
	v_sub_f32_e32 v36, v31, v80
	v_mul_f32_e32 v2, v70, v2
	v_sub_f32_e32 v36, v71, v36
	v_add_f32_e32 v2, v36, v2
	v_add_f32_e32 v36, v31, v2
	v_cvt_f32_i32_e32 v38, v48
	v_mul_f32_e32 v39, v36, v36
	v_mov_b32_e32 v37, 0x3ecc95a3
	v_fmac_f32_e32 v37, 0x3e9b6dac, v39
	v_fmaak_f32 v37, v39, v37, 0x3f2aaada
	v_sub_f32_e32 v31, v36, v31
	v_ldexp_f32 v67, v36, 1
	v_mul_f32_e32 v39, v36, v39
	v_mov_b32_e32 v36, 0x3f317218
	v_pk_mul_f32 v[36:37], v[38:39], v[36:37]
	v_sub_f32_e32 v2, v2, v31
	v_fma_f32 v31, v38, s51, -v36
	v_fmamk_f32 v66, v38, 0xb102e308, v31
	v_pk_add_f32 v[38:39], v[36:37], v[66:67]
	v_ldexp_f32 v2, v2, 1
	v_sub_f32_e32 v31, v39, v67
	v_sub_f32_e32 v31, v37, v31
	v_add_f32_e32 v69, v2, v31
	v_mov_b32_e32 v68, v36
	v_pk_add_f32 v[36:37], v[38:39], v[36:37] neg_lo:[0,1] neg_hi:[0,1]
	v_pk_add_f32 v[70:71], v[38:39], v[68:69]
	v_mov_b32_e32 v67, v38
	v_mov_b32_e32 v37, v71
	v_pk_add_f32 v[80:81], v[66:67], v[36:37] neg_lo:[0,1] neg_hi:[0,1]
	v_pk_add_f32 v[36:37], v[66:67], v[36:37]
	s_mov_b32 s51, 0x33800000
	v_mov_b32_e32 v2, v37
	v_pk_add_f32 v[66:67], v[2:3], v[38:39] neg_lo:[0,1] neg_hi:[0,1]
	v_mov_b32_e32 v36, v71
	v_mov_b32_e32 v31, v66
	v_pk_add_f32 v[82:83], v[70:71], v[30:31] neg_lo:[0,1] neg_hi:[0,1]
	v_mov_b32_e32 v70, v39
	v_mov_b32_e32 v71, v66
	;; [unrolled: 1-line block ×3, first 2 shown]
	v_pk_add_f32 v[36:37], v[36:37], v[70:71] neg_lo:[0,1] neg_hi:[0,1]
	v_mov_b32_e32 v66, v69
	v_mov_b32_e32 v67, v38
	v_pk_add_f32 v[36:37], v[66:67], v[36:37] neg_lo:[0,1] neg_hi:[0,1]
	v_mov_b32_e32 v82, v80
	v_pk_add_f32 v[38:39], v[82:83], v[36:37]
	v_cmp_lt_f32_e64 s[52:53], |v33|, s51
	v_mov_b32_e32 v48, v39
	v_pk_add_f32 v[66:67], v[38:39], v[48:49]
	s_or_b64 vcc, vcc, s[52:53]
	v_pk_add_f32 v[68:69], v[2:3], v[66:67]
	v_mov_b32_e32 v37, v66
	v_mov_b32_e32 v39, v68
	v_pk_add_f32 v[70:71], v[38:39], v[80:81] neg_lo:[0,1] neg_hi:[0,1]
	s_nop 0
	v_sub_f32_e32 v2, v38, v70
	v_pk_add_f32 v[36:37], v[36:37], v[70:71] neg_lo:[0,1] neg_hi:[0,1]
	v_sub_f32_e32 v2, v80, v2
	v_add_f32_e32 v2, v36, v2
	v_add_f32_e32 v2, v2, v37
	;; [unrolled: 1-line block ×3, first 2 shown]
	v_cndmask_b32_e32 v2, v2, v33, vcc
	v_add_f32_e32 v2, v19, v2
	v_cvt_f16_f32_e32 v82, v2
	v_cvt_f32_f16_e32 v2, v82
	v_mov_b32_e32 v31, v82
.LBB388_366:
	s_or_b64 exec, exec, s[2:3]
	v_max_f32_e32 v33, v3, v3
	v_max_f32_e32 v36, v2, v2
	v_min_f32_e32 v19, v36, v33
	v_cmp_u_f16_e32 vcc, v82, v82
	v_max_f32_e32 v33, v36, v33
	v_mov_b32_e32 v36, v31
	v_cndmask_b32_e32 v19, v19, v2, vcc
	v_cndmask_b32_e32 v33, v33, v2, vcc
	v_cndmask_b32_e64 v19, v19, v3, s[4:5]
	v_cndmask_b32_e64 v3, v33, v3, s[4:5]
	v_cmp_neq_f32_e32 vcc, v19, v3
	v_cmp_class_f32_e64 s[2:3], v19, s50
	s_or_b64 s[4:5], vcc, s[2:3]
	s_and_saveexec_b64 s[2:3], s[4:5]
	s_cbranch_execz .LBB388_368
; %bb.367:
	v_sub_f32_e32 v2, v19, v3
	s_mov_b32 s4, 0x3fb8aa3b
	v_mul_f32_e32 v19, 0x3fb8aa3b, v2
	v_fma_f32 v33, v2, s4, -v19
	v_rndne_f32_e32 v36, v19
	v_fmamk_f32 v33, v2, 0x32a5705f, v33
	v_sub_f32_e32 v19, v19, v36
	v_add_f32_e32 v19, v19, v33
	v_exp_f32_e32 v19, v19
	v_cvt_i32_f32_e32 v33, v36
	s_mov_b32 s4, 0xc2ce8ed0
	v_cmp_ngt_f32_e32 vcc, s4, v2
	s_mov_b32 s4, 0x42b17218
	v_ldexp_f32 v19, v19, v33
	v_cndmask_b32_e32 v19, 0, v19, vcc
	v_mov_b32_e32 v33, 0x7f800000
	v_cmp_nlt_f32_e32 vcc, s4, v2
	s_mov_b32 s4, 0x3f2aaaab
	s_mov_b32 s5, 0x7f800000
	v_cndmask_b32_e32 v33, v33, v19, vcc
	v_add_f32_e32 v2, 1.0, v33
	v_add_f32_e32 v19, -1.0, v2
	v_sub_f32_e32 v36, v19, v2
	v_add_f32_e32 v36, 1.0, v36
	v_sub_f32_e32 v19, v33, v19
	v_add_f32_e32 v19, v19, v36
	v_frexp_mant_f32_e32 v38, v2
	v_cvt_f64_f32_e32 v[36:37], v2
	v_frexp_exp_i32_f64_e32 v36, v[36:37]
	v_cmp_gt_f32_e32 vcc, s4, v38
	s_mov_b32 s4, 0x3f317218
	s_nop 0
	v_subbrev_co_u32_e32 v48, vcc, 0, v36, vcc
	v_sub_u32_e32 v36, 0, v48
	v_ldexp_f32 v2, v2, v36
	v_ldexp_f32 v19, v19, v36
	v_add_f32_e32 v36, -1.0, v2
	v_add_f32_e32 v37, 1.0, v36
	v_sub_f32_e32 v37, v2, v37
	v_add_f32_e32 v38, v19, v37
	v_add_f32_e32 v37, 1.0, v2
	v_add_f32_e32 v39, -1.0, v37
	v_sub_f32_e32 v2, v2, v39
	v_add_f32_e32 v2, v19, v2
	v_add_f32_e32 v19, v37, v2
	v_rcp_f32_e32 v70, v19
	v_sub_f32_e32 v37, v37, v19
	v_add_f32_e32 v2, v2, v37
	v_add_f32_e32 v37, v36, v38
	v_sub_f32_e32 v36, v36, v37
	v_mul_f32_e32 v80, v37, v70
	v_add_f32_e32 v71, v38, v36
	v_mul_f32_e32 v38, v19, v80
	v_fma_f32 v66, v80, v19, -v38
	v_fmac_f32_e32 v66, v80, v2
	v_add_f32_e32 v36, v38, v66
	v_sub_f32_e32 v39, v37, v36
	v_pk_add_f32 v[68:69], v[36:37], v[38:39] neg_lo:[0,1] neg_hi:[0,1]
	v_mov_b32_e32 v67, v36
	v_pk_add_f32 v[36:37], v[68:69], v[66:67] neg_lo:[0,1] neg_hi:[0,1]
	v_cmp_eq_f32_e32 vcc, s5, v33
	v_add_f32_e32 v37, v71, v37
	v_add_f32_e32 v36, v36, v37
	;; [unrolled: 1-line block ×3, first 2 shown]
	v_mul_f32_e32 v71, v70, v37
	v_mul_f32_e32 v38, v19, v71
	v_fma_f32 v66, v71, v19, -v38
	v_fmac_f32_e32 v66, v71, v2
	v_sub_f32_e32 v2, v39, v37
	v_add_f32_e32 v2, v36, v2
	v_add_f32_e32 v36, v38, v66
	v_sub_f32_e32 v39, v37, v36
	v_pk_add_f32 v[68:69], v[36:37], v[38:39] neg_lo:[0,1] neg_hi:[0,1]
	v_mov_b32_e32 v67, v36
	v_pk_add_f32 v[36:37], v[68:69], v[66:67] neg_lo:[0,1] neg_hi:[0,1]
	v_add_f32_e32 v19, v80, v71
	v_add_f32_e32 v2, v2, v37
	v_add_f32_e32 v2, v36, v2
	v_add_f32_e32 v2, v39, v2
	v_sub_f32_e32 v36, v19, v80
	v_mul_f32_e32 v2, v70, v2
	v_sub_f32_e32 v36, v71, v36
	v_add_f32_e32 v2, v36, v2
	v_add_f32_e32 v36, v19, v2
	v_cvt_f32_i32_e32 v38, v48
	v_mul_f32_e32 v39, v36, v36
	v_mov_b32_e32 v37, 0x3ecc95a3
	v_fmac_f32_e32 v37, 0x3e9b6dac, v39
	v_fmaak_f32 v37, v39, v37, 0x3f2aaada
	v_sub_f32_e32 v19, v36, v19
	v_ldexp_f32 v67, v36, 1
	v_mul_f32_e32 v39, v36, v39
	v_mov_b32_e32 v36, 0x3f317218
	v_pk_mul_f32 v[36:37], v[38:39], v[36:37]
	v_sub_f32_e32 v2, v2, v19
	v_fma_f32 v19, v38, s4, -v36
	v_fmamk_f32 v66, v38, 0xb102e308, v19
	v_pk_add_f32 v[38:39], v[36:37], v[66:67]
	v_ldexp_f32 v2, v2, 1
	v_sub_f32_e32 v19, v39, v67
	v_sub_f32_e32 v19, v37, v19
	v_add_f32_e32 v69, v2, v19
	v_mov_b32_e32 v68, v36
	v_pk_add_f32 v[36:37], v[38:39], v[36:37] neg_lo:[0,1] neg_hi:[0,1]
	v_pk_add_f32 v[70:71], v[38:39], v[68:69]
	v_mov_b32_e32 v67, v38
	v_mov_b32_e32 v37, v71
	v_pk_add_f32 v[80:81], v[66:67], v[36:37] neg_lo:[0,1] neg_hi:[0,1]
	v_pk_add_f32 v[36:37], v[66:67], v[36:37]
	s_mov_b32 s4, 0x33800000
	v_mov_b32_e32 v2, v37
	v_pk_add_f32 v[66:67], v[2:3], v[38:39] neg_lo:[0,1] neg_hi:[0,1]
	v_mov_b32_e32 v36, v71
	v_mov_b32_e32 v19, v66
	v_pk_add_f32 v[82:83], v[70:71], v[18:19] neg_lo:[0,1] neg_hi:[0,1]
	v_mov_b32_e32 v70, v39
	v_mov_b32_e32 v71, v66
	;; [unrolled: 1-line block ×3, first 2 shown]
	v_pk_add_f32 v[36:37], v[36:37], v[70:71] neg_lo:[0,1] neg_hi:[0,1]
	v_mov_b32_e32 v66, v69
	v_mov_b32_e32 v67, v38
	v_pk_add_f32 v[36:37], v[66:67], v[36:37] neg_lo:[0,1] neg_hi:[0,1]
	v_mov_b32_e32 v82, v80
	v_pk_add_f32 v[38:39], v[82:83], v[36:37]
	v_cmp_lt_f32_e64 s[4:5], |v33|, s4
	v_mov_b32_e32 v48, v39
	v_pk_add_f32 v[66:67], v[38:39], v[48:49]
	s_or_b64 vcc, vcc, s[4:5]
	v_pk_add_f32 v[68:69], v[2:3], v[66:67]
	v_mov_b32_e32 v37, v66
	v_mov_b32_e32 v39, v68
	v_pk_add_f32 v[70:71], v[38:39], v[80:81] neg_lo:[0,1] neg_hi:[0,1]
	s_nop 0
	v_sub_f32_e32 v2, v38, v70
	v_pk_add_f32 v[36:37], v[36:37], v[70:71] neg_lo:[0,1] neg_hi:[0,1]
	v_sub_f32_e32 v2, v80, v2
	v_add_f32_e32 v2, v36, v2
	v_add_f32_e32 v2, v2, v37
	;; [unrolled: 1-line block ×3, first 2 shown]
	v_cndmask_b32_e32 v2, v2, v33, vcc
	v_add_f32_e32 v2, v3, v2
	v_cvt_f16_f32_e32 v82, v2
	v_cvt_f32_f16_e32 v2, v82
	v_mov_b32_e32 v36, v82
.LBB388_368:
	s_or_b64 exec, exec, s[2:3]
	v_max_f32_e32 v3, v6, v6
	v_max_f32_e32 v33, v2, v2
	v_min_f32_e32 v19, v33, v3
	v_cmp_u_f16_e32 vcc, v82, v82
	v_max_f32_e32 v3, v33, v3
	s_movk_i32 s4, 0x1f8
	v_cndmask_b32_e32 v19, v19, v2, vcc
	v_cndmask_b32_e32 v3, v3, v2, vcc
	v_cndmask_b32_e64 v19, v19, v6, s[6:7]
	v_cndmask_b32_e64 v3, v3, v6, s[6:7]
	v_cmp_neq_f32_e32 vcc, v19, v3
	v_cmp_class_f32_e64 s[2:3], v19, s4
	s_or_b64 s[6:7], vcc, s[2:3]
	v_mov_b32_e32 v37, v36
	s_and_saveexec_b64 s[2:3], s[6:7]
	s_cbranch_execz .LBB388_370
; %bb.369:
	v_sub_f32_e32 v2, v19, v3
	s_mov_b32 s5, 0x3fb8aa3b
	v_mul_f32_e32 v6, 0x3fb8aa3b, v2
	v_fma_f32 v19, v2, s5, -v6
	v_rndne_f32_e32 v33, v6
	v_fmamk_f32 v19, v2, 0x32a5705f, v19
	v_sub_f32_e32 v6, v6, v33
	v_add_f32_e32 v6, v6, v19
	v_exp_f32_e32 v6, v6
	v_cvt_i32_f32_e32 v19, v33
	s_mov_b32 s5, 0xc2ce8ed0
	v_cmp_ngt_f32_e32 vcc, s5, v2
	s_mov_b32 s5, 0x42b17218
	v_ldexp_f32 v6, v6, v19
	v_cndmask_b32_e32 v6, 0, v6, vcc
	v_mov_b32_e32 v19, 0x7f800000
	v_cmp_nlt_f32_e32 vcc, s5, v2
	s_mov_b32 s5, 0x3f2aaaab
	s_mov_b32 s6, 0x7f800000
	v_cndmask_b32_e32 v33, v19, v6, vcc
	v_add_f32_e32 v2, 1.0, v33
	v_add_f32_e32 v6, -1.0, v2
	v_sub_f32_e32 v19, v6, v2
	v_add_f32_e32 v19, 1.0, v19
	v_sub_f32_e32 v6, v33, v6
	v_add_f32_e32 v6, v6, v19
	v_frexp_mant_f32_e32 v19, v2
	v_cvt_f64_f32_e32 v[38:39], v2
	v_frexp_exp_i32_f64_e32 v37, v[38:39]
	v_cmp_gt_f32_e32 vcc, s5, v19
	s_mov_b32 s5, 0x3f317218
	s_nop 0
	v_subbrev_co_u32_e32 v19, vcc, 0, v37, vcc
	v_sub_u32_e32 v37, 0, v19
	v_ldexp_f32 v2, v2, v37
	v_ldexp_f32 v6, v6, v37
	v_add_f32_e32 v37, -1.0, v2
	v_add_f32_e32 v39, 1.0, v2
	v_add_f32_e32 v38, 1.0, v37
	v_add_f32_e32 v48, -1.0, v39
	v_sub_f32_e32 v38, v2, v38
	v_sub_f32_e32 v2, v2, v48
	v_add_f32_e32 v2, v6, v2
	v_add_f32_e32 v38, v6, v38
	;; [unrolled: 1-line block ×3, first 2 shown]
	v_rcp_f32_e32 v48, v6
	v_sub_f32_e32 v39, v39, v6
	v_add_f32_e32 v2, v2, v39
	v_add_f32_e32 v39, v37, v38
	v_mul_f32_e32 v80, v39, v48
	v_mul_f32_e32 v66, v6, v80
	v_fma_f32 v68, v80, v6, -v66
	v_sub_f32_e32 v37, v37, v39
	v_fmac_f32_e32 v68, v80, v2
	v_add_f32_e32 v37, v38, v37
	v_add_f32_e32 v38, v66, v68
	v_sub_f32_e32 v67, v39, v38
	v_pk_add_f32 v[70:71], v[38:39], v[66:67] neg_lo:[0,1] neg_hi:[0,1]
	v_mov_b32_e32 v69, v38
	v_pk_add_f32 v[38:39], v[70:71], v[68:69] neg_lo:[0,1] neg_hi:[0,1]
	v_cmp_eq_f32_e32 vcc, s6, v33
	v_add_f32_e32 v37, v37, v39
	v_add_f32_e32 v37, v38, v37
	v_add_f32_e32 v39, v67, v37
	v_mul_f32_e32 v81, v48, v39
	v_mul_f32_e32 v66, v6, v81
	v_fma_f32 v68, v81, v6, -v66
	v_fmac_f32_e32 v68, v81, v2
	v_add_f32_e32 v38, v66, v68
	v_sub_f32_e32 v2, v67, v39
	v_sub_f32_e32 v67, v39, v38
	v_pk_add_f32 v[70:71], v[38:39], v[66:67] neg_lo:[0,1] neg_hi:[0,1]
	v_mov_b32_e32 v69, v38
	v_add_f32_e32 v2, v37, v2
	v_pk_add_f32 v[38:39], v[70:71], v[68:69] neg_lo:[0,1] neg_hi:[0,1]
	v_add_f32_e32 v6, v80, v81
	v_add_f32_e32 v2, v2, v39
	;; [unrolled: 1-line block ×4, first 2 shown]
	v_sub_f32_e32 v37, v6, v80
	v_mul_f32_e32 v2, v48, v2
	v_sub_f32_e32 v37, v81, v37
	v_add_f32_e32 v2, v37, v2
	v_add_f32_e32 v37, v6, v2
	v_cvt_f32_i32_e32 v66, v19
	v_mul_f32_e32 v38, v37, v37
	v_mov_b32_e32 v39, 0x3ecc95a3
	v_fmac_f32_e32 v39, 0x3e9b6dac, v38
	v_fmaak_f32 v39, v38, v39, 0x3f2aaada
	v_mul_f32_e32 v67, v37, v38
	v_mov_b32_e32 v38, 0x3f317218
	v_sub_f32_e32 v6, v37, v6
	v_pk_mul_f32 v[38:39], v[66:67], v[38:39]
	v_sub_f32_e32 v2, v2, v6
	v_fma_f32 v6, v66, s5, -v38
	v_ldexp_f32 v69, v37, 1
	v_fmamk_f32 v68, v66, 0xb102e308, v6
	v_pk_add_f32 v[66:67], v[38:39], v[68:69]
	v_ldexp_f32 v2, v2, 1
	v_sub_f32_e32 v6, v67, v69
	v_sub_f32_e32 v6, v39, v6
	v_add_f32_e32 v71, v2, v6
	v_mov_b32_e32 v70, v38
	v_pk_add_f32 v[38:39], v[66:67], v[38:39] neg_lo:[0,1] neg_hi:[0,1]
	v_pk_add_f32 v[80:81], v[66:67], v[70:71]
	v_mov_b32_e32 v69, v66
	v_mov_b32_e32 v39, v81
	v_pk_add_f32 v[82:83], v[68:69], v[38:39] neg_lo:[0,1] neg_hi:[0,1]
	v_pk_add_f32 v[38:39], v[68:69], v[38:39]
	s_mov_b32 s5, 0x33800000
	v_mov_b32_e32 v2, v39
	v_pk_add_f32 v[68:69], v[2:3], v[66:67] neg_lo:[0,1] neg_hi:[0,1]
	v_mov_b32_e32 v38, v81
	v_mov_b32_e32 v19, v68
	v_pk_add_f32 v[84:85], v[80:81], v[18:19] neg_lo:[0,1] neg_hi:[0,1]
	v_mov_b32_e32 v80, v67
	v_mov_b32_e32 v81, v68
	;; [unrolled: 1-line block ×3, first 2 shown]
	v_pk_add_f32 v[38:39], v[38:39], v[80:81] neg_lo:[0,1] neg_hi:[0,1]
	v_mov_b32_e32 v68, v71
	v_mov_b32_e32 v69, v66
	v_pk_add_f32 v[38:39], v[68:69], v[38:39] neg_lo:[0,1] neg_hi:[0,1]
	v_mov_b32_e32 v84, v82
	v_pk_add_f32 v[66:67], v[84:85], v[38:39]
	v_cmp_lt_f32_e64 s[6:7], |v33|, s5
	v_mov_b32_e32 v6, v67
	v_pk_add_f32 v[68:69], v[66:67], v[6:7]
	s_or_b64 vcc, vcc, s[6:7]
	v_pk_add_f32 v[70:71], v[2:3], v[68:69]
	v_mov_b32_e32 v39, v68
	v_mov_b32_e32 v67, v70
	v_pk_add_f32 v[80:81], v[66:67], v[82:83] neg_lo:[0,1] neg_hi:[0,1]
	s_nop 0
	v_sub_f32_e32 v2, v66, v80
	v_pk_add_f32 v[38:39], v[38:39], v[80:81] neg_lo:[0,1] neg_hi:[0,1]
	v_sub_f32_e32 v2, v82, v2
	v_add_f32_e32 v2, v38, v2
	v_add_f32_e32 v2, v2, v39
	;; [unrolled: 1-line block ×3, first 2 shown]
	v_cndmask_b32_e32 v2, v2, v33, vcc
	v_add_f32_e32 v2, v3, v2
	v_cvt_f16_f32_e32 v82, v2
	v_cvt_f32_f16_e32 v2, v82
	v_mov_b32_e32 v37, v82
.LBB388_370:
	s_or_b64 exec, exec, s[2:3]
	v_max_f32_e32 v3, v7, v7
	v_max_f32_e32 v19, v2, v2
	v_min_f32_e32 v6, v19, v3
	v_cmp_u_f16_e32 vcc, v82, v82
	v_max_f32_e32 v3, v19, v3
	v_mov_b32_e32 v38, v37
	v_cndmask_b32_e32 v6, v6, v2, vcc
	v_cndmask_b32_e32 v3, v3, v2, vcc
	v_cndmask_b32_e64 v6, v6, v7, s[8:9]
	v_cndmask_b32_e64 v3, v3, v7, s[8:9]
	v_cmp_neq_f32_e32 vcc, v6, v3
	v_cmp_class_f32_e64 s[2:3], v6, s4
	s_or_b64 s[4:5], vcc, s[2:3]
	s_and_saveexec_b64 s[2:3], s[4:5]
	s_cbranch_execz .LBB388_372
; %bb.371:
	v_sub_f32_e32 v2, v6, v3
	s_mov_b32 s4, 0x3fb8aa3b
	v_mul_f32_e32 v6, 0x3fb8aa3b, v2
	v_fma_f32 v7, v2, s4, -v6
	v_rndne_f32_e32 v19, v6
	v_fmamk_f32 v7, v2, 0x32a5705f, v7
	v_sub_f32_e32 v6, v6, v19
	v_add_f32_e32 v6, v6, v7
	v_exp_f32_e32 v6, v6
	v_cvt_i32_f32_e32 v7, v19
	s_mov_b32 s4, 0xc2ce8ed0
	v_cmp_ngt_f32_e32 vcc, s4, v2
	s_mov_b32 s4, 0x42b17218
	v_ldexp_f32 v6, v6, v7
	v_cndmask_b32_e32 v6, 0, v6, vcc
	v_mov_b32_e32 v7, 0x7f800000
	v_cmp_nlt_f32_e32 vcc, s4, v2
	s_mov_b32 s4, 0x3f2aaaab
	s_mov_b32 s5, 0x7f800000
	v_cndmask_b32_e32 v33, v7, v6, vcc
	v_add_f32_e32 v2, 1.0, v33
	v_add_f32_e32 v6, -1.0, v2
	v_sub_f32_e32 v7, v6, v2
	v_add_f32_e32 v7, 1.0, v7
	v_sub_f32_e32 v6, v33, v6
	v_add_f32_e32 v19, v6, v7
	v_frexp_mant_f32_e32 v38, v2
	v_cvt_f64_f32_e32 v[6:7], v2
	v_frexp_exp_i32_f64_e32 v6, v[6:7]
	v_cmp_gt_f32_e32 vcc, s4, v38
	s_mov_b32 s4, 0x3f317218
	s_nop 0
	v_subbrev_co_u32_e32 v48, vcc, 0, v6, vcc
	v_sub_u32_e32 v6, 0, v48
	v_ldexp_f32 v2, v2, v6
	v_ldexp_f32 v6, v19, v6
	v_add_f32_e32 v19, -1.0, v2
	v_add_f32_e32 v7, 1.0, v19
	v_sub_f32_e32 v7, v2, v7
	v_add_f32_e32 v38, v6, v7
	v_add_f32_e32 v7, 1.0, v2
	v_add_f32_e32 v39, -1.0, v7
	v_sub_f32_e32 v2, v2, v39
	v_add_f32_e32 v2, v6, v2
	v_add_f32_e32 v70, v7, v2
	v_rcp_f32_e32 v71, v70
	v_sub_f32_e32 v6, v7, v70
	v_add_f32_e32 v7, v19, v38
	v_add_f32_e32 v2, v2, v6
	v_sub_f32_e32 v6, v19, v7
	v_mul_f32_e32 v80, v7, v71
	v_add_f32_e32 v19, v38, v6
	v_mul_f32_e32 v38, v70, v80
	v_fma_f32 v66, v80, v70, -v38
	v_fmac_f32_e32 v66, v80, v2
	v_add_f32_e32 v6, v38, v66
	v_sub_f32_e32 v39, v7, v6
	v_pk_add_f32 v[68:69], v[6:7], v[38:39] neg_lo:[0,1] neg_hi:[0,1]
	v_mov_b32_e32 v67, v6
	v_pk_add_f32 v[6:7], v[68:69], v[66:67] neg_lo:[0,1] neg_hi:[0,1]
	v_cmp_eq_f32_e32 vcc, s5, v33
	v_add_f32_e32 v7, v19, v7
	v_add_f32_e32 v6, v6, v7
	;; [unrolled: 1-line block ×3, first 2 shown]
	v_mul_f32_e32 v19, v71, v7
	v_mul_f32_e32 v38, v70, v19
	v_fma_f32 v66, v19, v70, -v38
	v_fmac_f32_e32 v66, v19, v2
	v_sub_f32_e32 v2, v39, v7
	v_add_f32_e32 v2, v6, v2
	v_add_f32_e32 v6, v38, v66
	v_sub_f32_e32 v39, v7, v6
	v_pk_add_f32 v[68:69], v[6:7], v[38:39] neg_lo:[0,1] neg_hi:[0,1]
	v_mov_b32_e32 v67, v6
	v_pk_add_f32 v[6:7], v[68:69], v[66:67] neg_lo:[0,1] neg_hi:[0,1]
	v_cvt_f32_i32_e32 v38, v48
	v_add_f32_e32 v2, v2, v7
	v_add_f32_e32 v2, v6, v2
	;; [unrolled: 1-line block ×4, first 2 shown]
	v_sub_f32_e32 v7, v6, v80
	v_mul_f32_e32 v2, v71, v2
	v_sub_f32_e32 v7, v19, v7
	v_add_f32_e32 v2, v7, v2
	v_add_f32_e32 v19, v6, v2
	v_mul_f32_e32 v39, v19, v19
	v_mov_b32_e32 v7, 0x3ecc95a3
	v_fmac_f32_e32 v7, 0x3e9b6dac, v39
	v_sub_f32_e32 v6, v19, v6
	v_fmaak_f32 v7, v39, v7, 0x3f2aaada
	v_sub_f32_e32 v2, v2, v6
	v_mul_f32_e32 v39, v19, v39
	v_mov_b32_e32 v6, 0x3f317218
	v_pk_mul_f32 v[6:7], v[38:39], v[6:7]
	v_ldexp_f32 v67, v19, 1
	v_fma_f32 v19, v38, s4, -v6
	v_fmamk_f32 v66, v38, 0xb102e308, v19
	v_pk_add_f32 v[38:39], v[6:7], v[66:67]
	v_ldexp_f32 v2, v2, 1
	v_sub_f32_e32 v19, v39, v67
	v_sub_f32_e32 v19, v7, v19
	v_add_f32_e32 v69, v2, v19
	v_mov_b32_e32 v68, v6
	v_pk_add_f32 v[6:7], v[38:39], v[6:7] neg_lo:[0,1] neg_hi:[0,1]
	v_pk_add_f32 v[70:71], v[38:39], v[68:69]
	v_mov_b32_e32 v67, v38
	v_mov_b32_e32 v7, v71
	v_pk_add_f32 v[80:81], v[66:67], v[6:7] neg_lo:[0,1] neg_hi:[0,1]
	v_pk_add_f32 v[6:7], v[66:67], v[6:7]
	s_mov_b32 s4, 0x33800000
	v_mov_b32_e32 v2, v7
	v_pk_add_f32 v[66:67], v[2:3], v[38:39] neg_lo:[0,1] neg_hi:[0,1]
	v_mov_b32_e32 v6, v71
	v_mov_b32_e32 v19, v66
	v_pk_add_f32 v[82:83], v[70:71], v[18:19] neg_lo:[0,1] neg_hi:[0,1]
	v_mov_b32_e32 v70, v39
	v_mov_b32_e32 v71, v66
	;; [unrolled: 1-line block ×3, first 2 shown]
	v_pk_add_f32 v[6:7], v[6:7], v[70:71] neg_lo:[0,1] neg_hi:[0,1]
	v_mov_b32_e32 v66, v69
	v_mov_b32_e32 v67, v38
	v_pk_add_f32 v[6:7], v[66:67], v[6:7] neg_lo:[0,1] neg_hi:[0,1]
	v_mov_b32_e32 v82, v80
	v_pk_add_f32 v[38:39], v[82:83], v[6:7]
	v_cmp_lt_f32_e64 s[4:5], |v33|, s4
	v_mov_b32_e32 v48, v39
	v_pk_add_f32 v[66:67], v[38:39], v[48:49]
	s_or_b64 vcc, vcc, s[4:5]
	v_pk_add_f32 v[68:69], v[2:3], v[66:67]
	v_mov_b32_e32 v7, v66
	v_mov_b32_e32 v39, v68
	v_pk_add_f32 v[70:71], v[38:39], v[80:81] neg_lo:[0,1] neg_hi:[0,1]
	s_nop 0
	v_sub_f32_e32 v2, v38, v70
	v_pk_add_f32 v[6:7], v[6:7], v[70:71] neg_lo:[0,1] neg_hi:[0,1]
	v_sub_f32_e32 v2, v80, v2
	v_add_f32_e32 v2, v6, v2
	v_add_f32_e32 v2, v2, v7
	;; [unrolled: 1-line block ×3, first 2 shown]
	v_cndmask_b32_e32 v2, v2, v33, vcc
	v_add_f32_e32 v2, v3, v2
	v_cvt_f16_f32_e32 v82, v2
	v_cvt_f32_f16_e32 v2, v82
	v_mov_b32_e32 v38, v82
.LBB388_372:
	s_or_b64 exec, exec, s[2:3]
	v_max_f32_e32 v3, v24, v24
	v_max_f32_e32 v7, v2, v2
	v_min_f32_e32 v6, v7, v3
	v_cmp_u_f16_e32 vcc, v82, v82
	v_max_f32_e32 v3, v7, v3
	s_movk_i32 s4, 0x1f8
	v_cndmask_b32_e32 v6, v6, v2, vcc
	v_cndmask_b32_e32 v3, v3, v2, vcc
	v_cndmask_b32_e64 v6, v6, v24, s[10:11]
	v_cndmask_b32_e64 v3, v3, v24, s[10:11]
	v_cmp_neq_f32_e32 vcc, v6, v3
	v_cmp_class_f32_e64 s[2:3], v6, s4
	s_or_b64 s[6:7], vcc, s[2:3]
	v_mov_b32_e32 v39, v38
	s_and_saveexec_b64 s[2:3], s[6:7]
	s_cbranch_execz .LBB388_374
; %bb.373:
	v_sub_f32_e32 v2, v6, v3
	s_mov_b32 s5, 0x3fb8aa3b
	v_mul_f32_e32 v6, 0x3fb8aa3b, v2
	v_fma_f32 v7, v2, s5, -v6
	v_rndne_f32_e32 v19, v6
	v_fmamk_f32 v7, v2, 0x32a5705f, v7
	v_sub_f32_e32 v6, v6, v19
	v_add_f32_e32 v6, v6, v7
	v_exp_f32_e32 v6, v6
	v_cvt_i32_f32_e32 v7, v19
	s_mov_b32 s5, 0xc2ce8ed0
	v_cmp_ngt_f32_e32 vcc, s5, v2
	s_mov_b32 s5, 0x42b17218
	v_ldexp_f32 v6, v6, v7
	v_cndmask_b32_e32 v6, 0, v6, vcc
	v_mov_b32_e32 v7, 0x7f800000
	v_cmp_nlt_f32_e32 vcc, s5, v2
	s_mov_b32 s5, 0x3f2aaaab
	s_mov_b32 s6, 0x7f800000
	v_cndmask_b32_e32 v33, v7, v6, vcc
	v_add_f32_e32 v2, 1.0, v33
	v_add_f32_e32 v6, -1.0, v2
	v_sub_f32_e32 v7, v6, v2
	v_add_f32_e32 v7, 1.0, v7
	v_sub_f32_e32 v6, v33, v6
	v_add_f32_e32 v19, v6, v7
	v_frexp_mant_f32_e32 v24, v2
	v_cvt_f64_f32_e32 v[6:7], v2
	v_frexp_exp_i32_f64_e32 v6, v[6:7]
	v_cmp_gt_f32_e32 vcc, s5, v24
	s_mov_b32 s5, 0x3f317218
	s_nop 0
	v_subbrev_co_u32_e32 v24, vcc, 0, v6, vcc
	v_sub_u32_e32 v6, 0, v24
	v_ldexp_f32 v2, v2, v6
	v_ldexp_f32 v6, v19, v6
	v_add_f32_e32 v19, -1.0, v2
	v_add_f32_e32 v7, 1.0, v19
	v_sub_f32_e32 v7, v2, v7
	v_add_f32_e32 v39, v6, v7
	v_add_f32_e32 v7, 1.0, v2
	v_add_f32_e32 v48, -1.0, v7
	v_sub_f32_e32 v2, v2, v48
	v_add_f32_e32 v2, v6, v2
	v_add_f32_e32 v48, v7, v2
	v_rcp_f32_e32 v80, v48
	v_sub_f32_e32 v6, v7, v48
	v_add_f32_e32 v7, v19, v39
	v_add_f32_e32 v2, v2, v6
	v_sub_f32_e32 v6, v19, v7
	v_add_f32_e32 v19, v39, v6
	v_mul_f32_e32 v39, v7, v80
	v_mul_f32_e32 v66, v48, v39
	v_fma_f32 v68, v39, v48, -v66
	v_fmac_f32_e32 v68, v39, v2
	v_add_f32_e32 v6, v66, v68
	v_sub_f32_e32 v67, v7, v6
	v_pk_add_f32 v[70:71], v[6:7], v[66:67] neg_lo:[0,1] neg_hi:[0,1]
	v_mov_b32_e32 v69, v6
	v_pk_add_f32 v[6:7], v[70:71], v[68:69] neg_lo:[0,1] neg_hi:[0,1]
	v_cmp_eq_f32_e32 vcc, s6, v33
	v_add_f32_e32 v7, v19, v7
	v_add_f32_e32 v6, v6, v7
	;; [unrolled: 1-line block ×3, first 2 shown]
	v_mul_f32_e32 v19, v80, v7
	v_mul_f32_e32 v66, v48, v19
	v_fma_f32 v68, v19, v48, -v66
	v_fmac_f32_e32 v68, v19, v2
	v_sub_f32_e32 v2, v67, v7
	v_add_f32_e32 v2, v6, v2
	v_add_f32_e32 v6, v66, v68
	v_sub_f32_e32 v67, v7, v6
	v_pk_add_f32 v[70:71], v[6:7], v[66:67] neg_lo:[0,1] neg_hi:[0,1]
	v_mov_b32_e32 v69, v6
	v_pk_add_f32 v[6:7], v[70:71], v[68:69] neg_lo:[0,1] neg_hi:[0,1]
	v_cvt_f32_i32_e32 v66, v24
	v_add_f32_e32 v2, v2, v7
	v_add_f32_e32 v2, v6, v2
	;; [unrolled: 1-line block ×4, first 2 shown]
	v_sub_f32_e32 v7, v6, v39
	v_mul_f32_e32 v2, v80, v2
	v_sub_f32_e32 v7, v19, v7
	v_add_f32_e32 v2, v7, v2
	v_add_f32_e32 v19, v6, v2
	v_mul_f32_e32 v39, v19, v19
	v_mov_b32_e32 v7, 0x3ecc95a3
	v_fmac_f32_e32 v7, 0x3e9b6dac, v39
	v_sub_f32_e32 v6, v19, v6
	v_fmaak_f32 v7, v39, v7, 0x3f2aaada
	v_sub_f32_e32 v2, v2, v6
	v_mul_f32_e32 v67, v19, v39
	v_mov_b32_e32 v6, 0x3f317218
	v_pk_mul_f32 v[6:7], v[66:67], v[6:7]
	v_ldexp_f32 v69, v19, 1
	v_fma_f32 v19, v66, s5, -v6
	v_fmamk_f32 v68, v66, 0xb102e308, v19
	v_pk_add_f32 v[66:67], v[6:7], v[68:69]
	v_ldexp_f32 v2, v2, 1
	v_sub_f32_e32 v19, v67, v69
	v_sub_f32_e32 v19, v7, v19
	v_add_f32_e32 v71, v2, v19
	v_mov_b32_e32 v70, v6
	v_pk_add_f32 v[6:7], v[66:67], v[6:7] neg_lo:[0,1] neg_hi:[0,1]
	v_pk_add_f32 v[80:81], v[66:67], v[70:71]
	v_mov_b32_e32 v69, v66
	v_mov_b32_e32 v7, v81
	v_pk_add_f32 v[82:83], v[68:69], v[6:7] neg_lo:[0,1] neg_hi:[0,1]
	v_pk_add_f32 v[6:7], v[68:69], v[6:7]
	s_mov_b32 s5, 0x33800000
	v_mov_b32_e32 v2, v7
	v_pk_add_f32 v[68:69], v[2:3], v[66:67] neg_lo:[0,1] neg_hi:[0,1]
	v_mov_b32_e32 v6, v81
	v_mov_b32_e32 v19, v68
	v_pk_add_f32 v[84:85], v[80:81], v[18:19] neg_lo:[0,1] neg_hi:[0,1]
	v_mov_b32_e32 v80, v67
	v_mov_b32_e32 v81, v68
	;; [unrolled: 1-line block ×3, first 2 shown]
	v_pk_add_f32 v[6:7], v[6:7], v[80:81] neg_lo:[0,1] neg_hi:[0,1]
	v_mov_b32_e32 v68, v71
	v_mov_b32_e32 v69, v66
	v_pk_add_f32 v[6:7], v[68:69], v[6:7] neg_lo:[0,1] neg_hi:[0,1]
	v_mov_b32_e32 v84, v82
	v_pk_add_f32 v[66:67], v[84:85], v[6:7]
	v_cmp_lt_f32_e64 s[6:7], |v33|, s5
	v_mov_b32_e32 v24, v67
	v_pk_add_f32 v[68:69], v[66:67], v[24:25]
	s_or_b64 vcc, vcc, s[6:7]
	v_pk_add_f32 v[70:71], v[2:3], v[68:69]
	v_mov_b32_e32 v7, v68
	v_mov_b32_e32 v67, v70
	v_pk_add_f32 v[80:81], v[66:67], v[82:83] neg_lo:[0,1] neg_hi:[0,1]
	s_nop 0
	v_sub_f32_e32 v2, v66, v80
	v_pk_add_f32 v[6:7], v[6:7], v[80:81] neg_lo:[0,1] neg_hi:[0,1]
	v_sub_f32_e32 v2, v82, v2
	v_add_f32_e32 v2, v6, v2
	v_add_f32_e32 v2, v2, v7
	;; [unrolled: 1-line block ×3, first 2 shown]
	v_cndmask_b32_e32 v2, v2, v33, vcc
	v_add_f32_e32 v2, v3, v2
	v_cvt_f16_f32_e32 v82, v2
	v_cvt_f32_f16_e32 v2, v82
	v_mov_b32_e32 v39, v82
.LBB388_374:
	s_or_b64 exec, exec, s[2:3]
	v_max_f32_e32 v3, v25, v25
	v_max_f32_e32 v7, v2, v2
	v_min_f32_e32 v6, v7, v3
	v_cmp_u_f16_e32 vcc, v82, v82
	v_max_f32_e32 v3, v7, v3
	v_mov_b32_e32 v48, v39
	v_cndmask_b32_e32 v6, v6, v2, vcc
	v_cndmask_b32_e32 v3, v3, v2, vcc
	v_cndmask_b32_e64 v6, v6, v25, s[12:13]
	v_cndmask_b32_e64 v3, v3, v25, s[12:13]
	v_cmp_neq_f32_e32 vcc, v6, v3
	v_cmp_class_f32_e64 s[2:3], v6, s4
	s_or_b64 s[4:5], vcc, s[2:3]
	s_and_saveexec_b64 s[2:3], s[4:5]
	s_cbranch_execz .LBB388_376
; %bb.375:
	v_sub_f32_e32 v2, v6, v3
	s_mov_b32 s4, 0x3fb8aa3b
	v_mul_f32_e32 v6, 0x3fb8aa3b, v2
	v_fma_f32 v7, v2, s4, -v6
	v_rndne_f32_e32 v19, v6
	v_fmamk_f32 v7, v2, 0x32a5705f, v7
	v_sub_f32_e32 v6, v6, v19
	v_add_f32_e32 v6, v6, v7
	v_exp_f32_e32 v6, v6
	v_cvt_i32_f32_e32 v7, v19
	s_mov_b32 s4, 0xc2ce8ed0
	v_cmp_ngt_f32_e32 vcc, s4, v2
	s_mov_b32 s4, 0x42b17218
	v_ldexp_f32 v6, v6, v7
	v_cndmask_b32_e32 v6, 0, v6, vcc
	v_mov_b32_e32 v7, 0x7f800000
	v_cmp_nlt_f32_e32 vcc, s4, v2
	s_mov_b32 s4, 0x3f2aaaab
	s_mov_b32 s5, 0x7f800000
	v_cndmask_b32_e32 v33, v7, v6, vcc
	v_add_f32_e32 v2, 1.0, v33
	v_add_f32_e32 v6, -1.0, v2
	v_sub_f32_e32 v7, v6, v2
	v_add_f32_e32 v7, 1.0, v7
	v_sub_f32_e32 v6, v33, v6
	v_add_f32_e32 v19, v6, v7
	v_frexp_mant_f32_e32 v24, v2
	v_cvt_f64_f32_e32 v[6:7], v2
	v_frexp_exp_i32_f64_e32 v6, v[6:7]
	v_cmp_gt_f32_e32 vcc, s4, v24
	s_mov_b32 s4, 0x3f317218
	s_nop 0
	v_subbrev_co_u32_e32 v48, vcc, 0, v6, vcc
	v_sub_u32_e32 v6, 0, v48
	v_ldexp_f32 v2, v2, v6
	v_ldexp_f32 v6, v19, v6
	v_add_f32_e32 v19, -1.0, v2
	v_add_f32_e32 v7, 1.0, v19
	v_sub_f32_e32 v7, v2, v7
	v_add_f32_e32 v24, v6, v7
	v_add_f32_e32 v7, 1.0, v2
	v_add_f32_e32 v25, -1.0, v7
	v_sub_f32_e32 v2, v2, v25
	v_add_f32_e32 v2, v6, v2
	v_add_f32_e32 v70, v7, v2
	v_rcp_f32_e32 v71, v70
	v_sub_f32_e32 v6, v7, v70
	v_add_f32_e32 v7, v19, v24
	v_add_f32_e32 v2, v2, v6
	v_sub_f32_e32 v6, v19, v7
	v_mul_f32_e32 v80, v7, v71
	v_add_f32_e32 v19, v24, v6
	v_mul_f32_e32 v24, v70, v80
	v_fma_f32 v66, v80, v70, -v24
	v_fmac_f32_e32 v66, v80, v2
	v_add_f32_e32 v6, v24, v66
	v_sub_f32_e32 v25, v7, v6
	v_pk_add_f32 v[68:69], v[6:7], v[24:25] neg_lo:[0,1] neg_hi:[0,1]
	v_mov_b32_e32 v67, v6
	v_pk_add_f32 v[6:7], v[68:69], v[66:67] neg_lo:[0,1] neg_hi:[0,1]
	v_cmp_eq_f32_e32 vcc, s5, v33
	v_add_f32_e32 v7, v19, v7
	v_add_f32_e32 v6, v6, v7
	;; [unrolled: 1-line block ×3, first 2 shown]
	v_mul_f32_e32 v19, v71, v7
	v_mul_f32_e32 v24, v70, v19
	v_fma_f32 v66, v19, v70, -v24
	v_fmac_f32_e32 v66, v19, v2
	v_sub_f32_e32 v2, v25, v7
	v_add_f32_e32 v2, v6, v2
	v_add_f32_e32 v6, v24, v66
	v_sub_f32_e32 v25, v7, v6
	v_pk_add_f32 v[68:69], v[6:7], v[24:25] neg_lo:[0,1] neg_hi:[0,1]
	v_mov_b32_e32 v67, v6
	v_pk_add_f32 v[6:7], v[68:69], v[66:67] neg_lo:[0,1] neg_hi:[0,1]
	v_cvt_f32_i32_e32 v24, v48
	v_add_f32_e32 v2, v2, v7
	v_add_f32_e32 v2, v6, v2
	;; [unrolled: 1-line block ×4, first 2 shown]
	v_sub_f32_e32 v7, v6, v80
	v_mul_f32_e32 v2, v71, v2
	v_sub_f32_e32 v7, v19, v7
	v_add_f32_e32 v2, v7, v2
	v_add_f32_e32 v19, v6, v2
	v_mul_f32_e32 v25, v19, v19
	v_mov_b32_e32 v7, 0x3ecc95a3
	v_fmac_f32_e32 v7, 0x3e9b6dac, v25
	v_sub_f32_e32 v6, v19, v6
	v_fmaak_f32 v7, v25, v7, 0x3f2aaada
	v_sub_f32_e32 v2, v2, v6
	v_mul_f32_e32 v25, v19, v25
	v_mov_b32_e32 v6, 0x3f317218
	v_pk_mul_f32 v[6:7], v[24:25], v[6:7]
	v_ldexp_f32 v67, v19, 1
	v_fma_f32 v19, v24, s4, -v6
	v_fmamk_f32 v66, v24, 0xb102e308, v19
	v_pk_add_f32 v[24:25], v[6:7], v[66:67]
	v_ldexp_f32 v2, v2, 1
	v_sub_f32_e32 v19, v25, v67
	v_sub_f32_e32 v19, v7, v19
	v_add_f32_e32 v69, v2, v19
	v_mov_b32_e32 v68, v6
	v_pk_add_f32 v[6:7], v[24:25], v[6:7] neg_lo:[0,1] neg_hi:[0,1]
	v_pk_add_f32 v[70:71], v[24:25], v[68:69]
	v_mov_b32_e32 v67, v24
	v_mov_b32_e32 v7, v71
	v_pk_add_f32 v[80:81], v[66:67], v[6:7] neg_lo:[0,1] neg_hi:[0,1]
	v_pk_add_f32 v[6:7], v[66:67], v[6:7]
	s_mov_b32 s4, 0x33800000
	v_mov_b32_e32 v2, v7
	v_pk_add_f32 v[66:67], v[2:3], v[24:25] neg_lo:[0,1] neg_hi:[0,1]
	v_mov_b32_e32 v6, v71
	v_mov_b32_e32 v19, v66
	v_pk_add_f32 v[82:83], v[70:71], v[18:19] neg_lo:[0,1] neg_hi:[0,1]
	v_mov_b32_e32 v70, v25
	v_mov_b32_e32 v71, v66
	;; [unrolled: 1-line block ×3, first 2 shown]
	v_pk_add_f32 v[6:7], v[6:7], v[70:71] neg_lo:[0,1] neg_hi:[0,1]
	v_mov_b32_e32 v66, v69
	v_mov_b32_e32 v67, v24
	v_pk_add_f32 v[6:7], v[66:67], v[6:7] neg_lo:[0,1] neg_hi:[0,1]
	v_mov_b32_e32 v82, v80
	v_pk_add_f32 v[24:25], v[82:83], v[6:7]
	v_cmp_lt_f32_e64 s[4:5], |v33|, s4
	v_mov_b32_e32 v48, v25
	v_pk_add_f32 v[66:67], v[24:25], v[48:49]
	s_or_b64 vcc, vcc, s[4:5]
	v_pk_add_f32 v[68:69], v[2:3], v[66:67]
	v_mov_b32_e32 v7, v66
	v_mov_b32_e32 v25, v68
	v_pk_add_f32 v[70:71], v[24:25], v[80:81] neg_lo:[0,1] neg_hi:[0,1]
	s_nop 0
	v_sub_f32_e32 v2, v24, v70
	v_pk_add_f32 v[6:7], v[6:7], v[70:71] neg_lo:[0,1] neg_hi:[0,1]
	v_sub_f32_e32 v2, v80, v2
	v_add_f32_e32 v2, v6, v2
	v_add_f32_e32 v2, v2, v7
	;; [unrolled: 1-line block ×3, first 2 shown]
	v_cndmask_b32_e32 v2, v2, v33, vcc
	v_add_f32_e32 v2, v3, v2
	v_cvt_f16_f32_e32 v82, v2
	v_cvt_f32_f16_e32 v2, v82
	v_mov_b32_e32 v48, v82
.LBB388_376:
	s_or_b64 exec, exec, s[2:3]
	v_max_f32_e32 v3, v26, v26
	v_max_f32_e32 v7, v2, v2
	v_min_f32_e32 v6, v7, v3
	v_cmp_u_f16_e32 vcc, v82, v82
	v_max_f32_e32 v3, v7, v3
	s_movk_i32 s4, 0x1f8
	v_cndmask_b32_e32 v6, v6, v2, vcc
	v_cndmask_b32_e32 v3, v3, v2, vcc
	v_cndmask_b32_e64 v6, v6, v26, s[14:15]
	v_cndmask_b32_e64 v3, v3, v26, s[14:15]
	v_cmp_neq_f32_e32 vcc, v6, v3
	v_cmp_class_f32_e64 s[2:3], v6, s4
	s_or_b64 s[6:7], vcc, s[2:3]
	v_mov_b32_e32 v66, v48
	s_and_saveexec_b64 s[2:3], s[6:7]
	s_cbranch_execz .LBB388_378
; %bb.377:
	v_sub_f32_e32 v2, v6, v3
	s_mov_b32 s5, 0x3fb8aa3b
	v_mul_f32_e32 v6, 0x3fb8aa3b, v2
	v_fma_f32 v7, v2, s5, -v6
	v_rndne_f32_e32 v19, v6
	v_fmamk_f32 v7, v2, 0x32a5705f, v7
	v_sub_f32_e32 v6, v6, v19
	v_add_f32_e32 v6, v6, v7
	v_exp_f32_e32 v6, v6
	v_cvt_i32_f32_e32 v7, v19
	s_mov_b32 s5, 0xc2ce8ed0
	v_cmp_ngt_f32_e32 vcc, s5, v2
	s_mov_b32 s5, 0x42b17218
	v_ldexp_f32 v6, v6, v7
	v_cndmask_b32_e32 v6, 0, v6, vcc
	v_mov_b32_e32 v7, 0x7f800000
	v_cmp_nlt_f32_e32 vcc, s5, v2
	s_mov_b32 s5, 0x3f2aaaab
	s_mov_b32 s6, 0x7f800000
	v_cndmask_b32_e32 v33, v7, v6, vcc
	v_add_f32_e32 v2, 1.0, v33
	v_add_f32_e32 v6, -1.0, v2
	v_sub_f32_e32 v7, v6, v2
	v_add_f32_e32 v7, 1.0, v7
	v_sub_f32_e32 v6, v33, v6
	v_add_f32_e32 v19, v6, v7
	v_frexp_mant_f32_e32 v24, v2
	v_cvt_f64_f32_e32 v[6:7], v2
	v_frexp_exp_i32_f64_e32 v6, v[6:7]
	v_cmp_gt_f32_e32 vcc, s5, v24
	s_mov_b32 s5, 0x3f317218
	s_nop 0
	v_subbrev_co_u32_e32 v26, vcc, 0, v6, vcc
	v_sub_u32_e32 v6, 0, v26
	v_ldexp_f32 v2, v2, v6
	v_ldexp_f32 v6, v19, v6
	v_add_f32_e32 v19, -1.0, v2
	v_add_f32_e32 v7, 1.0, v19
	v_sub_f32_e32 v7, v2, v7
	v_add_f32_e32 v24, v6, v7
	v_add_f32_e32 v7, 1.0, v2
	v_add_f32_e32 v25, -1.0, v7
	v_sub_f32_e32 v2, v2, v25
	v_add_f32_e32 v2, v6, v2
	v_add_f32_e32 v70, v7, v2
	v_rcp_f32_e32 v71, v70
	v_sub_f32_e32 v6, v7, v70
	v_add_f32_e32 v7, v19, v24
	v_add_f32_e32 v2, v2, v6
	v_sub_f32_e32 v6, v19, v7
	v_mul_f32_e32 v80, v7, v71
	v_add_f32_e32 v19, v24, v6
	v_mul_f32_e32 v24, v70, v80
	v_fma_f32 v66, v80, v70, -v24
	v_fmac_f32_e32 v66, v80, v2
	v_add_f32_e32 v6, v24, v66
	v_sub_f32_e32 v25, v7, v6
	v_pk_add_f32 v[68:69], v[6:7], v[24:25] neg_lo:[0,1] neg_hi:[0,1]
	v_mov_b32_e32 v67, v6
	v_pk_add_f32 v[6:7], v[68:69], v[66:67] neg_lo:[0,1] neg_hi:[0,1]
	v_cmp_eq_f32_e32 vcc, s6, v33
	v_add_f32_e32 v7, v19, v7
	v_add_f32_e32 v6, v6, v7
	v_add_f32_e32 v7, v25, v6
	v_mul_f32_e32 v19, v71, v7
	v_mul_f32_e32 v24, v70, v19
	v_fma_f32 v66, v19, v70, -v24
	v_fmac_f32_e32 v66, v19, v2
	v_sub_f32_e32 v2, v25, v7
	v_add_f32_e32 v2, v6, v2
	v_add_f32_e32 v6, v24, v66
	v_sub_f32_e32 v25, v7, v6
	v_pk_add_f32 v[68:69], v[6:7], v[24:25] neg_lo:[0,1] neg_hi:[0,1]
	v_mov_b32_e32 v67, v6
	v_pk_add_f32 v[6:7], v[68:69], v[66:67] neg_lo:[0,1] neg_hi:[0,1]
	v_cvt_f32_i32_e32 v24, v26
	v_add_f32_e32 v2, v2, v7
	v_add_f32_e32 v2, v6, v2
	;; [unrolled: 1-line block ×4, first 2 shown]
	v_sub_f32_e32 v7, v6, v80
	v_mul_f32_e32 v2, v71, v2
	v_sub_f32_e32 v7, v19, v7
	v_add_f32_e32 v2, v7, v2
	v_add_f32_e32 v19, v6, v2
	v_mul_f32_e32 v25, v19, v19
	v_mov_b32_e32 v7, 0x3ecc95a3
	v_fmac_f32_e32 v7, 0x3e9b6dac, v25
	v_sub_f32_e32 v6, v19, v6
	v_fmaak_f32 v7, v25, v7, 0x3f2aaada
	v_sub_f32_e32 v2, v2, v6
	v_mul_f32_e32 v25, v19, v25
	v_mov_b32_e32 v6, 0x3f317218
	v_pk_mul_f32 v[6:7], v[24:25], v[6:7]
	v_ldexp_f32 v67, v19, 1
	v_fma_f32 v19, v24, s5, -v6
	v_fmamk_f32 v66, v24, 0xb102e308, v19
	v_pk_add_f32 v[24:25], v[6:7], v[66:67]
	v_ldexp_f32 v2, v2, 1
	v_sub_f32_e32 v19, v25, v67
	v_sub_f32_e32 v19, v7, v19
	v_add_f32_e32 v69, v2, v19
	v_mov_b32_e32 v68, v6
	v_pk_add_f32 v[6:7], v[24:25], v[6:7] neg_lo:[0,1] neg_hi:[0,1]
	v_pk_add_f32 v[70:71], v[24:25], v[68:69]
	v_mov_b32_e32 v67, v24
	v_mov_b32_e32 v7, v71
	v_pk_add_f32 v[80:81], v[66:67], v[6:7] neg_lo:[0,1] neg_hi:[0,1]
	v_pk_add_f32 v[6:7], v[66:67], v[6:7]
	s_mov_b32 s5, 0x33800000
	v_mov_b32_e32 v2, v7
	v_pk_add_f32 v[66:67], v[2:3], v[24:25] neg_lo:[0,1] neg_hi:[0,1]
	v_mov_b32_e32 v6, v71
	v_mov_b32_e32 v19, v66
	v_pk_add_f32 v[82:83], v[70:71], v[18:19] neg_lo:[0,1] neg_hi:[0,1]
	v_mov_b32_e32 v70, v25
	v_mov_b32_e32 v71, v66
	;; [unrolled: 1-line block ×3, first 2 shown]
	v_pk_add_f32 v[6:7], v[6:7], v[70:71] neg_lo:[0,1] neg_hi:[0,1]
	v_mov_b32_e32 v66, v69
	v_mov_b32_e32 v67, v24
	v_pk_add_f32 v[6:7], v[66:67], v[6:7] neg_lo:[0,1] neg_hi:[0,1]
	v_mov_b32_e32 v82, v80
	v_pk_add_f32 v[24:25], v[82:83], v[6:7]
	v_cmp_lt_f32_e64 s[6:7], |v33|, s5
	v_mov_b32_e32 v26, v25
	v_pk_add_f32 v[66:67], v[24:25], v[26:27]
	s_or_b64 vcc, vcc, s[6:7]
	v_pk_add_f32 v[68:69], v[2:3], v[66:67]
	v_mov_b32_e32 v7, v66
	v_mov_b32_e32 v25, v68
	v_pk_add_f32 v[70:71], v[24:25], v[80:81] neg_lo:[0,1] neg_hi:[0,1]
	s_nop 0
	v_sub_f32_e32 v2, v24, v70
	v_pk_add_f32 v[6:7], v[6:7], v[70:71] neg_lo:[0,1] neg_hi:[0,1]
	v_sub_f32_e32 v2, v80, v2
	v_add_f32_e32 v2, v6, v2
	v_add_f32_e32 v2, v2, v7
	;; [unrolled: 1-line block ×3, first 2 shown]
	v_cndmask_b32_e32 v2, v2, v33, vcc
	v_add_f32_e32 v2, v3, v2
	v_cvt_f16_f32_e32 v82, v2
	v_cvt_f32_f16_e32 v2, v82
	v_mov_b32_e32 v66, v82
.LBB388_378:
	s_or_b64 exec, exec, s[2:3]
	v_max_f32_e32 v3, v27, v27
	v_max_f32_e32 v7, v2, v2
	v_min_f32_e32 v6, v7, v3
	v_cmp_u_f16_e32 vcc, v82, v82
	v_max_f32_e32 v3, v7, v3
	v_mov_b32_e32 v67, v66
	v_cndmask_b32_e32 v6, v6, v2, vcc
	v_cndmask_b32_e32 v3, v3, v2, vcc
	v_cndmask_b32_e64 v6, v6, v27, s[16:17]
	v_cndmask_b32_e64 v3, v3, v27, s[16:17]
	v_cmp_neq_f32_e32 vcc, v6, v3
	v_cmp_class_f32_e64 s[2:3], v6, s4
	s_or_b64 s[4:5], vcc, s[2:3]
	s_and_saveexec_b64 s[2:3], s[4:5]
	s_cbranch_execz .LBB388_380
; %bb.379:
	v_sub_f32_e32 v2, v6, v3
	s_mov_b32 s4, 0x3fb8aa3b
	v_mul_f32_e32 v6, 0x3fb8aa3b, v2
	v_fma_f32 v7, v2, s4, -v6
	v_rndne_f32_e32 v19, v6
	v_fmamk_f32 v7, v2, 0x32a5705f, v7
	v_sub_f32_e32 v6, v6, v19
	v_add_f32_e32 v6, v6, v7
	v_exp_f32_e32 v6, v6
	v_cvt_i32_f32_e32 v7, v19
	s_mov_b32 s4, 0xc2ce8ed0
	v_cmp_ngt_f32_e32 vcc, s4, v2
	s_mov_b32 s4, 0x42b17218
	v_ldexp_f32 v6, v6, v7
	v_cndmask_b32_e32 v6, 0, v6, vcc
	v_mov_b32_e32 v7, 0x7f800000
	v_cmp_nlt_f32_e32 vcc, s4, v2
	s_mov_b32 s4, 0x3f2aaaab
	s_mov_b32 s5, 0x7f800000
	v_cndmask_b32_e32 v33, v7, v6, vcc
	v_add_f32_e32 v2, 1.0, v33
	v_add_f32_e32 v6, -1.0, v2
	v_sub_f32_e32 v7, v6, v2
	v_add_f32_e32 v7, 1.0, v7
	v_sub_f32_e32 v6, v33, v6
	v_add_f32_e32 v19, v6, v7
	v_frexp_mant_f32_e32 v24, v2
	v_cvt_f64_f32_e32 v[6:7], v2
	v_frexp_exp_i32_f64_e32 v6, v[6:7]
	v_cmp_gt_f32_e32 vcc, s4, v24
	s_mov_b32 s4, 0x3f317218
	s_nop 0
	v_subbrev_co_u32_e32 v67, vcc, 0, v6, vcc
	v_sub_u32_e32 v6, 0, v67
	v_ldexp_f32 v2, v2, v6
	v_ldexp_f32 v6, v19, v6
	v_add_f32_e32 v19, -1.0, v2
	v_add_f32_e32 v7, 1.0, v19
	v_sub_f32_e32 v7, v2, v7
	v_add_f32_e32 v24, v6, v7
	v_add_f32_e32 v7, 1.0, v2
	v_add_f32_e32 v25, -1.0, v7
	v_sub_f32_e32 v2, v2, v25
	v_add_f32_e32 v2, v6, v2
	v_add_f32_e32 v70, v7, v2
	v_rcp_f32_e32 v71, v70
	v_sub_f32_e32 v6, v7, v70
	v_add_f32_e32 v7, v19, v24
	v_add_f32_e32 v2, v2, v6
	v_sub_f32_e32 v6, v19, v7
	v_mul_f32_e32 v80, v7, v71
	v_add_f32_e32 v19, v24, v6
	v_mul_f32_e32 v24, v70, v80
	v_fma_f32 v26, v80, v70, -v24
	v_fmac_f32_e32 v26, v80, v2
	v_add_f32_e32 v6, v24, v26
	v_sub_f32_e32 v25, v7, v6
	v_pk_add_f32 v[68:69], v[6:7], v[24:25] neg_lo:[0,1] neg_hi:[0,1]
	v_mov_b32_e32 v27, v6
	v_pk_add_f32 v[6:7], v[68:69], v[26:27] neg_lo:[0,1] neg_hi:[0,1]
	v_cmp_eq_f32_e32 vcc, s5, v33
	v_add_f32_e32 v7, v19, v7
	v_add_f32_e32 v6, v6, v7
	;; [unrolled: 1-line block ×3, first 2 shown]
	v_mul_f32_e32 v19, v71, v7
	v_mul_f32_e32 v24, v70, v19
	v_fma_f32 v26, v19, v70, -v24
	v_fmac_f32_e32 v26, v19, v2
	v_sub_f32_e32 v2, v25, v7
	v_add_f32_e32 v2, v6, v2
	v_add_f32_e32 v6, v24, v26
	v_sub_f32_e32 v25, v7, v6
	v_pk_add_f32 v[68:69], v[6:7], v[24:25] neg_lo:[0,1] neg_hi:[0,1]
	v_mov_b32_e32 v27, v6
	v_pk_add_f32 v[6:7], v[68:69], v[26:27] neg_lo:[0,1] neg_hi:[0,1]
	v_cvt_f32_i32_e32 v24, v67
	v_add_f32_e32 v2, v2, v7
	v_add_f32_e32 v2, v6, v2
	;; [unrolled: 1-line block ×4, first 2 shown]
	v_sub_f32_e32 v7, v6, v80
	v_mul_f32_e32 v2, v71, v2
	v_sub_f32_e32 v7, v19, v7
	v_add_f32_e32 v2, v7, v2
	v_add_f32_e32 v19, v6, v2
	v_mul_f32_e32 v25, v19, v19
	v_mov_b32_e32 v7, 0x3ecc95a3
	v_fmac_f32_e32 v7, 0x3e9b6dac, v25
	v_sub_f32_e32 v6, v19, v6
	v_fmaak_f32 v7, v25, v7, 0x3f2aaada
	v_sub_f32_e32 v2, v2, v6
	v_mul_f32_e32 v25, v19, v25
	v_mov_b32_e32 v6, 0x3f317218
	v_pk_mul_f32 v[6:7], v[24:25], v[6:7]
	v_ldexp_f32 v27, v19, 1
	v_fma_f32 v19, v24, s4, -v6
	v_fmamk_f32 v26, v24, 0xb102e308, v19
	v_pk_add_f32 v[24:25], v[6:7], v[26:27]
	v_ldexp_f32 v2, v2, 1
	v_sub_f32_e32 v19, v25, v27
	v_sub_f32_e32 v19, v7, v19
	v_add_f32_e32 v69, v2, v19
	v_mov_b32_e32 v68, v6
	v_pk_add_f32 v[6:7], v[24:25], v[6:7] neg_lo:[0,1] neg_hi:[0,1]
	v_pk_add_f32 v[70:71], v[24:25], v[68:69]
	v_mov_b32_e32 v27, v24
	v_mov_b32_e32 v7, v71
	v_pk_add_f32 v[80:81], v[26:27], v[6:7] neg_lo:[0,1] neg_hi:[0,1]
	v_pk_add_f32 v[6:7], v[26:27], v[6:7]
	s_mov_b32 s4, 0x33800000
	v_mov_b32_e32 v2, v7
	v_pk_add_f32 v[26:27], v[2:3], v[24:25] neg_lo:[0,1] neg_hi:[0,1]
	v_mov_b32_e32 v6, v71
	v_mov_b32_e32 v19, v26
	v_pk_add_f32 v[82:83], v[70:71], v[18:19] neg_lo:[0,1] neg_hi:[0,1]
	v_mov_b32_e32 v70, v25
	v_mov_b32_e32 v71, v26
	;; [unrolled: 1-line block ×3, first 2 shown]
	v_pk_add_f32 v[6:7], v[6:7], v[70:71] neg_lo:[0,1] neg_hi:[0,1]
	v_mov_b32_e32 v26, v69
	v_mov_b32_e32 v27, v24
	v_pk_add_f32 v[6:7], v[26:27], v[6:7] neg_lo:[0,1] neg_hi:[0,1]
	v_mov_b32_e32 v82, v80
	v_pk_add_f32 v[24:25], v[82:83], v[6:7]
	v_cmp_lt_f32_e64 s[4:5], |v33|, s4
	v_mov_b32_e32 v26, v25
	v_pk_add_f32 v[26:27], v[24:25], v[26:27]
	s_or_b64 vcc, vcc, s[4:5]
	v_pk_add_f32 v[68:69], v[2:3], v[26:27]
	v_mov_b32_e32 v7, v26
	v_mov_b32_e32 v25, v68
	v_pk_add_f32 v[70:71], v[24:25], v[80:81] neg_lo:[0,1] neg_hi:[0,1]
	s_nop 0
	v_sub_f32_e32 v2, v24, v70
	v_pk_add_f32 v[6:7], v[6:7], v[70:71] neg_lo:[0,1] neg_hi:[0,1]
	v_sub_f32_e32 v2, v80, v2
	v_add_f32_e32 v2, v6, v2
	v_add_f32_e32 v2, v2, v7
	;; [unrolled: 1-line block ×3, first 2 shown]
	v_cndmask_b32_e32 v2, v2, v33, vcc
	v_add_f32_e32 v2, v3, v2
	v_cvt_f16_f32_e32 v82, v2
	v_cvt_f32_f16_e32 v2, v82
	v_mov_b32_e32 v67, v82
.LBB388_380:
	s_or_b64 exec, exec, s[2:3]
	v_max_f32_e32 v3, v49, v49
	v_max_f32_e32 v7, v2, v2
	v_min_f32_e32 v6, v7, v3
	v_cmp_u_f16_e32 vcc, v82, v82
	v_max_f32_e32 v3, v7, v3
	s_movk_i32 s4, 0x1f8
	v_cndmask_b32_e32 v6, v6, v2, vcc
	v_cndmask_b32_e32 v3, v3, v2, vcc
	v_cndmask_b32_e64 v6, v6, v49, s[18:19]
	v_cndmask_b32_e64 v3, v3, v49, s[18:19]
	v_cmp_neq_f32_e32 vcc, v6, v3
	v_cmp_class_f32_e64 s[2:3], v6, s4
	s_or_b64 s[6:7], vcc, s[2:3]
	v_mov_b32_e32 v49, v67
	s_and_saveexec_b64 s[2:3], s[6:7]
	s_cbranch_execz .LBB388_382
; %bb.381:
	v_sub_f32_e32 v2, v6, v3
	s_mov_b32 s5, 0x3fb8aa3b
	v_mul_f32_e32 v6, 0x3fb8aa3b, v2
	v_fma_f32 v7, v2, s5, -v6
	v_rndne_f32_e32 v19, v6
	v_fmamk_f32 v7, v2, 0x32a5705f, v7
	v_sub_f32_e32 v6, v6, v19
	v_add_f32_e32 v6, v6, v7
	v_exp_f32_e32 v6, v6
	v_cvt_i32_f32_e32 v7, v19
	s_mov_b32 s5, 0xc2ce8ed0
	v_cmp_ngt_f32_e32 vcc, s5, v2
	s_mov_b32 s5, 0x42b17218
	v_ldexp_f32 v6, v6, v7
	v_cndmask_b32_e32 v6, 0, v6, vcc
	v_mov_b32_e32 v7, 0x7f800000
	v_cmp_nlt_f32_e32 vcc, s5, v2
	s_mov_b32 s5, 0x3f2aaaab
	s_mov_b32 s6, 0x7f800000
	v_cndmask_b32_e32 v33, v7, v6, vcc
	v_add_f32_e32 v2, 1.0, v33
	v_add_f32_e32 v6, -1.0, v2
	v_sub_f32_e32 v7, v6, v2
	v_add_f32_e32 v7, 1.0, v7
	v_sub_f32_e32 v6, v33, v6
	v_add_f32_e32 v19, v6, v7
	v_frexp_mant_f32_e32 v24, v2
	v_cvt_f64_f32_e32 v[6:7], v2
	v_frexp_exp_i32_f64_e32 v6, v[6:7]
	v_cmp_gt_f32_e32 vcc, s5, v24
	s_mov_b32 s5, 0x3f317218
	s_nop 0
	v_subbrev_co_u32_e32 v49, vcc, 0, v6, vcc
	v_sub_u32_e32 v6, 0, v49
	v_ldexp_f32 v2, v2, v6
	v_ldexp_f32 v6, v19, v6
	v_add_f32_e32 v19, -1.0, v2
	v_add_f32_e32 v7, 1.0, v19
	v_sub_f32_e32 v7, v2, v7
	v_add_f32_e32 v24, v6, v7
	v_add_f32_e32 v7, 1.0, v2
	v_add_f32_e32 v25, -1.0, v7
	v_sub_f32_e32 v2, v2, v25
	v_add_f32_e32 v2, v6, v2
	v_add_f32_e32 v70, v7, v2
	v_rcp_f32_e32 v71, v70
	v_sub_f32_e32 v6, v7, v70
	v_add_f32_e32 v7, v19, v24
	v_add_f32_e32 v2, v2, v6
	v_sub_f32_e32 v6, v19, v7
	v_mul_f32_e32 v80, v7, v71
	v_add_f32_e32 v19, v24, v6
	v_mul_f32_e32 v24, v70, v80
	v_fma_f32 v26, v80, v70, -v24
	v_fmac_f32_e32 v26, v80, v2
	v_add_f32_e32 v6, v24, v26
	v_sub_f32_e32 v25, v7, v6
	v_pk_add_f32 v[68:69], v[6:7], v[24:25] neg_lo:[0,1] neg_hi:[0,1]
	v_mov_b32_e32 v27, v6
	v_pk_add_f32 v[6:7], v[68:69], v[26:27] neg_lo:[0,1] neg_hi:[0,1]
	v_cmp_eq_f32_e32 vcc, s6, v33
	v_add_f32_e32 v7, v19, v7
	v_add_f32_e32 v6, v6, v7
	;; [unrolled: 1-line block ×3, first 2 shown]
	v_mul_f32_e32 v19, v71, v7
	v_mul_f32_e32 v24, v70, v19
	v_fma_f32 v26, v19, v70, -v24
	v_fmac_f32_e32 v26, v19, v2
	v_sub_f32_e32 v2, v25, v7
	v_add_f32_e32 v2, v6, v2
	v_add_f32_e32 v6, v24, v26
	v_sub_f32_e32 v25, v7, v6
	v_pk_add_f32 v[68:69], v[6:7], v[24:25] neg_lo:[0,1] neg_hi:[0,1]
	v_mov_b32_e32 v27, v6
	v_pk_add_f32 v[6:7], v[68:69], v[26:27] neg_lo:[0,1] neg_hi:[0,1]
	v_cvt_f32_i32_e32 v24, v49
	v_add_f32_e32 v2, v2, v7
	v_add_f32_e32 v2, v6, v2
	;; [unrolled: 1-line block ×4, first 2 shown]
	v_sub_f32_e32 v7, v6, v80
	v_mul_f32_e32 v2, v71, v2
	v_sub_f32_e32 v7, v19, v7
	v_add_f32_e32 v2, v7, v2
	v_add_f32_e32 v19, v6, v2
	v_mul_f32_e32 v25, v19, v19
	v_mov_b32_e32 v7, 0x3ecc95a3
	v_fmac_f32_e32 v7, 0x3e9b6dac, v25
	v_sub_f32_e32 v6, v19, v6
	v_fmaak_f32 v7, v25, v7, 0x3f2aaada
	v_sub_f32_e32 v2, v2, v6
	v_mul_f32_e32 v25, v19, v25
	v_mov_b32_e32 v6, 0x3f317218
	v_pk_mul_f32 v[6:7], v[24:25], v[6:7]
	v_ldexp_f32 v27, v19, 1
	v_fma_f32 v19, v24, s5, -v6
	v_fmamk_f32 v26, v24, 0xb102e308, v19
	v_pk_add_f32 v[24:25], v[6:7], v[26:27]
	v_ldexp_f32 v2, v2, 1
	v_sub_f32_e32 v19, v25, v27
	v_sub_f32_e32 v19, v7, v19
	v_add_f32_e32 v69, v2, v19
	v_mov_b32_e32 v68, v6
	v_pk_add_f32 v[6:7], v[24:25], v[6:7] neg_lo:[0,1] neg_hi:[0,1]
	v_pk_add_f32 v[70:71], v[24:25], v[68:69]
	v_mov_b32_e32 v27, v24
	v_mov_b32_e32 v7, v71
	v_pk_add_f32 v[80:81], v[26:27], v[6:7] neg_lo:[0,1] neg_hi:[0,1]
	v_pk_add_f32 v[6:7], v[26:27], v[6:7]
	s_mov_b32 s5, 0x33800000
	v_mov_b32_e32 v2, v7
	v_pk_add_f32 v[26:27], v[2:3], v[24:25] neg_lo:[0,1] neg_hi:[0,1]
	v_mov_b32_e32 v6, v71
	v_mov_b32_e32 v19, v26
	v_pk_add_f32 v[82:83], v[70:71], v[18:19] neg_lo:[0,1] neg_hi:[0,1]
	v_mov_b32_e32 v70, v25
	v_mov_b32_e32 v71, v26
	v_mov_b32_e32 v81, v7
	v_pk_add_f32 v[6:7], v[6:7], v[70:71] neg_lo:[0,1] neg_hi:[0,1]
	v_mov_b32_e32 v26, v69
	v_mov_b32_e32 v27, v24
	v_pk_add_f32 v[6:7], v[26:27], v[6:7] neg_lo:[0,1] neg_hi:[0,1]
	v_mov_b32_e32 v82, v80
	v_pk_add_f32 v[24:25], v[82:83], v[6:7]
	v_cmp_lt_f32_e64 s[6:7], |v33|, s5
	v_mov_b32_e32 v26, v25
	v_pk_add_f32 v[26:27], v[24:25], v[26:27]
	s_or_b64 vcc, vcc, s[6:7]
	v_pk_add_f32 v[68:69], v[2:3], v[26:27]
	v_mov_b32_e32 v7, v26
	v_mov_b32_e32 v25, v68
	v_pk_add_f32 v[70:71], v[24:25], v[80:81] neg_lo:[0,1] neg_hi:[0,1]
	s_nop 0
	v_sub_f32_e32 v2, v24, v70
	v_pk_add_f32 v[6:7], v[6:7], v[70:71] neg_lo:[0,1] neg_hi:[0,1]
	v_sub_f32_e32 v2, v80, v2
	v_add_f32_e32 v2, v6, v2
	v_add_f32_e32 v2, v2, v7
	;; [unrolled: 1-line block ×3, first 2 shown]
	v_cndmask_b32_e32 v2, v2, v33, vcc
	v_add_f32_e32 v2, v3, v2
	v_cvt_f16_f32_e32 v82, v2
	v_cvt_f32_f16_e32 v2, v82
	v_mov_b32_e32 v49, v82
.LBB388_382:
	s_or_b64 exec, exec, s[2:3]
	v_max_f32_e32 v3, v20, v20
	v_max_f32_e32 v7, v2, v2
	v_min_f32_e32 v6, v7, v3
	v_cmp_u_f16_e32 vcc, v82, v82
	v_max_f32_e32 v3, v7, v3
	v_mov_b32_e32 v68, v49
	v_cndmask_b32_e32 v6, v6, v2, vcc
	v_cndmask_b32_e32 v3, v3, v2, vcc
	v_cndmask_b32_e64 v6, v6, v20, s[20:21]
	v_cndmask_b32_e64 v3, v3, v20, s[20:21]
	v_cmp_neq_f32_e32 vcc, v6, v3
	v_cmp_class_f32_e64 s[2:3], v6, s4
	s_or_b64 s[4:5], vcc, s[2:3]
	s_and_saveexec_b64 s[2:3], s[4:5]
	s_cbranch_execz .LBB388_384
; %bb.383:
	v_sub_f32_e32 v2, v6, v3
	s_mov_b32 s4, 0x3fb8aa3b
	v_mul_f32_e32 v6, 0x3fb8aa3b, v2
	v_fma_f32 v7, v2, s4, -v6
	v_rndne_f32_e32 v19, v6
	v_fmamk_f32 v7, v2, 0x32a5705f, v7
	v_sub_f32_e32 v6, v6, v19
	v_add_f32_e32 v6, v6, v7
	v_exp_f32_e32 v6, v6
	v_cvt_i32_f32_e32 v7, v19
	s_mov_b32 s4, 0xc2ce8ed0
	v_cmp_ngt_f32_e32 vcc, s4, v2
	s_mov_b32 s4, 0x42b17218
	v_ldexp_f32 v6, v6, v7
	v_cndmask_b32_e32 v6, 0, v6, vcc
	v_mov_b32_e32 v7, 0x7f800000
	v_cmp_nlt_f32_e32 vcc, s4, v2
	s_mov_b32 s4, 0x3f2aaaab
	s_mov_b32 s5, 0x7f800000
	v_cndmask_b32_e32 v33, v7, v6, vcc
	v_add_f32_e32 v2, 1.0, v33
	v_add_f32_e32 v6, -1.0, v2
	v_sub_f32_e32 v7, v6, v2
	v_add_f32_e32 v7, 1.0, v7
	v_sub_f32_e32 v6, v33, v6
	v_add_f32_e32 v19, v6, v7
	v_frexp_mant_f32_e32 v20, v2
	v_cvt_f64_f32_e32 v[6:7], v2
	v_frexp_exp_i32_f64_e32 v6, v[6:7]
	v_cmp_gt_f32_e32 vcc, s4, v20
	s_mov_b32 s4, 0x3f317218
	s_nop 0
	v_subbrev_co_u32_e32 v20, vcc, 0, v6, vcc
	v_sub_u32_e32 v6, 0, v20
	v_ldexp_f32 v2, v2, v6
	v_ldexp_f32 v6, v19, v6
	v_add_f32_e32 v19, -1.0, v2
	v_add_f32_e32 v7, 1.0, v19
	v_sub_f32_e32 v7, v2, v7
	v_add_f32_e32 v24, v6, v7
	v_add_f32_e32 v7, 1.0, v2
	v_add_f32_e32 v25, -1.0, v7
	v_sub_f32_e32 v2, v2, v25
	v_add_f32_e32 v2, v6, v2
	v_add_f32_e32 v70, v7, v2
	v_rcp_f32_e32 v71, v70
	v_sub_f32_e32 v6, v7, v70
	v_add_f32_e32 v7, v19, v24
	v_add_f32_e32 v2, v2, v6
	v_sub_f32_e32 v6, v19, v7
	v_mul_f32_e32 v80, v7, v71
	v_add_f32_e32 v19, v24, v6
	v_mul_f32_e32 v24, v70, v80
	v_fma_f32 v26, v80, v70, -v24
	v_fmac_f32_e32 v26, v80, v2
	v_add_f32_e32 v6, v24, v26
	v_sub_f32_e32 v25, v7, v6
	v_pk_add_f32 v[68:69], v[6:7], v[24:25] neg_lo:[0,1] neg_hi:[0,1]
	v_mov_b32_e32 v27, v6
	v_pk_add_f32 v[6:7], v[68:69], v[26:27] neg_lo:[0,1] neg_hi:[0,1]
	v_cmp_eq_f32_e32 vcc, s5, v33
	v_add_f32_e32 v7, v19, v7
	v_add_f32_e32 v6, v6, v7
	;; [unrolled: 1-line block ×3, first 2 shown]
	v_mul_f32_e32 v19, v71, v7
	v_mul_f32_e32 v24, v70, v19
	v_fma_f32 v26, v19, v70, -v24
	v_fmac_f32_e32 v26, v19, v2
	v_sub_f32_e32 v2, v25, v7
	v_add_f32_e32 v2, v6, v2
	v_add_f32_e32 v6, v24, v26
	v_sub_f32_e32 v25, v7, v6
	v_pk_add_f32 v[68:69], v[6:7], v[24:25] neg_lo:[0,1] neg_hi:[0,1]
	v_mov_b32_e32 v27, v6
	v_pk_add_f32 v[6:7], v[68:69], v[26:27] neg_lo:[0,1] neg_hi:[0,1]
	v_cvt_f32_i32_e32 v24, v20
	v_add_f32_e32 v2, v2, v7
	v_add_f32_e32 v2, v6, v2
	;; [unrolled: 1-line block ×4, first 2 shown]
	v_sub_f32_e32 v7, v6, v80
	v_mul_f32_e32 v2, v71, v2
	v_sub_f32_e32 v7, v19, v7
	v_add_f32_e32 v2, v7, v2
	v_add_f32_e32 v19, v6, v2
	v_mul_f32_e32 v25, v19, v19
	v_mov_b32_e32 v7, 0x3ecc95a3
	v_fmac_f32_e32 v7, 0x3e9b6dac, v25
	v_sub_f32_e32 v6, v19, v6
	v_fmaak_f32 v7, v25, v7, 0x3f2aaada
	v_sub_f32_e32 v2, v2, v6
	v_mul_f32_e32 v25, v19, v25
	v_mov_b32_e32 v6, 0x3f317218
	v_pk_mul_f32 v[6:7], v[24:25], v[6:7]
	v_ldexp_f32 v27, v19, 1
	v_fma_f32 v19, v24, s4, -v6
	v_fmamk_f32 v26, v24, 0xb102e308, v19
	v_pk_add_f32 v[24:25], v[6:7], v[26:27]
	v_ldexp_f32 v2, v2, 1
	v_sub_f32_e32 v19, v25, v27
	v_sub_f32_e32 v19, v7, v19
	v_add_f32_e32 v69, v2, v19
	v_mov_b32_e32 v68, v6
	v_pk_add_f32 v[6:7], v[24:25], v[6:7] neg_lo:[0,1] neg_hi:[0,1]
	v_pk_add_f32 v[70:71], v[24:25], v[68:69]
	v_mov_b32_e32 v27, v24
	v_mov_b32_e32 v7, v71
	v_pk_add_f32 v[80:81], v[26:27], v[6:7] neg_lo:[0,1] neg_hi:[0,1]
	v_pk_add_f32 v[6:7], v[26:27], v[6:7]
	s_mov_b32 s4, 0x33800000
	v_mov_b32_e32 v2, v7
	v_pk_add_f32 v[26:27], v[2:3], v[24:25] neg_lo:[0,1] neg_hi:[0,1]
	v_mov_b32_e32 v6, v71
	v_mov_b32_e32 v19, v26
	v_pk_add_f32 v[82:83], v[70:71], v[18:19] neg_lo:[0,1] neg_hi:[0,1]
	v_mov_b32_e32 v70, v25
	v_mov_b32_e32 v71, v26
	v_mov_b32_e32 v81, v7
	v_pk_add_f32 v[6:7], v[6:7], v[70:71] neg_lo:[0,1] neg_hi:[0,1]
	v_mov_b32_e32 v26, v69
	v_mov_b32_e32 v27, v24
	v_pk_add_f32 v[6:7], v[26:27], v[6:7] neg_lo:[0,1] neg_hi:[0,1]
	v_mov_b32_e32 v82, v80
	v_pk_add_f32 v[24:25], v[82:83], v[6:7]
	v_cmp_lt_f32_e64 s[4:5], |v33|, s4
	v_mov_b32_e32 v20, v25
	v_pk_add_f32 v[26:27], v[24:25], v[20:21]
	s_or_b64 vcc, vcc, s[4:5]
	v_pk_add_f32 v[68:69], v[2:3], v[26:27]
	v_mov_b32_e32 v7, v26
	v_mov_b32_e32 v25, v68
	v_pk_add_f32 v[70:71], v[24:25], v[80:81] neg_lo:[0,1] neg_hi:[0,1]
	s_nop 0
	v_sub_f32_e32 v2, v24, v70
	v_pk_add_f32 v[6:7], v[6:7], v[70:71] neg_lo:[0,1] neg_hi:[0,1]
	v_sub_f32_e32 v2, v80, v2
	v_add_f32_e32 v2, v6, v2
	v_add_f32_e32 v2, v2, v7
	;; [unrolled: 1-line block ×3, first 2 shown]
	v_cndmask_b32_e32 v2, v2, v33, vcc
	v_add_f32_e32 v2, v3, v2
	v_cvt_f16_f32_e32 v82, v2
	v_cvt_f32_f16_e32 v2, v82
	v_mov_b32_e32 v68, v82
.LBB388_384:
	s_or_b64 exec, exec, s[2:3]
	v_max_f32_e32 v3, v50, v50
	v_max_f32_e32 v7, v2, v2
	v_min_f32_e32 v6, v7, v3
	v_cmp_u_f16_e32 vcc, v82, v82
	v_max_f32_e32 v3, v7, v3
	s_movk_i32 s4, 0x1f8
	v_cndmask_b32_e32 v6, v6, v2, vcc
	v_cndmask_b32_e32 v3, v3, v2, vcc
	v_cndmask_b32_e64 v6, v6, v50, s[22:23]
	v_cndmask_b32_e64 v3, v3, v50, s[22:23]
	v_cmp_neq_f32_e32 vcc, v6, v3
	v_cmp_class_f32_e64 s[2:3], v6, s4
	s_or_b64 s[6:7], vcc, s[2:3]
	v_mov_b32_e32 v50, v68
	s_and_saveexec_b64 s[2:3], s[6:7]
	s_cbranch_execz .LBB388_386
; %bb.385:
	v_sub_f32_e32 v2, v6, v3
	s_mov_b32 s5, 0x3fb8aa3b
	v_mul_f32_e32 v6, 0x3fb8aa3b, v2
	v_fma_f32 v7, v2, s5, -v6
	v_rndne_f32_e32 v19, v6
	v_fmamk_f32 v7, v2, 0x32a5705f, v7
	v_sub_f32_e32 v6, v6, v19
	v_add_f32_e32 v6, v6, v7
	v_exp_f32_e32 v6, v6
	v_cvt_i32_f32_e32 v7, v19
	s_mov_b32 s5, 0xc2ce8ed0
	v_cmp_ngt_f32_e32 vcc, s5, v2
	s_mov_b32 s5, 0x42b17218
	v_ldexp_f32 v6, v6, v7
	v_cndmask_b32_e32 v6, 0, v6, vcc
	v_mov_b32_e32 v7, 0x7f800000
	v_cmp_nlt_f32_e32 vcc, s5, v2
	s_mov_b32 s5, 0x3f2aaaab
	s_mov_b32 s6, 0x7f800000
	v_cndmask_b32_e32 v33, v7, v6, vcc
	v_add_f32_e32 v2, 1.0, v33
	v_add_f32_e32 v6, -1.0, v2
	v_sub_f32_e32 v7, v6, v2
	v_add_f32_e32 v7, 1.0, v7
	v_sub_f32_e32 v6, v33, v6
	v_add_f32_e32 v19, v6, v7
	v_frexp_mant_f32_e32 v20, v2
	v_cvt_f64_f32_e32 v[6:7], v2
	v_frexp_exp_i32_f64_e32 v6, v[6:7]
	v_cmp_gt_f32_e32 vcc, s5, v20
	s_mov_b32 s5, 0x3f317218
	s_nop 0
	v_subbrev_co_u32_e32 v20, vcc, 0, v6, vcc
	v_sub_u32_e32 v6, 0, v20
	v_ldexp_f32 v2, v2, v6
	v_ldexp_f32 v6, v19, v6
	v_add_f32_e32 v19, -1.0, v2
	v_add_f32_e32 v7, 1.0, v19
	v_sub_f32_e32 v7, v2, v7
	v_add_f32_e32 v24, v6, v7
	v_add_f32_e32 v7, 1.0, v2
	v_add_f32_e32 v25, -1.0, v7
	v_sub_f32_e32 v2, v2, v25
	v_add_f32_e32 v2, v6, v2
	v_add_f32_e32 v50, v7, v2
	v_rcp_f32_e32 v69, v50
	v_sub_f32_e32 v6, v7, v50
	v_add_f32_e32 v7, v19, v24
	v_add_f32_e32 v2, v2, v6
	v_sub_f32_e32 v6, v19, v7
	v_mul_f32_e32 v80, v7, v69
	v_add_f32_e32 v19, v24, v6
	v_mul_f32_e32 v24, v50, v80
	v_fma_f32 v26, v80, v50, -v24
	v_fmac_f32_e32 v26, v80, v2
	v_add_f32_e32 v6, v24, v26
	v_sub_f32_e32 v25, v7, v6
	v_pk_add_f32 v[70:71], v[6:7], v[24:25] neg_lo:[0,1] neg_hi:[0,1]
	v_mov_b32_e32 v27, v6
	v_pk_add_f32 v[6:7], v[70:71], v[26:27] neg_lo:[0,1] neg_hi:[0,1]
	v_cmp_eq_f32_e32 vcc, s6, v33
	v_add_f32_e32 v7, v19, v7
	v_add_f32_e32 v6, v6, v7
	;; [unrolled: 1-line block ×3, first 2 shown]
	v_mul_f32_e32 v19, v69, v7
	v_mul_f32_e32 v24, v50, v19
	v_fma_f32 v26, v19, v50, -v24
	v_fmac_f32_e32 v26, v19, v2
	v_sub_f32_e32 v2, v25, v7
	v_add_f32_e32 v2, v6, v2
	v_add_f32_e32 v6, v24, v26
	v_sub_f32_e32 v25, v7, v6
	v_pk_add_f32 v[70:71], v[6:7], v[24:25] neg_lo:[0,1] neg_hi:[0,1]
	v_mov_b32_e32 v27, v6
	v_pk_add_f32 v[6:7], v[70:71], v[26:27] neg_lo:[0,1] neg_hi:[0,1]
	v_cvt_f32_i32_e32 v24, v20
	v_add_f32_e32 v2, v2, v7
	v_add_f32_e32 v2, v6, v2
	;; [unrolled: 1-line block ×4, first 2 shown]
	v_sub_f32_e32 v7, v6, v80
	v_mul_f32_e32 v2, v69, v2
	v_sub_f32_e32 v7, v19, v7
	v_add_f32_e32 v2, v7, v2
	v_add_f32_e32 v19, v6, v2
	v_mul_f32_e32 v25, v19, v19
	v_mov_b32_e32 v7, 0x3ecc95a3
	v_fmac_f32_e32 v7, 0x3e9b6dac, v25
	v_sub_f32_e32 v6, v19, v6
	v_fmaak_f32 v7, v25, v7, 0x3f2aaada
	v_sub_f32_e32 v2, v2, v6
	v_mul_f32_e32 v25, v19, v25
	v_mov_b32_e32 v6, 0x3f317218
	v_pk_mul_f32 v[6:7], v[24:25], v[6:7]
	v_ldexp_f32 v27, v19, 1
	v_fma_f32 v19, v24, s5, -v6
	v_fmamk_f32 v26, v24, 0xb102e308, v19
	v_pk_add_f32 v[24:25], v[6:7], v[26:27]
	v_ldexp_f32 v2, v2, 1
	v_sub_f32_e32 v19, v25, v27
	v_sub_f32_e32 v19, v7, v19
	v_add_f32_e32 v71, v2, v19
	v_mov_b32_e32 v70, v6
	v_pk_add_f32 v[6:7], v[24:25], v[6:7] neg_lo:[0,1] neg_hi:[0,1]
	v_pk_add_f32 v[80:81], v[24:25], v[70:71]
	v_mov_b32_e32 v27, v24
	v_mov_b32_e32 v7, v81
	v_pk_add_f32 v[82:83], v[26:27], v[6:7] neg_lo:[0,1] neg_hi:[0,1]
	v_pk_add_f32 v[6:7], v[26:27], v[6:7]
	s_mov_b32 s5, 0x33800000
	v_mov_b32_e32 v2, v7
	v_pk_add_f32 v[26:27], v[2:3], v[24:25] neg_lo:[0,1] neg_hi:[0,1]
	v_mov_b32_e32 v6, v81
	v_mov_b32_e32 v19, v26
	v_pk_add_f32 v[84:85], v[80:81], v[18:19] neg_lo:[0,1] neg_hi:[0,1]
	v_mov_b32_e32 v80, v25
	v_mov_b32_e32 v81, v26
	;; [unrolled: 1-line block ×3, first 2 shown]
	v_pk_add_f32 v[6:7], v[6:7], v[80:81] neg_lo:[0,1] neg_hi:[0,1]
	v_mov_b32_e32 v26, v71
	v_mov_b32_e32 v27, v24
	v_pk_add_f32 v[6:7], v[26:27], v[6:7] neg_lo:[0,1] neg_hi:[0,1]
	v_mov_b32_e32 v84, v82
	v_pk_add_f32 v[24:25], v[84:85], v[6:7]
	v_cmp_lt_f32_e64 s[6:7], |v33|, s5
	v_mov_b32_e32 v20, v25
	v_pk_add_f32 v[26:27], v[24:25], v[20:21]
	s_or_b64 vcc, vcc, s[6:7]
	v_pk_add_f32 v[70:71], v[2:3], v[26:27]
	v_mov_b32_e32 v7, v26
	v_mov_b32_e32 v25, v70
	v_pk_add_f32 v[80:81], v[24:25], v[82:83] neg_lo:[0,1] neg_hi:[0,1]
	s_nop 0
	v_sub_f32_e32 v2, v24, v80
	v_pk_add_f32 v[6:7], v[6:7], v[80:81] neg_lo:[0,1] neg_hi:[0,1]
	v_sub_f32_e32 v2, v82, v2
	v_add_f32_e32 v2, v6, v2
	v_add_f32_e32 v2, v2, v7
	;; [unrolled: 1-line block ×3, first 2 shown]
	v_cndmask_b32_e32 v2, v2, v33, vcc
	v_add_f32_e32 v2, v3, v2
	v_cvt_f16_f32_e32 v82, v2
	v_cvt_f32_f16_e32 v2, v82
	v_mov_b32_e32 v50, v82
.LBB388_386:
	s_or_b64 exec, exec, s[2:3]
	v_max_f32_e32 v3, v21, v21
	v_max_f32_e32 v7, v2, v2
	v_min_f32_e32 v6, v7, v3
	v_cmp_u_f16_e32 vcc, v82, v82
	v_max_f32_e32 v3, v7, v3
	v_mov_b32_e32 v69, v50
	v_cndmask_b32_e32 v6, v6, v2, vcc
	v_cndmask_b32_e32 v3, v3, v2, vcc
	v_cndmask_b32_e64 v6, v6, v21, s[24:25]
	v_cndmask_b32_e64 v3, v3, v21, s[24:25]
	v_cmp_neq_f32_e32 vcc, v6, v3
	v_cmp_class_f32_e64 s[2:3], v6, s4
	s_or_b64 s[4:5], vcc, s[2:3]
	s_and_saveexec_b64 s[2:3], s[4:5]
	s_cbranch_execz .LBB388_388
; %bb.387:
	v_sub_f32_e32 v2, v6, v3
	s_mov_b32 s4, 0x3fb8aa3b
	v_mul_f32_e32 v6, 0x3fb8aa3b, v2
	v_fma_f32 v7, v2, s4, -v6
	v_rndne_f32_e32 v19, v6
	v_fmamk_f32 v7, v2, 0x32a5705f, v7
	v_sub_f32_e32 v6, v6, v19
	v_add_f32_e32 v6, v6, v7
	v_exp_f32_e32 v6, v6
	v_cvt_i32_f32_e32 v7, v19
	s_mov_b32 s4, 0xc2ce8ed0
	v_cmp_ngt_f32_e32 vcc, s4, v2
	s_mov_b32 s4, 0x42b17218
	v_ldexp_f32 v6, v6, v7
	v_cndmask_b32_e32 v6, 0, v6, vcc
	v_mov_b32_e32 v7, 0x7f800000
	v_cmp_nlt_f32_e32 vcc, s4, v2
	s_mov_b32 s4, 0x3f2aaaab
	s_mov_b32 s5, 0x7f800000
	v_cndmask_b32_e32 v33, v7, v6, vcc
	v_add_f32_e32 v2, 1.0, v33
	v_add_f32_e32 v6, -1.0, v2
	v_sub_f32_e32 v7, v6, v2
	v_add_f32_e32 v7, 1.0, v7
	v_sub_f32_e32 v6, v33, v6
	v_add_f32_e32 v19, v6, v7
	v_frexp_mant_f32_e32 v20, v2
	v_cvt_f64_f32_e32 v[6:7], v2
	v_frexp_exp_i32_f64_e32 v6, v[6:7]
	v_cmp_gt_f32_e32 vcc, s4, v20
	s_mov_b32 s4, 0x3f317218
	s_nop 0
	v_subbrev_co_u32_e32 v69, vcc, 0, v6, vcc
	v_sub_u32_e32 v6, 0, v69
	v_ldexp_f32 v2, v2, v6
	v_ldexp_f32 v6, v19, v6
	v_add_f32_e32 v19, -1.0, v2
	v_add_f32_e32 v7, 1.0, v19
	v_sub_f32_e32 v7, v2, v7
	v_add_f32_e32 v20, v6, v7
	v_add_f32_e32 v7, 1.0, v2
	v_add_f32_e32 v21, -1.0, v7
	v_sub_f32_e32 v2, v2, v21
	v_add_f32_e32 v2, v6, v2
	v_add_f32_e32 v70, v7, v2
	v_rcp_f32_e32 v71, v70
	v_sub_f32_e32 v6, v7, v70
	v_add_f32_e32 v7, v19, v20
	v_add_f32_e32 v2, v2, v6
	v_sub_f32_e32 v6, v19, v7
	v_mul_f32_e32 v80, v7, v71
	v_add_f32_e32 v19, v20, v6
	v_mul_f32_e32 v20, v70, v80
	v_fma_f32 v24, v80, v70, -v20
	v_fmac_f32_e32 v24, v80, v2
	v_add_f32_e32 v6, v20, v24
	v_sub_f32_e32 v21, v7, v6
	v_pk_add_f32 v[26:27], v[6:7], v[20:21] neg_lo:[0,1] neg_hi:[0,1]
	v_mov_b32_e32 v25, v6
	v_pk_add_f32 v[6:7], v[26:27], v[24:25] neg_lo:[0,1] neg_hi:[0,1]
	v_cmp_eq_f32_e32 vcc, s5, v33
	v_add_f32_e32 v7, v19, v7
	v_add_f32_e32 v6, v6, v7
	;; [unrolled: 1-line block ×3, first 2 shown]
	v_mul_f32_e32 v19, v71, v7
	v_mul_f32_e32 v20, v70, v19
	v_fma_f32 v24, v19, v70, -v20
	v_fmac_f32_e32 v24, v19, v2
	v_sub_f32_e32 v2, v21, v7
	v_add_f32_e32 v2, v6, v2
	v_add_f32_e32 v6, v20, v24
	v_sub_f32_e32 v21, v7, v6
	v_pk_add_f32 v[26:27], v[6:7], v[20:21] neg_lo:[0,1] neg_hi:[0,1]
	v_mov_b32_e32 v25, v6
	v_pk_add_f32 v[6:7], v[26:27], v[24:25] neg_lo:[0,1] neg_hi:[0,1]
	v_cvt_f32_i32_e32 v20, v69
	v_add_f32_e32 v2, v2, v7
	v_add_f32_e32 v2, v6, v2
	;; [unrolled: 1-line block ×4, first 2 shown]
	v_sub_f32_e32 v7, v6, v80
	v_mul_f32_e32 v2, v71, v2
	v_sub_f32_e32 v7, v19, v7
	v_add_f32_e32 v2, v7, v2
	v_add_f32_e32 v19, v6, v2
	v_mul_f32_e32 v21, v19, v19
	v_mov_b32_e32 v7, 0x3ecc95a3
	v_fmac_f32_e32 v7, 0x3e9b6dac, v21
	v_sub_f32_e32 v6, v19, v6
	v_fmaak_f32 v7, v21, v7, 0x3f2aaada
	v_sub_f32_e32 v2, v2, v6
	v_mul_f32_e32 v21, v19, v21
	v_mov_b32_e32 v6, 0x3f317218
	v_pk_mul_f32 v[6:7], v[20:21], v[6:7]
	v_ldexp_f32 v25, v19, 1
	v_fma_f32 v19, v20, s4, -v6
	v_fmamk_f32 v24, v20, 0xb102e308, v19
	v_pk_add_f32 v[20:21], v[6:7], v[24:25]
	v_ldexp_f32 v2, v2, 1
	v_sub_f32_e32 v19, v21, v25
	v_sub_f32_e32 v19, v7, v19
	v_add_f32_e32 v27, v2, v19
	v_mov_b32_e32 v26, v6
	v_pk_add_f32 v[6:7], v[20:21], v[6:7] neg_lo:[0,1] neg_hi:[0,1]
	v_pk_add_f32 v[70:71], v[20:21], v[26:27]
	v_mov_b32_e32 v25, v20
	v_mov_b32_e32 v7, v71
	v_pk_add_f32 v[80:81], v[24:25], v[6:7] neg_lo:[0,1] neg_hi:[0,1]
	v_pk_add_f32 v[6:7], v[24:25], v[6:7]
	s_mov_b32 s4, 0x33800000
	v_mov_b32_e32 v2, v7
	v_pk_add_f32 v[24:25], v[2:3], v[20:21] neg_lo:[0,1] neg_hi:[0,1]
	v_mov_b32_e32 v6, v71
	v_mov_b32_e32 v19, v24
	v_pk_add_f32 v[82:83], v[70:71], v[18:19] neg_lo:[0,1] neg_hi:[0,1]
	v_mov_b32_e32 v70, v21
	v_mov_b32_e32 v71, v24
	;; [unrolled: 1-line block ×3, first 2 shown]
	v_pk_add_f32 v[6:7], v[6:7], v[70:71] neg_lo:[0,1] neg_hi:[0,1]
	v_mov_b32_e32 v24, v27
	v_mov_b32_e32 v25, v20
	v_pk_add_f32 v[6:7], v[24:25], v[6:7] neg_lo:[0,1] neg_hi:[0,1]
	v_mov_b32_e32 v82, v80
	v_pk_add_f32 v[20:21], v[82:83], v[6:7]
	v_cmp_lt_f32_e64 s[4:5], |v33|, s4
	v_mov_b32_e32 v24, v21
	v_pk_add_f32 v[24:25], v[20:21], v[24:25]
	s_or_b64 vcc, vcc, s[4:5]
	v_pk_add_f32 v[26:27], v[2:3], v[24:25]
	v_mov_b32_e32 v7, v24
	v_mov_b32_e32 v21, v26
	v_pk_add_f32 v[70:71], v[20:21], v[80:81] neg_lo:[0,1] neg_hi:[0,1]
	s_nop 0
	v_sub_f32_e32 v2, v20, v70
	v_pk_add_f32 v[6:7], v[6:7], v[70:71] neg_lo:[0,1] neg_hi:[0,1]
	v_sub_f32_e32 v2, v80, v2
	v_add_f32_e32 v2, v6, v2
	v_add_f32_e32 v2, v2, v7
	;; [unrolled: 1-line block ×3, first 2 shown]
	v_cndmask_b32_e32 v2, v2, v33, vcc
	v_add_f32_e32 v2, v3, v2
	v_cvt_f16_f32_e32 v82, v2
	v_cvt_f32_f16_e32 v2, v82
	v_mov_b32_e32 v69, v82
.LBB388_388:
	s_or_b64 exec, exec, s[2:3]
	v_max_f32_e32 v3, v51, v51
	v_max_f32_e32 v7, v2, v2
	v_min_f32_e32 v6, v7, v3
	v_cmp_u_f16_e32 vcc, v82, v82
	v_max_f32_e32 v3, v7, v3
	s_movk_i32 s4, 0x1f8
	v_cndmask_b32_e32 v6, v6, v2, vcc
	v_cndmask_b32_e32 v3, v3, v2, vcc
	v_cndmask_b32_e64 v6, v6, v51, s[26:27]
	v_cndmask_b32_e64 v3, v3, v51, s[26:27]
	v_cmp_neq_f32_e32 vcc, v6, v3
	v_cmp_class_f32_e64 s[2:3], v6, s4
	s_or_b64 s[6:7], vcc, s[2:3]
	v_mov_b32_e32 v51, v69
	s_and_saveexec_b64 s[2:3], s[6:7]
	s_cbranch_execz .LBB388_390
; %bb.389:
	v_sub_f32_e32 v2, v6, v3
	s_mov_b32 s5, 0x3fb8aa3b
	v_mul_f32_e32 v6, 0x3fb8aa3b, v2
	v_fma_f32 v7, v2, s5, -v6
	v_rndne_f32_e32 v19, v6
	v_fmamk_f32 v7, v2, 0x32a5705f, v7
	v_sub_f32_e32 v6, v6, v19
	v_add_f32_e32 v6, v6, v7
	v_exp_f32_e32 v6, v6
	v_cvt_i32_f32_e32 v7, v19
	s_mov_b32 s5, 0xc2ce8ed0
	v_cmp_ngt_f32_e32 vcc, s5, v2
	s_mov_b32 s5, 0x42b17218
	v_ldexp_f32 v6, v6, v7
	v_cndmask_b32_e32 v6, 0, v6, vcc
	v_mov_b32_e32 v7, 0x7f800000
	v_cmp_nlt_f32_e32 vcc, s5, v2
	s_mov_b32 s5, 0x3f2aaaab
	s_mov_b32 s6, 0x7f800000
	v_cndmask_b32_e32 v33, v7, v6, vcc
	v_add_f32_e32 v2, 1.0, v33
	v_add_f32_e32 v6, -1.0, v2
	v_sub_f32_e32 v7, v6, v2
	v_add_f32_e32 v7, 1.0, v7
	v_sub_f32_e32 v6, v33, v6
	v_add_f32_e32 v19, v6, v7
	v_frexp_mant_f32_e32 v20, v2
	v_cvt_f64_f32_e32 v[6:7], v2
	v_frexp_exp_i32_f64_e32 v6, v[6:7]
	v_cmp_gt_f32_e32 vcc, s5, v20
	s_mov_b32 s5, 0x3f317218
	s_nop 0
	v_subbrev_co_u32_e32 v51, vcc, 0, v6, vcc
	v_sub_u32_e32 v6, 0, v51
	v_ldexp_f32 v2, v2, v6
	v_ldexp_f32 v6, v19, v6
	v_add_f32_e32 v19, -1.0, v2
	v_add_f32_e32 v7, 1.0, v19
	v_sub_f32_e32 v7, v2, v7
	v_add_f32_e32 v20, v6, v7
	v_add_f32_e32 v7, 1.0, v2
	v_add_f32_e32 v21, -1.0, v7
	v_sub_f32_e32 v2, v2, v21
	v_add_f32_e32 v2, v6, v2
	v_add_f32_e32 v70, v7, v2
	v_rcp_f32_e32 v71, v70
	v_sub_f32_e32 v6, v7, v70
	v_add_f32_e32 v7, v19, v20
	v_add_f32_e32 v2, v2, v6
	v_sub_f32_e32 v6, v19, v7
	v_mul_f32_e32 v80, v7, v71
	v_add_f32_e32 v19, v20, v6
	v_mul_f32_e32 v20, v70, v80
	v_fma_f32 v24, v80, v70, -v20
	v_fmac_f32_e32 v24, v80, v2
	v_add_f32_e32 v6, v20, v24
	v_sub_f32_e32 v21, v7, v6
	v_pk_add_f32 v[26:27], v[6:7], v[20:21] neg_lo:[0,1] neg_hi:[0,1]
	v_mov_b32_e32 v25, v6
	v_pk_add_f32 v[6:7], v[26:27], v[24:25] neg_lo:[0,1] neg_hi:[0,1]
	v_cmp_eq_f32_e32 vcc, s6, v33
	v_add_f32_e32 v7, v19, v7
	v_add_f32_e32 v6, v6, v7
	;; [unrolled: 1-line block ×3, first 2 shown]
	v_mul_f32_e32 v19, v71, v7
	v_mul_f32_e32 v20, v70, v19
	v_fma_f32 v24, v19, v70, -v20
	v_fmac_f32_e32 v24, v19, v2
	v_sub_f32_e32 v2, v21, v7
	v_add_f32_e32 v2, v6, v2
	v_add_f32_e32 v6, v20, v24
	v_sub_f32_e32 v21, v7, v6
	v_pk_add_f32 v[26:27], v[6:7], v[20:21] neg_lo:[0,1] neg_hi:[0,1]
	v_mov_b32_e32 v25, v6
	v_pk_add_f32 v[6:7], v[26:27], v[24:25] neg_lo:[0,1] neg_hi:[0,1]
	v_cvt_f32_i32_e32 v20, v51
	v_add_f32_e32 v2, v2, v7
	v_add_f32_e32 v2, v6, v2
	;; [unrolled: 1-line block ×4, first 2 shown]
	v_sub_f32_e32 v7, v6, v80
	v_mul_f32_e32 v2, v71, v2
	v_sub_f32_e32 v7, v19, v7
	v_add_f32_e32 v2, v7, v2
	v_add_f32_e32 v19, v6, v2
	v_mul_f32_e32 v21, v19, v19
	v_mov_b32_e32 v7, 0x3ecc95a3
	v_fmac_f32_e32 v7, 0x3e9b6dac, v21
	v_sub_f32_e32 v6, v19, v6
	v_fmaak_f32 v7, v21, v7, 0x3f2aaada
	v_sub_f32_e32 v2, v2, v6
	v_mul_f32_e32 v21, v19, v21
	v_mov_b32_e32 v6, 0x3f317218
	v_pk_mul_f32 v[6:7], v[20:21], v[6:7]
	v_ldexp_f32 v25, v19, 1
	v_fma_f32 v19, v20, s5, -v6
	v_fmamk_f32 v24, v20, 0xb102e308, v19
	v_pk_add_f32 v[20:21], v[6:7], v[24:25]
	v_ldexp_f32 v2, v2, 1
	v_sub_f32_e32 v19, v21, v25
	v_sub_f32_e32 v19, v7, v19
	v_add_f32_e32 v27, v2, v19
	v_mov_b32_e32 v26, v6
	v_pk_add_f32 v[6:7], v[20:21], v[6:7] neg_lo:[0,1] neg_hi:[0,1]
	v_pk_add_f32 v[70:71], v[20:21], v[26:27]
	v_mov_b32_e32 v25, v20
	v_mov_b32_e32 v7, v71
	v_pk_add_f32 v[80:81], v[24:25], v[6:7] neg_lo:[0,1] neg_hi:[0,1]
	v_pk_add_f32 v[6:7], v[24:25], v[6:7]
	s_mov_b32 s5, 0x33800000
	v_mov_b32_e32 v2, v7
	v_pk_add_f32 v[24:25], v[2:3], v[20:21] neg_lo:[0,1] neg_hi:[0,1]
	v_mov_b32_e32 v6, v71
	v_mov_b32_e32 v19, v24
	v_pk_add_f32 v[82:83], v[70:71], v[18:19] neg_lo:[0,1] neg_hi:[0,1]
	v_mov_b32_e32 v70, v21
	v_mov_b32_e32 v71, v24
	v_mov_b32_e32 v81, v7
	v_pk_add_f32 v[6:7], v[6:7], v[70:71] neg_lo:[0,1] neg_hi:[0,1]
	v_mov_b32_e32 v24, v27
	v_mov_b32_e32 v25, v20
	v_pk_add_f32 v[6:7], v[24:25], v[6:7] neg_lo:[0,1] neg_hi:[0,1]
	v_mov_b32_e32 v82, v80
	v_pk_add_f32 v[20:21], v[82:83], v[6:7]
	v_cmp_lt_f32_e64 s[6:7], |v33|, s5
	v_mov_b32_e32 v24, v21
	v_pk_add_f32 v[24:25], v[20:21], v[24:25]
	s_or_b64 vcc, vcc, s[6:7]
	v_pk_add_f32 v[26:27], v[2:3], v[24:25]
	v_mov_b32_e32 v7, v24
	v_mov_b32_e32 v21, v26
	v_pk_add_f32 v[70:71], v[20:21], v[80:81] neg_lo:[0,1] neg_hi:[0,1]
	s_nop 0
	v_sub_f32_e32 v2, v20, v70
	v_pk_add_f32 v[6:7], v[6:7], v[70:71] neg_lo:[0,1] neg_hi:[0,1]
	v_sub_f32_e32 v2, v80, v2
	v_add_f32_e32 v2, v6, v2
	v_add_f32_e32 v2, v2, v7
	;; [unrolled: 1-line block ×3, first 2 shown]
	v_cndmask_b32_e32 v2, v2, v33, vcc
	v_add_f32_e32 v2, v3, v2
	v_cvt_f16_f32_e32 v82, v2
	v_cvt_f32_f16_e32 v2, v82
	v_mov_b32_e32 v51, v82
.LBB388_390:
	s_or_b64 exec, exec, s[2:3]
	v_max_f32_e32 v3, v22, v22
	v_max_f32_e32 v7, v2, v2
	v_min_f32_e32 v6, v7, v3
	v_cmp_u_f16_e32 vcc, v82, v82
	v_max_f32_e32 v3, v7, v3
	v_mov_b32_e32 v70, v51
	v_cndmask_b32_e32 v6, v6, v2, vcc
	v_cndmask_b32_e32 v3, v3, v2, vcc
	v_cndmask_b32_e64 v6, v6, v22, s[28:29]
	v_cndmask_b32_e64 v3, v3, v22, s[28:29]
	v_cmp_neq_f32_e32 vcc, v6, v3
	v_cmp_class_f32_e64 s[2:3], v6, s4
	s_or_b64 s[4:5], vcc, s[2:3]
	s_and_saveexec_b64 s[2:3], s[4:5]
	s_cbranch_execz .LBB388_392
; %bb.391:
	v_sub_f32_e32 v2, v6, v3
	s_mov_b32 s4, 0x3fb8aa3b
	v_mul_f32_e32 v6, 0x3fb8aa3b, v2
	v_fma_f32 v7, v2, s4, -v6
	v_rndne_f32_e32 v19, v6
	v_fmamk_f32 v7, v2, 0x32a5705f, v7
	v_sub_f32_e32 v6, v6, v19
	v_add_f32_e32 v6, v6, v7
	v_exp_f32_e32 v6, v6
	v_cvt_i32_f32_e32 v7, v19
	s_mov_b32 s4, 0xc2ce8ed0
	v_cmp_ngt_f32_e32 vcc, s4, v2
	s_mov_b32 s4, 0x42b17218
	v_ldexp_f32 v6, v6, v7
	v_cndmask_b32_e32 v6, 0, v6, vcc
	v_mov_b32_e32 v7, 0x7f800000
	v_cmp_nlt_f32_e32 vcc, s4, v2
	s_mov_b32 s4, 0x3f2aaaab
	s_mov_b32 s5, 0x7f800000
	v_cndmask_b32_e32 v33, v7, v6, vcc
	v_add_f32_e32 v2, 1.0, v33
	v_add_f32_e32 v6, -1.0, v2
	v_sub_f32_e32 v7, v6, v2
	v_add_f32_e32 v7, 1.0, v7
	v_sub_f32_e32 v6, v33, v6
	v_add_f32_e32 v19, v6, v7
	v_frexp_mant_f32_e32 v20, v2
	v_cvt_f64_f32_e32 v[6:7], v2
	v_frexp_exp_i32_f64_e32 v6, v[6:7]
	v_cmp_gt_f32_e32 vcc, s4, v20
	s_mov_b32 s4, 0x3f317218
	s_nop 0
	v_subbrev_co_u32_e32 v22, vcc, 0, v6, vcc
	v_sub_u32_e32 v6, 0, v22
	v_ldexp_f32 v2, v2, v6
	v_ldexp_f32 v6, v19, v6
	v_add_f32_e32 v19, -1.0, v2
	v_add_f32_e32 v7, 1.0, v19
	v_sub_f32_e32 v7, v2, v7
	v_add_f32_e32 v20, v6, v7
	v_add_f32_e32 v7, 1.0, v2
	v_add_f32_e32 v21, -1.0, v7
	v_sub_f32_e32 v2, v2, v21
	v_add_f32_e32 v2, v6, v2
	v_add_f32_e32 v70, v7, v2
	v_rcp_f32_e32 v71, v70
	v_sub_f32_e32 v6, v7, v70
	v_add_f32_e32 v7, v19, v20
	v_add_f32_e32 v2, v2, v6
	v_sub_f32_e32 v6, v19, v7
	v_mul_f32_e32 v80, v7, v71
	v_add_f32_e32 v19, v20, v6
	v_mul_f32_e32 v20, v70, v80
	v_fma_f32 v24, v80, v70, -v20
	v_fmac_f32_e32 v24, v80, v2
	v_add_f32_e32 v6, v20, v24
	v_sub_f32_e32 v21, v7, v6
	v_pk_add_f32 v[26:27], v[6:7], v[20:21] neg_lo:[0,1] neg_hi:[0,1]
	v_mov_b32_e32 v25, v6
	v_pk_add_f32 v[6:7], v[26:27], v[24:25] neg_lo:[0,1] neg_hi:[0,1]
	v_cmp_eq_f32_e32 vcc, s5, v33
	v_add_f32_e32 v7, v19, v7
	v_add_f32_e32 v6, v6, v7
	;; [unrolled: 1-line block ×3, first 2 shown]
	v_mul_f32_e32 v19, v71, v7
	v_mul_f32_e32 v20, v70, v19
	v_fma_f32 v24, v19, v70, -v20
	v_fmac_f32_e32 v24, v19, v2
	v_sub_f32_e32 v2, v21, v7
	v_add_f32_e32 v2, v6, v2
	v_add_f32_e32 v6, v20, v24
	v_sub_f32_e32 v21, v7, v6
	v_pk_add_f32 v[26:27], v[6:7], v[20:21] neg_lo:[0,1] neg_hi:[0,1]
	v_mov_b32_e32 v25, v6
	v_pk_add_f32 v[6:7], v[26:27], v[24:25] neg_lo:[0,1] neg_hi:[0,1]
	v_cvt_f32_i32_e32 v20, v22
	v_add_f32_e32 v2, v2, v7
	v_add_f32_e32 v2, v6, v2
	;; [unrolled: 1-line block ×4, first 2 shown]
	v_sub_f32_e32 v7, v6, v80
	v_mul_f32_e32 v2, v71, v2
	v_sub_f32_e32 v7, v19, v7
	v_add_f32_e32 v2, v7, v2
	v_add_f32_e32 v19, v6, v2
	v_mul_f32_e32 v21, v19, v19
	v_mov_b32_e32 v7, 0x3ecc95a3
	v_fmac_f32_e32 v7, 0x3e9b6dac, v21
	v_sub_f32_e32 v6, v19, v6
	v_fmaak_f32 v7, v21, v7, 0x3f2aaada
	v_sub_f32_e32 v2, v2, v6
	v_mul_f32_e32 v21, v19, v21
	v_mov_b32_e32 v6, 0x3f317218
	v_pk_mul_f32 v[6:7], v[20:21], v[6:7]
	v_ldexp_f32 v25, v19, 1
	v_fma_f32 v19, v20, s4, -v6
	v_fmamk_f32 v24, v20, 0xb102e308, v19
	v_pk_add_f32 v[20:21], v[6:7], v[24:25]
	v_ldexp_f32 v2, v2, 1
	v_sub_f32_e32 v19, v21, v25
	v_sub_f32_e32 v19, v7, v19
	v_add_f32_e32 v27, v2, v19
	v_mov_b32_e32 v26, v6
	v_pk_add_f32 v[6:7], v[20:21], v[6:7] neg_lo:[0,1] neg_hi:[0,1]
	v_pk_add_f32 v[70:71], v[20:21], v[26:27]
	v_mov_b32_e32 v25, v20
	v_mov_b32_e32 v7, v71
	v_pk_add_f32 v[80:81], v[24:25], v[6:7] neg_lo:[0,1] neg_hi:[0,1]
	v_pk_add_f32 v[6:7], v[24:25], v[6:7]
	s_mov_b32 s4, 0x33800000
	v_mov_b32_e32 v2, v7
	v_pk_add_f32 v[24:25], v[2:3], v[20:21] neg_lo:[0,1] neg_hi:[0,1]
	v_mov_b32_e32 v6, v71
	v_mov_b32_e32 v19, v24
	v_pk_add_f32 v[82:83], v[70:71], v[18:19] neg_lo:[0,1] neg_hi:[0,1]
	v_mov_b32_e32 v70, v21
	v_mov_b32_e32 v71, v24
	;; [unrolled: 1-line block ×3, first 2 shown]
	v_pk_add_f32 v[6:7], v[6:7], v[70:71] neg_lo:[0,1] neg_hi:[0,1]
	v_mov_b32_e32 v24, v27
	v_mov_b32_e32 v25, v20
	v_pk_add_f32 v[6:7], v[24:25], v[6:7] neg_lo:[0,1] neg_hi:[0,1]
	v_mov_b32_e32 v82, v80
	v_pk_add_f32 v[20:21], v[82:83], v[6:7]
	v_cmp_lt_f32_e64 s[4:5], |v33|, s4
	v_mov_b32_e32 v22, v21
	v_pk_add_f32 v[24:25], v[20:21], v[22:23]
	s_or_b64 vcc, vcc, s[4:5]
	v_pk_add_f32 v[26:27], v[2:3], v[24:25]
	v_mov_b32_e32 v7, v24
	v_mov_b32_e32 v21, v26
	v_pk_add_f32 v[70:71], v[20:21], v[80:81] neg_lo:[0,1] neg_hi:[0,1]
	s_nop 0
	v_sub_f32_e32 v2, v20, v70
	v_pk_add_f32 v[6:7], v[6:7], v[70:71] neg_lo:[0,1] neg_hi:[0,1]
	v_sub_f32_e32 v2, v80, v2
	v_add_f32_e32 v2, v6, v2
	v_add_f32_e32 v2, v2, v7
	;; [unrolled: 1-line block ×3, first 2 shown]
	v_cndmask_b32_e32 v2, v2, v33, vcc
	v_add_f32_e32 v2, v3, v2
	v_cvt_f16_f32_e32 v82, v2
	v_cvt_f32_f16_e32 v2, v82
	v_mov_b32_e32 v70, v82
.LBB388_392:
	s_or_b64 exec, exec, s[2:3]
	v_max_f32_e32 v3, v53, v53
	v_max_f32_e32 v7, v2, v2
	v_min_f32_e32 v6, v7, v3
	v_cmp_u_f16_e32 vcc, v82, v82
	v_max_f32_e32 v3, v7, v3
	s_movk_i32 s4, 0x1f8
	v_cndmask_b32_e32 v6, v6, v2, vcc
	v_cndmask_b32_e32 v3, v3, v2, vcc
	v_cndmask_b32_e64 v6, v6, v53, s[30:31]
	v_cndmask_b32_e64 v3, v3, v53, s[30:31]
	v_cmp_neq_f32_e32 vcc, v6, v3
	v_cmp_class_f32_e64 s[2:3], v6, s4
	s_or_b64 s[6:7], vcc, s[2:3]
	v_mov_b32_e32 v53, v70
	s_and_saveexec_b64 s[2:3], s[6:7]
	s_cbranch_execz .LBB388_394
; %bb.393:
	v_sub_f32_e32 v2, v6, v3
	s_mov_b32 s5, 0x3fb8aa3b
	v_mul_f32_e32 v6, 0x3fb8aa3b, v2
	v_fma_f32 v7, v2, s5, -v6
	v_rndne_f32_e32 v19, v6
	v_fmamk_f32 v7, v2, 0x32a5705f, v7
	v_sub_f32_e32 v6, v6, v19
	v_add_f32_e32 v6, v6, v7
	v_exp_f32_e32 v6, v6
	v_cvt_i32_f32_e32 v7, v19
	s_mov_b32 s5, 0xc2ce8ed0
	v_cmp_ngt_f32_e32 vcc, s5, v2
	s_mov_b32 s5, 0x42b17218
	v_ldexp_f32 v6, v6, v7
	v_cndmask_b32_e32 v6, 0, v6, vcc
	v_mov_b32_e32 v7, 0x7f800000
	v_cmp_nlt_f32_e32 vcc, s5, v2
	s_mov_b32 s5, 0x3f2aaaab
	s_mov_b32 s6, 0x7f800000
	v_cndmask_b32_e32 v33, v7, v6, vcc
	v_add_f32_e32 v2, 1.0, v33
	v_add_f32_e32 v6, -1.0, v2
	v_sub_f32_e32 v7, v6, v2
	v_add_f32_e32 v7, 1.0, v7
	v_sub_f32_e32 v6, v33, v6
	v_add_f32_e32 v19, v6, v7
	v_frexp_mant_f32_e32 v20, v2
	v_cvt_f64_f32_e32 v[6:7], v2
	v_frexp_exp_i32_f64_e32 v6, v[6:7]
	v_cmp_gt_f32_e32 vcc, s5, v20
	s_mov_b32 s5, 0x3f317218
	s_nop 0
	v_subbrev_co_u32_e32 v22, vcc, 0, v6, vcc
	v_sub_u32_e32 v6, 0, v22
	v_ldexp_f32 v2, v2, v6
	v_ldexp_f32 v6, v19, v6
	v_add_f32_e32 v19, -1.0, v2
	v_add_f32_e32 v7, 1.0, v19
	v_sub_f32_e32 v7, v2, v7
	v_add_f32_e32 v20, v6, v7
	v_add_f32_e32 v7, 1.0, v2
	v_add_f32_e32 v21, -1.0, v7
	v_sub_f32_e32 v2, v2, v21
	v_add_f32_e32 v2, v6, v2
	v_add_f32_e32 v53, v7, v2
	v_rcp_f32_e32 v71, v53
	v_sub_f32_e32 v6, v7, v53
	v_add_f32_e32 v7, v19, v20
	v_add_f32_e32 v2, v2, v6
	v_sub_f32_e32 v6, v19, v7
	v_mul_f32_e32 v80, v7, v71
	v_add_f32_e32 v19, v20, v6
	v_mul_f32_e32 v20, v53, v80
	v_fma_f32 v24, v80, v53, -v20
	v_fmac_f32_e32 v24, v80, v2
	v_add_f32_e32 v6, v20, v24
	v_sub_f32_e32 v21, v7, v6
	v_pk_add_f32 v[26:27], v[6:7], v[20:21] neg_lo:[0,1] neg_hi:[0,1]
	v_mov_b32_e32 v25, v6
	v_pk_add_f32 v[6:7], v[26:27], v[24:25] neg_lo:[0,1] neg_hi:[0,1]
	v_cmp_eq_f32_e32 vcc, s6, v33
	v_add_f32_e32 v7, v19, v7
	v_add_f32_e32 v6, v6, v7
	;; [unrolled: 1-line block ×3, first 2 shown]
	v_mul_f32_e32 v19, v71, v7
	v_mul_f32_e32 v20, v53, v19
	v_fma_f32 v24, v19, v53, -v20
	v_fmac_f32_e32 v24, v19, v2
	v_sub_f32_e32 v2, v21, v7
	v_add_f32_e32 v2, v6, v2
	v_add_f32_e32 v6, v20, v24
	v_sub_f32_e32 v21, v7, v6
	v_pk_add_f32 v[26:27], v[6:7], v[20:21] neg_lo:[0,1] neg_hi:[0,1]
	v_mov_b32_e32 v25, v6
	v_pk_add_f32 v[6:7], v[26:27], v[24:25] neg_lo:[0,1] neg_hi:[0,1]
	v_cvt_f32_i32_e32 v20, v22
	v_add_f32_e32 v2, v2, v7
	v_add_f32_e32 v2, v6, v2
	;; [unrolled: 1-line block ×4, first 2 shown]
	v_sub_f32_e32 v7, v6, v80
	v_mul_f32_e32 v2, v71, v2
	v_sub_f32_e32 v7, v19, v7
	v_add_f32_e32 v2, v7, v2
	v_add_f32_e32 v19, v6, v2
	v_mul_f32_e32 v21, v19, v19
	v_mov_b32_e32 v7, 0x3ecc95a3
	v_fmac_f32_e32 v7, 0x3e9b6dac, v21
	v_sub_f32_e32 v6, v19, v6
	v_fmaak_f32 v7, v21, v7, 0x3f2aaada
	v_sub_f32_e32 v2, v2, v6
	v_mul_f32_e32 v21, v19, v21
	v_mov_b32_e32 v6, 0x3f317218
	v_pk_mul_f32 v[6:7], v[20:21], v[6:7]
	v_ldexp_f32 v25, v19, 1
	v_fma_f32 v19, v20, s5, -v6
	v_fmamk_f32 v24, v20, 0xb102e308, v19
	v_pk_add_f32 v[20:21], v[6:7], v[24:25]
	v_ldexp_f32 v2, v2, 1
	v_sub_f32_e32 v19, v21, v25
	v_sub_f32_e32 v19, v7, v19
	v_add_f32_e32 v27, v2, v19
	v_mov_b32_e32 v26, v6
	v_pk_add_f32 v[6:7], v[20:21], v[6:7] neg_lo:[0,1] neg_hi:[0,1]
	v_pk_add_f32 v[80:81], v[20:21], v[26:27]
	v_mov_b32_e32 v25, v20
	v_mov_b32_e32 v7, v81
	v_pk_add_f32 v[82:83], v[24:25], v[6:7] neg_lo:[0,1] neg_hi:[0,1]
	v_pk_add_f32 v[6:7], v[24:25], v[6:7]
	s_mov_b32 s5, 0x33800000
	v_mov_b32_e32 v2, v7
	v_pk_add_f32 v[24:25], v[2:3], v[20:21] neg_lo:[0,1] neg_hi:[0,1]
	v_mov_b32_e32 v6, v81
	v_mov_b32_e32 v19, v24
	v_pk_add_f32 v[84:85], v[80:81], v[18:19] neg_lo:[0,1] neg_hi:[0,1]
	v_mov_b32_e32 v80, v21
	v_mov_b32_e32 v81, v24
	;; [unrolled: 1-line block ×3, first 2 shown]
	v_pk_add_f32 v[6:7], v[6:7], v[80:81] neg_lo:[0,1] neg_hi:[0,1]
	v_mov_b32_e32 v24, v27
	v_mov_b32_e32 v25, v20
	v_pk_add_f32 v[6:7], v[24:25], v[6:7] neg_lo:[0,1] neg_hi:[0,1]
	v_mov_b32_e32 v84, v82
	v_pk_add_f32 v[20:21], v[84:85], v[6:7]
	v_cmp_lt_f32_e64 s[6:7], |v33|, s5
	v_mov_b32_e32 v22, v21
	v_pk_add_f32 v[24:25], v[20:21], v[22:23]
	s_or_b64 vcc, vcc, s[6:7]
	v_pk_add_f32 v[26:27], v[2:3], v[24:25]
	v_mov_b32_e32 v7, v24
	v_mov_b32_e32 v21, v26
	v_pk_add_f32 v[80:81], v[20:21], v[82:83] neg_lo:[0,1] neg_hi:[0,1]
	s_nop 0
	v_sub_f32_e32 v2, v20, v80
	v_pk_add_f32 v[6:7], v[6:7], v[80:81] neg_lo:[0,1] neg_hi:[0,1]
	v_sub_f32_e32 v2, v82, v2
	v_add_f32_e32 v2, v6, v2
	v_add_f32_e32 v2, v2, v7
	;; [unrolled: 1-line block ×3, first 2 shown]
	v_cndmask_b32_e32 v2, v2, v33, vcc
	v_add_f32_e32 v2, v3, v2
	v_cvt_f16_f32_e32 v82, v2
	v_cvt_f32_f16_e32 v2, v82
	v_mov_b32_e32 v53, v82
.LBB388_394:
	s_or_b64 exec, exec, s[2:3]
	v_max_f32_e32 v3, v23, v23
	v_max_f32_e32 v7, v2, v2
	v_min_f32_e32 v6, v7, v3
	v_cmp_u_f16_e32 vcc, v82, v82
	v_max_f32_e32 v3, v7, v3
	v_mov_b32_e32 v71, v53
	v_cndmask_b32_e32 v6, v6, v2, vcc
	v_cndmask_b32_e32 v3, v3, v2, vcc
	v_cndmask_b32_e64 v6, v6, v23, s[34:35]
	v_cndmask_b32_e64 v3, v3, v23, s[34:35]
	v_cmp_neq_f32_e32 vcc, v6, v3
	v_cmp_class_f32_e64 s[2:3], v6, s4
	s_or_b64 s[4:5], vcc, s[2:3]
	s_and_saveexec_b64 s[2:3], s[4:5]
	s_cbranch_execz .LBB388_396
; %bb.395:
	v_sub_f32_e32 v2, v6, v3
	s_mov_b32 s4, 0x3fb8aa3b
	v_mul_f32_e32 v6, 0x3fb8aa3b, v2
	v_fma_f32 v7, v2, s4, -v6
	v_rndne_f32_e32 v19, v6
	v_fmamk_f32 v7, v2, 0x32a5705f, v7
	v_sub_f32_e32 v6, v6, v19
	v_add_f32_e32 v6, v6, v7
	v_exp_f32_e32 v6, v6
	v_cvt_i32_f32_e32 v7, v19
	s_mov_b32 s4, 0xc2ce8ed0
	v_cmp_ngt_f32_e32 vcc, s4, v2
	s_mov_b32 s4, 0x42b17218
	v_ldexp_f32 v6, v6, v7
	v_cndmask_b32_e32 v6, 0, v6, vcc
	v_mov_b32_e32 v7, 0x7f800000
	v_cmp_nlt_f32_e32 vcc, s4, v2
	s_mov_b32 s4, 0x3f2aaaab
	s_mov_b32 s5, 0x7f800000
	v_cndmask_b32_e32 v33, v7, v6, vcc
	v_add_f32_e32 v2, 1.0, v33
	v_add_f32_e32 v6, -1.0, v2
	v_sub_f32_e32 v7, v6, v2
	v_add_f32_e32 v7, 1.0, v7
	v_sub_f32_e32 v6, v33, v6
	v_add_f32_e32 v19, v6, v7
	v_frexp_mant_f32_e32 v20, v2
	v_cvt_f64_f32_e32 v[6:7], v2
	v_frexp_exp_i32_f64_e32 v6, v[6:7]
	v_cmp_gt_f32_e32 vcc, s4, v20
	s_mov_b32 s4, 0x3f317218
	s_nop 0
	v_subbrev_co_u32_e32 v26, vcc, 0, v6, vcc
	v_sub_u32_e32 v6, 0, v26
	v_ldexp_f32 v2, v2, v6
	v_ldexp_f32 v6, v19, v6
	v_add_f32_e32 v19, -1.0, v2
	v_add_f32_e32 v7, 1.0, v19
	v_sub_f32_e32 v7, v2, v7
	v_add_f32_e32 v20, v6, v7
	v_add_f32_e32 v7, 1.0, v2
	v_add_f32_e32 v21, -1.0, v7
	v_sub_f32_e32 v2, v2, v21
	v_add_f32_e32 v2, v6, v2
	v_add_f32_e32 v27, v7, v2
	v_rcp_f32_e32 v71, v27
	v_sub_f32_e32 v6, v7, v27
	v_add_f32_e32 v7, v19, v20
	v_add_f32_e32 v2, v2, v6
	v_sub_f32_e32 v6, v19, v7
	v_mul_f32_e32 v80, v7, v71
	v_add_f32_e32 v19, v20, v6
	v_mul_f32_e32 v20, v27, v80
	v_fma_f32 v22, v80, v27, -v20
	v_fmac_f32_e32 v22, v80, v2
	v_add_f32_e32 v6, v20, v22
	v_sub_f32_e32 v21, v7, v6
	v_pk_add_f32 v[24:25], v[6:7], v[20:21] neg_lo:[0,1] neg_hi:[0,1]
	v_mov_b32_e32 v23, v6
	v_pk_add_f32 v[6:7], v[24:25], v[22:23] neg_lo:[0,1] neg_hi:[0,1]
	v_cmp_eq_f32_e32 vcc, s5, v33
	v_add_f32_e32 v7, v19, v7
	v_add_f32_e32 v6, v6, v7
	;; [unrolled: 1-line block ×3, first 2 shown]
	v_mul_f32_e32 v19, v71, v7
	v_mul_f32_e32 v20, v27, v19
	v_fma_f32 v22, v19, v27, -v20
	v_fmac_f32_e32 v22, v19, v2
	v_sub_f32_e32 v2, v21, v7
	v_add_f32_e32 v2, v6, v2
	v_add_f32_e32 v6, v20, v22
	v_sub_f32_e32 v21, v7, v6
	v_pk_add_f32 v[24:25], v[6:7], v[20:21] neg_lo:[0,1] neg_hi:[0,1]
	v_mov_b32_e32 v23, v6
	v_pk_add_f32 v[6:7], v[24:25], v[22:23] neg_lo:[0,1] neg_hi:[0,1]
	v_cvt_f32_i32_e32 v20, v26
	v_add_f32_e32 v2, v2, v7
	v_add_f32_e32 v2, v6, v2
	v_add_f32_e32 v6, v80, v19
	v_add_f32_e32 v2, v21, v2
	v_sub_f32_e32 v7, v6, v80
	v_mul_f32_e32 v2, v71, v2
	v_sub_f32_e32 v7, v19, v7
	v_add_f32_e32 v2, v7, v2
	v_add_f32_e32 v19, v6, v2
	v_mul_f32_e32 v21, v19, v19
	v_mov_b32_e32 v7, 0x3ecc95a3
	v_fmac_f32_e32 v7, 0x3e9b6dac, v21
	v_sub_f32_e32 v6, v19, v6
	v_fmaak_f32 v7, v21, v7, 0x3f2aaada
	v_sub_f32_e32 v2, v2, v6
	v_mul_f32_e32 v21, v19, v21
	v_mov_b32_e32 v6, 0x3f317218
	v_pk_mul_f32 v[6:7], v[20:21], v[6:7]
	v_ldexp_f32 v23, v19, 1
	v_fma_f32 v19, v20, s4, -v6
	v_fmamk_f32 v22, v20, 0xb102e308, v19
	v_pk_add_f32 v[20:21], v[6:7], v[22:23]
	v_ldexp_f32 v2, v2, 1
	v_sub_f32_e32 v19, v21, v23
	v_sub_f32_e32 v19, v7, v19
	v_add_f32_e32 v25, v2, v19
	v_mov_b32_e32 v24, v6
	v_pk_add_f32 v[6:7], v[20:21], v[6:7] neg_lo:[0,1] neg_hi:[0,1]
	v_pk_add_f32 v[26:27], v[20:21], v[24:25]
	v_mov_b32_e32 v23, v20
	v_mov_b32_e32 v7, v27
	v_pk_add_f32 v[80:81], v[22:23], v[6:7] neg_lo:[0,1] neg_hi:[0,1]
	v_pk_add_f32 v[6:7], v[22:23], v[6:7]
	s_mov_b32 s4, 0x33800000
	v_mov_b32_e32 v2, v7
	v_pk_add_f32 v[22:23], v[2:3], v[20:21] neg_lo:[0,1] neg_hi:[0,1]
	v_mov_b32_e32 v6, v27
	v_mov_b32_e32 v19, v22
	v_pk_add_f32 v[82:83], v[26:27], v[18:19] neg_lo:[0,1] neg_hi:[0,1]
	v_mov_b32_e32 v26, v21
	v_mov_b32_e32 v27, v22
	;; [unrolled: 1-line block ×3, first 2 shown]
	v_pk_add_f32 v[6:7], v[6:7], v[26:27] neg_lo:[0,1] neg_hi:[0,1]
	v_mov_b32_e32 v22, v25
	v_mov_b32_e32 v23, v20
	v_pk_add_f32 v[6:7], v[22:23], v[6:7] neg_lo:[0,1] neg_hi:[0,1]
	v_mov_b32_e32 v82, v80
	v_pk_add_f32 v[20:21], v[82:83], v[6:7]
	v_cmp_lt_f32_e64 s[4:5], |v33|, s4
	v_mov_b32_e32 v22, v21
	v_pk_add_f32 v[22:23], v[20:21], v[22:23]
	s_or_b64 vcc, vcc, s[4:5]
	v_pk_add_f32 v[24:25], v[2:3], v[22:23]
	v_mov_b32_e32 v7, v22
	v_mov_b32_e32 v21, v24
	v_pk_add_f32 v[26:27], v[20:21], v[80:81] neg_lo:[0,1] neg_hi:[0,1]
	s_nop 0
	v_sub_f32_e32 v2, v20, v26
	v_pk_add_f32 v[6:7], v[6:7], v[26:27] neg_lo:[0,1] neg_hi:[0,1]
	v_sub_f32_e32 v2, v80, v2
	v_add_f32_e32 v2, v6, v2
	v_add_f32_e32 v2, v2, v7
	;; [unrolled: 1-line block ×3, first 2 shown]
	v_cndmask_b32_e32 v2, v2, v33, vcc
	v_add_f32_e32 v2, v3, v2
	v_cvt_f16_f32_e32 v82, v2
	v_cvt_f32_f16_e32 v2, v82
	v_mov_b32_e32 v71, v82
.LBB388_396:
	s_or_b64 exec, exec, s[2:3]
	v_max_f32_e32 v3, v54, v54
	v_max_f32_e32 v7, v2, v2
	v_min_f32_e32 v6, v7, v3
	v_cmp_u_f16_e32 vcc, v82, v82
	v_max_f32_e32 v3, v7, v3
	s_movk_i32 s4, 0x1f8
	v_cndmask_b32_e32 v6, v6, v2, vcc
	v_cndmask_b32_e32 v3, v3, v2, vcc
	v_cndmask_b32_e64 v6, v6, v54, s[36:37]
	v_cndmask_b32_e64 v3, v3, v54, s[36:37]
	v_cmp_neq_f32_e32 vcc, v6, v3
	v_cmp_class_f32_e64 s[2:3], v6, s4
	s_or_b64 s[6:7], vcc, s[2:3]
	v_mov_b32_e32 v54, v71
	s_and_saveexec_b64 s[2:3], s[6:7]
	s_cbranch_execz .LBB388_398
; %bb.397:
	v_sub_f32_e32 v2, v6, v3
	s_mov_b32 s5, 0x3fb8aa3b
	v_mul_f32_e32 v6, 0x3fb8aa3b, v2
	v_fma_f32 v7, v2, s5, -v6
	v_rndne_f32_e32 v19, v6
	v_fmamk_f32 v7, v2, 0x32a5705f, v7
	v_sub_f32_e32 v6, v6, v19
	v_add_f32_e32 v6, v6, v7
	v_exp_f32_e32 v6, v6
	v_cvt_i32_f32_e32 v7, v19
	s_mov_b32 s5, 0xc2ce8ed0
	v_cmp_ngt_f32_e32 vcc, s5, v2
	s_mov_b32 s5, 0x42b17218
	v_ldexp_f32 v6, v6, v7
	v_cndmask_b32_e32 v6, 0, v6, vcc
	v_mov_b32_e32 v7, 0x7f800000
	v_cmp_nlt_f32_e32 vcc, s5, v2
	s_mov_b32 s5, 0x3f2aaaab
	s_mov_b32 s6, 0x7f800000
	v_cndmask_b32_e32 v33, v7, v6, vcc
	v_add_f32_e32 v2, 1.0, v33
	v_add_f32_e32 v6, -1.0, v2
	v_sub_f32_e32 v7, v6, v2
	v_add_f32_e32 v7, 1.0, v7
	v_sub_f32_e32 v6, v33, v6
	v_add_f32_e32 v19, v6, v7
	v_frexp_mant_f32_e32 v20, v2
	v_cvt_f64_f32_e32 v[6:7], v2
	v_frexp_exp_i32_f64_e32 v6, v[6:7]
	v_cmp_gt_f32_e32 vcc, s5, v20
	s_mov_b32 s5, 0x3f317218
	s_nop 0
	v_subbrev_co_u32_e32 v26, vcc, 0, v6, vcc
	v_sub_u32_e32 v6, 0, v26
	v_ldexp_f32 v2, v2, v6
	v_ldexp_f32 v6, v19, v6
	v_add_f32_e32 v19, -1.0, v2
	v_add_f32_e32 v7, 1.0, v19
	v_sub_f32_e32 v7, v2, v7
	v_add_f32_e32 v20, v6, v7
	v_add_f32_e32 v7, 1.0, v2
	v_add_f32_e32 v21, -1.0, v7
	v_sub_f32_e32 v2, v2, v21
	v_add_f32_e32 v2, v6, v2
	v_add_f32_e32 v27, v7, v2
	v_rcp_f32_e32 v54, v27
	v_sub_f32_e32 v6, v7, v27
	v_add_f32_e32 v7, v19, v20
	v_add_f32_e32 v2, v2, v6
	v_sub_f32_e32 v6, v19, v7
	v_mul_f32_e32 v80, v7, v54
	v_add_f32_e32 v19, v20, v6
	v_mul_f32_e32 v20, v27, v80
	v_fma_f32 v22, v80, v27, -v20
	v_fmac_f32_e32 v22, v80, v2
	v_add_f32_e32 v6, v20, v22
	v_sub_f32_e32 v21, v7, v6
	v_pk_add_f32 v[24:25], v[6:7], v[20:21] neg_lo:[0,1] neg_hi:[0,1]
	v_mov_b32_e32 v23, v6
	v_pk_add_f32 v[6:7], v[24:25], v[22:23] neg_lo:[0,1] neg_hi:[0,1]
	v_cmp_eq_f32_e32 vcc, s6, v33
	v_add_f32_e32 v7, v19, v7
	v_add_f32_e32 v6, v6, v7
	;; [unrolled: 1-line block ×3, first 2 shown]
	v_mul_f32_e32 v19, v54, v7
	v_mul_f32_e32 v20, v27, v19
	v_fma_f32 v22, v19, v27, -v20
	v_fmac_f32_e32 v22, v19, v2
	v_sub_f32_e32 v2, v21, v7
	v_add_f32_e32 v2, v6, v2
	v_add_f32_e32 v6, v20, v22
	v_sub_f32_e32 v21, v7, v6
	v_pk_add_f32 v[24:25], v[6:7], v[20:21] neg_lo:[0,1] neg_hi:[0,1]
	v_mov_b32_e32 v23, v6
	v_pk_add_f32 v[6:7], v[24:25], v[22:23] neg_lo:[0,1] neg_hi:[0,1]
	v_cvt_f32_i32_e32 v20, v26
	v_add_f32_e32 v2, v2, v7
	v_add_f32_e32 v2, v6, v2
	;; [unrolled: 1-line block ×4, first 2 shown]
	v_sub_f32_e32 v7, v6, v80
	v_mul_f32_e32 v2, v54, v2
	v_sub_f32_e32 v7, v19, v7
	v_add_f32_e32 v2, v7, v2
	v_add_f32_e32 v19, v6, v2
	v_mul_f32_e32 v21, v19, v19
	v_mov_b32_e32 v7, 0x3ecc95a3
	v_fmac_f32_e32 v7, 0x3e9b6dac, v21
	v_sub_f32_e32 v6, v19, v6
	v_fmaak_f32 v7, v21, v7, 0x3f2aaada
	v_sub_f32_e32 v2, v2, v6
	v_mul_f32_e32 v21, v19, v21
	v_mov_b32_e32 v6, 0x3f317218
	v_pk_mul_f32 v[6:7], v[20:21], v[6:7]
	v_ldexp_f32 v23, v19, 1
	v_fma_f32 v19, v20, s5, -v6
	v_fmamk_f32 v22, v20, 0xb102e308, v19
	v_pk_add_f32 v[20:21], v[6:7], v[22:23]
	v_ldexp_f32 v2, v2, 1
	v_sub_f32_e32 v19, v21, v23
	v_sub_f32_e32 v19, v7, v19
	v_add_f32_e32 v25, v2, v19
	v_mov_b32_e32 v24, v6
	v_pk_add_f32 v[6:7], v[20:21], v[6:7] neg_lo:[0,1] neg_hi:[0,1]
	v_pk_add_f32 v[26:27], v[20:21], v[24:25]
	v_mov_b32_e32 v23, v20
	v_mov_b32_e32 v7, v27
	v_pk_add_f32 v[80:81], v[22:23], v[6:7] neg_lo:[0,1] neg_hi:[0,1]
	v_pk_add_f32 v[6:7], v[22:23], v[6:7]
	s_mov_b32 s5, 0x33800000
	v_mov_b32_e32 v2, v7
	v_pk_add_f32 v[22:23], v[2:3], v[20:21] neg_lo:[0,1] neg_hi:[0,1]
	v_mov_b32_e32 v6, v27
	v_mov_b32_e32 v19, v22
	v_pk_add_f32 v[82:83], v[26:27], v[18:19] neg_lo:[0,1] neg_hi:[0,1]
	v_mov_b32_e32 v26, v21
	v_mov_b32_e32 v27, v22
	;; [unrolled: 1-line block ×3, first 2 shown]
	v_pk_add_f32 v[6:7], v[6:7], v[26:27] neg_lo:[0,1] neg_hi:[0,1]
	v_mov_b32_e32 v22, v25
	v_mov_b32_e32 v23, v20
	v_pk_add_f32 v[6:7], v[22:23], v[6:7] neg_lo:[0,1] neg_hi:[0,1]
	v_mov_b32_e32 v82, v80
	v_pk_add_f32 v[20:21], v[82:83], v[6:7]
	v_cmp_lt_f32_e64 s[6:7], |v33|, s5
	v_mov_b32_e32 v22, v21
	v_pk_add_f32 v[22:23], v[20:21], v[22:23]
	s_or_b64 vcc, vcc, s[6:7]
	v_pk_add_f32 v[24:25], v[2:3], v[22:23]
	v_mov_b32_e32 v7, v22
	v_mov_b32_e32 v21, v24
	v_pk_add_f32 v[26:27], v[20:21], v[80:81] neg_lo:[0,1] neg_hi:[0,1]
	s_nop 0
	v_sub_f32_e32 v2, v20, v26
	v_pk_add_f32 v[6:7], v[6:7], v[26:27] neg_lo:[0,1] neg_hi:[0,1]
	v_sub_f32_e32 v2, v80, v2
	v_add_f32_e32 v2, v6, v2
	v_add_f32_e32 v2, v2, v7
	;; [unrolled: 1-line block ×3, first 2 shown]
	v_cndmask_b32_e32 v2, v2, v33, vcc
	v_add_f32_e32 v2, v3, v2
	v_cvt_f16_f32_e32 v82, v2
	v_cvt_f32_f16_e32 v2, v82
	v_mov_b32_e32 v54, v82
.LBB388_398:
	s_or_b64 exec, exec, s[2:3]
	v_max_f32_e32 v3, v16, v16
	v_max_f32_e32 v7, v2, v2
	v_min_f32_e32 v6, v7, v3
	v_cmp_u_f16_e32 vcc, v82, v82
	v_max_f32_e32 v3, v7, v3
	v_mov_b32_e32 v80, v54
	v_cndmask_b32_e32 v6, v6, v2, vcc
	v_cndmask_b32_e32 v3, v3, v2, vcc
	v_cndmask_b32_e64 v6, v6, v16, s[38:39]
	v_cndmask_b32_e64 v3, v3, v16, s[38:39]
	v_cmp_neq_f32_e32 vcc, v6, v3
	v_cmp_class_f32_e64 s[2:3], v6, s4
	s_or_b64 s[4:5], vcc, s[2:3]
	s_and_saveexec_b64 s[2:3], s[4:5]
	s_cbranch_execz .LBB388_400
; %bb.399:
	v_sub_f32_e32 v2, v6, v3
	s_mov_b32 s4, 0x3fb8aa3b
	v_mul_f32_e32 v6, 0x3fb8aa3b, v2
	v_fma_f32 v7, v2, s4, -v6
	v_rndne_f32_e32 v16, v6
	v_fmamk_f32 v7, v2, 0x32a5705f, v7
	v_sub_f32_e32 v6, v6, v16
	v_add_f32_e32 v6, v6, v7
	v_exp_f32_e32 v6, v6
	v_cvt_i32_f32_e32 v7, v16
	s_mov_b32 s4, 0xc2ce8ed0
	v_cmp_ngt_f32_e32 vcc, s4, v2
	s_mov_b32 s4, 0x42b17218
	v_ldexp_f32 v6, v6, v7
	v_cndmask_b32_e32 v6, 0, v6, vcc
	v_mov_b32_e32 v7, 0x7f800000
	v_cmp_nlt_f32_e32 vcc, s4, v2
	s_mov_b32 s4, 0x3f2aaaab
	s_mov_b32 s5, 0x7f800000
	v_cndmask_b32_e32 v33, v7, v6, vcc
	v_add_f32_e32 v2, 1.0, v33
	v_add_f32_e32 v6, -1.0, v2
	v_sub_f32_e32 v7, v6, v2
	v_add_f32_e32 v7, 1.0, v7
	v_sub_f32_e32 v6, v33, v6
	v_add_f32_e32 v16, v6, v7
	v_frexp_mant_f32_e32 v19, v2
	v_cvt_f64_f32_e32 v[6:7], v2
	v_frexp_exp_i32_f64_e32 v6, v[6:7]
	v_cmp_gt_f32_e32 vcc, s4, v19
	s_mov_b32 s4, 0x3f317218
	s_nop 0
	v_subbrev_co_u32_e32 v19, vcc, 0, v6, vcc
	v_sub_u32_e32 v6, 0, v19
	v_ldexp_f32 v2, v2, v6
	v_ldexp_f32 v6, v16, v6
	v_add_f32_e32 v16, -1.0, v2
	v_add_f32_e32 v7, 1.0, v16
	v_sub_f32_e32 v7, v2, v7
	v_add_f32_e32 v20, v6, v7
	v_add_f32_e32 v7, 1.0, v2
	v_add_f32_e32 v21, -1.0, v7
	v_sub_f32_e32 v2, v2, v21
	v_add_f32_e32 v2, v6, v2
	v_add_f32_e32 v26, v7, v2
	v_rcp_f32_e32 v27, v26
	v_sub_f32_e32 v6, v7, v26
	v_add_f32_e32 v7, v16, v20
	v_add_f32_e32 v2, v2, v6
	v_sub_f32_e32 v6, v16, v7
	v_mul_f32_e32 v80, v7, v27
	v_add_f32_e32 v16, v20, v6
	v_mul_f32_e32 v20, v26, v80
	v_fma_f32 v22, v80, v26, -v20
	v_fmac_f32_e32 v22, v80, v2
	v_add_f32_e32 v6, v20, v22
	v_sub_f32_e32 v21, v7, v6
	v_pk_add_f32 v[24:25], v[6:7], v[20:21] neg_lo:[0,1] neg_hi:[0,1]
	v_mov_b32_e32 v23, v6
	v_pk_add_f32 v[6:7], v[24:25], v[22:23] neg_lo:[0,1] neg_hi:[0,1]
	v_cmp_eq_f32_e32 vcc, s5, v33
	v_add_f32_e32 v7, v16, v7
	v_add_f32_e32 v6, v6, v7
	;; [unrolled: 1-line block ×3, first 2 shown]
	v_mul_f32_e32 v16, v27, v7
	v_mul_f32_e32 v20, v26, v16
	v_fma_f32 v22, v16, v26, -v20
	v_fmac_f32_e32 v22, v16, v2
	v_sub_f32_e32 v2, v21, v7
	v_add_f32_e32 v2, v6, v2
	v_add_f32_e32 v6, v20, v22
	v_sub_f32_e32 v21, v7, v6
	v_pk_add_f32 v[24:25], v[6:7], v[20:21] neg_lo:[0,1] neg_hi:[0,1]
	v_mov_b32_e32 v23, v6
	v_pk_add_f32 v[6:7], v[24:25], v[22:23] neg_lo:[0,1] neg_hi:[0,1]
	v_cvt_f32_i32_e32 v20, v19
	v_add_f32_e32 v2, v2, v7
	v_add_f32_e32 v2, v6, v2
	;; [unrolled: 1-line block ×4, first 2 shown]
	v_sub_f32_e32 v7, v6, v80
	v_mul_f32_e32 v2, v27, v2
	v_sub_f32_e32 v7, v16, v7
	v_add_f32_e32 v2, v7, v2
	v_add_f32_e32 v16, v6, v2
	v_mul_f32_e32 v21, v16, v16
	v_mov_b32_e32 v7, 0x3ecc95a3
	v_fmac_f32_e32 v7, 0x3e9b6dac, v21
	v_sub_f32_e32 v6, v16, v6
	v_fmaak_f32 v7, v21, v7, 0x3f2aaada
	v_sub_f32_e32 v2, v2, v6
	v_mul_f32_e32 v21, v16, v21
	v_mov_b32_e32 v6, 0x3f317218
	v_pk_mul_f32 v[6:7], v[20:21], v[6:7]
	v_ldexp_f32 v23, v16, 1
	v_fma_f32 v16, v20, s4, -v6
	v_fmamk_f32 v22, v20, 0xb102e308, v16
	v_pk_add_f32 v[20:21], v[6:7], v[22:23]
	v_ldexp_f32 v2, v2, 1
	v_sub_f32_e32 v16, v21, v23
	v_sub_f32_e32 v16, v7, v16
	v_add_f32_e32 v25, v2, v16
	v_mov_b32_e32 v24, v6
	v_pk_add_f32 v[6:7], v[20:21], v[6:7] neg_lo:[0,1] neg_hi:[0,1]
	v_pk_add_f32 v[26:27], v[20:21], v[24:25]
	v_mov_b32_e32 v23, v20
	v_mov_b32_e32 v7, v27
	v_pk_add_f32 v[80:81], v[22:23], v[6:7] neg_lo:[0,1] neg_hi:[0,1]
	v_pk_add_f32 v[6:7], v[22:23], v[6:7]
	s_mov_b32 s4, 0x33800000
	v_mov_b32_e32 v2, v7
	v_pk_add_f32 v[22:23], v[2:3], v[20:21] neg_lo:[0,1] neg_hi:[0,1]
	v_mov_b32_e32 v6, v27
	v_mov_b32_e32 v19, v22
	v_pk_add_f32 v[82:83], v[26:27], v[18:19] neg_lo:[0,1] neg_hi:[0,1]
	v_mov_b32_e32 v26, v21
	v_mov_b32_e32 v27, v22
	;; [unrolled: 1-line block ×3, first 2 shown]
	v_pk_add_f32 v[6:7], v[6:7], v[26:27] neg_lo:[0,1] neg_hi:[0,1]
	v_mov_b32_e32 v22, v25
	v_mov_b32_e32 v23, v20
	v_pk_add_f32 v[6:7], v[22:23], v[6:7] neg_lo:[0,1] neg_hi:[0,1]
	v_mov_b32_e32 v82, v80
	v_pk_add_f32 v[20:21], v[82:83], v[6:7]
	v_cmp_lt_f32_e64 s[4:5], |v33|, s4
	v_mov_b32_e32 v16, v21
	v_pk_add_f32 v[22:23], v[20:21], v[16:17]
	s_or_b64 vcc, vcc, s[4:5]
	v_pk_add_f32 v[24:25], v[2:3], v[22:23]
	v_mov_b32_e32 v7, v22
	v_mov_b32_e32 v21, v24
	v_pk_add_f32 v[26:27], v[20:21], v[80:81] neg_lo:[0,1] neg_hi:[0,1]
	s_nop 0
	v_sub_f32_e32 v2, v20, v26
	v_pk_add_f32 v[6:7], v[6:7], v[26:27] neg_lo:[0,1] neg_hi:[0,1]
	v_sub_f32_e32 v2, v80, v2
	v_add_f32_e32 v2, v6, v2
	v_add_f32_e32 v2, v2, v7
	;; [unrolled: 1-line block ×3, first 2 shown]
	v_cndmask_b32_e32 v2, v2, v33, vcc
	v_add_f32_e32 v2, v3, v2
	v_cvt_f16_f32_e32 v82, v2
	v_cvt_f32_f16_e32 v2, v82
	v_mov_b32_e32 v80, v82
.LBB388_400:
	s_or_b64 exec, exec, s[2:3]
	v_max_f32_e32 v3, v55, v55
	v_max_f32_e32 v7, v2, v2
	v_min_f32_e32 v6, v7, v3
	v_cmp_u_f16_e32 vcc, v82, v82
	v_max_f32_e32 v3, v7, v3
	s_movk_i32 s4, 0x1f8
	v_cndmask_b32_e32 v6, v6, v2, vcc
	v_cndmask_b32_e32 v3, v3, v2, vcc
	v_cndmask_b32_e64 v6, v6, v55, s[40:41]
	v_cndmask_b32_e64 v3, v3, v55, s[40:41]
	v_cmp_neq_f32_e32 vcc, v6, v3
	v_cmp_class_f32_e64 s[2:3], v6, s4
	s_or_b64 s[6:7], vcc, s[2:3]
	v_mov_b32_e32 v55, v80
	s_and_saveexec_b64 s[2:3], s[6:7]
	s_cbranch_execz .LBB388_402
; %bb.401:
	v_sub_f32_e32 v2, v6, v3
	s_mov_b32 s5, 0x3fb8aa3b
	v_mul_f32_e32 v6, 0x3fb8aa3b, v2
	v_fma_f32 v7, v2, s5, -v6
	v_rndne_f32_e32 v16, v6
	v_fmamk_f32 v7, v2, 0x32a5705f, v7
	v_sub_f32_e32 v6, v6, v16
	v_add_f32_e32 v6, v6, v7
	v_exp_f32_e32 v6, v6
	v_cvt_i32_f32_e32 v7, v16
	s_mov_b32 s5, 0xc2ce8ed0
	v_cmp_ngt_f32_e32 vcc, s5, v2
	s_mov_b32 s5, 0x42b17218
	v_ldexp_f32 v6, v6, v7
	v_cndmask_b32_e32 v6, 0, v6, vcc
	v_mov_b32_e32 v7, 0x7f800000
	v_cmp_nlt_f32_e32 vcc, s5, v2
	s_mov_b32 s5, 0x3f2aaaab
	s_mov_b32 s6, 0x7f800000
	v_cndmask_b32_e32 v33, v7, v6, vcc
	v_add_f32_e32 v2, 1.0, v33
	v_add_f32_e32 v6, -1.0, v2
	v_sub_f32_e32 v7, v6, v2
	v_add_f32_e32 v7, 1.0, v7
	v_sub_f32_e32 v6, v33, v6
	v_add_f32_e32 v16, v6, v7
	v_frexp_mant_f32_e32 v19, v2
	v_cvt_f64_f32_e32 v[6:7], v2
	v_frexp_exp_i32_f64_e32 v6, v[6:7]
	v_cmp_gt_f32_e32 vcc, s5, v19
	s_mov_b32 s5, 0x3f317218
	s_nop 0
	v_subbrev_co_u32_e32 v19, vcc, 0, v6, vcc
	v_sub_u32_e32 v6, 0, v19
	v_ldexp_f32 v2, v2, v6
	v_ldexp_f32 v6, v16, v6
	v_add_f32_e32 v16, -1.0, v2
	v_add_f32_e32 v7, 1.0, v16
	v_sub_f32_e32 v7, v2, v7
	v_add_f32_e32 v20, v6, v7
	v_add_f32_e32 v7, 1.0, v2
	v_add_f32_e32 v21, -1.0, v7
	v_sub_f32_e32 v2, v2, v21
	v_add_f32_e32 v2, v6, v2
	v_add_f32_e32 v26, v7, v2
	v_rcp_f32_e32 v27, v26
	v_sub_f32_e32 v6, v7, v26
	v_add_f32_e32 v7, v16, v20
	v_add_f32_e32 v2, v2, v6
	v_sub_f32_e32 v6, v16, v7
	v_mul_f32_e32 v55, v7, v27
	v_add_f32_e32 v16, v20, v6
	v_mul_f32_e32 v20, v26, v55
	v_fma_f32 v22, v55, v26, -v20
	v_fmac_f32_e32 v22, v55, v2
	v_add_f32_e32 v6, v20, v22
	v_sub_f32_e32 v21, v7, v6
	v_pk_add_f32 v[24:25], v[6:7], v[20:21] neg_lo:[0,1] neg_hi:[0,1]
	v_mov_b32_e32 v23, v6
	v_pk_add_f32 v[6:7], v[24:25], v[22:23] neg_lo:[0,1] neg_hi:[0,1]
	v_cmp_eq_f32_e32 vcc, s6, v33
	v_add_f32_e32 v7, v16, v7
	v_add_f32_e32 v6, v6, v7
	;; [unrolled: 1-line block ×3, first 2 shown]
	v_mul_f32_e32 v16, v27, v7
	v_mul_f32_e32 v20, v26, v16
	v_fma_f32 v22, v16, v26, -v20
	v_fmac_f32_e32 v22, v16, v2
	v_sub_f32_e32 v2, v21, v7
	v_add_f32_e32 v2, v6, v2
	v_add_f32_e32 v6, v20, v22
	v_sub_f32_e32 v21, v7, v6
	v_pk_add_f32 v[24:25], v[6:7], v[20:21] neg_lo:[0,1] neg_hi:[0,1]
	v_mov_b32_e32 v23, v6
	v_pk_add_f32 v[6:7], v[24:25], v[22:23] neg_lo:[0,1] neg_hi:[0,1]
	v_cvt_f32_i32_e32 v20, v19
	v_add_f32_e32 v2, v2, v7
	v_add_f32_e32 v2, v6, v2
	v_add_f32_e32 v6, v55, v16
	v_add_f32_e32 v2, v21, v2
	v_sub_f32_e32 v7, v6, v55
	v_mul_f32_e32 v2, v27, v2
	v_sub_f32_e32 v7, v16, v7
	v_add_f32_e32 v2, v7, v2
	v_add_f32_e32 v16, v6, v2
	v_mul_f32_e32 v21, v16, v16
	v_mov_b32_e32 v7, 0x3ecc95a3
	v_fmac_f32_e32 v7, 0x3e9b6dac, v21
	v_sub_f32_e32 v6, v16, v6
	v_fmaak_f32 v7, v21, v7, 0x3f2aaada
	v_sub_f32_e32 v2, v2, v6
	v_mul_f32_e32 v21, v16, v21
	v_mov_b32_e32 v6, 0x3f317218
	v_pk_mul_f32 v[6:7], v[20:21], v[6:7]
	v_ldexp_f32 v23, v16, 1
	v_fma_f32 v16, v20, s5, -v6
	v_fmamk_f32 v22, v20, 0xb102e308, v16
	v_pk_add_f32 v[20:21], v[6:7], v[22:23]
	v_ldexp_f32 v2, v2, 1
	v_sub_f32_e32 v16, v21, v23
	v_sub_f32_e32 v16, v7, v16
	v_add_f32_e32 v25, v2, v16
	v_mov_b32_e32 v24, v6
	v_pk_add_f32 v[6:7], v[20:21], v[6:7] neg_lo:[0,1] neg_hi:[0,1]
	v_pk_add_f32 v[26:27], v[20:21], v[24:25]
	v_mov_b32_e32 v23, v20
	v_mov_b32_e32 v7, v27
	v_pk_add_f32 v[82:83], v[22:23], v[6:7] neg_lo:[0,1] neg_hi:[0,1]
	v_pk_add_f32 v[6:7], v[22:23], v[6:7]
	s_mov_b32 s5, 0x33800000
	v_mov_b32_e32 v2, v7
	v_pk_add_f32 v[22:23], v[2:3], v[20:21] neg_lo:[0,1] neg_hi:[0,1]
	v_mov_b32_e32 v6, v27
	v_mov_b32_e32 v19, v22
	v_pk_add_f32 v[84:85], v[26:27], v[18:19] neg_lo:[0,1] neg_hi:[0,1]
	v_mov_b32_e32 v26, v21
	v_mov_b32_e32 v27, v22
	;; [unrolled: 1-line block ×3, first 2 shown]
	v_pk_add_f32 v[6:7], v[6:7], v[26:27] neg_lo:[0,1] neg_hi:[0,1]
	v_mov_b32_e32 v22, v25
	v_mov_b32_e32 v23, v20
	v_pk_add_f32 v[6:7], v[22:23], v[6:7] neg_lo:[0,1] neg_hi:[0,1]
	v_mov_b32_e32 v84, v82
	v_pk_add_f32 v[20:21], v[84:85], v[6:7]
	v_cmp_lt_f32_e64 s[6:7], |v33|, s5
	v_mov_b32_e32 v16, v21
	v_pk_add_f32 v[22:23], v[20:21], v[16:17]
	s_or_b64 vcc, vcc, s[6:7]
	v_pk_add_f32 v[24:25], v[2:3], v[22:23]
	v_mov_b32_e32 v7, v22
	v_mov_b32_e32 v21, v24
	v_pk_add_f32 v[26:27], v[20:21], v[82:83] neg_lo:[0,1] neg_hi:[0,1]
	s_nop 0
	v_sub_f32_e32 v2, v20, v26
	v_pk_add_f32 v[6:7], v[6:7], v[26:27] neg_lo:[0,1] neg_hi:[0,1]
	v_sub_f32_e32 v2, v82, v2
	v_add_f32_e32 v2, v6, v2
	v_add_f32_e32 v2, v2, v7
	;; [unrolled: 1-line block ×3, first 2 shown]
	v_cndmask_b32_e32 v2, v2, v33, vcc
	v_add_f32_e32 v2, v3, v2
	v_cvt_f16_f32_e32 v82, v2
	v_cvt_f32_f16_e32 v2, v82
	v_mov_b32_e32 v55, v82
.LBB388_402:
	s_or_b64 exec, exec, s[2:3]
	v_max_f32_e32 v3, v17, v17
	v_max_f32_e32 v7, v2, v2
	v_min_f32_e32 v6, v7, v3
	v_cmp_u_f16_e32 vcc, v82, v82
	v_max_f32_e32 v3, v7, v3
	v_mov_b32_e32 v81, v55
	v_cndmask_b32_e32 v6, v6, v2, vcc
	v_cndmask_b32_e32 v3, v3, v2, vcc
	v_cndmask_b32_e64 v6, v6, v17, s[42:43]
	v_cndmask_b32_e64 v3, v3, v17, s[42:43]
	v_cmp_neq_f32_e32 vcc, v6, v3
	v_cmp_class_f32_e64 s[2:3], v6, s4
	s_or_b64 s[4:5], vcc, s[2:3]
	s_and_saveexec_b64 s[2:3], s[4:5]
	s_cbranch_execz .LBB388_404
; %bb.403:
	v_sub_f32_e32 v2, v6, v3
	s_mov_b32 s4, 0x3fb8aa3b
	v_mul_f32_e32 v6, 0x3fb8aa3b, v2
	v_fma_f32 v7, v2, s4, -v6
	v_rndne_f32_e32 v16, v6
	v_fmamk_f32 v7, v2, 0x32a5705f, v7
	v_sub_f32_e32 v6, v6, v16
	v_add_f32_e32 v6, v6, v7
	v_exp_f32_e32 v6, v6
	v_cvt_i32_f32_e32 v7, v16
	s_mov_b32 s4, 0xc2ce8ed0
	v_cmp_ngt_f32_e32 vcc, s4, v2
	s_mov_b32 s4, 0x42b17218
	v_ldexp_f32 v6, v6, v7
	v_cndmask_b32_e32 v6, 0, v6, vcc
	v_mov_b32_e32 v7, 0x7f800000
	v_cmp_nlt_f32_e32 vcc, s4, v2
	s_mov_b32 s4, 0x3f2aaaab
	s_mov_b32 s5, 0x7f800000
	v_cndmask_b32_e32 v33, v7, v6, vcc
	v_add_f32_e32 v2, 1.0, v33
	v_add_f32_e32 v6, -1.0, v2
	v_sub_f32_e32 v7, v6, v2
	v_add_f32_e32 v7, 1.0, v7
	v_sub_f32_e32 v6, v33, v6
	v_add_f32_e32 v16, v6, v7
	v_frexp_mant_f32_e32 v17, v2
	v_cvt_f64_f32_e32 v[6:7], v2
	v_frexp_exp_i32_f64_e32 v6, v[6:7]
	v_cmp_gt_f32_e32 vcc, s4, v17
	s_mov_b32 s4, 0x3f317218
	s_nop 0
	v_subbrev_co_u32_e32 v19, vcc, 0, v6, vcc
	v_sub_u32_e32 v6, 0, v19
	v_ldexp_f32 v2, v2, v6
	v_ldexp_f32 v6, v16, v6
	v_add_f32_e32 v16, -1.0, v2
	v_add_f32_e32 v7, 1.0, v16
	v_sub_f32_e32 v7, v2, v7
	v_add_f32_e32 v17, v6, v7
	v_add_f32_e32 v7, 1.0, v2
	v_add_f32_e32 v20, -1.0, v7
	v_sub_f32_e32 v2, v2, v20
	v_add_f32_e32 v2, v6, v2
	v_add_f32_e32 v24, v7, v2
	v_rcp_f32_e32 v25, v24
	v_sub_f32_e32 v6, v7, v24
	v_add_f32_e32 v7, v16, v17
	v_add_f32_e32 v2, v2, v6
	v_mul_f32_e32 v27, v7, v25
	v_sub_f32_e32 v6, v16, v7
	v_mul_f32_e32 v16, v24, v27
	v_fma_f32 v20, v27, v24, -v16
	v_fmac_f32_e32 v20, v27, v2
	v_add_f32_e32 v26, v17, v6
	v_add_f32_e32 v6, v16, v20
	v_sub_f32_e32 v17, v7, v6
	v_pk_add_f32 v[22:23], v[6:7], v[16:17] neg_lo:[0,1] neg_hi:[0,1]
	v_mov_b32_e32 v21, v6
	v_pk_add_f32 v[6:7], v[22:23], v[20:21] neg_lo:[0,1] neg_hi:[0,1]
	v_cmp_eq_f32_e32 vcc, s5, v33
	v_add_f32_e32 v7, v26, v7
	v_add_f32_e32 v6, v6, v7
	;; [unrolled: 1-line block ×3, first 2 shown]
	v_mul_f32_e32 v26, v25, v7
	v_mul_f32_e32 v16, v24, v26
	v_fma_f32 v20, v26, v24, -v16
	v_fmac_f32_e32 v20, v26, v2
	v_sub_f32_e32 v2, v17, v7
	v_add_f32_e32 v2, v6, v2
	v_add_f32_e32 v6, v16, v20
	v_sub_f32_e32 v17, v7, v6
	v_pk_add_f32 v[22:23], v[6:7], v[16:17] neg_lo:[0,1] neg_hi:[0,1]
	v_mov_b32_e32 v21, v6
	v_pk_add_f32 v[6:7], v[22:23], v[20:21] neg_lo:[0,1] neg_hi:[0,1]
	v_cvt_f32_i32_e32 v16, v19
	v_add_f32_e32 v2, v2, v7
	v_add_f32_e32 v2, v6, v2
	;; [unrolled: 1-line block ×4, first 2 shown]
	v_sub_f32_e32 v7, v6, v27
	v_mul_f32_e32 v2, v25, v2
	v_sub_f32_e32 v7, v26, v7
	v_add_f32_e32 v2, v7, v2
	v_add_f32_e32 v17, v6, v2
	v_mul_f32_e32 v20, v17, v17
	v_mov_b32_e32 v7, 0x3ecc95a3
	v_fmac_f32_e32 v7, 0x3e9b6dac, v20
	v_sub_f32_e32 v6, v17, v6
	v_fmaak_f32 v7, v20, v7, 0x3f2aaada
	v_sub_f32_e32 v2, v2, v6
	v_ldexp_f32 v21, v17, 1
	v_mul_f32_e32 v17, v17, v20
	v_mov_b32_e32 v6, 0x3f317218
	v_pk_mul_f32 v[6:7], v[16:17], v[6:7]
	v_ldexp_f32 v2, v2, 1
	v_fma_f32 v17, v16, s4, -v6
	v_fmamk_f32 v20, v16, 0xb102e308, v17
	v_pk_add_f32 v[16:17], v[6:7], v[20:21]
	v_mov_b32_e32 v22, v6
	v_sub_f32_e32 v19, v17, v21
	v_sub_f32_e32 v19, v7, v19
	v_add_f32_e32 v23, v2, v19
	v_pk_add_f32 v[6:7], v[16:17], v[6:7] neg_lo:[0,1] neg_hi:[0,1]
	v_pk_add_f32 v[24:25], v[16:17], v[22:23]
	v_mov_b32_e32 v21, v16
	v_mov_b32_e32 v7, v25
	v_pk_add_f32 v[26:27], v[20:21], v[6:7] neg_lo:[0,1] neg_hi:[0,1]
	v_pk_add_f32 v[6:7], v[20:21], v[6:7]
	s_mov_b32 s4, 0x33800000
	v_mov_b32_e32 v2, v7
	v_pk_add_f32 v[20:21], v[2:3], v[16:17] neg_lo:[0,1] neg_hi:[0,1]
	v_mov_b32_e32 v6, v25
	v_mov_b32_e32 v19, v20
	v_pk_add_f32 v[82:83], v[24:25], v[18:19] neg_lo:[0,1] neg_hi:[0,1]
	v_mov_b32_e32 v24, v17
	v_mov_b32_e32 v25, v20
	;; [unrolled: 1-line block ×3, first 2 shown]
	v_pk_add_f32 v[6:7], v[6:7], v[24:25] neg_lo:[0,1] neg_hi:[0,1]
	v_mov_b32_e32 v20, v23
	v_mov_b32_e32 v21, v16
	v_pk_add_f32 v[6:7], v[20:21], v[6:7] neg_lo:[0,1] neg_hi:[0,1]
	v_mov_b32_e32 v82, v26
	v_pk_add_f32 v[16:17], v[82:83], v[6:7]
	v_cmp_lt_f32_e64 s[4:5], |v33|, s4
	v_mov_b32_e32 v20, v17
	v_pk_add_f32 v[20:21], v[16:17], v[20:21]
	s_or_b64 vcc, vcc, s[4:5]
	v_pk_add_f32 v[22:23], v[2:3], v[20:21]
	v_mov_b32_e32 v7, v20
	v_mov_b32_e32 v17, v22
	v_pk_add_f32 v[24:25], v[16:17], v[26:27] neg_lo:[0,1] neg_hi:[0,1]
	s_nop 0
	v_sub_f32_e32 v2, v16, v24
	v_pk_add_f32 v[6:7], v[6:7], v[24:25] neg_lo:[0,1] neg_hi:[0,1]
	v_sub_f32_e32 v2, v26, v2
	v_add_f32_e32 v2, v6, v2
	v_add_f32_e32 v2, v2, v7
	;; [unrolled: 1-line block ×3, first 2 shown]
	v_cndmask_b32_e32 v2, v2, v33, vcc
	v_add_f32_e32 v2, v3, v2
	v_cvt_f16_f32_e32 v82, v2
	v_cvt_f32_f16_e32 v2, v82
	v_mov_b32_e32 v81, v82
.LBB388_404:
	s_or_b64 exec, exec, s[2:3]
	v_max_f32_e32 v3, v64, v64
	v_max_f32_e32 v7, v2, v2
	v_min_f32_e32 v6, v7, v3
	v_cmp_u_f16_e32 vcc, v82, v82
	v_max_f32_e32 v3, v7, v3
	s_movk_i32 s4, 0x1f8
	v_cndmask_b32_e32 v6, v6, v2, vcc
	v_cndmask_b32_e32 v3, v3, v2, vcc
	v_cndmask_b32_e64 v6, v6, v64, s[44:45]
	v_cndmask_b32_e64 v3, v3, v64, s[44:45]
	v_cmp_neq_f32_e32 vcc, v6, v3
	v_cmp_class_f32_e64 s[2:3], v6, s4
	s_or_b64 s[6:7], vcc, s[2:3]
	v_mov_b32_e32 v64, v81
	s_and_saveexec_b64 s[2:3], s[6:7]
	s_cbranch_execz .LBB388_406
; %bb.405:
	v_sub_f32_e32 v2, v6, v3
	s_mov_b32 s5, 0x3fb8aa3b
	v_mul_f32_e32 v6, 0x3fb8aa3b, v2
	v_fma_f32 v7, v2, s5, -v6
	v_rndne_f32_e32 v16, v6
	v_fmamk_f32 v7, v2, 0x32a5705f, v7
	v_sub_f32_e32 v6, v6, v16
	v_add_f32_e32 v6, v6, v7
	v_exp_f32_e32 v6, v6
	v_cvt_i32_f32_e32 v7, v16
	s_mov_b32 s5, 0xc2ce8ed0
	v_cmp_ngt_f32_e32 vcc, s5, v2
	s_mov_b32 s5, 0x42b17218
	v_ldexp_f32 v6, v6, v7
	v_cndmask_b32_e32 v6, 0, v6, vcc
	v_mov_b32_e32 v7, 0x7f800000
	v_cmp_nlt_f32_e32 vcc, s5, v2
	s_mov_b32 s5, 0x3f2aaaab
	s_mov_b32 s6, 0x7f800000
	v_cndmask_b32_e32 v33, v7, v6, vcc
	v_add_f32_e32 v2, 1.0, v33
	v_add_f32_e32 v6, -1.0, v2
	v_sub_f32_e32 v7, v6, v2
	v_add_f32_e32 v7, 1.0, v7
	v_sub_f32_e32 v6, v33, v6
	v_add_f32_e32 v16, v6, v7
	v_frexp_mant_f32_e32 v17, v2
	v_cvt_f64_f32_e32 v[6:7], v2
	v_frexp_exp_i32_f64_e32 v6, v[6:7]
	v_cmp_gt_f32_e32 vcc, s5, v17
	s_mov_b32 s5, 0x3f317218
	s_nop 0
	v_subbrev_co_u32_e32 v19, vcc, 0, v6, vcc
	v_sub_u32_e32 v6, 0, v19
	v_ldexp_f32 v2, v2, v6
	v_ldexp_f32 v6, v16, v6
	v_add_f32_e32 v16, -1.0, v2
	v_add_f32_e32 v7, 1.0, v16
	v_sub_f32_e32 v7, v2, v7
	v_add_f32_e32 v17, v6, v7
	v_add_f32_e32 v7, 1.0, v2
	v_add_f32_e32 v20, -1.0, v7
	v_sub_f32_e32 v2, v2, v20
	v_add_f32_e32 v2, v6, v2
	v_add_f32_e32 v24, v7, v2
	v_rcp_f32_e32 v25, v24
	v_sub_f32_e32 v6, v7, v24
	v_add_f32_e32 v7, v16, v17
	v_add_f32_e32 v2, v2, v6
	v_mul_f32_e32 v27, v7, v25
	v_sub_f32_e32 v6, v16, v7
	v_mul_f32_e32 v16, v24, v27
	v_fma_f32 v20, v27, v24, -v16
	v_fmac_f32_e32 v20, v27, v2
	v_add_f32_e32 v26, v17, v6
	v_add_f32_e32 v6, v16, v20
	v_sub_f32_e32 v17, v7, v6
	v_pk_add_f32 v[22:23], v[6:7], v[16:17] neg_lo:[0,1] neg_hi:[0,1]
	v_mov_b32_e32 v21, v6
	v_pk_add_f32 v[6:7], v[22:23], v[20:21] neg_lo:[0,1] neg_hi:[0,1]
	v_cmp_eq_f32_e32 vcc, s6, v33
	v_add_f32_e32 v7, v26, v7
	v_add_f32_e32 v6, v6, v7
	;; [unrolled: 1-line block ×3, first 2 shown]
	v_mul_f32_e32 v26, v25, v7
	v_mul_f32_e32 v16, v24, v26
	v_fma_f32 v20, v26, v24, -v16
	v_fmac_f32_e32 v20, v26, v2
	v_sub_f32_e32 v2, v17, v7
	v_add_f32_e32 v2, v6, v2
	v_add_f32_e32 v6, v16, v20
	v_sub_f32_e32 v17, v7, v6
	v_pk_add_f32 v[22:23], v[6:7], v[16:17] neg_lo:[0,1] neg_hi:[0,1]
	v_mov_b32_e32 v21, v6
	v_pk_add_f32 v[6:7], v[22:23], v[20:21] neg_lo:[0,1] neg_hi:[0,1]
	v_cvt_f32_i32_e32 v16, v19
	v_add_f32_e32 v2, v2, v7
	v_add_f32_e32 v2, v6, v2
	;; [unrolled: 1-line block ×4, first 2 shown]
	v_sub_f32_e32 v7, v6, v27
	v_mul_f32_e32 v2, v25, v2
	v_sub_f32_e32 v7, v26, v7
	v_add_f32_e32 v2, v7, v2
	v_add_f32_e32 v17, v6, v2
	v_mul_f32_e32 v20, v17, v17
	v_mov_b32_e32 v7, 0x3ecc95a3
	v_fmac_f32_e32 v7, 0x3e9b6dac, v20
	v_sub_f32_e32 v6, v17, v6
	v_fmaak_f32 v7, v20, v7, 0x3f2aaada
	v_sub_f32_e32 v2, v2, v6
	v_ldexp_f32 v21, v17, 1
	v_mul_f32_e32 v17, v17, v20
	v_mov_b32_e32 v6, 0x3f317218
	v_pk_mul_f32 v[6:7], v[16:17], v[6:7]
	v_ldexp_f32 v2, v2, 1
	v_fma_f32 v17, v16, s5, -v6
	v_fmamk_f32 v20, v16, 0xb102e308, v17
	v_pk_add_f32 v[16:17], v[6:7], v[20:21]
	v_mov_b32_e32 v22, v6
	v_sub_f32_e32 v19, v17, v21
	v_sub_f32_e32 v19, v7, v19
	v_add_f32_e32 v23, v2, v19
	v_pk_add_f32 v[6:7], v[16:17], v[6:7] neg_lo:[0,1] neg_hi:[0,1]
	v_pk_add_f32 v[24:25], v[16:17], v[22:23]
	v_mov_b32_e32 v21, v16
	v_mov_b32_e32 v7, v25
	v_pk_add_f32 v[26:27], v[20:21], v[6:7] neg_lo:[0,1] neg_hi:[0,1]
	v_pk_add_f32 v[6:7], v[20:21], v[6:7]
	s_mov_b32 s5, 0x33800000
	v_mov_b32_e32 v2, v7
	v_pk_add_f32 v[20:21], v[2:3], v[16:17] neg_lo:[0,1] neg_hi:[0,1]
	v_mov_b32_e32 v6, v25
	v_mov_b32_e32 v19, v20
	v_pk_add_f32 v[82:83], v[24:25], v[18:19] neg_lo:[0,1] neg_hi:[0,1]
	v_mov_b32_e32 v24, v17
	v_mov_b32_e32 v25, v20
	v_mov_b32_e32 v27, v7
	v_pk_add_f32 v[6:7], v[6:7], v[24:25] neg_lo:[0,1] neg_hi:[0,1]
	v_mov_b32_e32 v20, v23
	v_mov_b32_e32 v21, v16
	v_pk_add_f32 v[6:7], v[20:21], v[6:7] neg_lo:[0,1] neg_hi:[0,1]
	v_mov_b32_e32 v82, v26
	v_pk_add_f32 v[16:17], v[82:83], v[6:7]
	v_cmp_lt_f32_e64 s[6:7], |v33|, s5
	v_mov_b32_e32 v20, v17
	v_pk_add_f32 v[20:21], v[16:17], v[20:21]
	s_or_b64 vcc, vcc, s[6:7]
	v_pk_add_f32 v[22:23], v[2:3], v[20:21]
	v_mov_b32_e32 v7, v20
	v_mov_b32_e32 v17, v22
	v_pk_add_f32 v[24:25], v[16:17], v[26:27] neg_lo:[0,1] neg_hi:[0,1]
	s_nop 0
	v_sub_f32_e32 v2, v16, v24
	v_pk_add_f32 v[6:7], v[6:7], v[24:25] neg_lo:[0,1] neg_hi:[0,1]
	v_sub_f32_e32 v2, v26, v2
	v_add_f32_e32 v2, v6, v2
	v_add_f32_e32 v2, v2, v7
	;; [unrolled: 1-line block ×3, first 2 shown]
	v_cndmask_b32_e32 v2, v2, v33, vcc
	v_add_f32_e32 v2, v3, v2
	v_cvt_f16_f32_e32 v82, v2
	v_cvt_f32_f16_e32 v2, v82
	v_mov_b32_e32 v64, v82
.LBB388_406:
	s_or_b64 exec, exec, s[2:3]
	v_max_f32_e32 v3, v18, v18
	v_max_f32_e32 v7, v2, v2
	v_min_f32_e32 v6, v7, v3
	v_cmp_u_f16_e32 vcc, v82, v82
	v_max_f32_e32 v3, v7, v3
	v_mov_b32_e32 v83, v64
	v_cndmask_b32_e32 v6, v6, v2, vcc
	v_cndmask_b32_e32 v3, v3, v2, vcc
	v_cndmask_b32_e64 v6, v6, v18, s[46:47]
	v_cndmask_b32_e64 v3, v3, v18, s[46:47]
	v_cmp_neq_f32_e32 vcc, v6, v3
	v_cmp_class_f32_e64 s[2:3], v6, s4
	s_or_b64 s[4:5], vcc, s[2:3]
	s_and_saveexec_b64 s[2:3], s[4:5]
	s_cbranch_execz .LBB388_408
; %bb.407:
	v_sub_f32_e32 v2, v6, v3
	s_mov_b32 s4, 0x3fb8aa3b
	v_mul_f32_e32 v6, 0x3fb8aa3b, v2
	v_fma_f32 v7, v2, s4, -v6
	v_rndne_f32_e32 v16, v6
	v_fmamk_f32 v7, v2, 0x32a5705f, v7
	v_sub_f32_e32 v6, v6, v16
	v_add_f32_e32 v6, v6, v7
	v_exp_f32_e32 v6, v6
	v_cvt_i32_f32_e32 v7, v16
	s_mov_b32 s4, 0xc2ce8ed0
	v_cmp_ngt_f32_e32 vcc, s4, v2
	s_mov_b32 s4, 0x42b17218
	v_ldexp_f32 v6, v6, v7
	v_cndmask_b32_e32 v6, 0, v6, vcc
	v_mov_b32_e32 v7, 0x7f800000
	v_cmp_nlt_f32_e32 vcc, s4, v2
	s_mov_b32 s4, 0x3f2aaaab
	s_mov_b32 s5, 0x7f800000
	v_cndmask_b32_e32 v33, v7, v6, vcc
	v_add_f32_e32 v2, 1.0, v33
	v_add_f32_e32 v6, -1.0, v2
	v_sub_f32_e32 v7, v6, v2
	v_add_f32_e32 v7, 1.0, v7
	v_sub_f32_e32 v6, v33, v6
	v_add_f32_e32 v16, v6, v7
	v_frexp_mant_f32_e32 v17, v2
	v_cvt_f64_f32_e32 v[6:7], v2
	v_frexp_exp_i32_f64_e32 v6, v[6:7]
	v_cmp_gt_f32_e32 vcc, s4, v17
	s_mov_b32 s4, 0x3f317218
	s_nop 0
	v_subbrev_co_u32_e32 v22, vcc, 0, v6, vcc
	v_sub_u32_e32 v6, 0, v22
	v_ldexp_f32 v2, v2, v6
	v_ldexp_f32 v6, v16, v6
	v_add_f32_e32 v16, -1.0, v2
	v_add_f32_e32 v7, 1.0, v16
	v_sub_f32_e32 v7, v2, v7
	v_add_f32_e32 v17, v6, v7
	v_add_f32_e32 v7, 1.0, v2
	v_add_f32_e32 v18, -1.0, v7
	v_sub_f32_e32 v2, v2, v18
	v_add_f32_e32 v2, v6, v2
	v_add_f32_e32 v23, v7, v2
	v_rcp_f32_e32 v24, v23
	v_sub_f32_e32 v6, v7, v23
	v_add_f32_e32 v7, v16, v17
	v_add_f32_e32 v2, v2, v6
	v_mul_f32_e32 v26, v7, v24
	v_sub_f32_e32 v6, v16, v7
	v_mul_f32_e32 v16, v23, v26
	v_fma_f32 v18, v26, v23, -v16
	v_fmac_f32_e32 v18, v26, v2
	v_add_f32_e32 v25, v17, v6
	v_add_f32_e32 v6, v16, v18
	v_sub_f32_e32 v17, v7, v6
	v_pk_add_f32 v[20:21], v[6:7], v[16:17] neg_lo:[0,1] neg_hi:[0,1]
	v_mov_b32_e32 v19, v6
	v_pk_add_f32 v[6:7], v[20:21], v[18:19] neg_lo:[0,1] neg_hi:[0,1]
	v_cmp_eq_f32_e32 vcc, s5, v33
	v_add_f32_e32 v7, v25, v7
	v_add_f32_e32 v6, v6, v7
	;; [unrolled: 1-line block ×3, first 2 shown]
	v_mul_f32_e32 v25, v24, v7
	v_mul_f32_e32 v16, v23, v25
	v_fma_f32 v18, v25, v23, -v16
	v_fmac_f32_e32 v18, v25, v2
	v_sub_f32_e32 v2, v17, v7
	v_add_f32_e32 v2, v6, v2
	v_add_f32_e32 v6, v16, v18
	v_sub_f32_e32 v17, v7, v6
	v_pk_add_f32 v[20:21], v[6:7], v[16:17] neg_lo:[0,1] neg_hi:[0,1]
	v_mov_b32_e32 v19, v6
	v_pk_add_f32 v[6:7], v[20:21], v[18:19] neg_lo:[0,1] neg_hi:[0,1]
	v_cvt_f32_i32_e32 v16, v22
	v_add_f32_e32 v2, v2, v7
	v_add_f32_e32 v2, v6, v2
	;; [unrolled: 1-line block ×4, first 2 shown]
	v_sub_f32_e32 v7, v6, v26
	v_mul_f32_e32 v2, v24, v2
	v_sub_f32_e32 v7, v25, v7
	v_add_f32_e32 v2, v7, v2
	v_add_f32_e32 v17, v6, v2
	v_mul_f32_e32 v18, v17, v17
	v_mov_b32_e32 v7, 0x3ecc95a3
	v_fmac_f32_e32 v7, 0x3e9b6dac, v18
	v_sub_f32_e32 v6, v17, v6
	v_fmaak_f32 v7, v18, v7, 0x3f2aaada
	v_sub_f32_e32 v2, v2, v6
	v_ldexp_f32 v19, v17, 1
	v_mul_f32_e32 v17, v17, v18
	v_mov_b32_e32 v6, 0x3f317218
	v_pk_mul_f32 v[6:7], v[16:17], v[6:7]
	v_ldexp_f32 v2, v2, 1
	v_fma_f32 v17, v16, s4, -v6
	v_fmamk_f32 v18, v16, 0xb102e308, v17
	v_pk_add_f32 v[16:17], v[6:7], v[18:19]
	v_mov_b32_e32 v20, v6
	v_sub_f32_e32 v19, v17, v19
	v_sub_f32_e32 v19, v7, v19
	v_add_f32_e32 v21, v2, v19
	v_pk_add_f32 v[6:7], v[16:17], v[6:7] neg_lo:[0,1] neg_hi:[0,1]
	v_pk_add_f32 v[22:23], v[16:17], v[20:21]
	v_mov_b32_e32 v19, v16
	v_mov_b32_e32 v7, v23
	v_pk_add_f32 v[24:25], v[18:19], v[6:7] neg_lo:[0,1] neg_hi:[0,1]
	v_pk_add_f32 v[6:7], v[18:19], v[6:7]
	s_mov_b32 s4, 0x33800000
	v_mov_b32_e32 v2, v7
	v_pk_add_f32 v[18:19], v[2:3], v[16:17] neg_lo:[0,1] neg_hi:[0,1]
	v_mov_b32_e32 v6, v23
	v_mov_b32_e32 v19, v18
	v_pk_add_f32 v[26:27], v[22:23], v[18:19] neg_lo:[0,1] neg_hi:[0,1]
	v_mov_b32_e32 v22, v17
	v_mov_b32_e32 v23, v18
	;; [unrolled: 1-line block ×3, first 2 shown]
	v_pk_add_f32 v[6:7], v[6:7], v[22:23] neg_lo:[0,1] neg_hi:[0,1]
	v_mov_b32_e32 v18, v21
	v_mov_b32_e32 v19, v16
	v_pk_add_f32 v[6:7], v[18:19], v[6:7] neg_lo:[0,1] neg_hi:[0,1]
	v_mov_b32_e32 v26, v24
	v_pk_add_f32 v[16:17], v[26:27], v[6:7]
	v_cmp_lt_f32_e64 s[4:5], |v33|, s4
	v_mov_b32_e32 v18, v17
	v_pk_add_f32 v[18:19], v[16:17], v[18:19]
	s_or_b64 vcc, vcc, s[4:5]
	v_pk_add_f32 v[20:21], v[2:3], v[18:19]
	v_mov_b32_e32 v7, v18
	v_mov_b32_e32 v17, v20
	v_pk_add_f32 v[22:23], v[16:17], v[24:25] neg_lo:[0,1] neg_hi:[0,1]
	s_nop 0
	v_sub_f32_e32 v2, v16, v22
	v_pk_add_f32 v[6:7], v[6:7], v[22:23] neg_lo:[0,1] neg_hi:[0,1]
	v_sub_f32_e32 v2, v24, v2
	v_add_f32_e32 v2, v6, v2
	v_add_f32_e32 v2, v2, v7
	;; [unrolled: 1-line block ×3, first 2 shown]
	v_cndmask_b32_e32 v2, v2, v33, vcc
	v_add_f32_e32 v2, v3, v2
	v_cvt_f16_f32_e32 v82, v2
	v_cvt_f32_f16_e32 v2, v82
	v_mov_b32_e32 v83, v82
.LBB388_408:
	s_or_b64 exec, exec, s[2:3]
	v_max_f32_e32 v6, v65, v65
	v_max_f32_e32 v7, v2, v2
	v_min_f32_e32 v3, v7, v6
	v_cmp_u_f16_e32 vcc, v82, v82
	v_max_f32_e32 v6, v7, v6
	s_movk_i32 s2, 0x1f8
	v_cndmask_b32_e32 v3, v3, v2, vcc
	v_cndmask_b32_e32 v2, v6, v2, vcc
	v_cndmask_b32_e64 v3, v3, v65, s[48:49]
	v_cndmask_b32_e64 v2, v2, v65, s[48:49]
	v_cmp_neq_f32_e32 vcc, v3, v2
	v_cmp_class_f32_e64 s[2:3], v3, s2
	s_or_b64 s[4:5], vcc, s[2:3]
	v_mov_b32_e32 v65, v83
	s_and_saveexec_b64 s[2:3], s[4:5]
	s_cbranch_execz .LBB388_410
; %bb.409:
	v_sub_f32_e32 v3, v3, v2
	s_mov_b32 s4, 0x3fb8aa3b
	v_mul_f32_e32 v6, 0x3fb8aa3b, v3
	v_fma_f32 v7, v3, s4, -v6
	v_rndne_f32_e32 v16, v6
	v_fmamk_f32 v7, v3, 0x32a5705f, v7
	v_sub_f32_e32 v6, v6, v16
	v_add_f32_e32 v6, v6, v7
	v_exp_f32_e32 v6, v6
	v_cvt_i32_f32_e32 v7, v16
	s_mov_b32 s4, 0xc2ce8ed0
	v_cmp_ngt_f32_e32 vcc, s4, v3
	s_mov_b32 s4, 0x42b17218
	v_ldexp_f32 v6, v6, v7
	v_cndmask_b32_e32 v6, 0, v6, vcc
	v_mov_b32_e32 v7, 0x7f800000
	v_cmp_nlt_f32_e32 vcc, s4, v3
	s_mov_b32 s4, 0x3f2aaaab
	s_mov_b32 s5, 0x7f800000
	v_cndmask_b32_e32 v33, v7, v6, vcc
	v_add_f32_e32 v3, 1.0, v33
	v_add_f32_e32 v6, -1.0, v3
	v_sub_f32_e32 v7, v6, v3
	v_add_f32_e32 v7, 1.0, v7
	v_sub_f32_e32 v6, v33, v6
	v_add_f32_e32 v16, v6, v7
	v_frexp_mant_f32_e32 v17, v3
	v_cvt_f64_f32_e32 v[6:7], v3
	v_frexp_exp_i32_f64_e32 v6, v[6:7]
	v_cmp_gt_f32_e32 vcc, s4, v17
	s_mov_b32 s4, 0x3f317218
	s_nop 0
	v_subbrev_co_u32_e32 v22, vcc, 0, v6, vcc
	v_sub_u32_e32 v6, 0, v22
	v_ldexp_f32 v3, v3, v6
	v_ldexp_f32 v6, v16, v6
	v_add_f32_e32 v16, -1.0, v3
	v_add_f32_e32 v7, 1.0, v16
	v_sub_f32_e32 v7, v3, v7
	v_add_f32_e32 v17, v6, v7
	v_add_f32_e32 v7, 1.0, v3
	v_add_f32_e32 v18, -1.0, v7
	v_sub_f32_e32 v3, v3, v18
	v_add_f32_e32 v3, v6, v3
	v_add_f32_e32 v23, v7, v3
	v_rcp_f32_e32 v24, v23
	v_sub_f32_e32 v6, v7, v23
	v_add_f32_e32 v7, v16, v17
	v_add_f32_e32 v3, v3, v6
	v_mul_f32_e32 v26, v7, v24
	v_sub_f32_e32 v6, v16, v7
	v_mul_f32_e32 v16, v23, v26
	v_fma_f32 v18, v26, v23, -v16
	v_fmac_f32_e32 v18, v26, v3
	v_add_f32_e32 v25, v17, v6
	v_add_f32_e32 v6, v16, v18
	v_sub_f32_e32 v17, v7, v6
	v_pk_add_f32 v[20:21], v[6:7], v[16:17] neg_lo:[0,1] neg_hi:[0,1]
	v_mov_b32_e32 v19, v6
	v_pk_add_f32 v[6:7], v[20:21], v[18:19] neg_lo:[0,1] neg_hi:[0,1]
	v_cmp_eq_f32_e32 vcc, s5, v33
	v_add_f32_e32 v7, v25, v7
	v_add_f32_e32 v6, v6, v7
	;; [unrolled: 1-line block ×3, first 2 shown]
	v_mul_f32_e32 v25, v24, v7
	v_mul_f32_e32 v16, v23, v25
	v_fma_f32 v18, v25, v23, -v16
	v_fmac_f32_e32 v18, v25, v3
	v_sub_f32_e32 v3, v17, v7
	v_add_f32_e32 v3, v6, v3
	v_add_f32_e32 v6, v16, v18
	v_sub_f32_e32 v17, v7, v6
	v_pk_add_f32 v[20:21], v[6:7], v[16:17] neg_lo:[0,1] neg_hi:[0,1]
	v_mov_b32_e32 v19, v6
	v_pk_add_f32 v[6:7], v[20:21], v[18:19] neg_lo:[0,1] neg_hi:[0,1]
	v_cvt_f32_i32_e32 v16, v22
	v_add_f32_e32 v3, v3, v7
	v_add_f32_e32 v3, v6, v3
	v_add_f32_e32 v6, v26, v25
	v_add_f32_e32 v3, v17, v3
	v_sub_f32_e32 v7, v6, v26
	v_mul_f32_e32 v3, v24, v3
	v_sub_f32_e32 v7, v25, v7
	v_add_f32_e32 v3, v7, v3
	v_add_f32_e32 v17, v6, v3
	v_mul_f32_e32 v18, v17, v17
	v_mov_b32_e32 v7, 0x3ecc95a3
	v_fmac_f32_e32 v7, 0x3e9b6dac, v18
	v_sub_f32_e32 v6, v17, v6
	v_fmaak_f32 v7, v18, v7, 0x3f2aaada
	v_sub_f32_e32 v3, v3, v6
	v_ldexp_f32 v19, v17, 1
	v_mul_f32_e32 v17, v17, v18
	v_mov_b32_e32 v6, 0x3f317218
	v_pk_mul_f32 v[6:7], v[16:17], v[6:7]
	v_ldexp_f32 v3, v3, 1
	v_fma_f32 v17, v16, s4, -v6
	v_fmamk_f32 v18, v16, 0xb102e308, v17
	v_pk_add_f32 v[16:17], v[6:7], v[18:19]
	v_mov_b32_e32 v20, v6
	v_sub_f32_e32 v19, v17, v19
	v_sub_f32_e32 v19, v7, v19
	v_add_f32_e32 v21, v3, v19
	v_pk_add_f32 v[6:7], v[16:17], v[6:7] neg_lo:[0,1] neg_hi:[0,1]
	v_pk_add_f32 v[22:23], v[16:17], v[20:21]
	v_mov_b32_e32 v19, v16
	v_mov_b32_e32 v7, v23
	v_pk_add_f32 v[24:25], v[18:19], v[6:7] neg_lo:[0,1] neg_hi:[0,1]
	v_pk_add_f32 v[6:7], v[18:19], v[6:7]
	v_mov_b32_e32 v20, v21
	v_mov_b32_e32 v18, v7
	v_pk_add_f32 v[26:27], v[18:19], v[16:17] neg_lo:[0,1] neg_hi:[0,1]
	v_mov_b32_e32 v6, v23
	v_mov_b32_e32 v3, v26
	v_pk_add_f32 v[84:85], v[22:23], v[2:3] neg_lo:[0,1] neg_hi:[0,1]
	v_mov_b32_e32 v22, v17
	v_mov_b32_e32 v23, v26
	;; [unrolled: 1-line block ×3, first 2 shown]
	v_pk_add_f32 v[6:7], v[6:7], v[22:23] neg_lo:[0,1] neg_hi:[0,1]
	v_mov_b32_e32 v21, v16
	v_pk_add_f32 v[6:7], v[20:21], v[6:7] neg_lo:[0,1] neg_hi:[0,1]
	v_mov_b32_e32 v84, v24
	v_pk_add_f32 v[16:17], v[84:85], v[6:7]
	s_mov_b32 s4, 0x33800000
	v_mov_b32_e32 v20, v17
	v_pk_add_f32 v[20:21], v[16:17], v[20:21]
	v_cmp_lt_f32_e64 s[4:5], |v33|, s4
	v_pk_add_f32 v[18:19], v[18:19], v[20:21]
	v_mov_b32_e32 v7, v20
	v_mov_b32_e32 v17, v18
	v_pk_add_f32 v[22:23], v[16:17], v[24:25] neg_lo:[0,1] neg_hi:[0,1]
	s_or_b64 vcc, vcc, s[4:5]
	v_sub_f32_e32 v3, v16, v22
	v_pk_add_f32 v[6:7], v[6:7], v[22:23] neg_lo:[0,1] neg_hi:[0,1]
	v_sub_f32_e32 v3, v24, v3
	v_add_f32_e32 v3, v6, v3
	v_add_f32_e32 v3, v3, v7
	;; [unrolled: 1-line block ×3, first 2 shown]
	v_cndmask_b32_e32 v3, v3, v33, vcc
	v_add_f32_e32 v2, v2, v3
	v_cvt_f16_f32_e32 v65, v2
.LBB388_410:
	s_or_b64 exec, exec, s[2:3]
	s_movk_i32 s2, 0xff
	v_cmp_eq_u32_e32 vcc, s2, v32
	s_and_saveexec_b64 s[2:3], vcc
	s_cbranch_execz .LBB388_412
; %bb.411:
	s_mov_b32 s4, 0x20000
	v_or_b32_sdwa v2, v65, s4 dst_sel:DWORD dst_unused:UNUSED_PAD src0_sel:WORD_0 src1_sel:DWORD
	flat_store_dword v[28:29], v2 offset:256 sc1
.LBB388_412:
	s_or_b64 exec, exec, s[2:3]
.LBB388_413:
	v_lshl_add_u64 v[2:3], v[12:13], 1, v[14:15]
	v_lshl_add_u64 v[2:3], v[34:35], 1, v[2:3]
	s_waitcnt lgkmcnt(0)
	s_barrier
	s_and_saveexec_b64 s[2:3], s[0:1]
	s_xor_b64 s[0:1], exec, s[2:3]
	s_cbranch_execz .LBB388_415
; %bb.414:
	s_mov_b32 s2, 0x5040100
	v_perm_b32 v7, v66, v48, s2
	v_perm_b32 v6, v39, v38, s2
	;; [unrolled: 1-line block ×4, first 2 shown]
	ds_write_b128 v1, v[4:7]
	v_perm_b32 v7, v53, v70, s2
	v_perm_b32 v6, v51, v69, s2
	;; [unrolled: 1-line block ×4, first 2 shown]
	ds_write_b128 v1, v[4:7] offset:16
	v_perm_b32 v7, v65, v83, s2
	v_perm_b32 v6, v64, v81, s2
	;; [unrolled: 1-line block ×4, first 2 shown]
	ds_write_b128 v1, v[4:7] offset:32
	v_mov_b32_e32 v1, 0
	s_waitcnt lgkmcnt(0)
	s_barrier
	ds_read_u16 v4, v0
	ds_read_u16 v5, v0 offset:512
	ds_read_u16 v6, v0 offset:1024
	;; [unrolled: 1-line block ×23, first 2 shown]
	v_lshl_add_u64 v[0:1], v[2:3], 0, v[0:1]
	s_movk_i32 s2, 0x1000
	v_add_co_u32_e32 v2, vcc, s2, v0
	s_waitcnt lgkmcnt(0)
	flat_store_short v[0:1], v4
	flat_store_short v[0:1], v5 offset:512
	flat_store_short v[0:1], v6 offset:1024
	;; [unrolled: 1-line block ×7, first 2 shown]
	v_addc_co_u32_e32 v3, vcc, 0, v1, vcc
	v_add_co_u32_e32 v0, vcc, 0x2000, v0
	flat_store_short v[2:3], v12
	flat_store_short v[2:3], v13 offset:512
	flat_store_short v[2:3], v14 offset:1024
	;; [unrolled: 1-line block ×7, first 2 shown]
	v_addc_co_u32_e32 v1, vcc, 0, v1, vcc
                                        ; implicit-def: $vgpr2_vgpr3_vgpr4_vgpr5
	flat_store_short v[0:1], v20
	flat_store_short v[0:1], v21 offset:512
	flat_store_short v[0:1], v22 offset:1024
	;; [unrolled: 1-line block ×7, first 2 shown]
                                        ; implicit-def: $vgpr6_vgpr7_vgpr8_vgpr9
                                        ; implicit-def: $vgpr32
                                        ; implicit-def: $vgpr10_vgpr11
                                        ; implicit-def: $vgpr1
                                        ; implicit-def: $vgpr30
                                        ; implicit-def: $vgpr31
                                        ; implicit-def: $vgpr36
                                        ; implicit-def: $vgpr37
                                        ; implicit-def: $vgpr38
                                        ; implicit-def: $vgpr39
                                        ; implicit-def: $vgpr48
                                        ; implicit-def: $vgpr66
                                        ; implicit-def: $vgpr67
                                        ; implicit-def: $vgpr49
                                        ; implicit-def: $vgpr68
                                        ; implicit-def: $vgpr50
                                        ; implicit-def: $vgpr69
                                        ; implicit-def: $vgpr51
                                        ; implicit-def: $vgpr70
                                        ; implicit-def: $vgpr53
                                        ; implicit-def: $vgpr71
                                        ; implicit-def: $vgpr54
                                        ; implicit-def: $vgpr80
                                        ; implicit-def: $vgpr55
                                        ; implicit-def: $vgpr81
                                        ; implicit-def: $vgpr64
                                        ; implicit-def: $vgpr83
                                        ; implicit-def: $vgpr65
                                        ; implicit-def: $vgpr2_vgpr3
                                        ; implicit-def: $vgpr52
                                        ; implicit-def: $vgpr0
.LBB388_415:
	s_andn2_saveexec_b64 s[2:3], s[0:1]
	s_cbranch_execz .LBB388_556
; %bb.416:
	s_mov_b32 s0, 0x5040100
	v_perm_b32 v15, v66, v48, s0
	v_perm_b32 v14, v39, v38, s0
	;; [unrolled: 1-line block ×4, first 2 shown]
	ds_write_b128 v1, v[12:15]
	v_perm_b32 v15, v53, v70, s0
	v_perm_b32 v14, v51, v69, s0
	;; [unrolled: 1-line block ×4, first 2 shown]
	ds_write_b128 v1, v[12:15] offset:16
	v_perm_b32 v15, v65, v83, s0
	v_perm_b32 v14, v64, v81, s0
	;; [unrolled: 1-line block ×4, first 2 shown]
	ds_write_b128 v1, v[12:15] offset:32
	s_waitcnt lgkmcnt(0)
	s_barrier
	ds_read_u16 v7, v0
	ds_read_u16 v6, v0 offset:512
	ds_read_u16 v13, v0 offset:1024
	;; [unrolled: 1-line block ×23, first 2 shown]
	v_mov_b32_e32 v1, 0
	v_lshl_add_u64 v[2:3], v[2:3], 0, v[0:1]
	v_cmp_lt_u32_e32 vcc, v32, v10
	s_and_saveexec_b64 s[0:1], vcc
	s_cbranch_execz .LBB388_418
; %bb.417:
	s_waitcnt lgkmcnt(0)
	flat_store_short v[2:3], v7
.LBB388_418:
	s_or_b64 exec, exec, s[0:1]
	v_add_u32_e32 v0, 0x100, v32
	v_cmp_lt_u32_e32 vcc, v0, v10
	s_and_saveexec_b64 s[0:1], vcc
	s_cbranch_execz .LBB388_420
; %bb.419:
	s_waitcnt lgkmcnt(0)
	flat_store_short v[2:3], v6 offset:512
.LBB388_420:
	s_or_b64 exec, exec, s[0:1]
	v_add_u32_e32 v0, 0x200, v32
	v_cmp_lt_u32_e32 vcc, v0, v10
	s_and_saveexec_b64 s[0:1], vcc
	s_cbranch_execz .LBB388_422
; %bb.421:
	s_waitcnt lgkmcnt(0)
	flat_store_short v[2:3], v13 offset:1024
.LBB388_422:
	;; [unrolled: 9-line block ×3, first 2 shown]
	s_or_b64 exec, exec, s[0:1]
	v_or_b32_e32 v0, 0x400, v32
	v_cmp_lt_u32_e32 vcc, v0, v10
	s_and_saveexec_b64 s[0:1], vcc
	s_cbranch_execz .LBB388_426
; %bb.425:
	s_waitcnt lgkmcnt(0)
	flat_store_short v[2:3], v12 offset:2048
.LBB388_426:
	s_or_b64 exec, exec, s[0:1]
	v_add_u32_e32 v0, 0x500, v32
	v_cmp_lt_u32_e32 vcc, v0, v10
	s_and_saveexec_b64 s[0:1], vcc
	s_cbranch_execz .LBB388_428
; %bb.427:
	s_waitcnt lgkmcnt(0)
	flat_store_short v[2:3], v15 offset:2560
.LBB388_428:
	s_or_b64 exec, exec, s[0:1]
	v_add_u32_e32 v0, 0x600, v32
	;; [unrolled: 9-line block ×3, first 2 shown]
	v_cmp_lt_u32_e32 vcc, v0, v10
	s_and_saveexec_b64 s[0:1], vcc
	s_cbranch_execz .LBB388_432
; %bb.431:
	s_waitcnt lgkmcnt(0)
	flat_store_short v[2:3], v21 offset:3584
.LBB388_432:
	s_or_b64 exec, exec, s[0:1]
	v_or_b32_e32 v0, 0x800, v32
	v_cmp_lt_u32_e32 vcc, v0, v10
	s_and_saveexec_b64 s[0:1], vcc
	s_cbranch_execz .LBB388_434
; %bb.433:
	v_add_co_u32_e32 v36, vcc, 0x1000, v2
	s_nop 1
	v_addc_co_u32_e32 v37, vcc, 0, v3, vcc
	s_waitcnt lgkmcnt(0)
	flat_store_short v[36:37], v22
.LBB388_434:
	s_or_b64 exec, exec, s[0:1]
	v_add_u32_e32 v0, 0x900, v32
	v_cmp_lt_u32_e32 vcc, v0, v10
	s_and_saveexec_b64 s[0:1], vcc
	s_cbranch_execz .LBB388_436
; %bb.435:
	v_add_co_u32_e32 v36, vcc, 0x1000, v2
	s_nop 1
	v_addc_co_u32_e32 v37, vcc, 0, v3, vcc
	s_waitcnt lgkmcnt(0)
	flat_store_short v[36:37], v29 offset:512
.LBB388_436:
	s_or_b64 exec, exec, s[0:1]
	v_add_u32_e32 v0, 0xa00, v32
	v_cmp_lt_u32_e32 vcc, v0, v10
	s_and_saveexec_b64 s[0:1], vcc
	s_cbranch_execz .LBB388_438
; %bb.437:
	v_add_co_u32_e32 v36, vcc, 0x1000, v2
	s_nop 1
	v_addc_co_u32_e32 v37, vcc, 0, v3, vcc
	s_waitcnt lgkmcnt(0)
	flat_store_short v[36:37], v26 offset:1024
.LBB388_438:
	;; [unrolled: 12-line block ×3, first 2 shown]
	s_or_b64 exec, exec, s[0:1]
	v_or_b32_e32 v0, 0xc00, v32
	v_cmp_lt_u32_e32 vcc, v0, v10
	s_and_saveexec_b64 s[0:1], vcc
	s_cbranch_execz .LBB388_442
; %bb.441:
	v_add_co_u32_e32 v36, vcc, 0x1000, v2
	s_nop 1
	v_addc_co_u32_e32 v37, vcc, 0, v3, vcc
	s_waitcnt lgkmcnt(0)
	flat_store_short v[36:37], v24 offset:2048
.LBB388_442:
	s_or_b64 exec, exec, s[0:1]
	v_add_u32_e32 v0, 0xd00, v32
	v_cmp_lt_u32_e32 vcc, v0, v10
	s_and_saveexec_b64 s[0:1], vcc
	s_cbranch_execz .LBB388_444
; %bb.443:
	v_add_co_u32_e32 v36, vcc, 0x1000, v2
	s_nop 1
	v_addc_co_u32_e32 v37, vcc, 0, v3, vcc
	s_waitcnt lgkmcnt(0)
	flat_store_short v[36:37], v19 offset:2560
.LBB388_444:
	s_or_b64 exec, exec, s[0:1]
	v_add_u32_e32 v0, 0xe00, v32
	v_cmp_lt_u32_e32 vcc, v0, v10
	s_and_saveexec_b64 s[0:1], vcc
	s_cbranch_execz .LBB388_446
; %bb.445:
	v_add_co_u32_e32 v36, vcc, 0x1000, v2
	s_nop 1
	v_addc_co_u32_e32 v37, vcc, 0, v3, vcc
	s_waitcnt lgkmcnt(0)
	flat_store_short v[36:37], v20 offset:3072
.LBB388_446:
	s_or_b64 exec, exec, s[0:1]
	v_add_u32_e32 v0, 0xf00, v32
	v_cmp_lt_u32_e32 vcc, v0, v10
	s_and_saveexec_b64 s[0:1], vcc
	s_cbranch_execz .LBB388_448
; %bb.447:
	v_add_co_u32_e32 v36, vcc, 0x1000, v2
	s_nop 1
	v_addc_co_u32_e32 v37, vcc, 0, v3, vcc
	s_waitcnt lgkmcnt(0)
	flat_store_short v[36:37], v16 offset:3584
.LBB388_448:
	s_or_b64 exec, exec, s[0:1]
	v_or_b32_e32 v0, 0x1000, v32
	v_cmp_lt_u32_e32 vcc, v0, v10
	s_and_saveexec_b64 s[0:1], vcc
	s_cbranch_execz .LBB388_450
; %bb.449:
	v_add_co_u32_e32 v36, vcc, 0x2000, v2
	s_nop 1
	v_addc_co_u32_e32 v37, vcc, 0, v3, vcc
	s_waitcnt lgkmcnt(0)
	flat_store_short v[36:37], v28
.LBB388_450:
	s_or_b64 exec, exec, s[0:1]
	v_add_u32_e32 v0, 0x1100, v32
	v_cmp_lt_u32_e32 vcc, v0, v10
	s_and_saveexec_b64 s[0:1], vcc
	s_cbranch_execz .LBB388_452
; %bb.451:
	v_add_co_u32_e32 v36, vcc, 0x2000, v2
	s_nop 1
	v_addc_co_u32_e32 v37, vcc, 0, v3, vcc
	s_waitcnt lgkmcnt(0)
	flat_store_short v[36:37], v34 offset:512
.LBB388_452:
	s_or_b64 exec, exec, s[0:1]
	v_add_u32_e32 v0, 0x1200, v32
	v_cmp_lt_u32_e32 vcc, v0, v10
	s_and_saveexec_b64 s[0:1], vcc
	s_cbranch_execz .LBB388_454
; %bb.453:
	v_add_co_u32_e32 v36, vcc, 0x2000, v2
	s_nop 1
	v_addc_co_u32_e32 v37, vcc, 0, v3, vcc
	s_waitcnt lgkmcnt(0)
	flat_store_short v[36:37], v30 offset:1024
.LBB388_454:
	;; [unrolled: 12-line block ×3, first 2 shown]
	s_or_b64 exec, exec, s[0:1]
	v_or_b32_e32 v0, 0x1400, v32
	v_cmp_lt_u32_e32 vcc, v0, v10
	s_and_saveexec_b64 s[0:1], vcc
	s_cbranch_execz .LBB388_458
; %bb.457:
	v_add_co_u32_e32 v36, vcc, 0x2000, v2
	s_nop 1
	v_addc_co_u32_e32 v37, vcc, 0, v3, vcc
	s_waitcnt lgkmcnt(0)
	flat_store_short v[36:37], v18 offset:2048
.LBB388_458:
	s_or_b64 exec, exec, s[0:1]
	v_add_u32_e32 v0, 0x1500, v32
	v_cmp_lt_u32_e32 vcc, v0, v10
	s_and_saveexec_b64 s[0:1], vcc
	s_cbranch_execz .LBB388_460
; %bb.459:
	v_add_co_u32_e32 v36, vcc, 0x2000, v2
	s_nop 1
	v_addc_co_u32_e32 v37, vcc, 0, v3, vcc
	s_waitcnt lgkmcnt(0)
	flat_store_short v[36:37], v17 offset:2560
.LBB388_460:
	s_or_b64 exec, exec, s[0:1]
	v_add_u32_e32 v0, 0x1600, v32
	v_cmp_lt_u32_e32 vcc, v0, v10
	s_and_saveexec_b64 s[0:1], vcc
	s_cbranch_execz .LBB388_462
; %bb.461:
	v_add_co_u32_e32 v36, vcc, 0x2000, v2
	s_nop 1
	v_addc_co_u32_e32 v37, vcc, 0, v3, vcc
	s_waitcnt lgkmcnt(0)
	flat_store_short v[36:37], v31 offset:3072
.LBB388_462:
	s_or_b64 exec, exec, s[0:1]
	v_add_u32_e32 v0, 0x1700, v32
	v_cmp_lt_u32_e32 vcc, v0, v10
	s_and_saveexec_b64 s[0:1], vcc
	s_cbranch_execz .LBB388_464
; %bb.463:
	v_add_co_u32_e32 v2, vcc, 0x2000, v2
	s_nop 1
	v_addc_co_u32_e32 v3, vcc, 0, v3, vcc
	s_waitcnt lgkmcnt(0)
	flat_store_short v[2:3], v35 offset:3584
.LBB388_464:
	s_or_b64 exec, exec, s[0:1]
	v_cmp_lt_u64_e32 vcc, 1, v[8:9]
	s_and_saveexec_b64 s[4:5], vcc
	s_cbranch_execz .LBB388_555
; %bb.465:
	s_add_u32 s0, 0, 0xaaaa0000
	s_addc_u32 s1, 0, 42
	s_add_i32 s1, s1, 0xaaaaa80
	s_mul_hi_u32 s9, s0, 0xffffffe8
	s_sub_i32 s9, s9, s0
	s_mul_i32 s10, s1, 0xffffffe8
	s_mul_i32 s6, s0, 0xffffffe8
	s_add_i32 s9, s9, s10
	s_mul_hi_u32 s7, s1, s6
	s_mul_i32 s8, s1, s6
	s_mul_i32 s11, s0, s9
	s_mul_hi_u32 s6, s0, s6
	s_mul_hi_u32 s10, s0, s9
	s_add_u32 s6, s6, s11
	s_addc_u32 s10, 0, s10
	s_add_u32 s6, s6, s8
	s_mul_hi_u32 s11, s1, s9
	s_addc_u32 s6, s10, s7
	s_addc_u32 s7, s11, 0
	s_mul_i32 s8, s1, s9
	s_add_u32 s6, s6, s8
	v_mov_b32_e32 v2, s6
	s_addc_u32 s7, 0, s7
	v_add_co_u32_e32 v36, vcc, s0, v2
	s_cmp_lg_u64 vcc, 0
	v_mov_b32_e32 v33, v1
	v_lshl_add_u64 v[0:1], v[10:11], 0, -1
	s_addc_u32 s6, s1, s7
	v_mad_u64_u32 v[2:3], s[0:1], v0, s6, 0
	v_mul_hi_u32 v8, v0, v36
	v_mov_b32_e32 v9, 0
	v_lshl_add_u64 v[2:3], v[8:9], 0, v[2:3]
	v_mad_u64_u32 v[36:37], s[0:1], v1, v36, 0
	v_add_co_u32_e32 v2, vcc, v2, v36
	v_mad_u64_u32 v[10:11], s[0:1], v1, s6, 0
	s_nop 0
	v_addc_co_u32_e32 v8, vcc, v3, v37, vcc
	s_nop 1
	v_addc_co_u32_e32 v11, vcc, 0, v11, vcc
	v_lshl_add_u64 v[2:3], v[8:9], 0, v[10:11]
	v_mad_u64_u32 v[8:9], s[0:1], v2, 24, 0
	v_mov_b32_e32 v10, v9
	v_mad_u64_u32 v[10:11], s[0:1], v3, 24, v[10:11]
	v_sub_co_u32_e32 v36, vcc, v0, v8
	v_cmp_lt_u32_e64 s[0:1], 23, v36
	s_nop 0
	v_subb_co_u32_e32 v37, vcc, v1, v10, vcc
	v_subrev_co_u32_e32 v8, vcc, 24, v36
	v_lshl_add_u64 v[10:11], v[2:3], 0, 1
	s_nop 0
	v_subbrev_co_u32_e32 v9, vcc, 0, v37, vcc
	v_cmp_lt_u32_e32 vcc, 23, v8
	s_nop 1
	v_cndmask_b32_e64 v8, 0, -1, vcc
	v_cmp_eq_u32_e32 vcc, 0, v9
	s_nop 1
	v_cndmask_b32_e32 v38, -1, v8, vcc
	v_lshl_add_u64 v[8:9], v[2:3], 0, 2
	v_cmp_ne_u32_e32 vcc, 0, v38
	s_nop 1
	v_cndmask_b32_e32 v9, v11, v9, vcc
	v_cndmask_b32_e64 v11, 0, -1, s[0:1]
	v_cmp_eq_u32_e64 s[0:1], 0, v37
	v_cndmask_b32_e32 v8, v10, v8, vcc
	s_nop 0
	v_cndmask_b32_e64 v11, -1, v11, s[0:1]
	v_cmp_ne_u32_e64 s[0:1], 0, v11
	s_nop 1
	v_cndmask_b32_e64 v3, v3, v9, s[0:1]
	v_cndmask_b32_e64 v2, v2, v8, s[0:1]
	v_cmp_eq_u64_e32 vcc, v[2:3], v[32:33]
	s_and_b64 exec, exec, vcc
	s_cbranch_execz .LBB388_555
; %bb.466:
	v_mul_hi_u32_u24_e32 v2, 24, v32
	v_sub_co_u32_e32 v0, vcc, v0, v52
	s_mov_b64 s[0:1], 0
	s_nop 0
	v_subb_co_u32_e32 v1, vcc, v1, v2, vcc
	v_cmp_lt_i64_e32 vcc, 11, v[0:1]
	s_mov_b64 s[12:13], 0
	s_mov_b64 s[10:11], 0
	;; [unrolled: 1-line block ×3, first 2 shown]
	s_and_saveexec_b64 s[6:7], vcc
	s_xor_b64 s[6:7], exec, s[6:7]
	s_cbranch_execnz .LBB388_472
; %bb.467:
	s_andn2_saveexec_b64 s[6:7], s[6:7]
	s_cbranch_execnz .LBB388_517
.LBB388_468:
	s_or_b64 exec, exec, s[6:7]
	s_and_saveexec_b64 s[6:7], s[12:13]
	s_cbranch_execnz .LBB388_534
.LBB388_469:
	s_or_b64 exec, exec, s[6:7]
	s_and_saveexec_b64 s[6:7], s[10:11]
	s_cbranch_execnz .LBB388_535
.LBB388_470:
	s_or_b64 exec, exec, s[6:7]
	s_and_saveexec_b64 s[6:7], s[8:9]
	s_xor_b64 s[6:7], exec, s[6:7]
	s_cbranch_execnz .LBB388_536
.LBB388_471:
	s_or_b64 exec, exec, s[6:7]
	s_and_b64 exec, exec, s[0:1]
	s_cbranch_execnz .LBB388_537
	s_branch .LBB388_555
.LBB388_472:
	v_cmp_lt_i64_e32 vcc, 17, v[0:1]
	s_and_saveexec_b64 s[14:15], vcc
	s_xor_b64 s[14:15], exec, s[14:15]
	s_cbranch_execz .LBB388_494
; %bb.473:
	v_cmp_lt_i64_e32 vcc, 20, v[0:1]
                                        ; implicit-def: $vgpr16
	s_and_saveexec_b64 s[16:17], vcc
	s_xor_b64 s[16:17], exec, s[16:17]
	s_cbranch_execz .LBB388_483
; %bb.474:
	v_cmp_lt_i64_e32 vcc, 21, v[0:1]
	s_mov_b64 s[18:19], 0
                                        ; implicit-def: $vgpr16
	s_and_saveexec_b64 s[8:9], vcc
	s_xor_b64 s[8:9], exec, s[8:9]
	s_cbranch_execz .LBB388_480
; %bb.475:
	v_cmp_lt_i64_e32 vcc, 22, v[0:1]
	s_and_saveexec_b64 s[18:19], vcc
	s_xor_b64 s[18:19], exec, s[18:19]
	s_cbranch_execz .LBB388_477
; %bb.476:
	s_waitcnt lgkmcnt(0)
	flat_store_short v[4:5], v35
                                        ; implicit-def: $vgpr31
.LBB388_477:
	s_or_saveexec_b64 s[18:19], s[18:19]
	s_mov_b64 s[20:21], 0
	s_xor_b64 exec, exec, s[18:19]
; %bb.478:
	s_mov_b64 s[20:21], exec
; %bb.479:
	s_or_b64 exec, exec, s[18:19]
	s_and_b64 s[18:19], s[20:21], exec
	s_waitcnt lgkmcnt(0)
	v_mov_b32_e32 v16, v31
                                        ; implicit-def: $vgpr17
.LBB388_480:
	s_andn2_saveexec_b64 s[8:9], s[8:9]
; %bb.481:
	s_mov_b64 s[10:11], exec
                                        ; implicit-def: $vgpr16
; %bb.482:
	s_or_b64 exec, exec, s[8:9]
	s_and_b64 s[8:9], s[18:19], exec
	s_and_b64 s[10:11], s[10:11], exec
                                        ; implicit-def: $vgpr30
                                        ; implicit-def: $vgpr18
                                        ; implicit-def: $vgpr27
.LBB388_483:
	s_andn2_saveexec_b64 s[16:17], s[16:17]
	s_cbranch_execz .LBB388_493
; %bb.484:
	v_cmp_lt_i64_e32 vcc, 18, v[0:1]
	s_mov_b64 s[18:19], 0
	s_and_saveexec_b64 s[12:13], vcc
	s_xor_b64 s[12:13], exec, s[12:13]
	s_cbranch_execz .LBB388_490
; %bb.485:
	v_cmp_lt_i64_e32 vcc, 19, v[0:1]
	s_and_saveexec_b64 s[20:21], vcc
	s_xor_b64 s[20:21], exec, s[20:21]
; %bb.486:
	s_mov_b64 s[18:19], exec
                                        ; implicit-def: $vgpr27
; %bb.487:
	s_andn2_saveexec_b64 s[20:21], s[20:21]
	s_cbranch_execz .LBB388_489
; %bb.488:
	s_waitcnt lgkmcnt(0)
	flat_store_short v[4:5], v27
                                        ; implicit-def: $vgpr18
.LBB388_489:
	s_or_b64 exec, exec, s[20:21]
	s_and_b64 s[18:19], s[18:19], exec
                                        ; implicit-def: $vgpr30
.LBB388_490:
	s_andn2_saveexec_b64 s[12:13], s[12:13]
	s_cbranch_execz .LBB388_492
; %bb.491:
	s_waitcnt lgkmcnt(0)
	flat_store_short v[4:5], v30
                                        ; implicit-def: $vgpr18
.LBB388_492:
	s_or_b64 exec, exec, s[12:13]
	s_and_b64 s[12:13], s[18:19], exec
                                        ; implicit-def: $vgpr16
                                        ; implicit-def: $vgpr17
.LBB388_493:
	s_or_b64 exec, exec, s[16:17]
	s_and_b64 s[8:9], s[8:9], exec
	s_and_b64 s[10:11], s[10:11], exec
	;; [unrolled: 1-line block ×3, first 2 shown]
                                        ; implicit-def: $vgpr24
                                        ; implicit-def: $vgpr19
                                        ; implicit-def: $vgpr20
                                        ; implicit-def: $vgpr28
                                        ; implicit-def: $vgpr34
.LBB388_494:
	s_andn2_saveexec_b64 s[14:15], s[14:15]
	s_cbranch_execz .LBB388_516
; %bb.495:
	v_cmp_lt_i64_e32 vcc, 14, v[0:1]
	s_mov_b64 s[16:17], s[8:9]
	s_and_saveexec_b64 s[18:19], vcc
	s_xor_b64 s[18:19], exec, s[18:19]
	s_cbranch_execz .LBB388_505
; %bb.496:
	v_cmp_lt_i64_e32 vcc, 15, v[0:1]
	s_and_saveexec_b64 s[16:17], vcc
	s_xor_b64 s[16:17], exec, s[16:17]
	s_cbranch_execz .LBB388_502
; %bb.497:
	v_cmp_lt_i64_e32 vcc, 16, v[0:1]
	s_and_saveexec_b64 s[20:21], vcc
	s_xor_b64 s[20:21], exec, s[20:21]
	s_cbranch_execz .LBB388_499
; %bb.498:
	s_waitcnt lgkmcnt(0)
	flat_store_short v[4:5], v34
                                        ; implicit-def: $vgpr28
.LBB388_499:
	s_andn2_saveexec_b64 s[20:21], s[20:21]
	s_cbranch_execz .LBB388_501
; %bb.500:
	s_waitcnt lgkmcnt(0)
	flat_store_short v[4:5], v28
.LBB388_501:
	s_or_b64 exec, exec, s[20:21]
                                        ; implicit-def: $vgpr16
.LBB388_502:
	s_or_saveexec_b64 s[16:17], s[16:17]
	s_mov_b64 s[20:21], s[8:9]
	s_xor_b64 exec, exec, s[16:17]
; %bb.503:
	s_or_b64 s[20:21], s[8:9], exec
; %bb.504:
	s_or_b64 exec, exec, s[16:17]
	s_andn2_b64 s[16:17], s[8:9], exec
	s_and_b64 s[20:21], s[20:21], exec
	s_or_b64 s[16:17], s[16:17], s[20:21]
                                        ; implicit-def: $vgpr24
                                        ; implicit-def: $vgpr19
                                        ; implicit-def: $vgpr20
.LBB388_505:
	s_or_saveexec_b64 s[18:19], s[18:19]
	s_mov_b64 s[20:21], s[10:11]
                                        ; implicit-def: $vgpr17
	s_xor_b64 exec, exec, s[18:19]
	s_cbranch_execz .LBB388_515
; %bb.506:
	v_cmp_lt_i64_e32 vcc, 12, v[0:1]
	s_mov_b64 s[22:23], s[10:11]
	s_mov_b64 s[24:25], s[16:17]
                                        ; implicit-def: $vgpr16
                                        ; implicit-def: $vgpr17
	s_and_saveexec_b64 s[20:21], vcc
	s_xor_b64 s[20:21], exec, s[20:21]
	s_cbranch_execz .LBB388_512
; %bb.507:
	v_cmp_lt_i64_e32 vcc, 13, v[0:1]
	s_mov_b64 s[22:23], s[16:17]
	s_and_saveexec_b64 s[24:25], vcc
	s_xor_b64 s[24:25], exec, s[24:25]
; %bb.508:
	s_or_b64 s[22:23], s[16:17], exec
                                        ; implicit-def: $vgpr19
; %bb.509:
	s_or_saveexec_b64 s[24:25], s[24:25]
	s_mov_b64 s[26:27], s[10:11]
	s_xor_b64 exec, exec, s[24:25]
; %bb.510:
	s_or_b64 s[26:27], s[10:11], exec
                                        ; implicit-def: $vgpr20
; %bb.511:
	s_or_b64 exec, exec, s[24:25]
	s_andn2_b64 s[24:25], s[16:17], exec
	s_and_b64 s[22:23], s[22:23], exec
	s_or_b64 s[24:25], s[24:25], s[22:23]
	s_andn2_b64 s[22:23], s[10:11], exec
	s_and_b64 s[26:27], s[26:27], exec
	s_or_b64 s[22:23], s[22:23], s[26:27]
	s_waitcnt lgkmcnt(0)
	v_mov_b32_e32 v16, v20
	v_mov_b32_e32 v17, v19
                                        ; implicit-def: $vgpr24
.LBB388_512:
	s_andn2_saveexec_b64 s[20:21], s[20:21]
	s_cbranch_execz .LBB388_514
; %bb.513:
	s_or_b64 s[22:23], s[22:23], exec
                                        ; implicit-def: $vgpr16
	s_waitcnt lgkmcnt(0)
	v_mov_b32_e32 v17, v24
.LBB388_514:
	s_or_b64 exec, exec, s[20:21]
	s_andn2_b64 s[16:17], s[16:17], exec
	s_and_b64 s[20:21], s[24:25], exec
	s_or_b64 s[16:17], s[16:17], s[20:21]
	s_andn2_b64 s[20:21], s[10:11], exec
	s_and_b64 s[22:23], s[22:23], exec
	s_or_b64 s[20:21], s[20:21], s[22:23]
.LBB388_515:
	s_or_b64 exec, exec, s[18:19]
	s_andn2_b64 s[8:9], s[8:9], exec
	s_and_b64 s[16:17], s[16:17], exec
	s_or_b64 s[8:9], s[8:9], s[16:17]
	s_andn2_b64 s[10:11], s[10:11], exec
	s_and_b64 s[16:17], s[20:21], exec
	s_or_b64 s[10:11], s[10:11], s[16:17]
                                        ; implicit-def: $vgpr18
.LBB388_516:
	s_or_b64 exec, exec, s[14:15]
	s_and_b64 s[8:9], s[8:9], exec
	s_and_b64 s[10:11], s[10:11], exec
	;; [unrolled: 1-line block ×3, first 2 shown]
                                        ; implicit-def: $vgpr23
                                        ; implicit-def: $vgpr21
                                        ; implicit-def: $vgpr22
                                        ; implicit-def: $vgpr29
                                        ; implicit-def: $vgpr26
                                        ; implicit-def: $vgpr25
	s_andn2_saveexec_b64 s[6:7], s[6:7]
	s_cbranch_execz .LBB388_468
.LBB388_517:
	v_cmp_lt_i64_e32 vcc, 5, v[0:1]
	s_mov_b64 s[16:17], -1
	s_mov_b64 s[14:15], s[12:13]
	s_mov_b64 s[18:19], s[10:11]
	;; [unrolled: 1-line block ×3, first 2 shown]
                                        ; implicit-def: $vgpr16
                                        ; implicit-def: $vgpr17
                                        ; implicit-def: $vgpr18
	s_and_saveexec_b64 s[0:1], vcc
	s_cbranch_execz .LBB388_533
; %bb.518:
	v_cmp_lt_i64_e32 vcc, 8, v[0:1]
	s_mov_b64 s[14:15], s[12:13]
                                        ; implicit-def: $vgpr18
	s_and_saveexec_b64 s[16:17], vcc
	s_xor_b64 s[16:17], exec, s[16:17]
	s_cbranch_execz .LBB388_528
; %bb.519:
	v_cmp_lt_i64_e32 vcc, 9, v[0:1]
	s_and_saveexec_b64 s[14:15], vcc
	s_xor_b64 s[14:15], exec, s[14:15]
	s_cbranch_execz .LBB388_525
; %bb.520:
	v_cmp_lt_i64_e32 vcc, 10, v[0:1]
	s_and_saveexec_b64 s[18:19], vcc
	s_xor_b64 s[18:19], exec, s[18:19]
; %bb.521:
                                        ; implicit-def: $vgpr26
; %bb.522:
	s_andn2_saveexec_b64 s[18:19], s[18:19]
	s_cbranch_execz .LBB388_524
; %bb.523:
	s_waitcnt lgkmcnt(0)
	v_mov_b32_e32 v25, v26
.LBB388_524:
	s_or_b64 exec, exec, s[18:19]
                                        ; implicit-def: $vgpr29
.LBB388_525:
	s_andn2_saveexec_b64 s[14:15], s[14:15]
	s_cbranch_execz .LBB388_527
; %bb.526:
	s_waitcnt lgkmcnt(0)
	v_mov_b32_e32 v25, v29
.LBB388_527:
	s_or_b64 exec, exec, s[14:15]
	s_or_b64 s[14:15], s[12:13], exec
	s_waitcnt lgkmcnt(0)
	v_mov_b32_e32 v18, v25
                                        ; implicit-def: $vgpr23
                                        ; implicit-def: $vgpr21
                                        ; implicit-def: $vgpr22
.LBB388_528:
	s_or_saveexec_b64 s[16:17], s[16:17]
	s_mov_b64 s[18:19], s[10:11]
	s_mov_b64 s[22:23], s[8:9]
                                        ; implicit-def: $vgpr16
                                        ; implicit-def: $vgpr17
	s_xor_b64 exec, exec, s[16:17]
	s_cbranch_execz .LBB388_532
; %bb.529:
	v_cmp_lt_i64_e32 vcc, 6, v[0:1]
	s_mov_b64 s[22:23], -1
	s_mov_b64 s[20:21], s[14:15]
	s_mov_b64 s[18:19], s[10:11]
	s_and_saveexec_b64 s[24:25], vcc
; %bb.530:
	v_cmp_lt_i64_e32 vcc, 7, v[0:1]
	s_andn2_b64 s[20:21], s[14:15], exec
	s_and_b64 s[26:27], vcc, exec
	s_xor_b64 s[22:23], exec, -1
	s_or_b64 s[18:19], s[10:11], exec
	s_or_b64 s[20:21], s[20:21], s[26:27]
                                        ; implicit-def: $vgpr23
; %bb.531:
	s_or_b64 exec, exec, s[24:25]
	s_andn2_b64 s[24:25], s[8:9], exec
	s_and_b64 s[22:23], s[22:23], exec
	s_or_b64 s[22:23], s[24:25], s[22:23]
	s_andn2_b64 s[24:25], s[10:11], exec
	s_and_b64 s[18:19], s[18:19], exec
	s_andn2_b64 s[14:15], s[14:15], exec
	s_and_b64 s[20:21], s[20:21], exec
	s_or_b64 s[18:19], s[24:25], s[18:19]
	s_or_b64 s[14:15], s[14:15], s[20:21]
	s_waitcnt lgkmcnt(0)
	v_mov_b32_e32 v16, v23
	v_mov_b32_e32 v17, v21
	;; [unrolled: 1-line block ×3, first 2 shown]
.LBB388_532:
	s_or_b64 exec, exec, s[16:17]
	s_andn2_b64 s[20:21], s[8:9], exec
	s_and_b64 s[22:23], s[22:23], exec
	s_or_b64 s[20:21], s[20:21], s[22:23]
	s_andn2_b64 s[22:23], s[10:11], exec
	s_and_b64 s[18:19], s[18:19], exec
	s_or_b64 s[18:19], s[22:23], s[18:19]
	s_andn2_b64 s[22:23], s[12:13], exec
	s_and_b64 s[14:15], s[14:15], exec
	s_xor_b64 s[16:17], exec, -1
	s_or_b64 s[14:15], s[22:23], s[14:15]
.LBB388_533:
	s_or_b64 exec, exec, s[0:1]
	s_and_b64 s[0:1], s[16:17], exec
	s_andn2_b64 s[8:9], s[8:9], exec
	s_and_b64 s[16:17], s[20:21], exec
	s_or_b64 s[8:9], s[8:9], s[16:17]
	s_andn2_b64 s[10:11], s[10:11], exec
	s_and_b64 s[16:17], s[18:19], exec
	s_andn2_b64 s[12:13], s[12:13], exec
	s_and_b64 s[14:15], s[14:15], exec
	s_or_b64 s[10:11], s[10:11], s[16:17]
	s_or_b64 s[12:13], s[12:13], s[14:15]
	s_or_b64 exec, exec, s[6:7]
	s_and_saveexec_b64 s[6:7], s[12:13]
	s_cbranch_execz .LBB388_469
.LBB388_534:
	s_andn2_b64 s[10:11], s[10:11], exec
	s_waitcnt lgkmcnt(0)
	flat_store_short v[4:5], v18
                                        ; implicit-def: $vgpr16
                                        ; implicit-def: $vgpr17
	s_or_b64 exec, exec, s[6:7]
	s_and_saveexec_b64 s[6:7], s[10:11]
	s_cbranch_execz .LBB388_470
.LBB388_535:
	s_waitcnt lgkmcnt(0)
	flat_store_short v[4:5], v17
                                        ; implicit-def: $vgpr16
	s_or_b64 exec, exec, s[6:7]
	s_and_saveexec_b64 s[6:7], s[8:9]
	s_xor_b64 s[6:7], exec, s[6:7]
	s_cbranch_execz .LBB388_471
.LBB388_536:
	s_waitcnt lgkmcnt(0)
	flat_store_short v[4:5], v16
	s_or_b64 exec, exec, s[6:7]
	s_and_b64 exec, exec, s[0:1]
	s_cbranch_execz .LBB388_555
.LBB388_537:
	v_cmp_lt_i64_e32 vcc, 2, v[0:1]
	s_and_saveexec_b64 s[0:1], vcc
	s_xor_b64 s[0:1], exec, s[0:1]
	s_cbranch_execz .LBB388_547
; %bb.538:
	v_cmp_lt_i64_e32 vcc, 3, v[0:1]
	s_and_saveexec_b64 s[6:7], vcc
	s_xor_b64 s[6:7], exec, s[6:7]
	s_cbranch_execz .LBB388_544
; %bb.539:
	;; [unrolled: 5-line block ×3, first 2 shown]
	s_waitcnt lgkmcnt(0)
	flat_store_short v[4:5], v15
                                        ; implicit-def: $vgpr4_vgpr5
                                        ; implicit-def: $vgpr12
.LBB388_541:
	s_andn2_saveexec_b64 s[8:9], s[8:9]
	s_cbranch_execz .LBB388_543
; %bb.542:
	s_waitcnt lgkmcnt(0)
	flat_store_short v[4:5], v12
.LBB388_543:
	s_or_b64 exec, exec, s[8:9]
                                        ; implicit-def: $vgpr4_vgpr5
                                        ; implicit-def: $vgpr14
.LBB388_544:
	s_andn2_saveexec_b64 s[6:7], s[6:7]
	s_cbranch_execz .LBB388_546
; %bb.545:
	s_waitcnt lgkmcnt(0)
	flat_store_short v[4:5], v14
.LBB388_546:
	s_or_b64 exec, exec, s[6:7]
                                        ; implicit-def: $vgpr0_vgpr1
                                        ; implicit-def: $vgpr4_vgpr5
                                        ; implicit-def: $vgpr13
                                        ; implicit-def: $vgpr6
                                        ; implicit-def: $vgpr7
.LBB388_547:
	s_andn2_saveexec_b64 s[0:1], s[0:1]
	s_cbranch_execz .LBB388_555
; %bb.548:
	v_cmp_lt_i64_e32 vcc, 1, v[0:1]
	s_and_saveexec_b64 s[0:1], vcc
	s_xor_b64 s[0:1], exec, s[0:1]
	s_cbranch_execz .LBB388_550
; %bb.549:
	s_waitcnt lgkmcnt(0)
	flat_store_short v[4:5], v13
                                        ; implicit-def: $vgpr4_vgpr5
                                        ; implicit-def: $vgpr6
                                        ; implicit-def: $vgpr0_vgpr1
                                        ; implicit-def: $vgpr7
.LBB388_550:
	s_andn2_saveexec_b64 s[0:1], s[0:1]
	s_cbranch_execz .LBB388_555
; %bb.551:
	v_cmp_ne_u64_e32 vcc, 1, v[0:1]
	s_and_saveexec_b64 s[0:1], vcc
	s_xor_b64 s[0:1], exec, s[0:1]
	s_cbranch_execz .LBB388_553
; %bb.552:
	s_waitcnt lgkmcnt(0)
	flat_store_short v[4:5], v7
                                        ; implicit-def: $vgpr4_vgpr5
                                        ; implicit-def: $vgpr6
.LBB388_553:
	s_andn2_saveexec_b64 s[0:1], s[0:1]
	s_cbranch_execz .LBB388_555
; %bb.554:
	s_waitcnt lgkmcnt(0)
	flat_store_short v[4:5], v6
.LBB388_555:
	s_or_b64 exec, exec, s[4:5]
.LBB388_556:
	s_or_b64 exec, exec, s[2:3]
	v_readlane_b32 s30, v40, 0
	v_readlane_b32 s31, v40, 1
	s_or_saveexec_b64 s[0:1], -1
	scratch_load_dword v40, off, s32        ; 4-byte Folded Reload
	s_mov_b64 exec, s[0:1]
	s_waitcnt vmcnt(0) lgkmcnt(0)
	s_setpc_b64 s[30:31]
.Lfunc_end388:
	.size	_ZZZN7rocprim17ROCPRIM_400000_NS6detail9scan_implILNS1_25lookback_scan_determinismE0ELb0ELb0ENS0_14default_configEPKN3c104HalfEPS6_S6_ZZZN2at6native31launch_logcumsumexp_cuda_kernelERKNSA_10TensorBaseESE_lENKUlvE_clEvENKUlvE3_clEvEUlS6_S6_E_S6_EEDaPvRmT3_T4_T5_mT6_P12ihipStream_tbENKUlT_T0_E_clISt17integral_constantIbLb1EESV_EEDaSQ_SR_ENKUlSQ_E_clINS1_13target_configIS4_NS1_20scan_config_selectorIS6_EENS1_11comp_targetILNS1_3genE5ELNS1_11target_archE942ELNS1_3gpuE9ELNS1_3repE0EEELNS0_4arch9wavefront6targetE1EEEEEDaSQ_, .Lfunc_end388-_ZZZN7rocprim17ROCPRIM_400000_NS6detail9scan_implILNS1_25lookback_scan_determinismE0ELb0ELb0ENS0_14default_configEPKN3c104HalfEPS6_S6_ZZZN2at6native31launch_logcumsumexp_cuda_kernelERKNSA_10TensorBaseESE_lENKUlvE_clEvENKUlvE3_clEvEUlS6_S6_E_S6_EEDaPvRmT3_T4_T5_mT6_P12ihipStream_tbENKUlT_T0_E_clISt17integral_constantIbLb1EESV_EEDaSQ_SR_ENKUlSQ_E_clINS1_13target_configIS4_NS1_20scan_config_selectorIS6_EENS1_11comp_targetILNS1_3genE5ELNS1_11target_archE942ELNS1_3gpuE9ELNS1_3repE0EEELNS0_4arch9wavefront6targetE1EEEEEDaSQ_
                                        ; -- End function
	.section	.AMDGPU.csdata,"",@progbits
; Function info:
; codeLenInByte = 116092
; NumSgprs: 80
; NumVgprs: 168
; NumAgprs: 0
; TotalNumVgprs: 168
; ScratchSize: 8
; MemoryBound: 0
	.section	.text._ZN7rocprim17ROCPRIM_400000_NS6detail17trampoline_kernelINS0_14default_configENS1_20scan_config_selectorIN3c104HalfEEEZZNS1_9scan_implILNS1_25lookback_scan_determinismE0ELb0ELb0ES3_PKS6_PS6_S6_ZZZN2at6native31launch_logcumsumexp_cuda_kernelERKNSD_10TensorBaseESH_lENKUlvE_clEvENKUlvE3_clEvEUlS6_S6_E_S6_EEDaPvRmT3_T4_T5_mT6_P12ihipStream_tbENKUlT_T0_E_clISt17integral_constantIbLb1EESY_EEDaST_SU_EUlST_E_NS1_11comp_targetILNS1_3genE5ELNS1_11target_archE942ELNS1_3gpuE9ELNS1_3repE0EEENS1_30default_config_static_selectorELNS0_4arch9wavefront6targetE1EEEvT1_,"axG",@progbits,_ZN7rocprim17ROCPRIM_400000_NS6detail17trampoline_kernelINS0_14default_configENS1_20scan_config_selectorIN3c104HalfEEEZZNS1_9scan_implILNS1_25lookback_scan_determinismE0ELb0ELb0ES3_PKS6_PS6_S6_ZZZN2at6native31launch_logcumsumexp_cuda_kernelERKNSD_10TensorBaseESH_lENKUlvE_clEvENKUlvE3_clEvEUlS6_S6_E_S6_EEDaPvRmT3_T4_T5_mT6_P12ihipStream_tbENKUlT_T0_E_clISt17integral_constantIbLb1EESY_EEDaST_SU_EUlST_E_NS1_11comp_targetILNS1_3genE5ELNS1_11target_archE942ELNS1_3gpuE9ELNS1_3repE0EEENS1_30default_config_static_selectorELNS0_4arch9wavefront6targetE1EEEvT1_,comdat
	.globl	_ZN7rocprim17ROCPRIM_400000_NS6detail17trampoline_kernelINS0_14default_configENS1_20scan_config_selectorIN3c104HalfEEEZZNS1_9scan_implILNS1_25lookback_scan_determinismE0ELb0ELb0ES3_PKS6_PS6_S6_ZZZN2at6native31launch_logcumsumexp_cuda_kernelERKNSD_10TensorBaseESH_lENKUlvE_clEvENKUlvE3_clEvEUlS6_S6_E_S6_EEDaPvRmT3_T4_T5_mT6_P12ihipStream_tbENKUlT_T0_E_clISt17integral_constantIbLb1EESY_EEDaST_SU_EUlST_E_NS1_11comp_targetILNS1_3genE5ELNS1_11target_archE942ELNS1_3gpuE9ELNS1_3repE0EEENS1_30default_config_static_selectorELNS0_4arch9wavefront6targetE1EEEvT1_ ; -- Begin function _ZN7rocprim17ROCPRIM_400000_NS6detail17trampoline_kernelINS0_14default_configENS1_20scan_config_selectorIN3c104HalfEEEZZNS1_9scan_implILNS1_25lookback_scan_determinismE0ELb0ELb0ES3_PKS6_PS6_S6_ZZZN2at6native31launch_logcumsumexp_cuda_kernelERKNSD_10TensorBaseESH_lENKUlvE_clEvENKUlvE3_clEvEUlS6_S6_E_S6_EEDaPvRmT3_T4_T5_mT6_P12ihipStream_tbENKUlT_T0_E_clISt17integral_constantIbLb1EESY_EEDaST_SU_EUlST_E_NS1_11comp_targetILNS1_3genE5ELNS1_11target_archE942ELNS1_3gpuE9ELNS1_3repE0EEENS1_30default_config_static_selectorELNS0_4arch9wavefront6targetE1EEEvT1_
	.p2align	8
	.type	_ZN7rocprim17ROCPRIM_400000_NS6detail17trampoline_kernelINS0_14default_configENS1_20scan_config_selectorIN3c104HalfEEEZZNS1_9scan_implILNS1_25lookback_scan_determinismE0ELb0ELb0ES3_PKS6_PS6_S6_ZZZN2at6native31launch_logcumsumexp_cuda_kernelERKNSD_10TensorBaseESH_lENKUlvE_clEvENKUlvE3_clEvEUlS6_S6_E_S6_EEDaPvRmT3_T4_T5_mT6_P12ihipStream_tbENKUlT_T0_E_clISt17integral_constantIbLb1EESY_EEDaST_SU_EUlST_E_NS1_11comp_targetILNS1_3genE5ELNS1_11target_archE942ELNS1_3gpuE9ELNS1_3repE0EEENS1_30default_config_static_selectorELNS0_4arch9wavefront6targetE1EEEvT1_,@function
_ZN7rocprim17ROCPRIM_400000_NS6detail17trampoline_kernelINS0_14default_configENS1_20scan_config_selectorIN3c104HalfEEEZZNS1_9scan_implILNS1_25lookback_scan_determinismE0ELb0ELb0ES3_PKS6_PS6_S6_ZZZN2at6native31launch_logcumsumexp_cuda_kernelERKNSD_10TensorBaseESH_lENKUlvE_clEvENKUlvE3_clEvEUlS6_S6_E_S6_EEDaPvRmT3_T4_T5_mT6_P12ihipStream_tbENKUlT_T0_E_clISt17integral_constantIbLb1EESY_EEDaST_SU_EUlST_E_NS1_11comp_targetILNS1_3genE5ELNS1_11target_archE942ELNS1_3gpuE9ELNS1_3repE0EEENS1_30default_config_static_selectorELNS0_4arch9wavefront6targetE1EEEvT1_: ; @_ZN7rocprim17ROCPRIM_400000_NS6detail17trampoline_kernelINS0_14default_configENS1_20scan_config_selectorIN3c104HalfEEEZZNS1_9scan_implILNS1_25lookback_scan_determinismE0ELb0ELb0ES3_PKS6_PS6_S6_ZZZN2at6native31launch_logcumsumexp_cuda_kernelERKNSD_10TensorBaseESH_lENKUlvE_clEvENKUlvE3_clEvEUlS6_S6_E_S6_EEDaPvRmT3_T4_T5_mT6_P12ihipStream_tbENKUlT_T0_E_clISt17integral_constantIbLb1EESY_EEDaST_SU_EUlST_E_NS1_11comp_targetILNS1_3genE5ELNS1_11target_archE942ELNS1_3gpuE9ELNS1_3repE0EEENS1_30default_config_static_selectorELNS0_4arch9wavefront6targetE1EEEvT1_
; %bb.0:
	s_load_dwordx8 s[4:11], s[0:1], 0x0
	s_load_dwordx8 s[12:19], s[0:1], 0x20
	s_mov_b64 s[2:3], src_private_base
	v_mov_b32_e32 v31, v0
	v_mov_b32_e32 v0, 0
	s_waitcnt lgkmcnt(0)
	v_mov_b64_e32 v[2:3], s[4:5]
	v_mov_b64_e32 v[6:7], s[8:9]
	;; [unrolled: 1-line block ×4, first 2 shown]
	s_load_dwordx8 s[4:11], s[0:1], 0x40
	scratch_store_dwordx4 off, v[2:5], off
	scratch_store_dwordx4 off, v[6:9], off offset:16
	v_mov_b32_e32 v1, s3
	v_mov_b64_e32 v[2:3], s[12:13]
	v_mov_b64_e32 v[4:5], s[14:15]
	scratch_store_dwordx4 off, v[2:5], off offset:32
	s_movk_i32 s32, 0x70
	s_nop 0
	v_mov_b64_e32 v[2:3], s[16:17]
	v_mov_b64_e32 v[4:5], s[18:19]
	scratch_store_dwordx4 off, v[2:5], off offset:48
	s_waitcnt lgkmcnt(0)
	s_nop 0
	v_mov_b64_e32 v[2:3], s[4:5]
	v_mov_b64_e32 v[4:5], s[6:7]
	scratch_store_dwordx4 off, v[2:5], off offset:64
	s_nop 1
	v_mov_b64_e32 v[2:3], s[8:9]
	v_mov_b64_e32 v[4:5], s[10:11]
	s_add_u32 s8, s0, 0x60
	s_addc_u32 s9, s1, 0
	scratch_store_dwordx4 off, v[2:5], off offset:80
	s_getpc_b64 s[0:1]
	s_add_u32 s0, s0, _ZZZN7rocprim17ROCPRIM_400000_NS6detail9scan_implILNS1_25lookback_scan_determinismE0ELb0ELb0ENS0_14default_configEPKN3c104HalfEPS6_S6_ZZZN2at6native31launch_logcumsumexp_cuda_kernelERKNSA_10TensorBaseESE_lENKUlvE_clEvENKUlvE3_clEvEUlS6_S6_E_S6_EEDaPvRmT3_T4_T5_mT6_P12ihipStream_tbENKUlT_T0_E_clISt17integral_constantIbLb1EESV_EEDaSQ_SR_ENKUlSQ_E_clINS1_13target_configIS4_NS1_20scan_config_selectorIS6_EENS1_11comp_targetILNS1_3genE5ELNS1_11target_archE942ELNS1_3gpuE9ELNS1_3repE0EEELNS0_4arch9wavefront6targetE1EEEEEDaSQ_@rel32@lo+4
	s_addc_u32 s1, s1, _ZZZN7rocprim17ROCPRIM_400000_NS6detail9scan_implILNS1_25lookback_scan_determinismE0ELb0ELb0ENS0_14default_configEPKN3c104HalfEPS6_S6_ZZZN2at6native31launch_logcumsumexp_cuda_kernelERKNSA_10TensorBaseESE_lENKUlvE_clEvENKUlvE3_clEvEUlS6_S6_E_S6_EEDaPvRmT3_T4_T5_mT6_P12ihipStream_tbENKUlT_T0_E_clISt17integral_constantIbLb1EESV_EEDaSQ_SR_ENKUlSQ_E_clINS1_13target_configIS4_NS1_20scan_config_selectorIS6_EENS1_11comp_targetILNS1_3genE5ELNS1_11target_archE942ELNS1_3gpuE9ELNS1_3repE0EEELNS0_4arch9wavefront6targetE1EEEEEDaSQ_@rel32@hi+12
	s_swappc_b64 s[30:31], s[0:1]
	s_endpgm
	.section	.rodata,"a",@progbits
	.p2align	6, 0x0
	.amdhsa_kernel _ZN7rocprim17ROCPRIM_400000_NS6detail17trampoline_kernelINS0_14default_configENS1_20scan_config_selectorIN3c104HalfEEEZZNS1_9scan_implILNS1_25lookback_scan_determinismE0ELb0ELb0ES3_PKS6_PS6_S6_ZZZN2at6native31launch_logcumsumexp_cuda_kernelERKNSD_10TensorBaseESH_lENKUlvE_clEvENKUlvE3_clEvEUlS6_S6_E_S6_EEDaPvRmT3_T4_T5_mT6_P12ihipStream_tbENKUlT_T0_E_clISt17integral_constantIbLb1EESY_EEDaST_SU_EUlST_E_NS1_11comp_targetILNS1_3genE5ELNS1_11target_archE942ELNS1_3gpuE9ELNS1_3repE0EEENS1_30default_config_static_selectorELNS0_4arch9wavefront6targetE1EEEvT1_
		.amdhsa_group_segment_fixed_size 12288
		.amdhsa_private_segment_fixed_size 120
		.amdhsa_kernarg_size 352
		.amdhsa_user_sgpr_count 2
		.amdhsa_user_sgpr_dispatch_ptr 0
		.amdhsa_user_sgpr_queue_ptr 0
		.amdhsa_user_sgpr_kernarg_segment_ptr 1
		.amdhsa_user_sgpr_dispatch_id 0
		.amdhsa_user_sgpr_kernarg_preload_length 0
		.amdhsa_user_sgpr_kernarg_preload_offset 0
		.amdhsa_user_sgpr_private_segment_size 0
		.amdhsa_uses_dynamic_stack 0
		.amdhsa_enable_private_segment 1
		.amdhsa_system_sgpr_workgroup_id_x 1
		.amdhsa_system_sgpr_workgroup_id_y 0
		.amdhsa_system_sgpr_workgroup_id_z 0
		.amdhsa_system_sgpr_workgroup_info 0
		.amdhsa_system_vgpr_workitem_id 0
		.amdhsa_next_free_vgpr 168
		.amdhsa_next_free_sgpr 74
		.amdhsa_accum_offset 168
		.amdhsa_reserve_vcc 1
		.amdhsa_float_round_mode_32 0
		.amdhsa_float_round_mode_16_64 0
		.amdhsa_float_denorm_mode_32 3
		.amdhsa_float_denorm_mode_16_64 3
		.amdhsa_dx10_clamp 1
		.amdhsa_ieee_mode 1
		.amdhsa_fp16_overflow 0
		.amdhsa_tg_split 0
		.amdhsa_exception_fp_ieee_invalid_op 0
		.amdhsa_exception_fp_denorm_src 0
		.amdhsa_exception_fp_ieee_div_zero 0
		.amdhsa_exception_fp_ieee_overflow 0
		.amdhsa_exception_fp_ieee_underflow 0
		.amdhsa_exception_fp_ieee_inexact 0
		.amdhsa_exception_int_div_zero 0
	.end_amdhsa_kernel
	.section	.text._ZN7rocprim17ROCPRIM_400000_NS6detail17trampoline_kernelINS0_14default_configENS1_20scan_config_selectorIN3c104HalfEEEZZNS1_9scan_implILNS1_25lookback_scan_determinismE0ELb0ELb0ES3_PKS6_PS6_S6_ZZZN2at6native31launch_logcumsumexp_cuda_kernelERKNSD_10TensorBaseESH_lENKUlvE_clEvENKUlvE3_clEvEUlS6_S6_E_S6_EEDaPvRmT3_T4_T5_mT6_P12ihipStream_tbENKUlT_T0_E_clISt17integral_constantIbLb1EESY_EEDaST_SU_EUlST_E_NS1_11comp_targetILNS1_3genE5ELNS1_11target_archE942ELNS1_3gpuE9ELNS1_3repE0EEENS1_30default_config_static_selectorELNS0_4arch9wavefront6targetE1EEEvT1_,"axG",@progbits,_ZN7rocprim17ROCPRIM_400000_NS6detail17trampoline_kernelINS0_14default_configENS1_20scan_config_selectorIN3c104HalfEEEZZNS1_9scan_implILNS1_25lookback_scan_determinismE0ELb0ELb0ES3_PKS6_PS6_S6_ZZZN2at6native31launch_logcumsumexp_cuda_kernelERKNSD_10TensorBaseESH_lENKUlvE_clEvENKUlvE3_clEvEUlS6_S6_E_S6_EEDaPvRmT3_T4_T5_mT6_P12ihipStream_tbENKUlT_T0_E_clISt17integral_constantIbLb1EESY_EEDaST_SU_EUlST_E_NS1_11comp_targetILNS1_3genE5ELNS1_11target_archE942ELNS1_3gpuE9ELNS1_3repE0EEENS1_30default_config_static_selectorELNS0_4arch9wavefront6targetE1EEEvT1_,comdat
.Lfunc_end389:
	.size	_ZN7rocprim17ROCPRIM_400000_NS6detail17trampoline_kernelINS0_14default_configENS1_20scan_config_selectorIN3c104HalfEEEZZNS1_9scan_implILNS1_25lookback_scan_determinismE0ELb0ELb0ES3_PKS6_PS6_S6_ZZZN2at6native31launch_logcumsumexp_cuda_kernelERKNSD_10TensorBaseESH_lENKUlvE_clEvENKUlvE3_clEvEUlS6_S6_E_S6_EEDaPvRmT3_T4_T5_mT6_P12ihipStream_tbENKUlT_T0_E_clISt17integral_constantIbLb1EESY_EEDaST_SU_EUlST_E_NS1_11comp_targetILNS1_3genE5ELNS1_11target_archE942ELNS1_3gpuE9ELNS1_3repE0EEENS1_30default_config_static_selectorELNS0_4arch9wavefront6targetE1EEEvT1_, .Lfunc_end389-_ZN7rocprim17ROCPRIM_400000_NS6detail17trampoline_kernelINS0_14default_configENS1_20scan_config_selectorIN3c104HalfEEEZZNS1_9scan_implILNS1_25lookback_scan_determinismE0ELb0ELb0ES3_PKS6_PS6_S6_ZZZN2at6native31launch_logcumsumexp_cuda_kernelERKNSD_10TensorBaseESH_lENKUlvE_clEvENKUlvE3_clEvEUlS6_S6_E_S6_EEDaPvRmT3_T4_T5_mT6_P12ihipStream_tbENKUlT_T0_E_clISt17integral_constantIbLb1EESY_EEDaST_SU_EUlST_E_NS1_11comp_targetILNS1_3genE5ELNS1_11target_archE942ELNS1_3gpuE9ELNS1_3repE0EEENS1_30default_config_static_selectorELNS0_4arch9wavefront6targetE1EEEvT1_
                                        ; -- End function
	.section	.AMDGPU.csdata,"",@progbits
; Kernel info:
; codeLenInByte = 200
; NumSgprs: 80
; NumVgprs: 168
; NumAgprs: 0
; TotalNumVgprs: 168
; ScratchSize: 120
; MemoryBound: 0
; FloatMode: 240
; IeeeMode: 1
; LDSByteSize: 12288 bytes/workgroup (compile time only)
; SGPRBlocks: 9
; VGPRBlocks: 20
; NumSGPRsForWavesPerEU: 80
; NumVGPRsForWavesPerEU: 168
; AccumOffset: 168
; Occupancy: 3
; WaveLimiterHint : 1
; COMPUTE_PGM_RSRC2:SCRATCH_EN: 1
; COMPUTE_PGM_RSRC2:USER_SGPR: 2
; COMPUTE_PGM_RSRC2:TRAP_HANDLER: 0
; COMPUTE_PGM_RSRC2:TGID_X_EN: 1
; COMPUTE_PGM_RSRC2:TGID_Y_EN: 0
; COMPUTE_PGM_RSRC2:TGID_Z_EN: 0
; COMPUTE_PGM_RSRC2:TIDIG_COMP_CNT: 0
; COMPUTE_PGM_RSRC3_GFX90A:ACCUM_OFFSET: 41
; COMPUTE_PGM_RSRC3_GFX90A:TG_SPLIT: 0
	.section	.text._ZN7rocprim17ROCPRIM_400000_NS6detail17trampoline_kernelINS0_14default_configENS1_20scan_config_selectorIN3c104HalfEEEZZNS1_9scan_implILNS1_25lookback_scan_determinismE0ELb0ELb0ES3_PKS6_PS6_S6_ZZZN2at6native31launch_logcumsumexp_cuda_kernelERKNSD_10TensorBaseESH_lENKUlvE_clEvENKUlvE3_clEvEUlS6_S6_E_S6_EEDaPvRmT3_T4_T5_mT6_P12ihipStream_tbENKUlT_T0_E_clISt17integral_constantIbLb1EESY_EEDaST_SU_EUlST_E_NS1_11comp_targetILNS1_3genE4ELNS1_11target_archE910ELNS1_3gpuE8ELNS1_3repE0EEENS1_30default_config_static_selectorELNS0_4arch9wavefront6targetE1EEEvT1_,"axG",@progbits,_ZN7rocprim17ROCPRIM_400000_NS6detail17trampoline_kernelINS0_14default_configENS1_20scan_config_selectorIN3c104HalfEEEZZNS1_9scan_implILNS1_25lookback_scan_determinismE0ELb0ELb0ES3_PKS6_PS6_S6_ZZZN2at6native31launch_logcumsumexp_cuda_kernelERKNSD_10TensorBaseESH_lENKUlvE_clEvENKUlvE3_clEvEUlS6_S6_E_S6_EEDaPvRmT3_T4_T5_mT6_P12ihipStream_tbENKUlT_T0_E_clISt17integral_constantIbLb1EESY_EEDaST_SU_EUlST_E_NS1_11comp_targetILNS1_3genE4ELNS1_11target_archE910ELNS1_3gpuE8ELNS1_3repE0EEENS1_30default_config_static_selectorELNS0_4arch9wavefront6targetE1EEEvT1_,comdat
	.globl	_ZN7rocprim17ROCPRIM_400000_NS6detail17trampoline_kernelINS0_14default_configENS1_20scan_config_selectorIN3c104HalfEEEZZNS1_9scan_implILNS1_25lookback_scan_determinismE0ELb0ELb0ES3_PKS6_PS6_S6_ZZZN2at6native31launch_logcumsumexp_cuda_kernelERKNSD_10TensorBaseESH_lENKUlvE_clEvENKUlvE3_clEvEUlS6_S6_E_S6_EEDaPvRmT3_T4_T5_mT6_P12ihipStream_tbENKUlT_T0_E_clISt17integral_constantIbLb1EESY_EEDaST_SU_EUlST_E_NS1_11comp_targetILNS1_3genE4ELNS1_11target_archE910ELNS1_3gpuE8ELNS1_3repE0EEENS1_30default_config_static_selectorELNS0_4arch9wavefront6targetE1EEEvT1_ ; -- Begin function _ZN7rocprim17ROCPRIM_400000_NS6detail17trampoline_kernelINS0_14default_configENS1_20scan_config_selectorIN3c104HalfEEEZZNS1_9scan_implILNS1_25lookback_scan_determinismE0ELb0ELb0ES3_PKS6_PS6_S6_ZZZN2at6native31launch_logcumsumexp_cuda_kernelERKNSD_10TensorBaseESH_lENKUlvE_clEvENKUlvE3_clEvEUlS6_S6_E_S6_EEDaPvRmT3_T4_T5_mT6_P12ihipStream_tbENKUlT_T0_E_clISt17integral_constantIbLb1EESY_EEDaST_SU_EUlST_E_NS1_11comp_targetILNS1_3genE4ELNS1_11target_archE910ELNS1_3gpuE8ELNS1_3repE0EEENS1_30default_config_static_selectorELNS0_4arch9wavefront6targetE1EEEvT1_
	.p2align	8
	.type	_ZN7rocprim17ROCPRIM_400000_NS6detail17trampoline_kernelINS0_14default_configENS1_20scan_config_selectorIN3c104HalfEEEZZNS1_9scan_implILNS1_25lookback_scan_determinismE0ELb0ELb0ES3_PKS6_PS6_S6_ZZZN2at6native31launch_logcumsumexp_cuda_kernelERKNSD_10TensorBaseESH_lENKUlvE_clEvENKUlvE3_clEvEUlS6_S6_E_S6_EEDaPvRmT3_T4_T5_mT6_P12ihipStream_tbENKUlT_T0_E_clISt17integral_constantIbLb1EESY_EEDaST_SU_EUlST_E_NS1_11comp_targetILNS1_3genE4ELNS1_11target_archE910ELNS1_3gpuE8ELNS1_3repE0EEENS1_30default_config_static_selectorELNS0_4arch9wavefront6targetE1EEEvT1_,@function
_ZN7rocprim17ROCPRIM_400000_NS6detail17trampoline_kernelINS0_14default_configENS1_20scan_config_selectorIN3c104HalfEEEZZNS1_9scan_implILNS1_25lookback_scan_determinismE0ELb0ELb0ES3_PKS6_PS6_S6_ZZZN2at6native31launch_logcumsumexp_cuda_kernelERKNSD_10TensorBaseESH_lENKUlvE_clEvENKUlvE3_clEvEUlS6_S6_E_S6_EEDaPvRmT3_T4_T5_mT6_P12ihipStream_tbENKUlT_T0_E_clISt17integral_constantIbLb1EESY_EEDaST_SU_EUlST_E_NS1_11comp_targetILNS1_3genE4ELNS1_11target_archE910ELNS1_3gpuE8ELNS1_3repE0EEENS1_30default_config_static_selectorELNS0_4arch9wavefront6targetE1EEEvT1_: ; @_ZN7rocprim17ROCPRIM_400000_NS6detail17trampoline_kernelINS0_14default_configENS1_20scan_config_selectorIN3c104HalfEEEZZNS1_9scan_implILNS1_25lookback_scan_determinismE0ELb0ELb0ES3_PKS6_PS6_S6_ZZZN2at6native31launch_logcumsumexp_cuda_kernelERKNSD_10TensorBaseESH_lENKUlvE_clEvENKUlvE3_clEvEUlS6_S6_E_S6_EEDaPvRmT3_T4_T5_mT6_P12ihipStream_tbENKUlT_T0_E_clISt17integral_constantIbLb1EESY_EEDaST_SU_EUlST_E_NS1_11comp_targetILNS1_3genE4ELNS1_11target_archE910ELNS1_3gpuE8ELNS1_3repE0EEENS1_30default_config_static_selectorELNS0_4arch9wavefront6targetE1EEEvT1_
; %bb.0:
	.section	.rodata,"a",@progbits
	.p2align	6, 0x0
	.amdhsa_kernel _ZN7rocprim17ROCPRIM_400000_NS6detail17trampoline_kernelINS0_14default_configENS1_20scan_config_selectorIN3c104HalfEEEZZNS1_9scan_implILNS1_25lookback_scan_determinismE0ELb0ELb0ES3_PKS6_PS6_S6_ZZZN2at6native31launch_logcumsumexp_cuda_kernelERKNSD_10TensorBaseESH_lENKUlvE_clEvENKUlvE3_clEvEUlS6_S6_E_S6_EEDaPvRmT3_T4_T5_mT6_P12ihipStream_tbENKUlT_T0_E_clISt17integral_constantIbLb1EESY_EEDaST_SU_EUlST_E_NS1_11comp_targetILNS1_3genE4ELNS1_11target_archE910ELNS1_3gpuE8ELNS1_3repE0EEENS1_30default_config_static_selectorELNS0_4arch9wavefront6targetE1EEEvT1_
		.amdhsa_group_segment_fixed_size 0
		.amdhsa_private_segment_fixed_size 0
		.amdhsa_kernarg_size 96
		.amdhsa_user_sgpr_count 2
		.amdhsa_user_sgpr_dispatch_ptr 0
		.amdhsa_user_sgpr_queue_ptr 0
		.amdhsa_user_sgpr_kernarg_segment_ptr 1
		.amdhsa_user_sgpr_dispatch_id 0
		.amdhsa_user_sgpr_kernarg_preload_length 0
		.amdhsa_user_sgpr_kernarg_preload_offset 0
		.amdhsa_user_sgpr_private_segment_size 0
		.amdhsa_uses_dynamic_stack 0
		.amdhsa_enable_private_segment 0
		.amdhsa_system_sgpr_workgroup_id_x 1
		.amdhsa_system_sgpr_workgroup_id_y 0
		.amdhsa_system_sgpr_workgroup_id_z 0
		.amdhsa_system_sgpr_workgroup_info 0
		.amdhsa_system_vgpr_workitem_id 0
		.amdhsa_next_free_vgpr 1
		.amdhsa_next_free_sgpr 0
		.amdhsa_accum_offset 4
		.amdhsa_reserve_vcc 0
		.amdhsa_float_round_mode_32 0
		.amdhsa_float_round_mode_16_64 0
		.amdhsa_float_denorm_mode_32 3
		.amdhsa_float_denorm_mode_16_64 3
		.amdhsa_dx10_clamp 1
		.amdhsa_ieee_mode 1
		.amdhsa_fp16_overflow 0
		.amdhsa_tg_split 0
		.amdhsa_exception_fp_ieee_invalid_op 0
		.amdhsa_exception_fp_denorm_src 0
		.amdhsa_exception_fp_ieee_div_zero 0
		.amdhsa_exception_fp_ieee_overflow 0
		.amdhsa_exception_fp_ieee_underflow 0
		.amdhsa_exception_fp_ieee_inexact 0
		.amdhsa_exception_int_div_zero 0
	.end_amdhsa_kernel
	.section	.text._ZN7rocprim17ROCPRIM_400000_NS6detail17trampoline_kernelINS0_14default_configENS1_20scan_config_selectorIN3c104HalfEEEZZNS1_9scan_implILNS1_25lookback_scan_determinismE0ELb0ELb0ES3_PKS6_PS6_S6_ZZZN2at6native31launch_logcumsumexp_cuda_kernelERKNSD_10TensorBaseESH_lENKUlvE_clEvENKUlvE3_clEvEUlS6_S6_E_S6_EEDaPvRmT3_T4_T5_mT6_P12ihipStream_tbENKUlT_T0_E_clISt17integral_constantIbLb1EESY_EEDaST_SU_EUlST_E_NS1_11comp_targetILNS1_3genE4ELNS1_11target_archE910ELNS1_3gpuE8ELNS1_3repE0EEENS1_30default_config_static_selectorELNS0_4arch9wavefront6targetE1EEEvT1_,"axG",@progbits,_ZN7rocprim17ROCPRIM_400000_NS6detail17trampoline_kernelINS0_14default_configENS1_20scan_config_selectorIN3c104HalfEEEZZNS1_9scan_implILNS1_25lookback_scan_determinismE0ELb0ELb0ES3_PKS6_PS6_S6_ZZZN2at6native31launch_logcumsumexp_cuda_kernelERKNSD_10TensorBaseESH_lENKUlvE_clEvENKUlvE3_clEvEUlS6_S6_E_S6_EEDaPvRmT3_T4_T5_mT6_P12ihipStream_tbENKUlT_T0_E_clISt17integral_constantIbLb1EESY_EEDaST_SU_EUlST_E_NS1_11comp_targetILNS1_3genE4ELNS1_11target_archE910ELNS1_3gpuE8ELNS1_3repE0EEENS1_30default_config_static_selectorELNS0_4arch9wavefront6targetE1EEEvT1_,comdat
.Lfunc_end390:
	.size	_ZN7rocprim17ROCPRIM_400000_NS6detail17trampoline_kernelINS0_14default_configENS1_20scan_config_selectorIN3c104HalfEEEZZNS1_9scan_implILNS1_25lookback_scan_determinismE0ELb0ELb0ES3_PKS6_PS6_S6_ZZZN2at6native31launch_logcumsumexp_cuda_kernelERKNSD_10TensorBaseESH_lENKUlvE_clEvENKUlvE3_clEvEUlS6_S6_E_S6_EEDaPvRmT3_T4_T5_mT6_P12ihipStream_tbENKUlT_T0_E_clISt17integral_constantIbLb1EESY_EEDaST_SU_EUlST_E_NS1_11comp_targetILNS1_3genE4ELNS1_11target_archE910ELNS1_3gpuE8ELNS1_3repE0EEENS1_30default_config_static_selectorELNS0_4arch9wavefront6targetE1EEEvT1_, .Lfunc_end390-_ZN7rocprim17ROCPRIM_400000_NS6detail17trampoline_kernelINS0_14default_configENS1_20scan_config_selectorIN3c104HalfEEEZZNS1_9scan_implILNS1_25lookback_scan_determinismE0ELb0ELb0ES3_PKS6_PS6_S6_ZZZN2at6native31launch_logcumsumexp_cuda_kernelERKNSD_10TensorBaseESH_lENKUlvE_clEvENKUlvE3_clEvEUlS6_S6_E_S6_EEDaPvRmT3_T4_T5_mT6_P12ihipStream_tbENKUlT_T0_E_clISt17integral_constantIbLb1EESY_EEDaST_SU_EUlST_E_NS1_11comp_targetILNS1_3genE4ELNS1_11target_archE910ELNS1_3gpuE8ELNS1_3repE0EEENS1_30default_config_static_selectorELNS0_4arch9wavefront6targetE1EEEvT1_
                                        ; -- End function
	.section	.AMDGPU.csdata,"",@progbits
; Kernel info:
; codeLenInByte = 0
; NumSgprs: 6
; NumVgprs: 0
; NumAgprs: 0
; TotalNumVgprs: 0
; ScratchSize: 0
; MemoryBound: 0
; FloatMode: 240
; IeeeMode: 1
; LDSByteSize: 0 bytes/workgroup (compile time only)
; SGPRBlocks: 0
; VGPRBlocks: 0
; NumSGPRsForWavesPerEU: 6
; NumVGPRsForWavesPerEU: 1
; AccumOffset: 4
; Occupancy: 8
; WaveLimiterHint : 0
; COMPUTE_PGM_RSRC2:SCRATCH_EN: 0
; COMPUTE_PGM_RSRC2:USER_SGPR: 2
; COMPUTE_PGM_RSRC2:TRAP_HANDLER: 0
; COMPUTE_PGM_RSRC2:TGID_X_EN: 1
; COMPUTE_PGM_RSRC2:TGID_Y_EN: 0
; COMPUTE_PGM_RSRC2:TGID_Z_EN: 0
; COMPUTE_PGM_RSRC2:TIDIG_COMP_CNT: 0
; COMPUTE_PGM_RSRC3_GFX90A:ACCUM_OFFSET: 0
; COMPUTE_PGM_RSRC3_GFX90A:TG_SPLIT: 0
	.section	.text._ZN7rocprim17ROCPRIM_400000_NS6detail17trampoline_kernelINS0_14default_configENS1_20scan_config_selectorIN3c104HalfEEEZZNS1_9scan_implILNS1_25lookback_scan_determinismE0ELb0ELb0ES3_PKS6_PS6_S6_ZZZN2at6native31launch_logcumsumexp_cuda_kernelERKNSD_10TensorBaseESH_lENKUlvE_clEvENKUlvE3_clEvEUlS6_S6_E_S6_EEDaPvRmT3_T4_T5_mT6_P12ihipStream_tbENKUlT_T0_E_clISt17integral_constantIbLb1EESY_EEDaST_SU_EUlST_E_NS1_11comp_targetILNS1_3genE3ELNS1_11target_archE908ELNS1_3gpuE7ELNS1_3repE0EEENS1_30default_config_static_selectorELNS0_4arch9wavefront6targetE1EEEvT1_,"axG",@progbits,_ZN7rocprim17ROCPRIM_400000_NS6detail17trampoline_kernelINS0_14default_configENS1_20scan_config_selectorIN3c104HalfEEEZZNS1_9scan_implILNS1_25lookback_scan_determinismE0ELb0ELb0ES3_PKS6_PS6_S6_ZZZN2at6native31launch_logcumsumexp_cuda_kernelERKNSD_10TensorBaseESH_lENKUlvE_clEvENKUlvE3_clEvEUlS6_S6_E_S6_EEDaPvRmT3_T4_T5_mT6_P12ihipStream_tbENKUlT_T0_E_clISt17integral_constantIbLb1EESY_EEDaST_SU_EUlST_E_NS1_11comp_targetILNS1_3genE3ELNS1_11target_archE908ELNS1_3gpuE7ELNS1_3repE0EEENS1_30default_config_static_selectorELNS0_4arch9wavefront6targetE1EEEvT1_,comdat
	.globl	_ZN7rocprim17ROCPRIM_400000_NS6detail17trampoline_kernelINS0_14default_configENS1_20scan_config_selectorIN3c104HalfEEEZZNS1_9scan_implILNS1_25lookback_scan_determinismE0ELb0ELb0ES3_PKS6_PS6_S6_ZZZN2at6native31launch_logcumsumexp_cuda_kernelERKNSD_10TensorBaseESH_lENKUlvE_clEvENKUlvE3_clEvEUlS6_S6_E_S6_EEDaPvRmT3_T4_T5_mT6_P12ihipStream_tbENKUlT_T0_E_clISt17integral_constantIbLb1EESY_EEDaST_SU_EUlST_E_NS1_11comp_targetILNS1_3genE3ELNS1_11target_archE908ELNS1_3gpuE7ELNS1_3repE0EEENS1_30default_config_static_selectorELNS0_4arch9wavefront6targetE1EEEvT1_ ; -- Begin function _ZN7rocprim17ROCPRIM_400000_NS6detail17trampoline_kernelINS0_14default_configENS1_20scan_config_selectorIN3c104HalfEEEZZNS1_9scan_implILNS1_25lookback_scan_determinismE0ELb0ELb0ES3_PKS6_PS6_S6_ZZZN2at6native31launch_logcumsumexp_cuda_kernelERKNSD_10TensorBaseESH_lENKUlvE_clEvENKUlvE3_clEvEUlS6_S6_E_S6_EEDaPvRmT3_T4_T5_mT6_P12ihipStream_tbENKUlT_T0_E_clISt17integral_constantIbLb1EESY_EEDaST_SU_EUlST_E_NS1_11comp_targetILNS1_3genE3ELNS1_11target_archE908ELNS1_3gpuE7ELNS1_3repE0EEENS1_30default_config_static_selectorELNS0_4arch9wavefront6targetE1EEEvT1_
	.p2align	8
	.type	_ZN7rocprim17ROCPRIM_400000_NS6detail17trampoline_kernelINS0_14default_configENS1_20scan_config_selectorIN3c104HalfEEEZZNS1_9scan_implILNS1_25lookback_scan_determinismE0ELb0ELb0ES3_PKS6_PS6_S6_ZZZN2at6native31launch_logcumsumexp_cuda_kernelERKNSD_10TensorBaseESH_lENKUlvE_clEvENKUlvE3_clEvEUlS6_S6_E_S6_EEDaPvRmT3_T4_T5_mT6_P12ihipStream_tbENKUlT_T0_E_clISt17integral_constantIbLb1EESY_EEDaST_SU_EUlST_E_NS1_11comp_targetILNS1_3genE3ELNS1_11target_archE908ELNS1_3gpuE7ELNS1_3repE0EEENS1_30default_config_static_selectorELNS0_4arch9wavefront6targetE1EEEvT1_,@function
_ZN7rocprim17ROCPRIM_400000_NS6detail17trampoline_kernelINS0_14default_configENS1_20scan_config_selectorIN3c104HalfEEEZZNS1_9scan_implILNS1_25lookback_scan_determinismE0ELb0ELb0ES3_PKS6_PS6_S6_ZZZN2at6native31launch_logcumsumexp_cuda_kernelERKNSD_10TensorBaseESH_lENKUlvE_clEvENKUlvE3_clEvEUlS6_S6_E_S6_EEDaPvRmT3_T4_T5_mT6_P12ihipStream_tbENKUlT_T0_E_clISt17integral_constantIbLb1EESY_EEDaST_SU_EUlST_E_NS1_11comp_targetILNS1_3genE3ELNS1_11target_archE908ELNS1_3gpuE7ELNS1_3repE0EEENS1_30default_config_static_selectorELNS0_4arch9wavefront6targetE1EEEvT1_: ; @_ZN7rocprim17ROCPRIM_400000_NS6detail17trampoline_kernelINS0_14default_configENS1_20scan_config_selectorIN3c104HalfEEEZZNS1_9scan_implILNS1_25lookback_scan_determinismE0ELb0ELb0ES3_PKS6_PS6_S6_ZZZN2at6native31launch_logcumsumexp_cuda_kernelERKNSD_10TensorBaseESH_lENKUlvE_clEvENKUlvE3_clEvEUlS6_S6_E_S6_EEDaPvRmT3_T4_T5_mT6_P12ihipStream_tbENKUlT_T0_E_clISt17integral_constantIbLb1EESY_EEDaST_SU_EUlST_E_NS1_11comp_targetILNS1_3genE3ELNS1_11target_archE908ELNS1_3gpuE7ELNS1_3repE0EEENS1_30default_config_static_selectorELNS0_4arch9wavefront6targetE1EEEvT1_
; %bb.0:
	.section	.rodata,"a",@progbits
	.p2align	6, 0x0
	.amdhsa_kernel _ZN7rocprim17ROCPRIM_400000_NS6detail17trampoline_kernelINS0_14default_configENS1_20scan_config_selectorIN3c104HalfEEEZZNS1_9scan_implILNS1_25lookback_scan_determinismE0ELb0ELb0ES3_PKS6_PS6_S6_ZZZN2at6native31launch_logcumsumexp_cuda_kernelERKNSD_10TensorBaseESH_lENKUlvE_clEvENKUlvE3_clEvEUlS6_S6_E_S6_EEDaPvRmT3_T4_T5_mT6_P12ihipStream_tbENKUlT_T0_E_clISt17integral_constantIbLb1EESY_EEDaST_SU_EUlST_E_NS1_11comp_targetILNS1_3genE3ELNS1_11target_archE908ELNS1_3gpuE7ELNS1_3repE0EEENS1_30default_config_static_selectorELNS0_4arch9wavefront6targetE1EEEvT1_
		.amdhsa_group_segment_fixed_size 0
		.amdhsa_private_segment_fixed_size 0
		.amdhsa_kernarg_size 96
		.amdhsa_user_sgpr_count 2
		.amdhsa_user_sgpr_dispatch_ptr 0
		.amdhsa_user_sgpr_queue_ptr 0
		.amdhsa_user_sgpr_kernarg_segment_ptr 1
		.amdhsa_user_sgpr_dispatch_id 0
		.amdhsa_user_sgpr_kernarg_preload_length 0
		.amdhsa_user_sgpr_kernarg_preload_offset 0
		.amdhsa_user_sgpr_private_segment_size 0
		.amdhsa_uses_dynamic_stack 0
		.amdhsa_enable_private_segment 0
		.amdhsa_system_sgpr_workgroup_id_x 1
		.amdhsa_system_sgpr_workgroup_id_y 0
		.amdhsa_system_sgpr_workgroup_id_z 0
		.amdhsa_system_sgpr_workgroup_info 0
		.amdhsa_system_vgpr_workitem_id 0
		.amdhsa_next_free_vgpr 1
		.amdhsa_next_free_sgpr 0
		.amdhsa_accum_offset 4
		.amdhsa_reserve_vcc 0
		.amdhsa_float_round_mode_32 0
		.amdhsa_float_round_mode_16_64 0
		.amdhsa_float_denorm_mode_32 3
		.amdhsa_float_denorm_mode_16_64 3
		.amdhsa_dx10_clamp 1
		.amdhsa_ieee_mode 1
		.amdhsa_fp16_overflow 0
		.amdhsa_tg_split 0
		.amdhsa_exception_fp_ieee_invalid_op 0
		.amdhsa_exception_fp_denorm_src 0
		.amdhsa_exception_fp_ieee_div_zero 0
		.amdhsa_exception_fp_ieee_overflow 0
		.amdhsa_exception_fp_ieee_underflow 0
		.amdhsa_exception_fp_ieee_inexact 0
		.amdhsa_exception_int_div_zero 0
	.end_amdhsa_kernel
	.section	.text._ZN7rocprim17ROCPRIM_400000_NS6detail17trampoline_kernelINS0_14default_configENS1_20scan_config_selectorIN3c104HalfEEEZZNS1_9scan_implILNS1_25lookback_scan_determinismE0ELb0ELb0ES3_PKS6_PS6_S6_ZZZN2at6native31launch_logcumsumexp_cuda_kernelERKNSD_10TensorBaseESH_lENKUlvE_clEvENKUlvE3_clEvEUlS6_S6_E_S6_EEDaPvRmT3_T4_T5_mT6_P12ihipStream_tbENKUlT_T0_E_clISt17integral_constantIbLb1EESY_EEDaST_SU_EUlST_E_NS1_11comp_targetILNS1_3genE3ELNS1_11target_archE908ELNS1_3gpuE7ELNS1_3repE0EEENS1_30default_config_static_selectorELNS0_4arch9wavefront6targetE1EEEvT1_,"axG",@progbits,_ZN7rocprim17ROCPRIM_400000_NS6detail17trampoline_kernelINS0_14default_configENS1_20scan_config_selectorIN3c104HalfEEEZZNS1_9scan_implILNS1_25lookback_scan_determinismE0ELb0ELb0ES3_PKS6_PS6_S6_ZZZN2at6native31launch_logcumsumexp_cuda_kernelERKNSD_10TensorBaseESH_lENKUlvE_clEvENKUlvE3_clEvEUlS6_S6_E_S6_EEDaPvRmT3_T4_T5_mT6_P12ihipStream_tbENKUlT_T0_E_clISt17integral_constantIbLb1EESY_EEDaST_SU_EUlST_E_NS1_11comp_targetILNS1_3genE3ELNS1_11target_archE908ELNS1_3gpuE7ELNS1_3repE0EEENS1_30default_config_static_selectorELNS0_4arch9wavefront6targetE1EEEvT1_,comdat
.Lfunc_end391:
	.size	_ZN7rocprim17ROCPRIM_400000_NS6detail17trampoline_kernelINS0_14default_configENS1_20scan_config_selectorIN3c104HalfEEEZZNS1_9scan_implILNS1_25lookback_scan_determinismE0ELb0ELb0ES3_PKS6_PS6_S6_ZZZN2at6native31launch_logcumsumexp_cuda_kernelERKNSD_10TensorBaseESH_lENKUlvE_clEvENKUlvE3_clEvEUlS6_S6_E_S6_EEDaPvRmT3_T4_T5_mT6_P12ihipStream_tbENKUlT_T0_E_clISt17integral_constantIbLb1EESY_EEDaST_SU_EUlST_E_NS1_11comp_targetILNS1_3genE3ELNS1_11target_archE908ELNS1_3gpuE7ELNS1_3repE0EEENS1_30default_config_static_selectorELNS0_4arch9wavefront6targetE1EEEvT1_, .Lfunc_end391-_ZN7rocprim17ROCPRIM_400000_NS6detail17trampoline_kernelINS0_14default_configENS1_20scan_config_selectorIN3c104HalfEEEZZNS1_9scan_implILNS1_25lookback_scan_determinismE0ELb0ELb0ES3_PKS6_PS6_S6_ZZZN2at6native31launch_logcumsumexp_cuda_kernelERKNSD_10TensorBaseESH_lENKUlvE_clEvENKUlvE3_clEvEUlS6_S6_E_S6_EEDaPvRmT3_T4_T5_mT6_P12ihipStream_tbENKUlT_T0_E_clISt17integral_constantIbLb1EESY_EEDaST_SU_EUlST_E_NS1_11comp_targetILNS1_3genE3ELNS1_11target_archE908ELNS1_3gpuE7ELNS1_3repE0EEENS1_30default_config_static_selectorELNS0_4arch9wavefront6targetE1EEEvT1_
                                        ; -- End function
	.section	.AMDGPU.csdata,"",@progbits
; Kernel info:
; codeLenInByte = 0
; NumSgprs: 6
; NumVgprs: 0
; NumAgprs: 0
; TotalNumVgprs: 0
; ScratchSize: 0
; MemoryBound: 0
; FloatMode: 240
; IeeeMode: 1
; LDSByteSize: 0 bytes/workgroup (compile time only)
; SGPRBlocks: 0
; VGPRBlocks: 0
; NumSGPRsForWavesPerEU: 6
; NumVGPRsForWavesPerEU: 1
; AccumOffset: 4
; Occupancy: 8
; WaveLimiterHint : 0
; COMPUTE_PGM_RSRC2:SCRATCH_EN: 0
; COMPUTE_PGM_RSRC2:USER_SGPR: 2
; COMPUTE_PGM_RSRC2:TRAP_HANDLER: 0
; COMPUTE_PGM_RSRC2:TGID_X_EN: 1
; COMPUTE_PGM_RSRC2:TGID_Y_EN: 0
; COMPUTE_PGM_RSRC2:TGID_Z_EN: 0
; COMPUTE_PGM_RSRC2:TIDIG_COMP_CNT: 0
; COMPUTE_PGM_RSRC3_GFX90A:ACCUM_OFFSET: 0
; COMPUTE_PGM_RSRC3_GFX90A:TG_SPLIT: 0
	.section	.text._ZN7rocprim17ROCPRIM_400000_NS6detail17trampoline_kernelINS0_14default_configENS1_20scan_config_selectorIN3c104HalfEEEZZNS1_9scan_implILNS1_25lookback_scan_determinismE0ELb0ELb0ES3_PKS6_PS6_S6_ZZZN2at6native31launch_logcumsumexp_cuda_kernelERKNSD_10TensorBaseESH_lENKUlvE_clEvENKUlvE3_clEvEUlS6_S6_E_S6_EEDaPvRmT3_T4_T5_mT6_P12ihipStream_tbENKUlT_T0_E_clISt17integral_constantIbLb1EESY_EEDaST_SU_EUlST_E_NS1_11comp_targetILNS1_3genE2ELNS1_11target_archE906ELNS1_3gpuE6ELNS1_3repE0EEENS1_30default_config_static_selectorELNS0_4arch9wavefront6targetE1EEEvT1_,"axG",@progbits,_ZN7rocprim17ROCPRIM_400000_NS6detail17trampoline_kernelINS0_14default_configENS1_20scan_config_selectorIN3c104HalfEEEZZNS1_9scan_implILNS1_25lookback_scan_determinismE0ELb0ELb0ES3_PKS6_PS6_S6_ZZZN2at6native31launch_logcumsumexp_cuda_kernelERKNSD_10TensorBaseESH_lENKUlvE_clEvENKUlvE3_clEvEUlS6_S6_E_S6_EEDaPvRmT3_T4_T5_mT6_P12ihipStream_tbENKUlT_T0_E_clISt17integral_constantIbLb1EESY_EEDaST_SU_EUlST_E_NS1_11comp_targetILNS1_3genE2ELNS1_11target_archE906ELNS1_3gpuE6ELNS1_3repE0EEENS1_30default_config_static_selectorELNS0_4arch9wavefront6targetE1EEEvT1_,comdat
	.globl	_ZN7rocprim17ROCPRIM_400000_NS6detail17trampoline_kernelINS0_14default_configENS1_20scan_config_selectorIN3c104HalfEEEZZNS1_9scan_implILNS1_25lookback_scan_determinismE0ELb0ELb0ES3_PKS6_PS6_S6_ZZZN2at6native31launch_logcumsumexp_cuda_kernelERKNSD_10TensorBaseESH_lENKUlvE_clEvENKUlvE3_clEvEUlS6_S6_E_S6_EEDaPvRmT3_T4_T5_mT6_P12ihipStream_tbENKUlT_T0_E_clISt17integral_constantIbLb1EESY_EEDaST_SU_EUlST_E_NS1_11comp_targetILNS1_3genE2ELNS1_11target_archE906ELNS1_3gpuE6ELNS1_3repE0EEENS1_30default_config_static_selectorELNS0_4arch9wavefront6targetE1EEEvT1_ ; -- Begin function _ZN7rocprim17ROCPRIM_400000_NS6detail17trampoline_kernelINS0_14default_configENS1_20scan_config_selectorIN3c104HalfEEEZZNS1_9scan_implILNS1_25lookback_scan_determinismE0ELb0ELb0ES3_PKS6_PS6_S6_ZZZN2at6native31launch_logcumsumexp_cuda_kernelERKNSD_10TensorBaseESH_lENKUlvE_clEvENKUlvE3_clEvEUlS6_S6_E_S6_EEDaPvRmT3_T4_T5_mT6_P12ihipStream_tbENKUlT_T0_E_clISt17integral_constantIbLb1EESY_EEDaST_SU_EUlST_E_NS1_11comp_targetILNS1_3genE2ELNS1_11target_archE906ELNS1_3gpuE6ELNS1_3repE0EEENS1_30default_config_static_selectorELNS0_4arch9wavefront6targetE1EEEvT1_
	.p2align	8
	.type	_ZN7rocprim17ROCPRIM_400000_NS6detail17trampoline_kernelINS0_14default_configENS1_20scan_config_selectorIN3c104HalfEEEZZNS1_9scan_implILNS1_25lookback_scan_determinismE0ELb0ELb0ES3_PKS6_PS6_S6_ZZZN2at6native31launch_logcumsumexp_cuda_kernelERKNSD_10TensorBaseESH_lENKUlvE_clEvENKUlvE3_clEvEUlS6_S6_E_S6_EEDaPvRmT3_T4_T5_mT6_P12ihipStream_tbENKUlT_T0_E_clISt17integral_constantIbLb1EESY_EEDaST_SU_EUlST_E_NS1_11comp_targetILNS1_3genE2ELNS1_11target_archE906ELNS1_3gpuE6ELNS1_3repE0EEENS1_30default_config_static_selectorELNS0_4arch9wavefront6targetE1EEEvT1_,@function
_ZN7rocprim17ROCPRIM_400000_NS6detail17trampoline_kernelINS0_14default_configENS1_20scan_config_selectorIN3c104HalfEEEZZNS1_9scan_implILNS1_25lookback_scan_determinismE0ELb0ELb0ES3_PKS6_PS6_S6_ZZZN2at6native31launch_logcumsumexp_cuda_kernelERKNSD_10TensorBaseESH_lENKUlvE_clEvENKUlvE3_clEvEUlS6_S6_E_S6_EEDaPvRmT3_T4_T5_mT6_P12ihipStream_tbENKUlT_T0_E_clISt17integral_constantIbLb1EESY_EEDaST_SU_EUlST_E_NS1_11comp_targetILNS1_3genE2ELNS1_11target_archE906ELNS1_3gpuE6ELNS1_3repE0EEENS1_30default_config_static_selectorELNS0_4arch9wavefront6targetE1EEEvT1_: ; @_ZN7rocprim17ROCPRIM_400000_NS6detail17trampoline_kernelINS0_14default_configENS1_20scan_config_selectorIN3c104HalfEEEZZNS1_9scan_implILNS1_25lookback_scan_determinismE0ELb0ELb0ES3_PKS6_PS6_S6_ZZZN2at6native31launch_logcumsumexp_cuda_kernelERKNSD_10TensorBaseESH_lENKUlvE_clEvENKUlvE3_clEvEUlS6_S6_E_S6_EEDaPvRmT3_T4_T5_mT6_P12ihipStream_tbENKUlT_T0_E_clISt17integral_constantIbLb1EESY_EEDaST_SU_EUlST_E_NS1_11comp_targetILNS1_3genE2ELNS1_11target_archE906ELNS1_3gpuE6ELNS1_3repE0EEENS1_30default_config_static_selectorELNS0_4arch9wavefront6targetE1EEEvT1_
; %bb.0:
	.section	.rodata,"a",@progbits
	.p2align	6, 0x0
	.amdhsa_kernel _ZN7rocprim17ROCPRIM_400000_NS6detail17trampoline_kernelINS0_14default_configENS1_20scan_config_selectorIN3c104HalfEEEZZNS1_9scan_implILNS1_25lookback_scan_determinismE0ELb0ELb0ES3_PKS6_PS6_S6_ZZZN2at6native31launch_logcumsumexp_cuda_kernelERKNSD_10TensorBaseESH_lENKUlvE_clEvENKUlvE3_clEvEUlS6_S6_E_S6_EEDaPvRmT3_T4_T5_mT6_P12ihipStream_tbENKUlT_T0_E_clISt17integral_constantIbLb1EESY_EEDaST_SU_EUlST_E_NS1_11comp_targetILNS1_3genE2ELNS1_11target_archE906ELNS1_3gpuE6ELNS1_3repE0EEENS1_30default_config_static_selectorELNS0_4arch9wavefront6targetE1EEEvT1_
		.amdhsa_group_segment_fixed_size 0
		.amdhsa_private_segment_fixed_size 0
		.amdhsa_kernarg_size 96
		.amdhsa_user_sgpr_count 2
		.amdhsa_user_sgpr_dispatch_ptr 0
		.amdhsa_user_sgpr_queue_ptr 0
		.amdhsa_user_sgpr_kernarg_segment_ptr 1
		.amdhsa_user_sgpr_dispatch_id 0
		.amdhsa_user_sgpr_kernarg_preload_length 0
		.amdhsa_user_sgpr_kernarg_preload_offset 0
		.amdhsa_user_sgpr_private_segment_size 0
		.amdhsa_uses_dynamic_stack 0
		.amdhsa_enable_private_segment 0
		.amdhsa_system_sgpr_workgroup_id_x 1
		.amdhsa_system_sgpr_workgroup_id_y 0
		.amdhsa_system_sgpr_workgroup_id_z 0
		.amdhsa_system_sgpr_workgroup_info 0
		.amdhsa_system_vgpr_workitem_id 0
		.amdhsa_next_free_vgpr 1
		.amdhsa_next_free_sgpr 0
		.amdhsa_accum_offset 4
		.amdhsa_reserve_vcc 0
		.amdhsa_float_round_mode_32 0
		.amdhsa_float_round_mode_16_64 0
		.amdhsa_float_denorm_mode_32 3
		.amdhsa_float_denorm_mode_16_64 3
		.amdhsa_dx10_clamp 1
		.amdhsa_ieee_mode 1
		.amdhsa_fp16_overflow 0
		.amdhsa_tg_split 0
		.amdhsa_exception_fp_ieee_invalid_op 0
		.amdhsa_exception_fp_denorm_src 0
		.amdhsa_exception_fp_ieee_div_zero 0
		.amdhsa_exception_fp_ieee_overflow 0
		.amdhsa_exception_fp_ieee_underflow 0
		.amdhsa_exception_fp_ieee_inexact 0
		.amdhsa_exception_int_div_zero 0
	.end_amdhsa_kernel
	.section	.text._ZN7rocprim17ROCPRIM_400000_NS6detail17trampoline_kernelINS0_14default_configENS1_20scan_config_selectorIN3c104HalfEEEZZNS1_9scan_implILNS1_25lookback_scan_determinismE0ELb0ELb0ES3_PKS6_PS6_S6_ZZZN2at6native31launch_logcumsumexp_cuda_kernelERKNSD_10TensorBaseESH_lENKUlvE_clEvENKUlvE3_clEvEUlS6_S6_E_S6_EEDaPvRmT3_T4_T5_mT6_P12ihipStream_tbENKUlT_T0_E_clISt17integral_constantIbLb1EESY_EEDaST_SU_EUlST_E_NS1_11comp_targetILNS1_3genE2ELNS1_11target_archE906ELNS1_3gpuE6ELNS1_3repE0EEENS1_30default_config_static_selectorELNS0_4arch9wavefront6targetE1EEEvT1_,"axG",@progbits,_ZN7rocprim17ROCPRIM_400000_NS6detail17trampoline_kernelINS0_14default_configENS1_20scan_config_selectorIN3c104HalfEEEZZNS1_9scan_implILNS1_25lookback_scan_determinismE0ELb0ELb0ES3_PKS6_PS6_S6_ZZZN2at6native31launch_logcumsumexp_cuda_kernelERKNSD_10TensorBaseESH_lENKUlvE_clEvENKUlvE3_clEvEUlS6_S6_E_S6_EEDaPvRmT3_T4_T5_mT6_P12ihipStream_tbENKUlT_T0_E_clISt17integral_constantIbLb1EESY_EEDaST_SU_EUlST_E_NS1_11comp_targetILNS1_3genE2ELNS1_11target_archE906ELNS1_3gpuE6ELNS1_3repE0EEENS1_30default_config_static_selectorELNS0_4arch9wavefront6targetE1EEEvT1_,comdat
.Lfunc_end392:
	.size	_ZN7rocprim17ROCPRIM_400000_NS6detail17trampoline_kernelINS0_14default_configENS1_20scan_config_selectorIN3c104HalfEEEZZNS1_9scan_implILNS1_25lookback_scan_determinismE0ELb0ELb0ES3_PKS6_PS6_S6_ZZZN2at6native31launch_logcumsumexp_cuda_kernelERKNSD_10TensorBaseESH_lENKUlvE_clEvENKUlvE3_clEvEUlS6_S6_E_S6_EEDaPvRmT3_T4_T5_mT6_P12ihipStream_tbENKUlT_T0_E_clISt17integral_constantIbLb1EESY_EEDaST_SU_EUlST_E_NS1_11comp_targetILNS1_3genE2ELNS1_11target_archE906ELNS1_3gpuE6ELNS1_3repE0EEENS1_30default_config_static_selectorELNS0_4arch9wavefront6targetE1EEEvT1_, .Lfunc_end392-_ZN7rocprim17ROCPRIM_400000_NS6detail17trampoline_kernelINS0_14default_configENS1_20scan_config_selectorIN3c104HalfEEEZZNS1_9scan_implILNS1_25lookback_scan_determinismE0ELb0ELb0ES3_PKS6_PS6_S6_ZZZN2at6native31launch_logcumsumexp_cuda_kernelERKNSD_10TensorBaseESH_lENKUlvE_clEvENKUlvE3_clEvEUlS6_S6_E_S6_EEDaPvRmT3_T4_T5_mT6_P12ihipStream_tbENKUlT_T0_E_clISt17integral_constantIbLb1EESY_EEDaST_SU_EUlST_E_NS1_11comp_targetILNS1_3genE2ELNS1_11target_archE906ELNS1_3gpuE6ELNS1_3repE0EEENS1_30default_config_static_selectorELNS0_4arch9wavefront6targetE1EEEvT1_
                                        ; -- End function
	.section	.AMDGPU.csdata,"",@progbits
; Kernel info:
; codeLenInByte = 0
; NumSgprs: 6
; NumVgprs: 0
; NumAgprs: 0
; TotalNumVgprs: 0
; ScratchSize: 0
; MemoryBound: 0
; FloatMode: 240
; IeeeMode: 1
; LDSByteSize: 0 bytes/workgroup (compile time only)
; SGPRBlocks: 0
; VGPRBlocks: 0
; NumSGPRsForWavesPerEU: 6
; NumVGPRsForWavesPerEU: 1
; AccumOffset: 4
; Occupancy: 8
; WaveLimiterHint : 0
; COMPUTE_PGM_RSRC2:SCRATCH_EN: 0
; COMPUTE_PGM_RSRC2:USER_SGPR: 2
; COMPUTE_PGM_RSRC2:TRAP_HANDLER: 0
; COMPUTE_PGM_RSRC2:TGID_X_EN: 1
; COMPUTE_PGM_RSRC2:TGID_Y_EN: 0
; COMPUTE_PGM_RSRC2:TGID_Z_EN: 0
; COMPUTE_PGM_RSRC2:TIDIG_COMP_CNT: 0
; COMPUTE_PGM_RSRC3_GFX90A:ACCUM_OFFSET: 0
; COMPUTE_PGM_RSRC3_GFX90A:TG_SPLIT: 0
	.section	.text._ZN7rocprim17ROCPRIM_400000_NS6detail17trampoline_kernelINS0_14default_configENS1_20scan_config_selectorIN3c104HalfEEEZZNS1_9scan_implILNS1_25lookback_scan_determinismE0ELb0ELb0ES3_PKS6_PS6_S6_ZZZN2at6native31launch_logcumsumexp_cuda_kernelERKNSD_10TensorBaseESH_lENKUlvE_clEvENKUlvE3_clEvEUlS6_S6_E_S6_EEDaPvRmT3_T4_T5_mT6_P12ihipStream_tbENKUlT_T0_E_clISt17integral_constantIbLb1EESY_EEDaST_SU_EUlST_E_NS1_11comp_targetILNS1_3genE10ELNS1_11target_archE1201ELNS1_3gpuE5ELNS1_3repE0EEENS1_30default_config_static_selectorELNS0_4arch9wavefront6targetE1EEEvT1_,"axG",@progbits,_ZN7rocprim17ROCPRIM_400000_NS6detail17trampoline_kernelINS0_14default_configENS1_20scan_config_selectorIN3c104HalfEEEZZNS1_9scan_implILNS1_25lookback_scan_determinismE0ELb0ELb0ES3_PKS6_PS6_S6_ZZZN2at6native31launch_logcumsumexp_cuda_kernelERKNSD_10TensorBaseESH_lENKUlvE_clEvENKUlvE3_clEvEUlS6_S6_E_S6_EEDaPvRmT3_T4_T5_mT6_P12ihipStream_tbENKUlT_T0_E_clISt17integral_constantIbLb1EESY_EEDaST_SU_EUlST_E_NS1_11comp_targetILNS1_3genE10ELNS1_11target_archE1201ELNS1_3gpuE5ELNS1_3repE0EEENS1_30default_config_static_selectorELNS0_4arch9wavefront6targetE1EEEvT1_,comdat
	.globl	_ZN7rocprim17ROCPRIM_400000_NS6detail17trampoline_kernelINS0_14default_configENS1_20scan_config_selectorIN3c104HalfEEEZZNS1_9scan_implILNS1_25lookback_scan_determinismE0ELb0ELb0ES3_PKS6_PS6_S6_ZZZN2at6native31launch_logcumsumexp_cuda_kernelERKNSD_10TensorBaseESH_lENKUlvE_clEvENKUlvE3_clEvEUlS6_S6_E_S6_EEDaPvRmT3_T4_T5_mT6_P12ihipStream_tbENKUlT_T0_E_clISt17integral_constantIbLb1EESY_EEDaST_SU_EUlST_E_NS1_11comp_targetILNS1_3genE10ELNS1_11target_archE1201ELNS1_3gpuE5ELNS1_3repE0EEENS1_30default_config_static_selectorELNS0_4arch9wavefront6targetE1EEEvT1_ ; -- Begin function _ZN7rocprim17ROCPRIM_400000_NS6detail17trampoline_kernelINS0_14default_configENS1_20scan_config_selectorIN3c104HalfEEEZZNS1_9scan_implILNS1_25lookback_scan_determinismE0ELb0ELb0ES3_PKS6_PS6_S6_ZZZN2at6native31launch_logcumsumexp_cuda_kernelERKNSD_10TensorBaseESH_lENKUlvE_clEvENKUlvE3_clEvEUlS6_S6_E_S6_EEDaPvRmT3_T4_T5_mT6_P12ihipStream_tbENKUlT_T0_E_clISt17integral_constantIbLb1EESY_EEDaST_SU_EUlST_E_NS1_11comp_targetILNS1_3genE10ELNS1_11target_archE1201ELNS1_3gpuE5ELNS1_3repE0EEENS1_30default_config_static_selectorELNS0_4arch9wavefront6targetE1EEEvT1_
	.p2align	8
	.type	_ZN7rocprim17ROCPRIM_400000_NS6detail17trampoline_kernelINS0_14default_configENS1_20scan_config_selectorIN3c104HalfEEEZZNS1_9scan_implILNS1_25lookback_scan_determinismE0ELb0ELb0ES3_PKS6_PS6_S6_ZZZN2at6native31launch_logcumsumexp_cuda_kernelERKNSD_10TensorBaseESH_lENKUlvE_clEvENKUlvE3_clEvEUlS6_S6_E_S6_EEDaPvRmT3_T4_T5_mT6_P12ihipStream_tbENKUlT_T0_E_clISt17integral_constantIbLb1EESY_EEDaST_SU_EUlST_E_NS1_11comp_targetILNS1_3genE10ELNS1_11target_archE1201ELNS1_3gpuE5ELNS1_3repE0EEENS1_30default_config_static_selectorELNS0_4arch9wavefront6targetE1EEEvT1_,@function
_ZN7rocprim17ROCPRIM_400000_NS6detail17trampoline_kernelINS0_14default_configENS1_20scan_config_selectorIN3c104HalfEEEZZNS1_9scan_implILNS1_25lookback_scan_determinismE0ELb0ELb0ES3_PKS6_PS6_S6_ZZZN2at6native31launch_logcumsumexp_cuda_kernelERKNSD_10TensorBaseESH_lENKUlvE_clEvENKUlvE3_clEvEUlS6_S6_E_S6_EEDaPvRmT3_T4_T5_mT6_P12ihipStream_tbENKUlT_T0_E_clISt17integral_constantIbLb1EESY_EEDaST_SU_EUlST_E_NS1_11comp_targetILNS1_3genE10ELNS1_11target_archE1201ELNS1_3gpuE5ELNS1_3repE0EEENS1_30default_config_static_selectorELNS0_4arch9wavefront6targetE1EEEvT1_: ; @_ZN7rocprim17ROCPRIM_400000_NS6detail17trampoline_kernelINS0_14default_configENS1_20scan_config_selectorIN3c104HalfEEEZZNS1_9scan_implILNS1_25lookback_scan_determinismE0ELb0ELb0ES3_PKS6_PS6_S6_ZZZN2at6native31launch_logcumsumexp_cuda_kernelERKNSD_10TensorBaseESH_lENKUlvE_clEvENKUlvE3_clEvEUlS6_S6_E_S6_EEDaPvRmT3_T4_T5_mT6_P12ihipStream_tbENKUlT_T0_E_clISt17integral_constantIbLb1EESY_EEDaST_SU_EUlST_E_NS1_11comp_targetILNS1_3genE10ELNS1_11target_archE1201ELNS1_3gpuE5ELNS1_3repE0EEENS1_30default_config_static_selectorELNS0_4arch9wavefront6targetE1EEEvT1_
; %bb.0:
	.section	.rodata,"a",@progbits
	.p2align	6, 0x0
	.amdhsa_kernel _ZN7rocprim17ROCPRIM_400000_NS6detail17trampoline_kernelINS0_14default_configENS1_20scan_config_selectorIN3c104HalfEEEZZNS1_9scan_implILNS1_25lookback_scan_determinismE0ELb0ELb0ES3_PKS6_PS6_S6_ZZZN2at6native31launch_logcumsumexp_cuda_kernelERKNSD_10TensorBaseESH_lENKUlvE_clEvENKUlvE3_clEvEUlS6_S6_E_S6_EEDaPvRmT3_T4_T5_mT6_P12ihipStream_tbENKUlT_T0_E_clISt17integral_constantIbLb1EESY_EEDaST_SU_EUlST_E_NS1_11comp_targetILNS1_3genE10ELNS1_11target_archE1201ELNS1_3gpuE5ELNS1_3repE0EEENS1_30default_config_static_selectorELNS0_4arch9wavefront6targetE1EEEvT1_
		.amdhsa_group_segment_fixed_size 0
		.amdhsa_private_segment_fixed_size 0
		.amdhsa_kernarg_size 96
		.amdhsa_user_sgpr_count 2
		.amdhsa_user_sgpr_dispatch_ptr 0
		.amdhsa_user_sgpr_queue_ptr 0
		.amdhsa_user_sgpr_kernarg_segment_ptr 1
		.amdhsa_user_sgpr_dispatch_id 0
		.amdhsa_user_sgpr_kernarg_preload_length 0
		.amdhsa_user_sgpr_kernarg_preload_offset 0
		.amdhsa_user_sgpr_private_segment_size 0
		.amdhsa_uses_dynamic_stack 0
		.amdhsa_enable_private_segment 0
		.amdhsa_system_sgpr_workgroup_id_x 1
		.amdhsa_system_sgpr_workgroup_id_y 0
		.amdhsa_system_sgpr_workgroup_id_z 0
		.amdhsa_system_sgpr_workgroup_info 0
		.amdhsa_system_vgpr_workitem_id 0
		.amdhsa_next_free_vgpr 1
		.amdhsa_next_free_sgpr 0
		.amdhsa_accum_offset 4
		.amdhsa_reserve_vcc 0
		.amdhsa_float_round_mode_32 0
		.amdhsa_float_round_mode_16_64 0
		.amdhsa_float_denorm_mode_32 3
		.amdhsa_float_denorm_mode_16_64 3
		.amdhsa_dx10_clamp 1
		.amdhsa_ieee_mode 1
		.amdhsa_fp16_overflow 0
		.amdhsa_tg_split 0
		.amdhsa_exception_fp_ieee_invalid_op 0
		.amdhsa_exception_fp_denorm_src 0
		.amdhsa_exception_fp_ieee_div_zero 0
		.amdhsa_exception_fp_ieee_overflow 0
		.amdhsa_exception_fp_ieee_underflow 0
		.amdhsa_exception_fp_ieee_inexact 0
		.amdhsa_exception_int_div_zero 0
	.end_amdhsa_kernel
	.section	.text._ZN7rocprim17ROCPRIM_400000_NS6detail17trampoline_kernelINS0_14default_configENS1_20scan_config_selectorIN3c104HalfEEEZZNS1_9scan_implILNS1_25lookback_scan_determinismE0ELb0ELb0ES3_PKS6_PS6_S6_ZZZN2at6native31launch_logcumsumexp_cuda_kernelERKNSD_10TensorBaseESH_lENKUlvE_clEvENKUlvE3_clEvEUlS6_S6_E_S6_EEDaPvRmT3_T4_T5_mT6_P12ihipStream_tbENKUlT_T0_E_clISt17integral_constantIbLb1EESY_EEDaST_SU_EUlST_E_NS1_11comp_targetILNS1_3genE10ELNS1_11target_archE1201ELNS1_3gpuE5ELNS1_3repE0EEENS1_30default_config_static_selectorELNS0_4arch9wavefront6targetE1EEEvT1_,"axG",@progbits,_ZN7rocprim17ROCPRIM_400000_NS6detail17trampoline_kernelINS0_14default_configENS1_20scan_config_selectorIN3c104HalfEEEZZNS1_9scan_implILNS1_25lookback_scan_determinismE0ELb0ELb0ES3_PKS6_PS6_S6_ZZZN2at6native31launch_logcumsumexp_cuda_kernelERKNSD_10TensorBaseESH_lENKUlvE_clEvENKUlvE3_clEvEUlS6_S6_E_S6_EEDaPvRmT3_T4_T5_mT6_P12ihipStream_tbENKUlT_T0_E_clISt17integral_constantIbLb1EESY_EEDaST_SU_EUlST_E_NS1_11comp_targetILNS1_3genE10ELNS1_11target_archE1201ELNS1_3gpuE5ELNS1_3repE0EEENS1_30default_config_static_selectorELNS0_4arch9wavefront6targetE1EEEvT1_,comdat
.Lfunc_end393:
	.size	_ZN7rocprim17ROCPRIM_400000_NS6detail17trampoline_kernelINS0_14default_configENS1_20scan_config_selectorIN3c104HalfEEEZZNS1_9scan_implILNS1_25lookback_scan_determinismE0ELb0ELb0ES3_PKS6_PS6_S6_ZZZN2at6native31launch_logcumsumexp_cuda_kernelERKNSD_10TensorBaseESH_lENKUlvE_clEvENKUlvE3_clEvEUlS6_S6_E_S6_EEDaPvRmT3_T4_T5_mT6_P12ihipStream_tbENKUlT_T0_E_clISt17integral_constantIbLb1EESY_EEDaST_SU_EUlST_E_NS1_11comp_targetILNS1_3genE10ELNS1_11target_archE1201ELNS1_3gpuE5ELNS1_3repE0EEENS1_30default_config_static_selectorELNS0_4arch9wavefront6targetE1EEEvT1_, .Lfunc_end393-_ZN7rocprim17ROCPRIM_400000_NS6detail17trampoline_kernelINS0_14default_configENS1_20scan_config_selectorIN3c104HalfEEEZZNS1_9scan_implILNS1_25lookback_scan_determinismE0ELb0ELb0ES3_PKS6_PS6_S6_ZZZN2at6native31launch_logcumsumexp_cuda_kernelERKNSD_10TensorBaseESH_lENKUlvE_clEvENKUlvE3_clEvEUlS6_S6_E_S6_EEDaPvRmT3_T4_T5_mT6_P12ihipStream_tbENKUlT_T0_E_clISt17integral_constantIbLb1EESY_EEDaST_SU_EUlST_E_NS1_11comp_targetILNS1_3genE10ELNS1_11target_archE1201ELNS1_3gpuE5ELNS1_3repE0EEENS1_30default_config_static_selectorELNS0_4arch9wavefront6targetE1EEEvT1_
                                        ; -- End function
	.section	.AMDGPU.csdata,"",@progbits
; Kernel info:
; codeLenInByte = 0
; NumSgprs: 6
; NumVgprs: 0
; NumAgprs: 0
; TotalNumVgprs: 0
; ScratchSize: 0
; MemoryBound: 0
; FloatMode: 240
; IeeeMode: 1
; LDSByteSize: 0 bytes/workgroup (compile time only)
; SGPRBlocks: 0
; VGPRBlocks: 0
; NumSGPRsForWavesPerEU: 6
; NumVGPRsForWavesPerEU: 1
; AccumOffset: 4
; Occupancy: 8
; WaveLimiterHint : 0
; COMPUTE_PGM_RSRC2:SCRATCH_EN: 0
; COMPUTE_PGM_RSRC2:USER_SGPR: 2
; COMPUTE_PGM_RSRC2:TRAP_HANDLER: 0
; COMPUTE_PGM_RSRC2:TGID_X_EN: 1
; COMPUTE_PGM_RSRC2:TGID_Y_EN: 0
; COMPUTE_PGM_RSRC2:TGID_Z_EN: 0
; COMPUTE_PGM_RSRC2:TIDIG_COMP_CNT: 0
; COMPUTE_PGM_RSRC3_GFX90A:ACCUM_OFFSET: 0
; COMPUTE_PGM_RSRC3_GFX90A:TG_SPLIT: 0
	.section	.text._ZN7rocprim17ROCPRIM_400000_NS6detail17trampoline_kernelINS0_14default_configENS1_20scan_config_selectorIN3c104HalfEEEZZNS1_9scan_implILNS1_25lookback_scan_determinismE0ELb0ELb0ES3_PKS6_PS6_S6_ZZZN2at6native31launch_logcumsumexp_cuda_kernelERKNSD_10TensorBaseESH_lENKUlvE_clEvENKUlvE3_clEvEUlS6_S6_E_S6_EEDaPvRmT3_T4_T5_mT6_P12ihipStream_tbENKUlT_T0_E_clISt17integral_constantIbLb1EESY_EEDaST_SU_EUlST_E_NS1_11comp_targetILNS1_3genE10ELNS1_11target_archE1200ELNS1_3gpuE4ELNS1_3repE0EEENS1_30default_config_static_selectorELNS0_4arch9wavefront6targetE1EEEvT1_,"axG",@progbits,_ZN7rocprim17ROCPRIM_400000_NS6detail17trampoline_kernelINS0_14default_configENS1_20scan_config_selectorIN3c104HalfEEEZZNS1_9scan_implILNS1_25lookback_scan_determinismE0ELb0ELb0ES3_PKS6_PS6_S6_ZZZN2at6native31launch_logcumsumexp_cuda_kernelERKNSD_10TensorBaseESH_lENKUlvE_clEvENKUlvE3_clEvEUlS6_S6_E_S6_EEDaPvRmT3_T4_T5_mT6_P12ihipStream_tbENKUlT_T0_E_clISt17integral_constantIbLb1EESY_EEDaST_SU_EUlST_E_NS1_11comp_targetILNS1_3genE10ELNS1_11target_archE1200ELNS1_3gpuE4ELNS1_3repE0EEENS1_30default_config_static_selectorELNS0_4arch9wavefront6targetE1EEEvT1_,comdat
	.globl	_ZN7rocprim17ROCPRIM_400000_NS6detail17trampoline_kernelINS0_14default_configENS1_20scan_config_selectorIN3c104HalfEEEZZNS1_9scan_implILNS1_25lookback_scan_determinismE0ELb0ELb0ES3_PKS6_PS6_S6_ZZZN2at6native31launch_logcumsumexp_cuda_kernelERKNSD_10TensorBaseESH_lENKUlvE_clEvENKUlvE3_clEvEUlS6_S6_E_S6_EEDaPvRmT3_T4_T5_mT6_P12ihipStream_tbENKUlT_T0_E_clISt17integral_constantIbLb1EESY_EEDaST_SU_EUlST_E_NS1_11comp_targetILNS1_3genE10ELNS1_11target_archE1200ELNS1_3gpuE4ELNS1_3repE0EEENS1_30default_config_static_selectorELNS0_4arch9wavefront6targetE1EEEvT1_ ; -- Begin function _ZN7rocprim17ROCPRIM_400000_NS6detail17trampoline_kernelINS0_14default_configENS1_20scan_config_selectorIN3c104HalfEEEZZNS1_9scan_implILNS1_25lookback_scan_determinismE0ELb0ELb0ES3_PKS6_PS6_S6_ZZZN2at6native31launch_logcumsumexp_cuda_kernelERKNSD_10TensorBaseESH_lENKUlvE_clEvENKUlvE3_clEvEUlS6_S6_E_S6_EEDaPvRmT3_T4_T5_mT6_P12ihipStream_tbENKUlT_T0_E_clISt17integral_constantIbLb1EESY_EEDaST_SU_EUlST_E_NS1_11comp_targetILNS1_3genE10ELNS1_11target_archE1200ELNS1_3gpuE4ELNS1_3repE0EEENS1_30default_config_static_selectorELNS0_4arch9wavefront6targetE1EEEvT1_
	.p2align	8
	.type	_ZN7rocprim17ROCPRIM_400000_NS6detail17trampoline_kernelINS0_14default_configENS1_20scan_config_selectorIN3c104HalfEEEZZNS1_9scan_implILNS1_25lookback_scan_determinismE0ELb0ELb0ES3_PKS6_PS6_S6_ZZZN2at6native31launch_logcumsumexp_cuda_kernelERKNSD_10TensorBaseESH_lENKUlvE_clEvENKUlvE3_clEvEUlS6_S6_E_S6_EEDaPvRmT3_T4_T5_mT6_P12ihipStream_tbENKUlT_T0_E_clISt17integral_constantIbLb1EESY_EEDaST_SU_EUlST_E_NS1_11comp_targetILNS1_3genE10ELNS1_11target_archE1200ELNS1_3gpuE4ELNS1_3repE0EEENS1_30default_config_static_selectorELNS0_4arch9wavefront6targetE1EEEvT1_,@function
_ZN7rocprim17ROCPRIM_400000_NS6detail17trampoline_kernelINS0_14default_configENS1_20scan_config_selectorIN3c104HalfEEEZZNS1_9scan_implILNS1_25lookback_scan_determinismE0ELb0ELb0ES3_PKS6_PS6_S6_ZZZN2at6native31launch_logcumsumexp_cuda_kernelERKNSD_10TensorBaseESH_lENKUlvE_clEvENKUlvE3_clEvEUlS6_S6_E_S6_EEDaPvRmT3_T4_T5_mT6_P12ihipStream_tbENKUlT_T0_E_clISt17integral_constantIbLb1EESY_EEDaST_SU_EUlST_E_NS1_11comp_targetILNS1_3genE10ELNS1_11target_archE1200ELNS1_3gpuE4ELNS1_3repE0EEENS1_30default_config_static_selectorELNS0_4arch9wavefront6targetE1EEEvT1_: ; @_ZN7rocprim17ROCPRIM_400000_NS6detail17trampoline_kernelINS0_14default_configENS1_20scan_config_selectorIN3c104HalfEEEZZNS1_9scan_implILNS1_25lookback_scan_determinismE0ELb0ELb0ES3_PKS6_PS6_S6_ZZZN2at6native31launch_logcumsumexp_cuda_kernelERKNSD_10TensorBaseESH_lENKUlvE_clEvENKUlvE3_clEvEUlS6_S6_E_S6_EEDaPvRmT3_T4_T5_mT6_P12ihipStream_tbENKUlT_T0_E_clISt17integral_constantIbLb1EESY_EEDaST_SU_EUlST_E_NS1_11comp_targetILNS1_3genE10ELNS1_11target_archE1200ELNS1_3gpuE4ELNS1_3repE0EEENS1_30default_config_static_selectorELNS0_4arch9wavefront6targetE1EEEvT1_
; %bb.0:
	.section	.rodata,"a",@progbits
	.p2align	6, 0x0
	.amdhsa_kernel _ZN7rocprim17ROCPRIM_400000_NS6detail17trampoline_kernelINS0_14default_configENS1_20scan_config_selectorIN3c104HalfEEEZZNS1_9scan_implILNS1_25lookback_scan_determinismE0ELb0ELb0ES3_PKS6_PS6_S6_ZZZN2at6native31launch_logcumsumexp_cuda_kernelERKNSD_10TensorBaseESH_lENKUlvE_clEvENKUlvE3_clEvEUlS6_S6_E_S6_EEDaPvRmT3_T4_T5_mT6_P12ihipStream_tbENKUlT_T0_E_clISt17integral_constantIbLb1EESY_EEDaST_SU_EUlST_E_NS1_11comp_targetILNS1_3genE10ELNS1_11target_archE1200ELNS1_3gpuE4ELNS1_3repE0EEENS1_30default_config_static_selectorELNS0_4arch9wavefront6targetE1EEEvT1_
		.amdhsa_group_segment_fixed_size 0
		.amdhsa_private_segment_fixed_size 0
		.amdhsa_kernarg_size 96
		.amdhsa_user_sgpr_count 2
		.amdhsa_user_sgpr_dispatch_ptr 0
		.amdhsa_user_sgpr_queue_ptr 0
		.amdhsa_user_sgpr_kernarg_segment_ptr 1
		.amdhsa_user_sgpr_dispatch_id 0
		.amdhsa_user_sgpr_kernarg_preload_length 0
		.amdhsa_user_sgpr_kernarg_preload_offset 0
		.amdhsa_user_sgpr_private_segment_size 0
		.amdhsa_uses_dynamic_stack 0
		.amdhsa_enable_private_segment 0
		.amdhsa_system_sgpr_workgroup_id_x 1
		.amdhsa_system_sgpr_workgroup_id_y 0
		.amdhsa_system_sgpr_workgroup_id_z 0
		.amdhsa_system_sgpr_workgroup_info 0
		.amdhsa_system_vgpr_workitem_id 0
		.amdhsa_next_free_vgpr 1
		.amdhsa_next_free_sgpr 0
		.amdhsa_accum_offset 4
		.amdhsa_reserve_vcc 0
		.amdhsa_float_round_mode_32 0
		.amdhsa_float_round_mode_16_64 0
		.amdhsa_float_denorm_mode_32 3
		.amdhsa_float_denorm_mode_16_64 3
		.amdhsa_dx10_clamp 1
		.amdhsa_ieee_mode 1
		.amdhsa_fp16_overflow 0
		.amdhsa_tg_split 0
		.amdhsa_exception_fp_ieee_invalid_op 0
		.amdhsa_exception_fp_denorm_src 0
		.amdhsa_exception_fp_ieee_div_zero 0
		.amdhsa_exception_fp_ieee_overflow 0
		.amdhsa_exception_fp_ieee_underflow 0
		.amdhsa_exception_fp_ieee_inexact 0
		.amdhsa_exception_int_div_zero 0
	.end_amdhsa_kernel
	.section	.text._ZN7rocprim17ROCPRIM_400000_NS6detail17trampoline_kernelINS0_14default_configENS1_20scan_config_selectorIN3c104HalfEEEZZNS1_9scan_implILNS1_25lookback_scan_determinismE0ELb0ELb0ES3_PKS6_PS6_S6_ZZZN2at6native31launch_logcumsumexp_cuda_kernelERKNSD_10TensorBaseESH_lENKUlvE_clEvENKUlvE3_clEvEUlS6_S6_E_S6_EEDaPvRmT3_T4_T5_mT6_P12ihipStream_tbENKUlT_T0_E_clISt17integral_constantIbLb1EESY_EEDaST_SU_EUlST_E_NS1_11comp_targetILNS1_3genE10ELNS1_11target_archE1200ELNS1_3gpuE4ELNS1_3repE0EEENS1_30default_config_static_selectorELNS0_4arch9wavefront6targetE1EEEvT1_,"axG",@progbits,_ZN7rocprim17ROCPRIM_400000_NS6detail17trampoline_kernelINS0_14default_configENS1_20scan_config_selectorIN3c104HalfEEEZZNS1_9scan_implILNS1_25lookback_scan_determinismE0ELb0ELb0ES3_PKS6_PS6_S6_ZZZN2at6native31launch_logcumsumexp_cuda_kernelERKNSD_10TensorBaseESH_lENKUlvE_clEvENKUlvE3_clEvEUlS6_S6_E_S6_EEDaPvRmT3_T4_T5_mT6_P12ihipStream_tbENKUlT_T0_E_clISt17integral_constantIbLb1EESY_EEDaST_SU_EUlST_E_NS1_11comp_targetILNS1_3genE10ELNS1_11target_archE1200ELNS1_3gpuE4ELNS1_3repE0EEENS1_30default_config_static_selectorELNS0_4arch9wavefront6targetE1EEEvT1_,comdat
.Lfunc_end394:
	.size	_ZN7rocprim17ROCPRIM_400000_NS6detail17trampoline_kernelINS0_14default_configENS1_20scan_config_selectorIN3c104HalfEEEZZNS1_9scan_implILNS1_25lookback_scan_determinismE0ELb0ELb0ES3_PKS6_PS6_S6_ZZZN2at6native31launch_logcumsumexp_cuda_kernelERKNSD_10TensorBaseESH_lENKUlvE_clEvENKUlvE3_clEvEUlS6_S6_E_S6_EEDaPvRmT3_T4_T5_mT6_P12ihipStream_tbENKUlT_T0_E_clISt17integral_constantIbLb1EESY_EEDaST_SU_EUlST_E_NS1_11comp_targetILNS1_3genE10ELNS1_11target_archE1200ELNS1_3gpuE4ELNS1_3repE0EEENS1_30default_config_static_selectorELNS0_4arch9wavefront6targetE1EEEvT1_, .Lfunc_end394-_ZN7rocprim17ROCPRIM_400000_NS6detail17trampoline_kernelINS0_14default_configENS1_20scan_config_selectorIN3c104HalfEEEZZNS1_9scan_implILNS1_25lookback_scan_determinismE0ELb0ELb0ES3_PKS6_PS6_S6_ZZZN2at6native31launch_logcumsumexp_cuda_kernelERKNSD_10TensorBaseESH_lENKUlvE_clEvENKUlvE3_clEvEUlS6_S6_E_S6_EEDaPvRmT3_T4_T5_mT6_P12ihipStream_tbENKUlT_T0_E_clISt17integral_constantIbLb1EESY_EEDaST_SU_EUlST_E_NS1_11comp_targetILNS1_3genE10ELNS1_11target_archE1200ELNS1_3gpuE4ELNS1_3repE0EEENS1_30default_config_static_selectorELNS0_4arch9wavefront6targetE1EEEvT1_
                                        ; -- End function
	.section	.AMDGPU.csdata,"",@progbits
; Kernel info:
; codeLenInByte = 0
; NumSgprs: 6
; NumVgprs: 0
; NumAgprs: 0
; TotalNumVgprs: 0
; ScratchSize: 0
; MemoryBound: 0
; FloatMode: 240
; IeeeMode: 1
; LDSByteSize: 0 bytes/workgroup (compile time only)
; SGPRBlocks: 0
; VGPRBlocks: 0
; NumSGPRsForWavesPerEU: 6
; NumVGPRsForWavesPerEU: 1
; AccumOffset: 4
; Occupancy: 8
; WaveLimiterHint : 0
; COMPUTE_PGM_RSRC2:SCRATCH_EN: 0
; COMPUTE_PGM_RSRC2:USER_SGPR: 2
; COMPUTE_PGM_RSRC2:TRAP_HANDLER: 0
; COMPUTE_PGM_RSRC2:TGID_X_EN: 1
; COMPUTE_PGM_RSRC2:TGID_Y_EN: 0
; COMPUTE_PGM_RSRC2:TGID_Z_EN: 0
; COMPUTE_PGM_RSRC2:TIDIG_COMP_CNT: 0
; COMPUTE_PGM_RSRC3_GFX90A:ACCUM_OFFSET: 0
; COMPUTE_PGM_RSRC3_GFX90A:TG_SPLIT: 0
	.section	.text._ZN7rocprim17ROCPRIM_400000_NS6detail17trampoline_kernelINS0_14default_configENS1_20scan_config_selectorIN3c104HalfEEEZZNS1_9scan_implILNS1_25lookback_scan_determinismE0ELb0ELb0ES3_PKS6_PS6_S6_ZZZN2at6native31launch_logcumsumexp_cuda_kernelERKNSD_10TensorBaseESH_lENKUlvE_clEvENKUlvE3_clEvEUlS6_S6_E_S6_EEDaPvRmT3_T4_T5_mT6_P12ihipStream_tbENKUlT_T0_E_clISt17integral_constantIbLb1EESY_EEDaST_SU_EUlST_E_NS1_11comp_targetILNS1_3genE9ELNS1_11target_archE1100ELNS1_3gpuE3ELNS1_3repE0EEENS1_30default_config_static_selectorELNS0_4arch9wavefront6targetE1EEEvT1_,"axG",@progbits,_ZN7rocprim17ROCPRIM_400000_NS6detail17trampoline_kernelINS0_14default_configENS1_20scan_config_selectorIN3c104HalfEEEZZNS1_9scan_implILNS1_25lookback_scan_determinismE0ELb0ELb0ES3_PKS6_PS6_S6_ZZZN2at6native31launch_logcumsumexp_cuda_kernelERKNSD_10TensorBaseESH_lENKUlvE_clEvENKUlvE3_clEvEUlS6_S6_E_S6_EEDaPvRmT3_T4_T5_mT6_P12ihipStream_tbENKUlT_T0_E_clISt17integral_constantIbLb1EESY_EEDaST_SU_EUlST_E_NS1_11comp_targetILNS1_3genE9ELNS1_11target_archE1100ELNS1_3gpuE3ELNS1_3repE0EEENS1_30default_config_static_selectorELNS0_4arch9wavefront6targetE1EEEvT1_,comdat
	.globl	_ZN7rocprim17ROCPRIM_400000_NS6detail17trampoline_kernelINS0_14default_configENS1_20scan_config_selectorIN3c104HalfEEEZZNS1_9scan_implILNS1_25lookback_scan_determinismE0ELb0ELb0ES3_PKS6_PS6_S6_ZZZN2at6native31launch_logcumsumexp_cuda_kernelERKNSD_10TensorBaseESH_lENKUlvE_clEvENKUlvE3_clEvEUlS6_S6_E_S6_EEDaPvRmT3_T4_T5_mT6_P12ihipStream_tbENKUlT_T0_E_clISt17integral_constantIbLb1EESY_EEDaST_SU_EUlST_E_NS1_11comp_targetILNS1_3genE9ELNS1_11target_archE1100ELNS1_3gpuE3ELNS1_3repE0EEENS1_30default_config_static_selectorELNS0_4arch9wavefront6targetE1EEEvT1_ ; -- Begin function _ZN7rocprim17ROCPRIM_400000_NS6detail17trampoline_kernelINS0_14default_configENS1_20scan_config_selectorIN3c104HalfEEEZZNS1_9scan_implILNS1_25lookback_scan_determinismE0ELb0ELb0ES3_PKS6_PS6_S6_ZZZN2at6native31launch_logcumsumexp_cuda_kernelERKNSD_10TensorBaseESH_lENKUlvE_clEvENKUlvE3_clEvEUlS6_S6_E_S6_EEDaPvRmT3_T4_T5_mT6_P12ihipStream_tbENKUlT_T0_E_clISt17integral_constantIbLb1EESY_EEDaST_SU_EUlST_E_NS1_11comp_targetILNS1_3genE9ELNS1_11target_archE1100ELNS1_3gpuE3ELNS1_3repE0EEENS1_30default_config_static_selectorELNS0_4arch9wavefront6targetE1EEEvT1_
	.p2align	8
	.type	_ZN7rocprim17ROCPRIM_400000_NS6detail17trampoline_kernelINS0_14default_configENS1_20scan_config_selectorIN3c104HalfEEEZZNS1_9scan_implILNS1_25lookback_scan_determinismE0ELb0ELb0ES3_PKS6_PS6_S6_ZZZN2at6native31launch_logcumsumexp_cuda_kernelERKNSD_10TensorBaseESH_lENKUlvE_clEvENKUlvE3_clEvEUlS6_S6_E_S6_EEDaPvRmT3_T4_T5_mT6_P12ihipStream_tbENKUlT_T0_E_clISt17integral_constantIbLb1EESY_EEDaST_SU_EUlST_E_NS1_11comp_targetILNS1_3genE9ELNS1_11target_archE1100ELNS1_3gpuE3ELNS1_3repE0EEENS1_30default_config_static_selectorELNS0_4arch9wavefront6targetE1EEEvT1_,@function
_ZN7rocprim17ROCPRIM_400000_NS6detail17trampoline_kernelINS0_14default_configENS1_20scan_config_selectorIN3c104HalfEEEZZNS1_9scan_implILNS1_25lookback_scan_determinismE0ELb0ELb0ES3_PKS6_PS6_S6_ZZZN2at6native31launch_logcumsumexp_cuda_kernelERKNSD_10TensorBaseESH_lENKUlvE_clEvENKUlvE3_clEvEUlS6_S6_E_S6_EEDaPvRmT3_T4_T5_mT6_P12ihipStream_tbENKUlT_T0_E_clISt17integral_constantIbLb1EESY_EEDaST_SU_EUlST_E_NS1_11comp_targetILNS1_3genE9ELNS1_11target_archE1100ELNS1_3gpuE3ELNS1_3repE0EEENS1_30default_config_static_selectorELNS0_4arch9wavefront6targetE1EEEvT1_: ; @_ZN7rocprim17ROCPRIM_400000_NS6detail17trampoline_kernelINS0_14default_configENS1_20scan_config_selectorIN3c104HalfEEEZZNS1_9scan_implILNS1_25lookback_scan_determinismE0ELb0ELb0ES3_PKS6_PS6_S6_ZZZN2at6native31launch_logcumsumexp_cuda_kernelERKNSD_10TensorBaseESH_lENKUlvE_clEvENKUlvE3_clEvEUlS6_S6_E_S6_EEDaPvRmT3_T4_T5_mT6_P12ihipStream_tbENKUlT_T0_E_clISt17integral_constantIbLb1EESY_EEDaST_SU_EUlST_E_NS1_11comp_targetILNS1_3genE9ELNS1_11target_archE1100ELNS1_3gpuE3ELNS1_3repE0EEENS1_30default_config_static_selectorELNS0_4arch9wavefront6targetE1EEEvT1_
; %bb.0:
	.section	.rodata,"a",@progbits
	.p2align	6, 0x0
	.amdhsa_kernel _ZN7rocprim17ROCPRIM_400000_NS6detail17trampoline_kernelINS0_14default_configENS1_20scan_config_selectorIN3c104HalfEEEZZNS1_9scan_implILNS1_25lookback_scan_determinismE0ELb0ELb0ES3_PKS6_PS6_S6_ZZZN2at6native31launch_logcumsumexp_cuda_kernelERKNSD_10TensorBaseESH_lENKUlvE_clEvENKUlvE3_clEvEUlS6_S6_E_S6_EEDaPvRmT3_T4_T5_mT6_P12ihipStream_tbENKUlT_T0_E_clISt17integral_constantIbLb1EESY_EEDaST_SU_EUlST_E_NS1_11comp_targetILNS1_3genE9ELNS1_11target_archE1100ELNS1_3gpuE3ELNS1_3repE0EEENS1_30default_config_static_selectorELNS0_4arch9wavefront6targetE1EEEvT1_
		.amdhsa_group_segment_fixed_size 0
		.amdhsa_private_segment_fixed_size 0
		.amdhsa_kernarg_size 96
		.amdhsa_user_sgpr_count 2
		.amdhsa_user_sgpr_dispatch_ptr 0
		.amdhsa_user_sgpr_queue_ptr 0
		.amdhsa_user_sgpr_kernarg_segment_ptr 1
		.amdhsa_user_sgpr_dispatch_id 0
		.amdhsa_user_sgpr_kernarg_preload_length 0
		.amdhsa_user_sgpr_kernarg_preload_offset 0
		.amdhsa_user_sgpr_private_segment_size 0
		.amdhsa_uses_dynamic_stack 0
		.amdhsa_enable_private_segment 0
		.amdhsa_system_sgpr_workgroup_id_x 1
		.amdhsa_system_sgpr_workgroup_id_y 0
		.amdhsa_system_sgpr_workgroup_id_z 0
		.amdhsa_system_sgpr_workgroup_info 0
		.amdhsa_system_vgpr_workitem_id 0
		.amdhsa_next_free_vgpr 1
		.amdhsa_next_free_sgpr 0
		.amdhsa_accum_offset 4
		.amdhsa_reserve_vcc 0
		.amdhsa_float_round_mode_32 0
		.amdhsa_float_round_mode_16_64 0
		.amdhsa_float_denorm_mode_32 3
		.amdhsa_float_denorm_mode_16_64 3
		.amdhsa_dx10_clamp 1
		.amdhsa_ieee_mode 1
		.amdhsa_fp16_overflow 0
		.amdhsa_tg_split 0
		.amdhsa_exception_fp_ieee_invalid_op 0
		.amdhsa_exception_fp_denorm_src 0
		.amdhsa_exception_fp_ieee_div_zero 0
		.amdhsa_exception_fp_ieee_overflow 0
		.amdhsa_exception_fp_ieee_underflow 0
		.amdhsa_exception_fp_ieee_inexact 0
		.amdhsa_exception_int_div_zero 0
	.end_amdhsa_kernel
	.section	.text._ZN7rocprim17ROCPRIM_400000_NS6detail17trampoline_kernelINS0_14default_configENS1_20scan_config_selectorIN3c104HalfEEEZZNS1_9scan_implILNS1_25lookback_scan_determinismE0ELb0ELb0ES3_PKS6_PS6_S6_ZZZN2at6native31launch_logcumsumexp_cuda_kernelERKNSD_10TensorBaseESH_lENKUlvE_clEvENKUlvE3_clEvEUlS6_S6_E_S6_EEDaPvRmT3_T4_T5_mT6_P12ihipStream_tbENKUlT_T0_E_clISt17integral_constantIbLb1EESY_EEDaST_SU_EUlST_E_NS1_11comp_targetILNS1_3genE9ELNS1_11target_archE1100ELNS1_3gpuE3ELNS1_3repE0EEENS1_30default_config_static_selectorELNS0_4arch9wavefront6targetE1EEEvT1_,"axG",@progbits,_ZN7rocprim17ROCPRIM_400000_NS6detail17trampoline_kernelINS0_14default_configENS1_20scan_config_selectorIN3c104HalfEEEZZNS1_9scan_implILNS1_25lookback_scan_determinismE0ELb0ELb0ES3_PKS6_PS6_S6_ZZZN2at6native31launch_logcumsumexp_cuda_kernelERKNSD_10TensorBaseESH_lENKUlvE_clEvENKUlvE3_clEvEUlS6_S6_E_S6_EEDaPvRmT3_T4_T5_mT6_P12ihipStream_tbENKUlT_T0_E_clISt17integral_constantIbLb1EESY_EEDaST_SU_EUlST_E_NS1_11comp_targetILNS1_3genE9ELNS1_11target_archE1100ELNS1_3gpuE3ELNS1_3repE0EEENS1_30default_config_static_selectorELNS0_4arch9wavefront6targetE1EEEvT1_,comdat
.Lfunc_end395:
	.size	_ZN7rocprim17ROCPRIM_400000_NS6detail17trampoline_kernelINS0_14default_configENS1_20scan_config_selectorIN3c104HalfEEEZZNS1_9scan_implILNS1_25lookback_scan_determinismE0ELb0ELb0ES3_PKS6_PS6_S6_ZZZN2at6native31launch_logcumsumexp_cuda_kernelERKNSD_10TensorBaseESH_lENKUlvE_clEvENKUlvE3_clEvEUlS6_S6_E_S6_EEDaPvRmT3_T4_T5_mT6_P12ihipStream_tbENKUlT_T0_E_clISt17integral_constantIbLb1EESY_EEDaST_SU_EUlST_E_NS1_11comp_targetILNS1_3genE9ELNS1_11target_archE1100ELNS1_3gpuE3ELNS1_3repE0EEENS1_30default_config_static_selectorELNS0_4arch9wavefront6targetE1EEEvT1_, .Lfunc_end395-_ZN7rocprim17ROCPRIM_400000_NS6detail17trampoline_kernelINS0_14default_configENS1_20scan_config_selectorIN3c104HalfEEEZZNS1_9scan_implILNS1_25lookback_scan_determinismE0ELb0ELb0ES3_PKS6_PS6_S6_ZZZN2at6native31launch_logcumsumexp_cuda_kernelERKNSD_10TensorBaseESH_lENKUlvE_clEvENKUlvE3_clEvEUlS6_S6_E_S6_EEDaPvRmT3_T4_T5_mT6_P12ihipStream_tbENKUlT_T0_E_clISt17integral_constantIbLb1EESY_EEDaST_SU_EUlST_E_NS1_11comp_targetILNS1_3genE9ELNS1_11target_archE1100ELNS1_3gpuE3ELNS1_3repE0EEENS1_30default_config_static_selectorELNS0_4arch9wavefront6targetE1EEEvT1_
                                        ; -- End function
	.section	.AMDGPU.csdata,"",@progbits
; Kernel info:
; codeLenInByte = 0
; NumSgprs: 6
; NumVgprs: 0
; NumAgprs: 0
; TotalNumVgprs: 0
; ScratchSize: 0
; MemoryBound: 0
; FloatMode: 240
; IeeeMode: 1
; LDSByteSize: 0 bytes/workgroup (compile time only)
; SGPRBlocks: 0
; VGPRBlocks: 0
; NumSGPRsForWavesPerEU: 6
; NumVGPRsForWavesPerEU: 1
; AccumOffset: 4
; Occupancy: 8
; WaveLimiterHint : 0
; COMPUTE_PGM_RSRC2:SCRATCH_EN: 0
; COMPUTE_PGM_RSRC2:USER_SGPR: 2
; COMPUTE_PGM_RSRC2:TRAP_HANDLER: 0
; COMPUTE_PGM_RSRC2:TGID_X_EN: 1
; COMPUTE_PGM_RSRC2:TGID_Y_EN: 0
; COMPUTE_PGM_RSRC2:TGID_Z_EN: 0
; COMPUTE_PGM_RSRC2:TIDIG_COMP_CNT: 0
; COMPUTE_PGM_RSRC3_GFX90A:ACCUM_OFFSET: 0
; COMPUTE_PGM_RSRC3_GFX90A:TG_SPLIT: 0
	.section	.text._ZN7rocprim17ROCPRIM_400000_NS6detail17trampoline_kernelINS0_14default_configENS1_20scan_config_selectorIN3c104HalfEEEZZNS1_9scan_implILNS1_25lookback_scan_determinismE0ELb0ELb0ES3_PKS6_PS6_S6_ZZZN2at6native31launch_logcumsumexp_cuda_kernelERKNSD_10TensorBaseESH_lENKUlvE_clEvENKUlvE3_clEvEUlS6_S6_E_S6_EEDaPvRmT3_T4_T5_mT6_P12ihipStream_tbENKUlT_T0_E_clISt17integral_constantIbLb1EESY_EEDaST_SU_EUlST_E_NS1_11comp_targetILNS1_3genE8ELNS1_11target_archE1030ELNS1_3gpuE2ELNS1_3repE0EEENS1_30default_config_static_selectorELNS0_4arch9wavefront6targetE1EEEvT1_,"axG",@progbits,_ZN7rocprim17ROCPRIM_400000_NS6detail17trampoline_kernelINS0_14default_configENS1_20scan_config_selectorIN3c104HalfEEEZZNS1_9scan_implILNS1_25lookback_scan_determinismE0ELb0ELb0ES3_PKS6_PS6_S6_ZZZN2at6native31launch_logcumsumexp_cuda_kernelERKNSD_10TensorBaseESH_lENKUlvE_clEvENKUlvE3_clEvEUlS6_S6_E_S6_EEDaPvRmT3_T4_T5_mT6_P12ihipStream_tbENKUlT_T0_E_clISt17integral_constantIbLb1EESY_EEDaST_SU_EUlST_E_NS1_11comp_targetILNS1_3genE8ELNS1_11target_archE1030ELNS1_3gpuE2ELNS1_3repE0EEENS1_30default_config_static_selectorELNS0_4arch9wavefront6targetE1EEEvT1_,comdat
	.globl	_ZN7rocprim17ROCPRIM_400000_NS6detail17trampoline_kernelINS0_14default_configENS1_20scan_config_selectorIN3c104HalfEEEZZNS1_9scan_implILNS1_25lookback_scan_determinismE0ELb0ELb0ES3_PKS6_PS6_S6_ZZZN2at6native31launch_logcumsumexp_cuda_kernelERKNSD_10TensorBaseESH_lENKUlvE_clEvENKUlvE3_clEvEUlS6_S6_E_S6_EEDaPvRmT3_T4_T5_mT6_P12ihipStream_tbENKUlT_T0_E_clISt17integral_constantIbLb1EESY_EEDaST_SU_EUlST_E_NS1_11comp_targetILNS1_3genE8ELNS1_11target_archE1030ELNS1_3gpuE2ELNS1_3repE0EEENS1_30default_config_static_selectorELNS0_4arch9wavefront6targetE1EEEvT1_ ; -- Begin function _ZN7rocprim17ROCPRIM_400000_NS6detail17trampoline_kernelINS0_14default_configENS1_20scan_config_selectorIN3c104HalfEEEZZNS1_9scan_implILNS1_25lookback_scan_determinismE0ELb0ELb0ES3_PKS6_PS6_S6_ZZZN2at6native31launch_logcumsumexp_cuda_kernelERKNSD_10TensorBaseESH_lENKUlvE_clEvENKUlvE3_clEvEUlS6_S6_E_S6_EEDaPvRmT3_T4_T5_mT6_P12ihipStream_tbENKUlT_T0_E_clISt17integral_constantIbLb1EESY_EEDaST_SU_EUlST_E_NS1_11comp_targetILNS1_3genE8ELNS1_11target_archE1030ELNS1_3gpuE2ELNS1_3repE0EEENS1_30default_config_static_selectorELNS0_4arch9wavefront6targetE1EEEvT1_
	.p2align	8
	.type	_ZN7rocprim17ROCPRIM_400000_NS6detail17trampoline_kernelINS0_14default_configENS1_20scan_config_selectorIN3c104HalfEEEZZNS1_9scan_implILNS1_25lookback_scan_determinismE0ELb0ELb0ES3_PKS6_PS6_S6_ZZZN2at6native31launch_logcumsumexp_cuda_kernelERKNSD_10TensorBaseESH_lENKUlvE_clEvENKUlvE3_clEvEUlS6_S6_E_S6_EEDaPvRmT3_T4_T5_mT6_P12ihipStream_tbENKUlT_T0_E_clISt17integral_constantIbLb1EESY_EEDaST_SU_EUlST_E_NS1_11comp_targetILNS1_3genE8ELNS1_11target_archE1030ELNS1_3gpuE2ELNS1_3repE0EEENS1_30default_config_static_selectorELNS0_4arch9wavefront6targetE1EEEvT1_,@function
_ZN7rocprim17ROCPRIM_400000_NS6detail17trampoline_kernelINS0_14default_configENS1_20scan_config_selectorIN3c104HalfEEEZZNS1_9scan_implILNS1_25lookback_scan_determinismE0ELb0ELb0ES3_PKS6_PS6_S6_ZZZN2at6native31launch_logcumsumexp_cuda_kernelERKNSD_10TensorBaseESH_lENKUlvE_clEvENKUlvE3_clEvEUlS6_S6_E_S6_EEDaPvRmT3_T4_T5_mT6_P12ihipStream_tbENKUlT_T0_E_clISt17integral_constantIbLb1EESY_EEDaST_SU_EUlST_E_NS1_11comp_targetILNS1_3genE8ELNS1_11target_archE1030ELNS1_3gpuE2ELNS1_3repE0EEENS1_30default_config_static_selectorELNS0_4arch9wavefront6targetE1EEEvT1_: ; @_ZN7rocprim17ROCPRIM_400000_NS6detail17trampoline_kernelINS0_14default_configENS1_20scan_config_selectorIN3c104HalfEEEZZNS1_9scan_implILNS1_25lookback_scan_determinismE0ELb0ELb0ES3_PKS6_PS6_S6_ZZZN2at6native31launch_logcumsumexp_cuda_kernelERKNSD_10TensorBaseESH_lENKUlvE_clEvENKUlvE3_clEvEUlS6_S6_E_S6_EEDaPvRmT3_T4_T5_mT6_P12ihipStream_tbENKUlT_T0_E_clISt17integral_constantIbLb1EESY_EEDaST_SU_EUlST_E_NS1_11comp_targetILNS1_3genE8ELNS1_11target_archE1030ELNS1_3gpuE2ELNS1_3repE0EEENS1_30default_config_static_selectorELNS0_4arch9wavefront6targetE1EEEvT1_
; %bb.0:
	.section	.rodata,"a",@progbits
	.p2align	6, 0x0
	.amdhsa_kernel _ZN7rocprim17ROCPRIM_400000_NS6detail17trampoline_kernelINS0_14default_configENS1_20scan_config_selectorIN3c104HalfEEEZZNS1_9scan_implILNS1_25lookback_scan_determinismE0ELb0ELb0ES3_PKS6_PS6_S6_ZZZN2at6native31launch_logcumsumexp_cuda_kernelERKNSD_10TensorBaseESH_lENKUlvE_clEvENKUlvE3_clEvEUlS6_S6_E_S6_EEDaPvRmT3_T4_T5_mT6_P12ihipStream_tbENKUlT_T0_E_clISt17integral_constantIbLb1EESY_EEDaST_SU_EUlST_E_NS1_11comp_targetILNS1_3genE8ELNS1_11target_archE1030ELNS1_3gpuE2ELNS1_3repE0EEENS1_30default_config_static_selectorELNS0_4arch9wavefront6targetE1EEEvT1_
		.amdhsa_group_segment_fixed_size 0
		.amdhsa_private_segment_fixed_size 0
		.amdhsa_kernarg_size 96
		.amdhsa_user_sgpr_count 2
		.amdhsa_user_sgpr_dispatch_ptr 0
		.amdhsa_user_sgpr_queue_ptr 0
		.amdhsa_user_sgpr_kernarg_segment_ptr 1
		.amdhsa_user_sgpr_dispatch_id 0
		.amdhsa_user_sgpr_kernarg_preload_length 0
		.amdhsa_user_sgpr_kernarg_preload_offset 0
		.amdhsa_user_sgpr_private_segment_size 0
		.amdhsa_uses_dynamic_stack 0
		.amdhsa_enable_private_segment 0
		.amdhsa_system_sgpr_workgroup_id_x 1
		.amdhsa_system_sgpr_workgroup_id_y 0
		.amdhsa_system_sgpr_workgroup_id_z 0
		.amdhsa_system_sgpr_workgroup_info 0
		.amdhsa_system_vgpr_workitem_id 0
		.amdhsa_next_free_vgpr 1
		.amdhsa_next_free_sgpr 0
		.amdhsa_accum_offset 4
		.amdhsa_reserve_vcc 0
		.amdhsa_float_round_mode_32 0
		.amdhsa_float_round_mode_16_64 0
		.amdhsa_float_denorm_mode_32 3
		.amdhsa_float_denorm_mode_16_64 3
		.amdhsa_dx10_clamp 1
		.amdhsa_ieee_mode 1
		.amdhsa_fp16_overflow 0
		.amdhsa_tg_split 0
		.amdhsa_exception_fp_ieee_invalid_op 0
		.amdhsa_exception_fp_denorm_src 0
		.amdhsa_exception_fp_ieee_div_zero 0
		.amdhsa_exception_fp_ieee_overflow 0
		.amdhsa_exception_fp_ieee_underflow 0
		.amdhsa_exception_fp_ieee_inexact 0
		.amdhsa_exception_int_div_zero 0
	.end_amdhsa_kernel
	.section	.text._ZN7rocprim17ROCPRIM_400000_NS6detail17trampoline_kernelINS0_14default_configENS1_20scan_config_selectorIN3c104HalfEEEZZNS1_9scan_implILNS1_25lookback_scan_determinismE0ELb0ELb0ES3_PKS6_PS6_S6_ZZZN2at6native31launch_logcumsumexp_cuda_kernelERKNSD_10TensorBaseESH_lENKUlvE_clEvENKUlvE3_clEvEUlS6_S6_E_S6_EEDaPvRmT3_T4_T5_mT6_P12ihipStream_tbENKUlT_T0_E_clISt17integral_constantIbLb1EESY_EEDaST_SU_EUlST_E_NS1_11comp_targetILNS1_3genE8ELNS1_11target_archE1030ELNS1_3gpuE2ELNS1_3repE0EEENS1_30default_config_static_selectorELNS0_4arch9wavefront6targetE1EEEvT1_,"axG",@progbits,_ZN7rocprim17ROCPRIM_400000_NS6detail17trampoline_kernelINS0_14default_configENS1_20scan_config_selectorIN3c104HalfEEEZZNS1_9scan_implILNS1_25lookback_scan_determinismE0ELb0ELb0ES3_PKS6_PS6_S6_ZZZN2at6native31launch_logcumsumexp_cuda_kernelERKNSD_10TensorBaseESH_lENKUlvE_clEvENKUlvE3_clEvEUlS6_S6_E_S6_EEDaPvRmT3_T4_T5_mT6_P12ihipStream_tbENKUlT_T0_E_clISt17integral_constantIbLb1EESY_EEDaST_SU_EUlST_E_NS1_11comp_targetILNS1_3genE8ELNS1_11target_archE1030ELNS1_3gpuE2ELNS1_3repE0EEENS1_30default_config_static_selectorELNS0_4arch9wavefront6targetE1EEEvT1_,comdat
.Lfunc_end396:
	.size	_ZN7rocprim17ROCPRIM_400000_NS6detail17trampoline_kernelINS0_14default_configENS1_20scan_config_selectorIN3c104HalfEEEZZNS1_9scan_implILNS1_25lookback_scan_determinismE0ELb0ELb0ES3_PKS6_PS6_S6_ZZZN2at6native31launch_logcumsumexp_cuda_kernelERKNSD_10TensorBaseESH_lENKUlvE_clEvENKUlvE3_clEvEUlS6_S6_E_S6_EEDaPvRmT3_T4_T5_mT6_P12ihipStream_tbENKUlT_T0_E_clISt17integral_constantIbLb1EESY_EEDaST_SU_EUlST_E_NS1_11comp_targetILNS1_3genE8ELNS1_11target_archE1030ELNS1_3gpuE2ELNS1_3repE0EEENS1_30default_config_static_selectorELNS0_4arch9wavefront6targetE1EEEvT1_, .Lfunc_end396-_ZN7rocprim17ROCPRIM_400000_NS6detail17trampoline_kernelINS0_14default_configENS1_20scan_config_selectorIN3c104HalfEEEZZNS1_9scan_implILNS1_25lookback_scan_determinismE0ELb0ELb0ES3_PKS6_PS6_S6_ZZZN2at6native31launch_logcumsumexp_cuda_kernelERKNSD_10TensorBaseESH_lENKUlvE_clEvENKUlvE3_clEvEUlS6_S6_E_S6_EEDaPvRmT3_T4_T5_mT6_P12ihipStream_tbENKUlT_T0_E_clISt17integral_constantIbLb1EESY_EEDaST_SU_EUlST_E_NS1_11comp_targetILNS1_3genE8ELNS1_11target_archE1030ELNS1_3gpuE2ELNS1_3repE0EEENS1_30default_config_static_selectorELNS0_4arch9wavefront6targetE1EEEvT1_
                                        ; -- End function
	.section	.AMDGPU.csdata,"",@progbits
; Kernel info:
; codeLenInByte = 0
; NumSgprs: 6
; NumVgprs: 0
; NumAgprs: 0
; TotalNumVgprs: 0
; ScratchSize: 0
; MemoryBound: 0
; FloatMode: 240
; IeeeMode: 1
; LDSByteSize: 0 bytes/workgroup (compile time only)
; SGPRBlocks: 0
; VGPRBlocks: 0
; NumSGPRsForWavesPerEU: 6
; NumVGPRsForWavesPerEU: 1
; AccumOffset: 4
; Occupancy: 8
; WaveLimiterHint : 0
; COMPUTE_PGM_RSRC2:SCRATCH_EN: 0
; COMPUTE_PGM_RSRC2:USER_SGPR: 2
; COMPUTE_PGM_RSRC2:TRAP_HANDLER: 0
; COMPUTE_PGM_RSRC2:TGID_X_EN: 1
; COMPUTE_PGM_RSRC2:TGID_Y_EN: 0
; COMPUTE_PGM_RSRC2:TGID_Z_EN: 0
; COMPUTE_PGM_RSRC2:TIDIG_COMP_CNT: 0
; COMPUTE_PGM_RSRC3_GFX90A:ACCUM_OFFSET: 0
; COMPUTE_PGM_RSRC3_GFX90A:TG_SPLIT: 0
	.section	.text._ZN7rocprim17ROCPRIM_400000_NS6detail17trampoline_kernelINS0_14default_configENS1_20scan_config_selectorIN3c104HalfEEEZZNS1_9scan_implILNS1_25lookback_scan_determinismE0ELb0ELb0ES3_PKS6_PS6_S6_ZZZN2at6native31launch_logcumsumexp_cuda_kernelERKNSD_10TensorBaseESH_lENKUlvE_clEvENKUlvE3_clEvEUlS6_S6_E_S6_EEDaPvRmT3_T4_T5_mT6_P12ihipStream_tbENKUlT_T0_E_clISt17integral_constantIbLb1EESY_EEDaST_SU_EUlST_E0_NS1_11comp_targetILNS1_3genE0ELNS1_11target_archE4294967295ELNS1_3gpuE0ELNS1_3repE0EEENS1_30default_config_static_selectorELNS0_4arch9wavefront6targetE1EEEvT1_,"axG",@progbits,_ZN7rocprim17ROCPRIM_400000_NS6detail17trampoline_kernelINS0_14default_configENS1_20scan_config_selectorIN3c104HalfEEEZZNS1_9scan_implILNS1_25lookback_scan_determinismE0ELb0ELb0ES3_PKS6_PS6_S6_ZZZN2at6native31launch_logcumsumexp_cuda_kernelERKNSD_10TensorBaseESH_lENKUlvE_clEvENKUlvE3_clEvEUlS6_S6_E_S6_EEDaPvRmT3_T4_T5_mT6_P12ihipStream_tbENKUlT_T0_E_clISt17integral_constantIbLb1EESY_EEDaST_SU_EUlST_E0_NS1_11comp_targetILNS1_3genE0ELNS1_11target_archE4294967295ELNS1_3gpuE0ELNS1_3repE0EEENS1_30default_config_static_selectorELNS0_4arch9wavefront6targetE1EEEvT1_,comdat
	.globl	_ZN7rocprim17ROCPRIM_400000_NS6detail17trampoline_kernelINS0_14default_configENS1_20scan_config_selectorIN3c104HalfEEEZZNS1_9scan_implILNS1_25lookback_scan_determinismE0ELb0ELb0ES3_PKS6_PS6_S6_ZZZN2at6native31launch_logcumsumexp_cuda_kernelERKNSD_10TensorBaseESH_lENKUlvE_clEvENKUlvE3_clEvEUlS6_S6_E_S6_EEDaPvRmT3_T4_T5_mT6_P12ihipStream_tbENKUlT_T0_E_clISt17integral_constantIbLb1EESY_EEDaST_SU_EUlST_E0_NS1_11comp_targetILNS1_3genE0ELNS1_11target_archE4294967295ELNS1_3gpuE0ELNS1_3repE0EEENS1_30default_config_static_selectorELNS0_4arch9wavefront6targetE1EEEvT1_ ; -- Begin function _ZN7rocprim17ROCPRIM_400000_NS6detail17trampoline_kernelINS0_14default_configENS1_20scan_config_selectorIN3c104HalfEEEZZNS1_9scan_implILNS1_25lookback_scan_determinismE0ELb0ELb0ES3_PKS6_PS6_S6_ZZZN2at6native31launch_logcumsumexp_cuda_kernelERKNSD_10TensorBaseESH_lENKUlvE_clEvENKUlvE3_clEvEUlS6_S6_E_S6_EEDaPvRmT3_T4_T5_mT6_P12ihipStream_tbENKUlT_T0_E_clISt17integral_constantIbLb1EESY_EEDaST_SU_EUlST_E0_NS1_11comp_targetILNS1_3genE0ELNS1_11target_archE4294967295ELNS1_3gpuE0ELNS1_3repE0EEENS1_30default_config_static_selectorELNS0_4arch9wavefront6targetE1EEEvT1_
	.p2align	8
	.type	_ZN7rocprim17ROCPRIM_400000_NS6detail17trampoline_kernelINS0_14default_configENS1_20scan_config_selectorIN3c104HalfEEEZZNS1_9scan_implILNS1_25lookback_scan_determinismE0ELb0ELb0ES3_PKS6_PS6_S6_ZZZN2at6native31launch_logcumsumexp_cuda_kernelERKNSD_10TensorBaseESH_lENKUlvE_clEvENKUlvE3_clEvEUlS6_S6_E_S6_EEDaPvRmT3_T4_T5_mT6_P12ihipStream_tbENKUlT_T0_E_clISt17integral_constantIbLb1EESY_EEDaST_SU_EUlST_E0_NS1_11comp_targetILNS1_3genE0ELNS1_11target_archE4294967295ELNS1_3gpuE0ELNS1_3repE0EEENS1_30default_config_static_selectorELNS0_4arch9wavefront6targetE1EEEvT1_,@function
_ZN7rocprim17ROCPRIM_400000_NS6detail17trampoline_kernelINS0_14default_configENS1_20scan_config_selectorIN3c104HalfEEEZZNS1_9scan_implILNS1_25lookback_scan_determinismE0ELb0ELb0ES3_PKS6_PS6_S6_ZZZN2at6native31launch_logcumsumexp_cuda_kernelERKNSD_10TensorBaseESH_lENKUlvE_clEvENKUlvE3_clEvEUlS6_S6_E_S6_EEDaPvRmT3_T4_T5_mT6_P12ihipStream_tbENKUlT_T0_E_clISt17integral_constantIbLb1EESY_EEDaST_SU_EUlST_E0_NS1_11comp_targetILNS1_3genE0ELNS1_11target_archE4294967295ELNS1_3gpuE0ELNS1_3repE0EEENS1_30default_config_static_selectorELNS0_4arch9wavefront6targetE1EEEvT1_: ; @_ZN7rocprim17ROCPRIM_400000_NS6detail17trampoline_kernelINS0_14default_configENS1_20scan_config_selectorIN3c104HalfEEEZZNS1_9scan_implILNS1_25lookback_scan_determinismE0ELb0ELb0ES3_PKS6_PS6_S6_ZZZN2at6native31launch_logcumsumexp_cuda_kernelERKNSD_10TensorBaseESH_lENKUlvE_clEvENKUlvE3_clEvEUlS6_S6_E_S6_EEDaPvRmT3_T4_T5_mT6_P12ihipStream_tbENKUlT_T0_E_clISt17integral_constantIbLb1EESY_EEDaST_SU_EUlST_E0_NS1_11comp_targetILNS1_3genE0ELNS1_11target_archE4294967295ELNS1_3gpuE0ELNS1_3repE0EEENS1_30default_config_static_selectorELNS0_4arch9wavefront6targetE1EEEvT1_
; %bb.0:
	.section	.rodata,"a",@progbits
	.p2align	6, 0x0
	.amdhsa_kernel _ZN7rocprim17ROCPRIM_400000_NS6detail17trampoline_kernelINS0_14default_configENS1_20scan_config_selectorIN3c104HalfEEEZZNS1_9scan_implILNS1_25lookback_scan_determinismE0ELb0ELb0ES3_PKS6_PS6_S6_ZZZN2at6native31launch_logcumsumexp_cuda_kernelERKNSD_10TensorBaseESH_lENKUlvE_clEvENKUlvE3_clEvEUlS6_S6_E_S6_EEDaPvRmT3_T4_T5_mT6_P12ihipStream_tbENKUlT_T0_E_clISt17integral_constantIbLb1EESY_EEDaST_SU_EUlST_E0_NS1_11comp_targetILNS1_3genE0ELNS1_11target_archE4294967295ELNS1_3gpuE0ELNS1_3repE0EEENS1_30default_config_static_selectorELNS0_4arch9wavefront6targetE1EEEvT1_
		.amdhsa_group_segment_fixed_size 0
		.amdhsa_private_segment_fixed_size 0
		.amdhsa_kernarg_size 32
		.amdhsa_user_sgpr_count 2
		.amdhsa_user_sgpr_dispatch_ptr 0
		.amdhsa_user_sgpr_queue_ptr 0
		.amdhsa_user_sgpr_kernarg_segment_ptr 1
		.amdhsa_user_sgpr_dispatch_id 0
		.amdhsa_user_sgpr_kernarg_preload_length 0
		.amdhsa_user_sgpr_kernarg_preload_offset 0
		.amdhsa_user_sgpr_private_segment_size 0
		.amdhsa_uses_dynamic_stack 0
		.amdhsa_enable_private_segment 0
		.amdhsa_system_sgpr_workgroup_id_x 1
		.amdhsa_system_sgpr_workgroup_id_y 0
		.amdhsa_system_sgpr_workgroup_id_z 0
		.amdhsa_system_sgpr_workgroup_info 0
		.amdhsa_system_vgpr_workitem_id 0
		.amdhsa_next_free_vgpr 1
		.amdhsa_next_free_sgpr 0
		.amdhsa_accum_offset 4
		.amdhsa_reserve_vcc 0
		.amdhsa_float_round_mode_32 0
		.amdhsa_float_round_mode_16_64 0
		.amdhsa_float_denorm_mode_32 3
		.amdhsa_float_denorm_mode_16_64 3
		.amdhsa_dx10_clamp 1
		.amdhsa_ieee_mode 1
		.amdhsa_fp16_overflow 0
		.amdhsa_tg_split 0
		.amdhsa_exception_fp_ieee_invalid_op 0
		.amdhsa_exception_fp_denorm_src 0
		.amdhsa_exception_fp_ieee_div_zero 0
		.amdhsa_exception_fp_ieee_overflow 0
		.amdhsa_exception_fp_ieee_underflow 0
		.amdhsa_exception_fp_ieee_inexact 0
		.amdhsa_exception_int_div_zero 0
	.end_amdhsa_kernel
	.section	.text._ZN7rocprim17ROCPRIM_400000_NS6detail17trampoline_kernelINS0_14default_configENS1_20scan_config_selectorIN3c104HalfEEEZZNS1_9scan_implILNS1_25lookback_scan_determinismE0ELb0ELb0ES3_PKS6_PS6_S6_ZZZN2at6native31launch_logcumsumexp_cuda_kernelERKNSD_10TensorBaseESH_lENKUlvE_clEvENKUlvE3_clEvEUlS6_S6_E_S6_EEDaPvRmT3_T4_T5_mT6_P12ihipStream_tbENKUlT_T0_E_clISt17integral_constantIbLb1EESY_EEDaST_SU_EUlST_E0_NS1_11comp_targetILNS1_3genE0ELNS1_11target_archE4294967295ELNS1_3gpuE0ELNS1_3repE0EEENS1_30default_config_static_selectorELNS0_4arch9wavefront6targetE1EEEvT1_,"axG",@progbits,_ZN7rocprim17ROCPRIM_400000_NS6detail17trampoline_kernelINS0_14default_configENS1_20scan_config_selectorIN3c104HalfEEEZZNS1_9scan_implILNS1_25lookback_scan_determinismE0ELb0ELb0ES3_PKS6_PS6_S6_ZZZN2at6native31launch_logcumsumexp_cuda_kernelERKNSD_10TensorBaseESH_lENKUlvE_clEvENKUlvE3_clEvEUlS6_S6_E_S6_EEDaPvRmT3_T4_T5_mT6_P12ihipStream_tbENKUlT_T0_E_clISt17integral_constantIbLb1EESY_EEDaST_SU_EUlST_E0_NS1_11comp_targetILNS1_3genE0ELNS1_11target_archE4294967295ELNS1_3gpuE0ELNS1_3repE0EEENS1_30default_config_static_selectorELNS0_4arch9wavefront6targetE1EEEvT1_,comdat
.Lfunc_end397:
	.size	_ZN7rocprim17ROCPRIM_400000_NS6detail17trampoline_kernelINS0_14default_configENS1_20scan_config_selectorIN3c104HalfEEEZZNS1_9scan_implILNS1_25lookback_scan_determinismE0ELb0ELb0ES3_PKS6_PS6_S6_ZZZN2at6native31launch_logcumsumexp_cuda_kernelERKNSD_10TensorBaseESH_lENKUlvE_clEvENKUlvE3_clEvEUlS6_S6_E_S6_EEDaPvRmT3_T4_T5_mT6_P12ihipStream_tbENKUlT_T0_E_clISt17integral_constantIbLb1EESY_EEDaST_SU_EUlST_E0_NS1_11comp_targetILNS1_3genE0ELNS1_11target_archE4294967295ELNS1_3gpuE0ELNS1_3repE0EEENS1_30default_config_static_selectorELNS0_4arch9wavefront6targetE1EEEvT1_, .Lfunc_end397-_ZN7rocprim17ROCPRIM_400000_NS6detail17trampoline_kernelINS0_14default_configENS1_20scan_config_selectorIN3c104HalfEEEZZNS1_9scan_implILNS1_25lookback_scan_determinismE0ELb0ELb0ES3_PKS6_PS6_S6_ZZZN2at6native31launch_logcumsumexp_cuda_kernelERKNSD_10TensorBaseESH_lENKUlvE_clEvENKUlvE3_clEvEUlS6_S6_E_S6_EEDaPvRmT3_T4_T5_mT6_P12ihipStream_tbENKUlT_T0_E_clISt17integral_constantIbLb1EESY_EEDaST_SU_EUlST_E0_NS1_11comp_targetILNS1_3genE0ELNS1_11target_archE4294967295ELNS1_3gpuE0ELNS1_3repE0EEENS1_30default_config_static_selectorELNS0_4arch9wavefront6targetE1EEEvT1_
                                        ; -- End function
	.section	.AMDGPU.csdata,"",@progbits
; Kernel info:
; codeLenInByte = 0
; NumSgprs: 6
; NumVgprs: 0
; NumAgprs: 0
; TotalNumVgprs: 0
; ScratchSize: 0
; MemoryBound: 0
; FloatMode: 240
; IeeeMode: 1
; LDSByteSize: 0 bytes/workgroup (compile time only)
; SGPRBlocks: 0
; VGPRBlocks: 0
; NumSGPRsForWavesPerEU: 6
; NumVGPRsForWavesPerEU: 1
; AccumOffset: 4
; Occupancy: 8
; WaveLimiterHint : 0
; COMPUTE_PGM_RSRC2:SCRATCH_EN: 0
; COMPUTE_PGM_RSRC2:USER_SGPR: 2
; COMPUTE_PGM_RSRC2:TRAP_HANDLER: 0
; COMPUTE_PGM_RSRC2:TGID_X_EN: 1
; COMPUTE_PGM_RSRC2:TGID_Y_EN: 0
; COMPUTE_PGM_RSRC2:TGID_Z_EN: 0
; COMPUTE_PGM_RSRC2:TIDIG_COMP_CNT: 0
; COMPUTE_PGM_RSRC3_GFX90A:ACCUM_OFFSET: 0
; COMPUTE_PGM_RSRC3_GFX90A:TG_SPLIT: 0
	.section	.text._ZN7rocprim17ROCPRIM_400000_NS6detail17trampoline_kernelINS0_14default_configENS1_20scan_config_selectorIN3c104HalfEEEZZNS1_9scan_implILNS1_25lookback_scan_determinismE0ELb0ELb0ES3_PKS6_PS6_S6_ZZZN2at6native31launch_logcumsumexp_cuda_kernelERKNSD_10TensorBaseESH_lENKUlvE_clEvENKUlvE3_clEvEUlS6_S6_E_S6_EEDaPvRmT3_T4_T5_mT6_P12ihipStream_tbENKUlT_T0_E_clISt17integral_constantIbLb1EESY_EEDaST_SU_EUlST_E0_NS1_11comp_targetILNS1_3genE5ELNS1_11target_archE942ELNS1_3gpuE9ELNS1_3repE0EEENS1_30default_config_static_selectorELNS0_4arch9wavefront6targetE1EEEvT1_,"axG",@progbits,_ZN7rocprim17ROCPRIM_400000_NS6detail17trampoline_kernelINS0_14default_configENS1_20scan_config_selectorIN3c104HalfEEEZZNS1_9scan_implILNS1_25lookback_scan_determinismE0ELb0ELb0ES3_PKS6_PS6_S6_ZZZN2at6native31launch_logcumsumexp_cuda_kernelERKNSD_10TensorBaseESH_lENKUlvE_clEvENKUlvE3_clEvEUlS6_S6_E_S6_EEDaPvRmT3_T4_T5_mT6_P12ihipStream_tbENKUlT_T0_E_clISt17integral_constantIbLb1EESY_EEDaST_SU_EUlST_E0_NS1_11comp_targetILNS1_3genE5ELNS1_11target_archE942ELNS1_3gpuE9ELNS1_3repE0EEENS1_30default_config_static_selectorELNS0_4arch9wavefront6targetE1EEEvT1_,comdat
	.globl	_ZN7rocprim17ROCPRIM_400000_NS6detail17trampoline_kernelINS0_14default_configENS1_20scan_config_selectorIN3c104HalfEEEZZNS1_9scan_implILNS1_25lookback_scan_determinismE0ELb0ELb0ES3_PKS6_PS6_S6_ZZZN2at6native31launch_logcumsumexp_cuda_kernelERKNSD_10TensorBaseESH_lENKUlvE_clEvENKUlvE3_clEvEUlS6_S6_E_S6_EEDaPvRmT3_T4_T5_mT6_P12ihipStream_tbENKUlT_T0_E_clISt17integral_constantIbLb1EESY_EEDaST_SU_EUlST_E0_NS1_11comp_targetILNS1_3genE5ELNS1_11target_archE942ELNS1_3gpuE9ELNS1_3repE0EEENS1_30default_config_static_selectorELNS0_4arch9wavefront6targetE1EEEvT1_ ; -- Begin function _ZN7rocprim17ROCPRIM_400000_NS6detail17trampoline_kernelINS0_14default_configENS1_20scan_config_selectorIN3c104HalfEEEZZNS1_9scan_implILNS1_25lookback_scan_determinismE0ELb0ELb0ES3_PKS6_PS6_S6_ZZZN2at6native31launch_logcumsumexp_cuda_kernelERKNSD_10TensorBaseESH_lENKUlvE_clEvENKUlvE3_clEvEUlS6_S6_E_S6_EEDaPvRmT3_T4_T5_mT6_P12ihipStream_tbENKUlT_T0_E_clISt17integral_constantIbLb1EESY_EEDaST_SU_EUlST_E0_NS1_11comp_targetILNS1_3genE5ELNS1_11target_archE942ELNS1_3gpuE9ELNS1_3repE0EEENS1_30default_config_static_selectorELNS0_4arch9wavefront6targetE1EEEvT1_
	.p2align	8
	.type	_ZN7rocprim17ROCPRIM_400000_NS6detail17trampoline_kernelINS0_14default_configENS1_20scan_config_selectorIN3c104HalfEEEZZNS1_9scan_implILNS1_25lookback_scan_determinismE0ELb0ELb0ES3_PKS6_PS6_S6_ZZZN2at6native31launch_logcumsumexp_cuda_kernelERKNSD_10TensorBaseESH_lENKUlvE_clEvENKUlvE3_clEvEUlS6_S6_E_S6_EEDaPvRmT3_T4_T5_mT6_P12ihipStream_tbENKUlT_T0_E_clISt17integral_constantIbLb1EESY_EEDaST_SU_EUlST_E0_NS1_11comp_targetILNS1_3genE5ELNS1_11target_archE942ELNS1_3gpuE9ELNS1_3repE0EEENS1_30default_config_static_selectorELNS0_4arch9wavefront6targetE1EEEvT1_,@function
_ZN7rocprim17ROCPRIM_400000_NS6detail17trampoline_kernelINS0_14default_configENS1_20scan_config_selectorIN3c104HalfEEEZZNS1_9scan_implILNS1_25lookback_scan_determinismE0ELb0ELb0ES3_PKS6_PS6_S6_ZZZN2at6native31launch_logcumsumexp_cuda_kernelERKNSD_10TensorBaseESH_lENKUlvE_clEvENKUlvE3_clEvEUlS6_S6_E_S6_EEDaPvRmT3_T4_T5_mT6_P12ihipStream_tbENKUlT_T0_E_clISt17integral_constantIbLb1EESY_EEDaST_SU_EUlST_E0_NS1_11comp_targetILNS1_3genE5ELNS1_11target_archE942ELNS1_3gpuE9ELNS1_3repE0EEENS1_30default_config_static_selectorELNS0_4arch9wavefront6targetE1EEEvT1_: ; @_ZN7rocprim17ROCPRIM_400000_NS6detail17trampoline_kernelINS0_14default_configENS1_20scan_config_selectorIN3c104HalfEEEZZNS1_9scan_implILNS1_25lookback_scan_determinismE0ELb0ELb0ES3_PKS6_PS6_S6_ZZZN2at6native31launch_logcumsumexp_cuda_kernelERKNSD_10TensorBaseESH_lENKUlvE_clEvENKUlvE3_clEvEUlS6_S6_E_S6_EEDaPvRmT3_T4_T5_mT6_P12ihipStream_tbENKUlT_T0_E_clISt17integral_constantIbLb1EESY_EEDaST_SU_EUlST_E0_NS1_11comp_targetILNS1_3genE5ELNS1_11target_archE942ELNS1_3gpuE9ELNS1_3repE0EEENS1_30default_config_static_selectorELNS0_4arch9wavefront6targetE1EEEvT1_
; %bb.0:
	s_load_dwordx4 s[48:51], s[0:1], 0x0
	v_mov_b32_e32 v1, 0
	v_lshlrev_b32_e32 v14, 1, v0
	s_waitcnt lgkmcnt(0)
	global_load_ushort v1, v1, s[48:49]
	v_cmp_gt_u32_e64 s[4:5], s50, v0
	s_waitcnt vmcnt(0)
	v_mov_b32_e32 v2, v1
	s_mov_b64 s[2:3], exec
                                        ; implicit-def: $vgpr53 : SGPR spill to VGPR lane
	v_writelane_b32 v53, s4, 0
	s_nop 1
	v_writelane_b32 v53, s5, 1
	s_and_b64 s[4:5], s[2:3], s[4:5]
	s_mov_b64 exec, s[4:5]
	s_cbranch_execz .LBB398_2
; %bb.1:
	global_load_ushort v2, v14, s[48:49]
.LBB398_2:
	s_or_b64 exec, exec, s[2:3]
	v_or_b32_e32 v3, 0x100, v0
	v_cmp_gt_u32_e64 s[4:5], s50, v3
	v_mov_b32_e32 v3, v1
	s_mov_b64 s[2:3], exec
	v_writelane_b32 v53, s4, 2
	s_nop 1
	v_writelane_b32 v53, s5, 3
	s_and_b64 s[4:5], s[2:3], s[4:5]
	s_mov_b64 exec, s[4:5]
	s_cbranch_execz .LBB398_4
; %bb.3:
	global_load_ushort v3, v14, s[48:49] offset:512
.LBB398_4:
	s_or_b64 exec, exec, s[2:3]
	v_or_b32_e32 v4, 0x200, v0
	v_cmp_gt_u32_e64 s[2:3], s50, v4
	v_mov_b32_e32 v4, v1
	s_nop 0
	v_writelane_b32 v53, s2, 4
	s_nop 1
	v_writelane_b32 v53, s3, 5
	s_and_saveexec_b64 s[4:5], s[2:3]
	s_cbranch_execz .LBB398_6
; %bb.5:
	global_load_ushort v4, v14, s[48:49] offset:1024
.LBB398_6:
	s_or_b64 exec, exec, s[4:5]
	v_or_b32_e32 v5, 0x300, v0
	v_cmp_gt_u32_e64 s[4:5], s50, v5
	v_mov_b32_e32 v5, v1
	s_and_saveexec_b64 s[6:7], s[4:5]
	s_cbranch_execz .LBB398_8
; %bb.7:
	global_load_ushort v5, v14, s[48:49] offset:1536
.LBB398_8:
	s_or_b64 exec, exec, s[6:7]
	v_or_b32_e32 v6, 0x400, v0
	v_cmp_gt_u32_e64 s[6:7], s50, v6
	v_mov_b32_e32 v6, v1
	s_and_saveexec_b64 s[8:9], s[6:7]
	s_cbranch_execz .LBB398_10
; %bb.9:
	global_load_ushort v6, v14, s[48:49] offset:2048
.LBB398_10:
	s_or_b64 exec, exec, s[8:9]
	v_or_b32_e32 v7, 0x500, v0
	v_cmp_gt_u32_e64 s[8:9], s50, v7
	v_mov_b32_e32 v7, v1
	s_and_saveexec_b64 s[10:11], s[8:9]
	s_cbranch_execz .LBB398_12
; %bb.11:
	global_load_ushort v7, v14, s[48:49] offset:2560
.LBB398_12:
	s_or_b64 exec, exec, s[10:11]
	v_or_b32_e32 v8, 0x600, v0
	v_cmp_gt_u32_e64 s[10:11], s50, v8
	v_mov_b32_e32 v8, v1
	s_and_saveexec_b64 s[12:13], s[10:11]
	s_cbranch_execz .LBB398_14
; %bb.13:
	global_load_ushort v8, v14, s[48:49] offset:3072
.LBB398_14:
	s_or_b64 exec, exec, s[12:13]
	v_or_b32_e32 v9, 0x700, v0
	v_cmp_gt_u32_e64 s[12:13], s50, v9
	v_mov_b32_e32 v9, v1
	s_and_saveexec_b64 s[14:15], s[12:13]
	s_cbranch_execz .LBB398_16
; %bb.15:
	global_load_ushort v9, v14, s[48:49] offset:3584
.LBB398_16:
	s_or_b64 exec, exec, s[14:15]
	v_or_b32_e32 v11, 0x800, v0
	v_cmp_gt_u32_e64 s[14:15], s50, v11
	v_mov_b32_e32 v10, v1
	s_and_saveexec_b64 s[16:17], s[14:15]
	s_cbranch_execz .LBB398_18
; %bb.17:
	v_lshlrev_b32_e32 v10, 1, v11
	global_load_ushort v10, v10, s[48:49]
.LBB398_18:
	s_or_b64 exec, exec, s[16:17]
	v_or_b32_e32 v12, 0x900, v0
	v_cmp_gt_u32_e64 s[16:17], s50, v12
	v_mov_b32_e32 v11, v1
	s_and_saveexec_b64 s[18:19], s[16:17]
	s_cbranch_execz .LBB398_20
; %bb.19:
	v_lshlrev_b32_e32 v11, 1, v12
	global_load_ushort v11, v11, s[48:49]
.LBB398_20:
	s_or_b64 exec, exec, s[18:19]
	v_or_b32_e32 v13, 0xa00, v0
	v_cmp_gt_u32_e64 s[18:19], s50, v13
	v_mov_b32_e32 v12, v1
	;; [unrolled: 10-line block ×14, first 2 shown]
	s_and_saveexec_b64 s[46:47], s[44:45]
	s_cbranch_execz .LBB398_46
; %bb.45:
	v_lshlrev_b32_e32 v25, 1, v26
	global_load_ushort v25, v25, s[48:49]
.LBB398_46:
	s_or_b64 exec, exec, s[46:47]
	v_or_b32_e32 v26, 0x1700, v0
	v_cmp_gt_u32_e64 s[46:47], s50, v26
	s_and_saveexec_b64 s[50:51], s[46:47]
	s_cbranch_execz .LBB398_48
; %bb.47:
	v_lshlrev_b32_e32 v1, 1, v26
	global_load_ushort v1, v1, s[48:49]
.LBB398_48:
	s_or_b64 exec, exec, s[50:51]
	s_waitcnt vmcnt(0)
	ds_write_b16 v14, v2
	ds_write_b16 v14, v3 offset:512
	ds_write_b16 v14, v4 offset:1024
	;; [unrolled: 1-line block ×23, first 2 shown]
	v_mad_u32_u24 v1, v0, 46, v14
	s_waitcnt lgkmcnt(0)
	s_barrier
	ds_read_b128 v[2:5], v1
	ds_read_b128 v[10:13], v1 offset:16
	ds_read_b128 v[6:9], v1 offset:32
	s_movk_i32 s33, 0x1f8
	s_waitcnt lgkmcnt(0)
	v_cvt_f32_f16_e32 v1, v2
	v_cvt_f32_f16_sdwa v15, v2 dst_sel:DWORD dst_unused:UNUSED_PAD src0_sel:WORD_1
	v_cmp_u_f16_e64 s[94:95], v2, v2
	v_cmp_u_f16_sdwa s[48:49], v2, v2 src0_sel:WORD_1 src1_sel:WORD_1
	v_mov_b32_e32 v32, v1
	v_min_f32_e32 v28, v1, v15
	v_cndmask_b32_e64 v16, v28, v1, s[94:95]
	v_max_f32_e32 v29, v1, v15
	v_cndmask_b32_e64 v17, v16, v15, s[48:49]
	v_cndmask_b32_e64 v16, v29, v1, s[94:95]
	;; [unrolled: 1-line block ×3, first 2 shown]
	v_cmp_neq_f32_e64 s[50:51], v17, v16
	v_cmp_class_f32_e64 s[52:53], v17, s33
	s_or_b64 s[50:51], s[50:51], s[52:53]
	v_mov_b32_e32 v30, v2
	v_mov_b32_e32 v31, v2
	s_barrier
	s_and_saveexec_b64 s[52:53], s[50:51]
	s_cbranch_execz .LBB398_50
; %bb.49:
	v_sub_f32_e32 v17, v17, v16
	s_mov_b32 s2, 0x3fb8aa3b
	v_mul_f32_e32 v18, 0x3fb8aa3b, v17
	v_fma_f32 v19, v17, s2, -v18
	v_rndne_f32_e32 v20, v18
	v_fmamk_f32 v19, v17, 0x32a5705f, v19
	v_sub_f32_e32 v18, v18, v20
	v_add_f32_e32 v18, v18, v19
	v_exp_f32_e32 v18, v18
	v_cvt_i32_f32_e32 v19, v20
	s_mov_b32 s2, 0xc2ce8ed0
	v_cmp_ngt_f32_e64 s[50:51], s2, v17
	s_mov_b32 s2, 0x42b17218
	v_ldexp_f32 v18, v18, v19
	v_cndmask_b32_e64 v18, 0, v18, s[50:51]
	v_mov_b32_e32 v19, 0x7f800000
	v_cmp_nlt_f32_e64 s[50:51], s2, v17
	s_mov_b32 s2, 0x3f2aaaab
	s_mov_b32 s3, 0x7f800000
	v_cndmask_b32_e64 v36, v19, v18, s[50:51]
	v_add_f32_e32 v17, 1.0, v36
	v_add_f32_e32 v18, -1.0, v17
	v_sub_f32_e32 v19, v18, v17
	v_add_f32_e32 v19, 1.0, v19
	v_sub_f32_e32 v18, v36, v18
	v_add_f32_e32 v20, v18, v19
	v_frexp_mant_f32_e32 v21, v17
	v_cvt_f64_f32_e32 v[18:19], v17
	v_frexp_exp_i32_f64_e32 v18, v[18:19]
	v_cmp_gt_f32_e64 s[50:51], s2, v21
	s_mov_b32 s2, 0x3f317218
	s_nop 0
	v_subbrev_co_u32_e64 v26, s[50:51], 0, v18, s[50:51]
	v_sub_u32_e32 v18, 0, v26
	v_ldexp_f32 v17, v17, v18
	v_ldexp_f32 v18, v20, v18
	v_add_f32_e32 v20, -1.0, v17
	v_add_f32_e32 v19, 1.0, v20
	v_sub_f32_e32 v19, v17, v19
	v_add_f32_e32 v21, v18, v19
	v_add_f32_e32 v19, 1.0, v17
	v_add_f32_e32 v22, -1.0, v19
	v_sub_f32_e32 v17, v17, v22
	v_add_f32_e32 v17, v18, v17
	v_add_f32_e32 v27, v19, v17
	v_rcp_f32_e32 v30, v27
	v_sub_f32_e32 v18, v19, v27
	v_add_f32_e32 v19, v20, v21
	v_add_f32_e32 v17, v17, v18
	v_mul_f32_e32 v32, v19, v30
	v_sub_f32_e32 v18, v20, v19
	v_mul_f32_e32 v20, v27, v32
	v_fma_f32 v22, v32, v27, -v20
	v_fmac_f32_e32 v22, v32, v17
	v_add_f32_e32 v31, v21, v18
	v_add_f32_e32 v18, v20, v22
	v_sub_f32_e32 v21, v19, v18
	v_pk_add_f32 v[24:25], v[18:19], v[20:21] neg_lo:[0,1] neg_hi:[0,1]
	v_mov_b32_e32 v23, v18
	v_pk_add_f32 v[18:19], v[24:25], v[22:23] neg_lo:[0,1] neg_hi:[0,1]
	v_cmp_eq_f32_e64 s[50:51], s3, v36
	v_add_f32_e32 v19, v31, v19
	v_add_f32_e32 v18, v18, v19
	;; [unrolled: 1-line block ×3, first 2 shown]
	v_mul_f32_e32 v31, v30, v19
	v_mul_f32_e32 v20, v27, v31
	v_fma_f32 v22, v31, v27, -v20
	v_fmac_f32_e32 v22, v31, v17
	v_sub_f32_e32 v17, v21, v19
	v_add_f32_e32 v17, v18, v17
	v_add_f32_e32 v18, v20, v22
	v_sub_f32_e32 v21, v19, v18
	v_pk_add_f32 v[24:25], v[18:19], v[20:21] neg_lo:[0,1] neg_hi:[0,1]
	v_mov_b32_e32 v23, v18
	v_pk_add_f32 v[18:19], v[24:25], v[22:23] neg_lo:[0,1] neg_hi:[0,1]
	v_cvt_f32_i32_e32 v20, v26
	v_add_f32_e32 v17, v17, v19
	v_add_f32_e32 v17, v18, v17
	;; [unrolled: 1-line block ×4, first 2 shown]
	v_sub_f32_e32 v19, v18, v32
	v_mul_f32_e32 v17, v30, v17
	v_sub_f32_e32 v19, v31, v19
	v_add_f32_e32 v17, v19, v17
	v_add_f32_e32 v21, v18, v17
	v_mul_f32_e32 v22, v21, v21
	v_mov_b32_e32 v19, 0x3ecc95a3
	v_fmac_f32_e32 v19, 0x3e9b6dac, v22
	v_sub_f32_e32 v18, v21, v18
	v_fmaak_f32 v19, v22, v19, 0x3f2aaada
	v_sub_f32_e32 v17, v17, v18
	v_ldexp_f32 v23, v21, 1
	v_mul_f32_e32 v21, v21, v22
	v_mov_b32_e32 v18, 0x3f317218
	v_pk_mul_f32 v[18:19], v[20:21], v[18:19]
	v_ldexp_f32 v17, v17, 1
	v_fma_f32 v21, v20, s2, -v18
	v_fmamk_f32 v22, v20, 0xb102e308, v21
	v_pk_add_f32 v[20:21], v[18:19], v[22:23]
	v_mov_b32_e32 v24, v18
	v_sub_f32_e32 v23, v21, v23
	v_sub_f32_e32 v23, v19, v23
	v_add_f32_e32 v25, v17, v23
	v_pk_add_f32 v[18:19], v[20:21], v[18:19] neg_lo:[0,1] neg_hi:[0,1]
	v_pk_add_f32 v[26:27], v[20:21], v[24:25]
	v_mov_b32_e32 v23, v20
	v_mov_b32_e32 v19, v27
	v_pk_add_f32 v[30:31], v[22:23], v[18:19] neg_lo:[0,1] neg_hi:[0,1]
	v_pk_add_f32 v[18:19], v[22:23], v[18:19]
	v_mov_b32_e32 v24, v25
	v_mov_b32_e32 v22, v19
	v_pk_add_f32 v[32:33], v[22:23], v[20:21] neg_lo:[0,1] neg_hi:[0,1]
	v_mov_b32_e32 v18, v27
	v_mov_b32_e32 v17, v32
	v_pk_add_f32 v[34:35], v[26:27], v[16:17] neg_lo:[0,1] neg_hi:[0,1]
	v_mov_b32_e32 v26, v21
	v_mov_b32_e32 v27, v32
	v_mov_b32_e32 v31, v19
	v_pk_add_f32 v[18:19], v[18:19], v[26:27] neg_lo:[0,1] neg_hi:[0,1]
	v_mov_b32_e32 v25, v20
	v_pk_add_f32 v[18:19], v[24:25], v[18:19] neg_lo:[0,1] neg_hi:[0,1]
	v_mov_b32_e32 v34, v30
	v_pk_add_f32 v[20:21], v[34:35], v[18:19]
	s_mov_b32 s2, 0x33800000
	v_mov_b32_e32 v24, v21
	v_pk_add_f32 v[24:25], v[20:21], v[24:25]
	v_cmp_lt_f32_e64 s[54:55], |v36|, s2
	v_pk_add_f32 v[22:23], v[22:23], v[24:25]
	v_mov_b32_e32 v19, v24
	v_mov_b32_e32 v21, v22
	v_pk_add_f32 v[26:27], v[20:21], v[30:31] neg_lo:[0,1] neg_hi:[0,1]
	s_or_b64 s[50:51], s[50:51], s[54:55]
	v_sub_f32_e32 v17, v20, v26
	v_pk_add_f32 v[18:19], v[18:19], v[26:27] neg_lo:[0,1] neg_hi:[0,1]
	v_sub_f32_e32 v17, v30, v17
	v_add_f32_e32 v17, v18, v17
	v_add_f32_e32 v17, v17, v19
	;; [unrolled: 1-line block ×3, first 2 shown]
	v_cndmask_b32_e64 v17, v17, v36, s[50:51]
	v_add_f32_e32 v16, v16, v17
	v_cvt_f16_f32_e32 v30, v16
	v_cvt_f32_f16_e32 v32, v30
	v_mov_b32_e32 v31, v30
.LBB398_50:
	s_or_b64 exec, exec, s[52:53]
	v_cvt_f32_f16_e32 v16, v3
	v_max_f32_e32 v17, v32, v32
	v_cmp_u_f16_e64 s[52:53], v30, v30
	v_cmp_u_f16_e64 s[50:51], v3, v3
	v_min_f32_e32 v18, v17, v16
	v_max_f32_e32 v17, v17, v16
	v_cndmask_b32_e64 v18, v18, v32, s[52:53]
	v_cndmask_b32_e64 v17, v17, v32, s[52:53]
	;; [unrolled: 1-line block ×4, first 2 shown]
	v_cmp_neq_f32_e64 s[52:53], v18, v17
	v_cmp_class_f32_e64 s[54:55], v18, s33
	s_or_b64 s[52:53], s[52:53], s[54:55]
	s_and_saveexec_b64 s[54:55], s[52:53]
	s_cbranch_execz .LBB398_52
; %bb.51:
	v_sub_f32_e32 v18, v18, v17
	s_mov_b32 s2, 0x3fb8aa3b
	v_mul_f32_e32 v19, 0x3fb8aa3b, v18
	v_fma_f32 v20, v18, s2, -v19
	v_rndne_f32_e32 v21, v19
	v_fmamk_f32 v20, v18, 0x32a5705f, v20
	v_sub_f32_e32 v19, v19, v21
	v_add_f32_e32 v19, v19, v20
	v_exp_f32_e32 v19, v19
	v_cvt_i32_f32_e32 v20, v21
	s_mov_b32 s2, 0xc2ce8ed0
	v_cmp_ngt_f32_e64 s[52:53], s2, v18
	s_mov_b32 s2, 0x42b17218
	v_ldexp_f32 v19, v19, v20
	v_cndmask_b32_e64 v19, 0, v19, s[52:53]
	v_mov_b32_e32 v20, 0x7f800000
	v_cmp_nlt_f32_e64 s[52:53], s2, v18
	s_mov_b32 s2, 0x3f2aaaab
	s_mov_b32 s3, 0x7f800000
	v_cndmask_b32_e64 v36, v20, v19, s[52:53]
	v_add_f32_e32 v20, 1.0, v36
	v_add_f32_e32 v18, -1.0, v20
	v_sub_f32_e32 v19, v18, v20
	v_add_f32_e32 v19, 1.0, v19
	v_sub_f32_e32 v18, v36, v18
	v_add_f32_e32 v21, v18, v19
	v_frexp_mant_f32_e32 v22, v20
	v_cvt_f64_f32_e32 v[18:19], v20
	v_frexp_exp_i32_f64_e32 v18, v[18:19]
	v_cmp_gt_f32_e64 s[52:53], s2, v22
	s_mov_b32 s2, 0x3f317218
	s_nop 0
	v_subbrev_co_u32_e64 v26, s[52:53], 0, v18, s[52:53]
	v_sub_u32_e32 v18, 0, v26
	v_ldexp_f32 v19, v20, v18
	v_add_f32_e32 v20, -1.0, v19
	v_add_f32_e32 v22, 1.0, v19
	v_ldexp_f32 v18, v21, v18
	v_add_f32_e32 v21, 1.0, v20
	v_add_f32_e32 v23, -1.0, v22
	v_sub_f32_e32 v21, v19, v21
	v_sub_f32_e32 v19, v19, v23
	v_add_f32_e32 v21, v18, v21
	v_add_f32_e32 v18, v18, v19
	;; [unrolled: 1-line block ×3, first 2 shown]
	v_rcp_f32_e32 v31, v27
	v_sub_f32_e32 v19, v22, v27
	v_add_f32_e32 v30, v18, v19
	v_add_f32_e32 v19, v20, v21
	v_mul_f32_e32 v33, v19, v31
	v_sub_f32_e32 v18, v20, v19
	v_mul_f32_e32 v20, v27, v33
	v_fma_f32 v22, v33, v27, -v20
	v_fmac_f32_e32 v22, v33, v30
	v_add_f32_e32 v32, v21, v18
	v_add_f32_e32 v18, v20, v22
	v_sub_f32_e32 v21, v19, v18
	v_pk_add_f32 v[24:25], v[18:19], v[20:21] neg_lo:[0,1] neg_hi:[0,1]
	v_mov_b32_e32 v23, v18
	v_pk_add_f32 v[18:19], v[24:25], v[22:23] neg_lo:[0,1] neg_hi:[0,1]
	v_cmp_eq_f32_e64 s[52:53], s3, v36
	v_add_f32_e32 v19, v32, v19
	v_add_f32_e32 v18, v18, v19
	;; [unrolled: 1-line block ×3, first 2 shown]
	v_mul_f32_e32 v32, v31, v19
	v_mul_f32_e32 v20, v27, v32
	v_fma_f32 v22, v32, v27, -v20
	v_fmac_f32_e32 v22, v32, v30
	v_sub_f32_e32 v21, v21, v19
	v_add_f32_e32 v27, v18, v21
	v_add_f32_e32 v18, v20, v22
	v_sub_f32_e32 v21, v19, v18
	v_pk_add_f32 v[24:25], v[18:19], v[20:21] neg_lo:[0,1] neg_hi:[0,1]
	v_mov_b32_e32 v23, v18
	v_pk_add_f32 v[18:19], v[24:25], v[22:23] neg_lo:[0,1] neg_hi:[0,1]
	v_cvt_f32_i32_e32 v20, v26
	v_add_f32_e32 v19, v27, v19
	v_add_f32_e32 v18, v18, v19
	;; [unrolled: 1-line block ×4, first 2 shown]
	v_sub_f32_e32 v19, v21, v33
	v_mul_f32_e32 v18, v31, v18
	v_sub_f32_e32 v19, v32, v19
	v_add_f32_e32 v18, v19, v18
	v_add_f32_e32 v22, v21, v18
	v_mul_f32_e32 v24, v22, v22
	v_mov_b32_e32 v19, 0x3ecc95a3
	v_sub_f32_e32 v21, v22, v21
	v_fmac_f32_e32 v19, 0x3e9b6dac, v24
	v_sub_f32_e32 v18, v18, v21
	v_fmaak_f32 v19, v24, v19, 0x3f2aaada
	v_ldexp_f32 v25, v18, 1
	v_mul_f32_e32 v21, v22, v24
	v_mov_b32_e32 v18, 0x3f317218
	v_pk_mul_f32 v[18:19], v[20:21], v[18:19]
	v_ldexp_f32 v23, v22, 1
	v_fma_f32 v21, v20, s2, -v18
	v_fmamk_f32 v22, v20, 0xb102e308, v21
	v_pk_add_f32 v[20:21], v[18:19], v[22:23]
	v_mov_b32_e32 v24, v18
	v_sub_f32_e32 v23, v21, v23
	v_sub_f32_e32 v23, v19, v23
	v_add_f32_e32 v25, v25, v23
	v_pk_add_f32 v[18:19], v[20:21], v[18:19] neg_lo:[0,1] neg_hi:[0,1]
	v_pk_add_f32 v[26:27], v[20:21], v[24:25]
	v_mov_b32_e32 v23, v20
	v_mov_b32_e32 v19, v27
	v_pk_add_f32 v[30:31], v[22:23], v[18:19] neg_lo:[0,1] neg_hi:[0,1]
	v_pk_add_f32 v[18:19], v[22:23], v[18:19]
	v_mov_b32_e32 v24, v25
	v_mov_b32_e32 v22, v19
	v_pk_add_f32 v[32:33], v[22:23], v[20:21] neg_lo:[0,1] neg_hi:[0,1]
	v_mov_b32_e32 v18, v27
	v_mov_b32_e32 v23, v32
	v_pk_add_f32 v[34:35], v[26:27], v[22:23] neg_lo:[0,1] neg_hi:[0,1]
	v_mov_b32_e32 v26, v21
	v_mov_b32_e32 v27, v32
	;; [unrolled: 1-line block ×3, first 2 shown]
	v_pk_add_f32 v[18:19], v[18:19], v[26:27] neg_lo:[0,1] neg_hi:[0,1]
	v_mov_b32_e32 v25, v20
	v_pk_add_f32 v[18:19], v[24:25], v[18:19] neg_lo:[0,1] neg_hi:[0,1]
	v_mov_b32_e32 v34, v30
	v_pk_add_f32 v[20:21], v[34:35], v[18:19]
	s_mov_b32 s2, 0x33800000
	v_mov_b32_e32 v24, v21
	v_pk_add_f32 v[24:25], v[20:21], v[24:25]
	v_cmp_lt_f32_e64 s[56:57], |v36|, s2
	v_pk_add_f32 v[22:23], v[22:23], v[24:25]
	v_mov_b32_e32 v19, v24
	v_mov_b32_e32 v21, v22
	v_pk_add_f32 v[26:27], v[20:21], v[30:31] neg_lo:[0,1] neg_hi:[0,1]
	s_or_b64 s[52:53], s[52:53], s[56:57]
	v_sub_f32_e32 v20, v20, v26
	v_pk_add_f32 v[18:19], v[18:19], v[26:27] neg_lo:[0,1] neg_hi:[0,1]
	v_sub_f32_e32 v20, v30, v20
	v_add_f32_e32 v18, v18, v20
	v_add_f32_e32 v18, v18, v19
	;; [unrolled: 1-line block ×3, first 2 shown]
	v_cndmask_b32_e64 v18, v18, v36, s[52:53]
	v_add_f32_e32 v17, v17, v18
	v_cvt_f16_f32_e32 v30, v17
	v_cvt_f32_f16_e32 v32, v30
	v_mov_b32_e32 v31, v30
.LBB398_52:
	s_or_b64 exec, exec, s[54:55]
	v_cvt_f32_f16_sdwa v17, v3 dst_sel:DWORD dst_unused:UNUSED_PAD src0_sel:WORD_1
	v_max_f32_e32 v19, v32, v32
	v_cmp_u_f16_e64 s[54:55], v30, v30
	v_cmp_u_f16_sdwa s[52:53], v3, v3 src0_sel:WORD_1 src1_sel:WORD_1
	v_min_f32_e32 v18, v19, v17
	v_max_f32_e32 v3, v19, v17
	v_cndmask_b32_e64 v18, v18, v32, s[54:55]
	v_cndmask_b32_e64 v3, v3, v32, s[54:55]
	;; [unrolled: 1-line block ×4, first 2 shown]
	v_cmp_neq_f32_e64 s[54:55], v18, v3
	v_cmp_class_f32_e64 s[56:57], v18, s33
	s_or_b64 s[54:55], s[54:55], s[56:57]
	s_and_saveexec_b64 s[56:57], s[54:55]
	s_cbranch_execz .LBB398_54
; %bb.53:
	v_sub_f32_e32 v18, v18, v3
	s_mov_b32 s2, 0x3fb8aa3b
	v_mul_f32_e32 v19, 0x3fb8aa3b, v18
	v_fma_f32 v20, v18, s2, -v19
	v_rndne_f32_e32 v21, v19
	v_fmamk_f32 v20, v18, 0x32a5705f, v20
	v_sub_f32_e32 v19, v19, v21
	v_add_f32_e32 v19, v19, v20
	v_exp_f32_e32 v19, v19
	v_cvt_i32_f32_e32 v20, v21
	s_mov_b32 s2, 0xc2ce8ed0
	v_cmp_ngt_f32_e64 s[54:55], s2, v18
	s_mov_b32 s2, 0x42b17218
	v_ldexp_f32 v19, v19, v20
	v_cndmask_b32_e64 v19, 0, v19, s[54:55]
	v_mov_b32_e32 v20, 0x7f800000
	v_cmp_nlt_f32_e64 s[54:55], s2, v18
	s_mov_b32 s2, 0x3f2aaaab
	s_mov_b32 s3, 0x7f800000
	v_cndmask_b32_e64 v36, v20, v19, s[54:55]
	v_add_f32_e32 v20, 1.0, v36
	v_add_f32_e32 v18, -1.0, v20
	v_sub_f32_e32 v19, v18, v20
	v_add_f32_e32 v19, 1.0, v19
	v_sub_f32_e32 v18, v36, v18
	v_add_f32_e32 v21, v18, v19
	v_frexp_mant_f32_e32 v22, v20
	v_cvt_f64_f32_e32 v[18:19], v20
	v_frexp_exp_i32_f64_e32 v18, v[18:19]
	v_cmp_gt_f32_e64 s[54:55], s2, v22
	s_mov_b32 s2, 0x3f317218
	s_nop 0
	v_subbrev_co_u32_e64 v26, s[54:55], 0, v18, s[54:55]
	v_sub_u32_e32 v18, 0, v26
	v_ldexp_f32 v19, v20, v18
	v_add_f32_e32 v20, -1.0, v19
	v_add_f32_e32 v22, 1.0, v19
	v_ldexp_f32 v18, v21, v18
	v_add_f32_e32 v21, 1.0, v20
	v_add_f32_e32 v23, -1.0, v22
	v_sub_f32_e32 v21, v19, v21
	v_sub_f32_e32 v19, v19, v23
	v_add_f32_e32 v21, v18, v21
	v_add_f32_e32 v18, v18, v19
	;; [unrolled: 1-line block ×3, first 2 shown]
	v_rcp_f32_e32 v31, v27
	v_sub_f32_e32 v19, v22, v27
	v_add_f32_e32 v30, v18, v19
	v_add_f32_e32 v19, v20, v21
	v_mul_f32_e32 v33, v19, v31
	v_sub_f32_e32 v18, v20, v19
	v_mul_f32_e32 v20, v27, v33
	v_fma_f32 v22, v33, v27, -v20
	v_fmac_f32_e32 v22, v33, v30
	v_add_f32_e32 v32, v21, v18
	v_add_f32_e32 v18, v20, v22
	v_sub_f32_e32 v21, v19, v18
	v_pk_add_f32 v[24:25], v[18:19], v[20:21] neg_lo:[0,1] neg_hi:[0,1]
	v_mov_b32_e32 v23, v18
	v_pk_add_f32 v[18:19], v[24:25], v[22:23] neg_lo:[0,1] neg_hi:[0,1]
	v_cmp_eq_f32_e64 s[54:55], s3, v36
	v_add_f32_e32 v19, v32, v19
	v_add_f32_e32 v18, v18, v19
	;; [unrolled: 1-line block ×3, first 2 shown]
	v_mul_f32_e32 v32, v31, v19
	v_mul_f32_e32 v20, v27, v32
	v_fma_f32 v22, v32, v27, -v20
	v_fmac_f32_e32 v22, v32, v30
	v_sub_f32_e32 v21, v21, v19
	v_add_f32_e32 v27, v18, v21
	v_add_f32_e32 v18, v20, v22
	v_sub_f32_e32 v21, v19, v18
	v_pk_add_f32 v[24:25], v[18:19], v[20:21] neg_lo:[0,1] neg_hi:[0,1]
	v_mov_b32_e32 v23, v18
	v_pk_add_f32 v[18:19], v[24:25], v[22:23] neg_lo:[0,1] neg_hi:[0,1]
	v_cvt_f32_i32_e32 v20, v26
	v_add_f32_e32 v19, v27, v19
	v_add_f32_e32 v18, v18, v19
	;; [unrolled: 1-line block ×4, first 2 shown]
	v_sub_f32_e32 v19, v21, v33
	v_mul_f32_e32 v18, v31, v18
	v_sub_f32_e32 v19, v32, v19
	v_add_f32_e32 v18, v19, v18
	v_add_f32_e32 v22, v21, v18
	v_mul_f32_e32 v24, v22, v22
	v_mov_b32_e32 v19, 0x3ecc95a3
	v_sub_f32_e32 v21, v22, v21
	v_fmac_f32_e32 v19, 0x3e9b6dac, v24
	v_sub_f32_e32 v18, v18, v21
	v_fmaak_f32 v19, v24, v19, 0x3f2aaada
	v_ldexp_f32 v25, v18, 1
	v_mul_f32_e32 v21, v22, v24
	v_mov_b32_e32 v18, 0x3f317218
	v_pk_mul_f32 v[18:19], v[20:21], v[18:19]
	v_ldexp_f32 v23, v22, 1
	v_fma_f32 v21, v20, s2, -v18
	v_fmamk_f32 v22, v20, 0xb102e308, v21
	v_pk_add_f32 v[20:21], v[18:19], v[22:23]
	v_mov_b32_e32 v24, v18
	v_sub_f32_e32 v23, v21, v23
	v_sub_f32_e32 v23, v19, v23
	v_add_f32_e32 v25, v25, v23
	v_pk_add_f32 v[18:19], v[20:21], v[18:19] neg_lo:[0,1] neg_hi:[0,1]
	v_pk_add_f32 v[26:27], v[20:21], v[24:25]
	v_mov_b32_e32 v23, v20
	v_mov_b32_e32 v19, v27
	v_pk_add_f32 v[30:31], v[22:23], v[18:19] neg_lo:[0,1] neg_hi:[0,1]
	v_pk_add_f32 v[18:19], v[22:23], v[18:19]
	v_mov_b32_e32 v24, v25
	v_mov_b32_e32 v22, v19
	v_pk_add_f32 v[32:33], v[22:23], v[20:21] neg_lo:[0,1] neg_hi:[0,1]
	v_mov_b32_e32 v18, v27
	v_mov_b32_e32 v23, v32
	v_pk_add_f32 v[34:35], v[26:27], v[22:23] neg_lo:[0,1] neg_hi:[0,1]
	v_mov_b32_e32 v26, v21
	v_mov_b32_e32 v27, v32
	;; [unrolled: 1-line block ×3, first 2 shown]
	v_pk_add_f32 v[18:19], v[18:19], v[26:27] neg_lo:[0,1] neg_hi:[0,1]
	v_mov_b32_e32 v25, v20
	v_pk_add_f32 v[18:19], v[24:25], v[18:19] neg_lo:[0,1] neg_hi:[0,1]
	v_mov_b32_e32 v34, v30
	v_pk_add_f32 v[20:21], v[34:35], v[18:19]
	s_mov_b32 s2, 0x33800000
	v_mov_b32_e32 v24, v21
	v_pk_add_f32 v[24:25], v[20:21], v[24:25]
	v_cmp_lt_f32_e64 s[58:59], |v36|, s2
	v_pk_add_f32 v[22:23], v[22:23], v[24:25]
	v_mov_b32_e32 v19, v24
	v_mov_b32_e32 v21, v22
	v_pk_add_f32 v[26:27], v[20:21], v[30:31] neg_lo:[0,1] neg_hi:[0,1]
	s_or_b64 s[54:55], s[54:55], s[58:59]
	v_sub_f32_e32 v20, v20, v26
	v_pk_add_f32 v[18:19], v[18:19], v[26:27] neg_lo:[0,1] neg_hi:[0,1]
	v_sub_f32_e32 v20, v30, v20
	v_add_f32_e32 v18, v18, v20
	v_add_f32_e32 v18, v18, v19
	;; [unrolled: 1-line block ×3, first 2 shown]
	v_cndmask_b32_e64 v18, v18, v36, s[54:55]
	v_add_f32_e32 v3, v3, v18
	v_cvt_f16_f32_e32 v30, v3
	v_cvt_f32_f16_e32 v32, v30
	v_mov_b32_e32 v31, v30
.LBB398_54:
	s_or_b64 exec, exec, s[56:57]
	v_cvt_f32_f16_e32 v3, v4
	v_max_f32_e32 v18, v32, v32
	v_cmp_u_f16_e64 s[56:57], v30, v30
	v_cmp_u_f16_e64 s[54:55], v4, v4
	v_min_f32_e32 v19, v18, v3
	v_max_f32_e32 v18, v18, v3
	v_cndmask_b32_e64 v19, v19, v32, s[56:57]
	v_cndmask_b32_e64 v18, v18, v32, s[56:57]
	;; [unrolled: 1-line block ×4, first 2 shown]
	v_cmp_neq_f32_e64 s[56:57], v19, v18
	v_cmp_class_f32_e64 s[58:59], v19, s33
	s_or_b64 s[56:57], s[56:57], s[58:59]
	s_and_saveexec_b64 s[58:59], s[56:57]
	s_cbranch_execz .LBB398_56
; %bb.55:
	v_sub_f32_e32 v19, v19, v18
	s_mov_b32 s2, 0x3fb8aa3b
	v_mul_f32_e32 v20, 0x3fb8aa3b, v19
	v_fma_f32 v21, v19, s2, -v20
	v_rndne_f32_e32 v22, v20
	v_fmamk_f32 v21, v19, 0x32a5705f, v21
	v_sub_f32_e32 v20, v20, v22
	v_add_f32_e32 v20, v20, v21
	v_exp_f32_e32 v20, v20
	v_cvt_i32_f32_e32 v21, v22
	s_mov_b32 s2, 0xc2ce8ed0
	v_cmp_ngt_f32_e64 s[56:57], s2, v19
	s_mov_b32 s2, 0x42b17218
	v_ldexp_f32 v20, v20, v21
	v_cndmask_b32_e64 v20, 0, v20, s[56:57]
	v_mov_b32_e32 v21, 0x7f800000
	v_cmp_nlt_f32_e64 s[56:57], s2, v19
	s_mov_b32 s2, 0x3f2aaaab
	s_mov_b32 s3, 0x7f800000
	v_cndmask_b32_e64 v38, v21, v20, s[56:57]
	v_add_f32_e32 v19, 1.0, v38
	v_add_f32_e32 v20, -1.0, v19
	v_sub_f32_e32 v21, v20, v19
	v_add_f32_e32 v21, 1.0, v21
	v_sub_f32_e32 v20, v38, v20
	v_add_f32_e32 v22, v20, v21
	v_frexp_mant_f32_e32 v23, v19
	v_cvt_f64_f32_e32 v[20:21], v19
	v_frexp_exp_i32_f64_e32 v20, v[20:21]
	v_cmp_gt_f32_e64 s[56:57], s2, v23
	s_mov_b32 s2, 0x3f317218
	s_nop 0
	v_subbrev_co_u32_e64 v30, s[56:57], 0, v20, s[56:57]
	v_sub_u32_e32 v20, 0, v30
	v_ldexp_f32 v19, v19, v20
	v_ldexp_f32 v20, v22, v20
	v_add_f32_e32 v22, -1.0, v19
	v_add_f32_e32 v21, 1.0, v22
	v_sub_f32_e32 v21, v19, v21
	v_add_f32_e32 v23, v20, v21
	v_add_f32_e32 v21, 1.0, v19
	v_add_f32_e32 v24, -1.0, v21
	v_sub_f32_e32 v19, v19, v24
	v_add_f32_e32 v19, v20, v19
	v_add_f32_e32 v31, v21, v19
	v_rcp_f32_e32 v32, v31
	v_sub_f32_e32 v20, v21, v31
	v_add_f32_e32 v21, v22, v23
	v_add_f32_e32 v19, v19, v20
	v_mul_f32_e32 v34, v21, v32
	v_sub_f32_e32 v20, v22, v21
	v_mul_f32_e32 v22, v31, v34
	v_fma_f32 v24, v34, v31, -v22
	v_fmac_f32_e32 v24, v34, v19
	v_add_f32_e32 v33, v23, v20
	v_add_f32_e32 v20, v22, v24
	v_sub_f32_e32 v23, v21, v20
	v_pk_add_f32 v[26:27], v[20:21], v[22:23] neg_lo:[0,1] neg_hi:[0,1]
	v_mov_b32_e32 v25, v20
	v_pk_add_f32 v[20:21], v[26:27], v[24:25] neg_lo:[0,1] neg_hi:[0,1]
	v_cmp_eq_f32_e64 s[56:57], s3, v38
	v_add_f32_e32 v21, v33, v21
	v_add_f32_e32 v20, v20, v21
	;; [unrolled: 1-line block ×3, first 2 shown]
	v_mul_f32_e32 v33, v32, v21
	v_mul_f32_e32 v22, v31, v33
	v_fma_f32 v24, v33, v31, -v22
	v_fmac_f32_e32 v24, v33, v19
	v_sub_f32_e32 v19, v23, v21
	v_add_f32_e32 v19, v20, v19
	v_add_f32_e32 v20, v22, v24
	v_sub_f32_e32 v23, v21, v20
	v_pk_add_f32 v[26:27], v[20:21], v[22:23] neg_lo:[0,1] neg_hi:[0,1]
	v_mov_b32_e32 v25, v20
	v_pk_add_f32 v[20:21], v[26:27], v[24:25] neg_lo:[0,1] neg_hi:[0,1]
	v_cvt_f32_i32_e32 v22, v30
	v_add_f32_e32 v19, v19, v21
	v_add_f32_e32 v19, v20, v19
	v_add_f32_e32 v20, v34, v33
	v_add_f32_e32 v19, v23, v19
	v_sub_f32_e32 v21, v20, v34
	v_mul_f32_e32 v19, v32, v19
	v_sub_f32_e32 v21, v33, v21
	v_add_f32_e32 v19, v21, v19
	v_add_f32_e32 v23, v20, v19
	v_mul_f32_e32 v24, v23, v23
	v_mov_b32_e32 v21, 0x3ecc95a3
	v_fmac_f32_e32 v21, 0x3e9b6dac, v24
	v_sub_f32_e32 v20, v23, v20
	v_fmaak_f32 v21, v24, v21, 0x3f2aaada
	v_sub_f32_e32 v19, v19, v20
	v_ldexp_f32 v25, v23, 1
	v_mul_f32_e32 v23, v23, v24
	v_mov_b32_e32 v20, 0x3f317218
	v_pk_mul_f32 v[20:21], v[22:23], v[20:21]
	v_ldexp_f32 v19, v19, 1
	v_fma_f32 v23, v22, s2, -v20
	v_fmamk_f32 v24, v22, 0xb102e308, v23
	v_pk_add_f32 v[22:23], v[20:21], v[24:25]
	v_mov_b32_e32 v26, v20
	v_sub_f32_e32 v25, v23, v25
	v_sub_f32_e32 v25, v21, v25
	v_add_f32_e32 v27, v19, v25
	v_pk_add_f32 v[20:21], v[22:23], v[20:21] neg_lo:[0,1] neg_hi:[0,1]
	v_pk_add_f32 v[30:31], v[22:23], v[26:27]
	v_mov_b32_e32 v25, v22
	v_mov_b32_e32 v21, v31
	v_pk_add_f32 v[32:33], v[24:25], v[20:21] neg_lo:[0,1] neg_hi:[0,1]
	v_pk_add_f32 v[20:21], v[24:25], v[20:21]
	v_mov_b32_e32 v26, v27
	v_mov_b32_e32 v24, v21
	v_pk_add_f32 v[34:35], v[24:25], v[22:23] neg_lo:[0,1] neg_hi:[0,1]
	v_mov_b32_e32 v20, v31
	v_mov_b32_e32 v19, v34
	v_pk_add_f32 v[36:37], v[30:31], v[18:19] neg_lo:[0,1] neg_hi:[0,1]
	v_mov_b32_e32 v30, v23
	v_mov_b32_e32 v31, v34
	;; [unrolled: 1-line block ×3, first 2 shown]
	v_pk_add_f32 v[20:21], v[20:21], v[30:31] neg_lo:[0,1] neg_hi:[0,1]
	v_mov_b32_e32 v27, v22
	v_pk_add_f32 v[20:21], v[26:27], v[20:21] neg_lo:[0,1] neg_hi:[0,1]
	v_mov_b32_e32 v36, v32
	v_pk_add_f32 v[22:23], v[36:37], v[20:21]
	s_mov_b32 s2, 0x33800000
	v_mov_b32_e32 v26, v23
	v_pk_add_f32 v[26:27], v[22:23], v[26:27]
	v_cmp_lt_f32_e64 s[60:61], |v38|, s2
	v_pk_add_f32 v[24:25], v[24:25], v[26:27]
	v_mov_b32_e32 v21, v26
	v_mov_b32_e32 v23, v24
	v_pk_add_f32 v[30:31], v[22:23], v[32:33] neg_lo:[0,1] neg_hi:[0,1]
	s_or_b64 s[56:57], s[56:57], s[60:61]
	v_sub_f32_e32 v19, v22, v30
	v_pk_add_f32 v[20:21], v[20:21], v[30:31] neg_lo:[0,1] neg_hi:[0,1]
	v_sub_f32_e32 v19, v32, v19
	v_add_f32_e32 v19, v20, v19
	v_add_f32_e32 v19, v19, v21
	;; [unrolled: 1-line block ×3, first 2 shown]
	v_cndmask_b32_e64 v19, v19, v38, s[56:57]
	v_add_f32_e32 v18, v18, v19
	v_cvt_f16_f32_e32 v30, v18
	v_cvt_f32_f16_e32 v32, v30
	v_mov_b32_e32 v31, v30
.LBB398_56:
	s_or_b64 exec, exec, s[58:59]
	v_cvt_f32_f16_sdwa v18, v4 dst_sel:DWORD dst_unused:UNUSED_PAD src0_sel:WORD_1
	v_max_f32_e32 v20, v32, v32
	v_cmp_u_f16_e64 s[58:59], v30, v30
	v_cmp_u_f16_sdwa s[56:57], v4, v4 src0_sel:WORD_1 src1_sel:WORD_1
	v_min_f32_e32 v19, v20, v18
	v_max_f32_e32 v4, v20, v18
	v_cndmask_b32_e64 v19, v19, v32, s[58:59]
	v_cndmask_b32_e64 v4, v4, v32, s[58:59]
	;; [unrolled: 1-line block ×4, first 2 shown]
	v_cmp_neq_f32_e64 s[58:59], v19, v4
	v_cmp_class_f32_e64 s[60:61], v19, s33
	s_or_b64 s[58:59], s[58:59], s[60:61]
	s_and_saveexec_b64 s[60:61], s[58:59]
	s_cbranch_execz .LBB398_58
; %bb.57:
	v_sub_f32_e32 v19, v19, v4
	s_mov_b32 s2, 0x3fb8aa3b
	v_mul_f32_e32 v20, 0x3fb8aa3b, v19
	v_fma_f32 v21, v19, s2, -v20
	v_rndne_f32_e32 v22, v20
	v_fmamk_f32 v21, v19, 0x32a5705f, v21
	v_sub_f32_e32 v20, v20, v22
	v_add_f32_e32 v20, v20, v21
	v_exp_f32_e32 v20, v20
	v_cvt_i32_f32_e32 v21, v22
	s_mov_b32 s2, 0xc2ce8ed0
	v_cmp_ngt_f32_e64 s[58:59], s2, v19
	s_mov_b32 s2, 0x42b17218
	v_ldexp_f32 v20, v20, v21
	v_cndmask_b32_e64 v20, 0, v20, s[58:59]
	v_mov_b32_e32 v21, 0x7f800000
	v_cmp_nlt_f32_e64 s[58:59], s2, v19
	s_mov_b32 s2, 0x3f2aaaab
	s_mov_b32 s3, 0x7f800000
	v_cndmask_b32_e64 v38, v21, v20, s[58:59]
	v_add_f32_e32 v19, 1.0, v38
	v_add_f32_e32 v20, -1.0, v19
	v_sub_f32_e32 v21, v20, v19
	v_add_f32_e32 v21, 1.0, v21
	v_sub_f32_e32 v20, v38, v20
	v_add_f32_e32 v22, v20, v21
	v_frexp_mant_f32_e32 v23, v19
	v_cvt_f64_f32_e32 v[20:21], v19
	v_frexp_exp_i32_f64_e32 v20, v[20:21]
	v_cmp_gt_f32_e64 s[58:59], s2, v23
	s_mov_b32 s2, 0x3f317218
	s_nop 0
	v_subbrev_co_u32_e64 v30, s[58:59], 0, v20, s[58:59]
	v_sub_u32_e32 v20, 0, v30
	v_ldexp_f32 v19, v19, v20
	v_ldexp_f32 v20, v22, v20
	v_add_f32_e32 v22, -1.0, v19
	v_add_f32_e32 v21, 1.0, v22
	v_sub_f32_e32 v21, v19, v21
	v_add_f32_e32 v23, v20, v21
	v_add_f32_e32 v21, 1.0, v19
	v_add_f32_e32 v24, -1.0, v21
	v_sub_f32_e32 v19, v19, v24
	v_add_f32_e32 v19, v20, v19
	v_add_f32_e32 v31, v21, v19
	v_rcp_f32_e32 v32, v31
	v_sub_f32_e32 v20, v21, v31
	v_add_f32_e32 v21, v22, v23
	v_add_f32_e32 v19, v19, v20
	v_mul_f32_e32 v34, v21, v32
	v_sub_f32_e32 v20, v22, v21
	v_mul_f32_e32 v22, v31, v34
	v_fma_f32 v24, v34, v31, -v22
	v_fmac_f32_e32 v24, v34, v19
	v_add_f32_e32 v33, v23, v20
	v_add_f32_e32 v20, v22, v24
	v_sub_f32_e32 v23, v21, v20
	v_pk_add_f32 v[26:27], v[20:21], v[22:23] neg_lo:[0,1] neg_hi:[0,1]
	v_mov_b32_e32 v25, v20
	v_pk_add_f32 v[20:21], v[26:27], v[24:25] neg_lo:[0,1] neg_hi:[0,1]
	v_cmp_eq_f32_e64 s[58:59], s3, v38
	v_add_f32_e32 v21, v33, v21
	v_add_f32_e32 v20, v20, v21
	;; [unrolled: 1-line block ×3, first 2 shown]
	v_mul_f32_e32 v33, v32, v21
	v_mul_f32_e32 v22, v31, v33
	v_fma_f32 v24, v33, v31, -v22
	v_fmac_f32_e32 v24, v33, v19
	v_sub_f32_e32 v19, v23, v21
	v_add_f32_e32 v19, v20, v19
	v_add_f32_e32 v20, v22, v24
	v_sub_f32_e32 v23, v21, v20
	v_pk_add_f32 v[26:27], v[20:21], v[22:23] neg_lo:[0,1] neg_hi:[0,1]
	v_mov_b32_e32 v25, v20
	v_pk_add_f32 v[20:21], v[26:27], v[24:25] neg_lo:[0,1] neg_hi:[0,1]
	v_cvt_f32_i32_e32 v22, v30
	v_add_f32_e32 v19, v19, v21
	v_add_f32_e32 v19, v20, v19
	;; [unrolled: 1-line block ×4, first 2 shown]
	v_sub_f32_e32 v21, v20, v34
	v_mul_f32_e32 v19, v32, v19
	v_sub_f32_e32 v21, v33, v21
	v_add_f32_e32 v19, v21, v19
	v_add_f32_e32 v23, v20, v19
	v_mul_f32_e32 v24, v23, v23
	v_mov_b32_e32 v21, 0x3ecc95a3
	v_fmac_f32_e32 v21, 0x3e9b6dac, v24
	v_sub_f32_e32 v20, v23, v20
	v_fmaak_f32 v21, v24, v21, 0x3f2aaada
	v_sub_f32_e32 v19, v19, v20
	v_ldexp_f32 v25, v23, 1
	v_mul_f32_e32 v23, v23, v24
	v_mov_b32_e32 v20, 0x3f317218
	v_pk_mul_f32 v[20:21], v[22:23], v[20:21]
	v_ldexp_f32 v19, v19, 1
	v_fma_f32 v23, v22, s2, -v20
	v_fmamk_f32 v24, v22, 0xb102e308, v23
	v_pk_add_f32 v[22:23], v[20:21], v[24:25]
	v_mov_b32_e32 v26, v20
	v_sub_f32_e32 v25, v23, v25
	v_sub_f32_e32 v25, v21, v25
	v_add_f32_e32 v27, v19, v25
	v_pk_add_f32 v[20:21], v[22:23], v[20:21] neg_lo:[0,1] neg_hi:[0,1]
	v_pk_add_f32 v[30:31], v[22:23], v[26:27]
	v_mov_b32_e32 v25, v22
	v_mov_b32_e32 v21, v31
	v_pk_add_f32 v[32:33], v[24:25], v[20:21] neg_lo:[0,1] neg_hi:[0,1]
	v_pk_add_f32 v[20:21], v[24:25], v[20:21]
	v_mov_b32_e32 v26, v27
	v_mov_b32_e32 v24, v21
	v_pk_add_f32 v[34:35], v[24:25], v[22:23] neg_lo:[0,1] neg_hi:[0,1]
	v_mov_b32_e32 v20, v31
	v_mov_b32_e32 v19, v34
	v_pk_add_f32 v[36:37], v[30:31], v[18:19] neg_lo:[0,1] neg_hi:[0,1]
	v_mov_b32_e32 v30, v23
	v_mov_b32_e32 v31, v34
	;; [unrolled: 1-line block ×3, first 2 shown]
	v_pk_add_f32 v[20:21], v[20:21], v[30:31] neg_lo:[0,1] neg_hi:[0,1]
	v_mov_b32_e32 v27, v22
	v_pk_add_f32 v[20:21], v[26:27], v[20:21] neg_lo:[0,1] neg_hi:[0,1]
	v_mov_b32_e32 v36, v32
	v_pk_add_f32 v[22:23], v[36:37], v[20:21]
	s_mov_b32 s2, 0x33800000
	v_mov_b32_e32 v26, v23
	v_pk_add_f32 v[26:27], v[22:23], v[26:27]
	v_cmp_lt_f32_e64 s[62:63], |v38|, s2
	v_pk_add_f32 v[24:25], v[24:25], v[26:27]
	v_mov_b32_e32 v21, v26
	v_mov_b32_e32 v23, v24
	v_pk_add_f32 v[30:31], v[22:23], v[32:33] neg_lo:[0,1] neg_hi:[0,1]
	s_or_b64 s[58:59], s[58:59], s[62:63]
	v_sub_f32_e32 v19, v22, v30
	v_pk_add_f32 v[20:21], v[20:21], v[30:31] neg_lo:[0,1] neg_hi:[0,1]
	v_sub_f32_e32 v19, v32, v19
	v_add_f32_e32 v19, v20, v19
	v_add_f32_e32 v19, v19, v21
	;; [unrolled: 1-line block ×3, first 2 shown]
	v_cndmask_b32_e64 v19, v19, v38, s[58:59]
	v_add_f32_e32 v4, v4, v19
	v_cvt_f16_f32_e32 v30, v4
	v_cvt_f32_f16_e32 v32, v30
	v_mov_b32_e32 v31, v30
.LBB398_58:
	s_or_b64 exec, exec, s[60:61]
	v_cvt_f32_f16_e32 v4, v5
	v_max_f32_e32 v19, v32, v32
	v_cmp_u_f16_e64 s[60:61], v30, v30
	v_cmp_u_f16_e64 s[58:59], v5, v5
	v_min_f32_e32 v20, v19, v4
	v_max_f32_e32 v19, v19, v4
	v_cndmask_b32_e64 v20, v20, v32, s[60:61]
	v_cndmask_b32_e64 v19, v19, v32, s[60:61]
	;; [unrolled: 1-line block ×4, first 2 shown]
	v_cmp_neq_f32_e64 s[60:61], v20, v19
	v_cmp_class_f32_e64 s[62:63], v20, s33
	s_or_b64 s[60:61], s[60:61], s[62:63]
	s_and_saveexec_b64 s[62:63], s[60:61]
	s_cbranch_execz .LBB398_60
; %bb.59:
	v_sub_f32_e32 v20, v20, v19
	s_mov_b32 s2, 0x3fb8aa3b
	v_mul_f32_e32 v21, 0x3fb8aa3b, v20
	v_fma_f32 v22, v20, s2, -v21
	v_rndne_f32_e32 v23, v21
	v_fmamk_f32 v22, v20, 0x32a5705f, v22
	v_sub_f32_e32 v21, v21, v23
	v_add_f32_e32 v21, v21, v22
	v_exp_f32_e32 v21, v21
	v_cvt_i32_f32_e32 v22, v23
	s_mov_b32 s2, 0xc2ce8ed0
	v_cmp_ngt_f32_e64 s[60:61], s2, v20
	s_mov_b32 s2, 0x42b17218
	v_ldexp_f32 v21, v21, v22
	v_cndmask_b32_e64 v21, 0, v21, s[60:61]
	v_mov_b32_e32 v22, 0x7f800000
	v_cmp_nlt_f32_e64 s[60:61], s2, v20
	s_mov_b32 s2, 0x3f2aaaab
	s_mov_b32 s3, 0x7f800000
	v_cndmask_b32_e64 v38, v22, v21, s[60:61]
	v_add_f32_e32 v22, 1.0, v38
	v_add_f32_e32 v20, -1.0, v22
	v_sub_f32_e32 v21, v20, v22
	v_add_f32_e32 v21, 1.0, v21
	v_sub_f32_e32 v20, v38, v20
	v_add_f32_e32 v23, v20, v21
	v_frexp_mant_f32_e32 v24, v22
	v_cvt_f64_f32_e32 v[20:21], v22
	v_frexp_exp_i32_f64_e32 v20, v[20:21]
	v_cmp_gt_f32_e64 s[60:61], s2, v24
	s_mov_b32 s2, 0x3f317218
	s_nop 0
	v_subbrev_co_u32_e64 v30, s[60:61], 0, v20, s[60:61]
	v_sub_u32_e32 v20, 0, v30
	v_ldexp_f32 v21, v22, v20
	v_add_f32_e32 v22, -1.0, v21
	v_add_f32_e32 v24, 1.0, v21
	v_ldexp_f32 v20, v23, v20
	v_add_f32_e32 v23, 1.0, v22
	v_add_f32_e32 v25, -1.0, v24
	v_sub_f32_e32 v23, v21, v23
	v_sub_f32_e32 v21, v21, v25
	v_add_f32_e32 v23, v20, v23
	v_add_f32_e32 v20, v20, v21
	;; [unrolled: 1-line block ×3, first 2 shown]
	v_rcp_f32_e32 v33, v31
	v_sub_f32_e32 v21, v24, v31
	v_add_f32_e32 v32, v20, v21
	v_add_f32_e32 v21, v22, v23
	v_mul_f32_e32 v35, v21, v33
	v_sub_f32_e32 v20, v22, v21
	v_mul_f32_e32 v22, v31, v35
	v_fma_f32 v24, v35, v31, -v22
	v_fmac_f32_e32 v24, v35, v32
	v_add_f32_e32 v34, v23, v20
	v_add_f32_e32 v20, v22, v24
	v_sub_f32_e32 v23, v21, v20
	v_pk_add_f32 v[26:27], v[20:21], v[22:23] neg_lo:[0,1] neg_hi:[0,1]
	v_mov_b32_e32 v25, v20
	v_pk_add_f32 v[20:21], v[26:27], v[24:25] neg_lo:[0,1] neg_hi:[0,1]
	v_cmp_eq_f32_e64 s[60:61], s3, v38
	v_add_f32_e32 v21, v34, v21
	v_add_f32_e32 v20, v20, v21
	;; [unrolled: 1-line block ×3, first 2 shown]
	v_mul_f32_e32 v34, v33, v21
	v_mul_f32_e32 v22, v31, v34
	v_fma_f32 v24, v34, v31, -v22
	v_fmac_f32_e32 v24, v34, v32
	v_sub_f32_e32 v23, v23, v21
	v_add_f32_e32 v31, v20, v23
	v_add_f32_e32 v20, v22, v24
	v_sub_f32_e32 v23, v21, v20
	v_pk_add_f32 v[26:27], v[20:21], v[22:23] neg_lo:[0,1] neg_hi:[0,1]
	v_mov_b32_e32 v25, v20
	v_pk_add_f32 v[20:21], v[26:27], v[24:25] neg_lo:[0,1] neg_hi:[0,1]
	v_cvt_f32_i32_e32 v22, v30
	v_add_f32_e32 v21, v31, v21
	v_add_f32_e32 v20, v20, v21
	;; [unrolled: 1-line block ×4, first 2 shown]
	v_sub_f32_e32 v21, v23, v35
	v_mul_f32_e32 v20, v33, v20
	v_sub_f32_e32 v21, v34, v21
	v_add_f32_e32 v20, v21, v20
	v_add_f32_e32 v24, v23, v20
	v_mul_f32_e32 v26, v24, v24
	v_mov_b32_e32 v21, 0x3ecc95a3
	v_sub_f32_e32 v23, v24, v23
	v_fmac_f32_e32 v21, 0x3e9b6dac, v26
	v_sub_f32_e32 v20, v20, v23
	v_fmaak_f32 v21, v26, v21, 0x3f2aaada
	v_ldexp_f32 v27, v20, 1
	v_mul_f32_e32 v23, v24, v26
	v_mov_b32_e32 v20, 0x3f317218
	v_pk_mul_f32 v[20:21], v[22:23], v[20:21]
	v_ldexp_f32 v25, v24, 1
	v_fma_f32 v23, v22, s2, -v20
	v_fmamk_f32 v24, v22, 0xb102e308, v23
	v_pk_add_f32 v[22:23], v[20:21], v[24:25]
	v_mov_b32_e32 v26, v20
	v_sub_f32_e32 v25, v23, v25
	v_sub_f32_e32 v25, v21, v25
	v_add_f32_e32 v27, v27, v25
	v_pk_add_f32 v[20:21], v[22:23], v[20:21] neg_lo:[0,1] neg_hi:[0,1]
	v_pk_add_f32 v[30:31], v[22:23], v[26:27]
	v_mov_b32_e32 v25, v22
	v_mov_b32_e32 v21, v31
	v_pk_add_f32 v[32:33], v[24:25], v[20:21] neg_lo:[0,1] neg_hi:[0,1]
	v_pk_add_f32 v[20:21], v[24:25], v[20:21]
	v_mov_b32_e32 v26, v27
	v_mov_b32_e32 v24, v21
	v_pk_add_f32 v[34:35], v[24:25], v[22:23] neg_lo:[0,1] neg_hi:[0,1]
	v_mov_b32_e32 v20, v31
	v_mov_b32_e32 v25, v34
	v_pk_add_f32 v[36:37], v[30:31], v[24:25] neg_lo:[0,1] neg_hi:[0,1]
	v_mov_b32_e32 v30, v23
	v_mov_b32_e32 v31, v34
	;; [unrolled: 1-line block ×3, first 2 shown]
	v_pk_add_f32 v[20:21], v[20:21], v[30:31] neg_lo:[0,1] neg_hi:[0,1]
	v_mov_b32_e32 v27, v22
	v_pk_add_f32 v[20:21], v[26:27], v[20:21] neg_lo:[0,1] neg_hi:[0,1]
	v_mov_b32_e32 v36, v32
	v_pk_add_f32 v[22:23], v[36:37], v[20:21]
	s_mov_b32 s2, 0x33800000
	v_mov_b32_e32 v26, v23
	v_pk_add_f32 v[26:27], v[22:23], v[26:27]
	v_cmp_lt_f32_e64 s[64:65], |v38|, s2
	v_pk_add_f32 v[24:25], v[24:25], v[26:27]
	v_mov_b32_e32 v21, v26
	v_mov_b32_e32 v23, v24
	v_pk_add_f32 v[30:31], v[22:23], v[32:33] neg_lo:[0,1] neg_hi:[0,1]
	s_or_b64 s[60:61], s[60:61], s[64:65]
	v_sub_f32_e32 v22, v22, v30
	v_pk_add_f32 v[20:21], v[20:21], v[30:31] neg_lo:[0,1] neg_hi:[0,1]
	v_sub_f32_e32 v22, v32, v22
	v_add_f32_e32 v20, v20, v22
	v_add_f32_e32 v20, v20, v21
	;; [unrolled: 1-line block ×3, first 2 shown]
	v_cndmask_b32_e64 v20, v20, v38, s[60:61]
	v_add_f32_e32 v19, v19, v20
	v_cvt_f16_f32_e32 v30, v19
	v_cvt_f32_f16_e32 v32, v30
	v_mov_b32_e32 v31, v30
.LBB398_60:
	s_or_b64 exec, exec, s[62:63]
	v_cvt_f32_f16_sdwa v19, v5 dst_sel:DWORD dst_unused:UNUSED_PAD src0_sel:WORD_1
	v_max_f32_e32 v21, v32, v32
	v_cmp_u_f16_e64 s[62:63], v30, v30
	v_cmp_u_f16_sdwa s[60:61], v5, v5 src0_sel:WORD_1 src1_sel:WORD_1
	v_min_f32_e32 v20, v21, v19
	v_max_f32_e32 v5, v21, v19
	v_cndmask_b32_e64 v20, v20, v32, s[62:63]
	v_cndmask_b32_e64 v5, v5, v32, s[62:63]
	;; [unrolled: 1-line block ×4, first 2 shown]
	v_cmp_neq_f32_e64 s[62:63], v20, v5
	v_cmp_class_f32_e64 s[64:65], v20, s33
	s_or_b64 s[62:63], s[62:63], s[64:65]
	s_and_saveexec_b64 s[64:65], s[62:63]
	s_cbranch_execz .LBB398_62
; %bb.61:
	v_sub_f32_e32 v20, v20, v5
	s_mov_b32 s2, 0x3fb8aa3b
	v_mul_f32_e32 v21, 0x3fb8aa3b, v20
	v_fma_f32 v22, v20, s2, -v21
	v_rndne_f32_e32 v23, v21
	v_fmamk_f32 v22, v20, 0x32a5705f, v22
	v_sub_f32_e32 v21, v21, v23
	v_add_f32_e32 v21, v21, v22
	v_exp_f32_e32 v21, v21
	v_cvt_i32_f32_e32 v22, v23
	s_mov_b32 s2, 0xc2ce8ed0
	v_cmp_ngt_f32_e64 s[62:63], s2, v20
	s_mov_b32 s2, 0x42b17218
	v_ldexp_f32 v21, v21, v22
	v_cndmask_b32_e64 v21, 0, v21, s[62:63]
	v_mov_b32_e32 v22, 0x7f800000
	v_cmp_nlt_f32_e64 s[62:63], s2, v20
	s_mov_b32 s2, 0x3f2aaaab
	s_mov_b32 s3, 0x7f800000
	v_cndmask_b32_e64 v38, v22, v21, s[62:63]
	v_add_f32_e32 v22, 1.0, v38
	v_add_f32_e32 v20, -1.0, v22
	v_sub_f32_e32 v21, v20, v22
	v_add_f32_e32 v21, 1.0, v21
	v_sub_f32_e32 v20, v38, v20
	v_add_f32_e32 v23, v20, v21
	v_frexp_mant_f32_e32 v24, v22
	v_cvt_f64_f32_e32 v[20:21], v22
	v_frexp_exp_i32_f64_e32 v20, v[20:21]
	v_cmp_gt_f32_e64 s[62:63], s2, v24
	s_mov_b32 s2, 0x3f317218
	s_nop 0
	v_subbrev_co_u32_e64 v30, s[62:63], 0, v20, s[62:63]
	v_sub_u32_e32 v20, 0, v30
	v_ldexp_f32 v21, v22, v20
	v_add_f32_e32 v22, -1.0, v21
	v_add_f32_e32 v24, 1.0, v21
	v_ldexp_f32 v20, v23, v20
	v_add_f32_e32 v23, 1.0, v22
	v_add_f32_e32 v25, -1.0, v24
	v_sub_f32_e32 v23, v21, v23
	v_sub_f32_e32 v21, v21, v25
	v_add_f32_e32 v23, v20, v23
	v_add_f32_e32 v20, v20, v21
	;; [unrolled: 1-line block ×3, first 2 shown]
	v_rcp_f32_e32 v33, v31
	v_sub_f32_e32 v21, v24, v31
	v_add_f32_e32 v32, v20, v21
	v_add_f32_e32 v21, v22, v23
	v_mul_f32_e32 v35, v21, v33
	v_sub_f32_e32 v20, v22, v21
	v_mul_f32_e32 v22, v31, v35
	v_fma_f32 v24, v35, v31, -v22
	v_fmac_f32_e32 v24, v35, v32
	v_add_f32_e32 v34, v23, v20
	v_add_f32_e32 v20, v22, v24
	v_sub_f32_e32 v23, v21, v20
	v_pk_add_f32 v[26:27], v[20:21], v[22:23] neg_lo:[0,1] neg_hi:[0,1]
	v_mov_b32_e32 v25, v20
	v_pk_add_f32 v[20:21], v[26:27], v[24:25] neg_lo:[0,1] neg_hi:[0,1]
	v_cmp_eq_f32_e64 s[62:63], s3, v38
	v_add_f32_e32 v21, v34, v21
	v_add_f32_e32 v20, v20, v21
	;; [unrolled: 1-line block ×3, first 2 shown]
	v_mul_f32_e32 v34, v33, v21
	v_mul_f32_e32 v22, v31, v34
	v_fma_f32 v24, v34, v31, -v22
	v_fmac_f32_e32 v24, v34, v32
	v_sub_f32_e32 v23, v23, v21
	v_add_f32_e32 v31, v20, v23
	v_add_f32_e32 v20, v22, v24
	v_sub_f32_e32 v23, v21, v20
	v_pk_add_f32 v[26:27], v[20:21], v[22:23] neg_lo:[0,1] neg_hi:[0,1]
	v_mov_b32_e32 v25, v20
	v_pk_add_f32 v[20:21], v[26:27], v[24:25] neg_lo:[0,1] neg_hi:[0,1]
	v_cvt_f32_i32_e32 v22, v30
	v_add_f32_e32 v21, v31, v21
	v_add_f32_e32 v20, v20, v21
	;; [unrolled: 1-line block ×4, first 2 shown]
	v_sub_f32_e32 v21, v23, v35
	v_mul_f32_e32 v20, v33, v20
	v_sub_f32_e32 v21, v34, v21
	v_add_f32_e32 v20, v21, v20
	v_add_f32_e32 v24, v23, v20
	v_mul_f32_e32 v26, v24, v24
	v_mov_b32_e32 v21, 0x3ecc95a3
	v_sub_f32_e32 v23, v24, v23
	v_fmac_f32_e32 v21, 0x3e9b6dac, v26
	v_sub_f32_e32 v20, v20, v23
	v_fmaak_f32 v21, v26, v21, 0x3f2aaada
	v_ldexp_f32 v27, v20, 1
	v_mul_f32_e32 v23, v24, v26
	v_mov_b32_e32 v20, 0x3f317218
	v_pk_mul_f32 v[20:21], v[22:23], v[20:21]
	v_ldexp_f32 v25, v24, 1
	v_fma_f32 v23, v22, s2, -v20
	v_fmamk_f32 v24, v22, 0xb102e308, v23
	v_pk_add_f32 v[22:23], v[20:21], v[24:25]
	v_mov_b32_e32 v26, v20
	v_sub_f32_e32 v25, v23, v25
	v_sub_f32_e32 v25, v21, v25
	v_add_f32_e32 v27, v27, v25
	v_pk_add_f32 v[20:21], v[22:23], v[20:21] neg_lo:[0,1] neg_hi:[0,1]
	v_pk_add_f32 v[30:31], v[22:23], v[26:27]
	v_mov_b32_e32 v25, v22
	v_mov_b32_e32 v21, v31
	v_pk_add_f32 v[32:33], v[24:25], v[20:21] neg_lo:[0,1] neg_hi:[0,1]
	v_pk_add_f32 v[20:21], v[24:25], v[20:21]
	v_mov_b32_e32 v26, v27
	v_mov_b32_e32 v24, v21
	v_pk_add_f32 v[34:35], v[24:25], v[22:23] neg_lo:[0,1] neg_hi:[0,1]
	v_mov_b32_e32 v20, v31
	v_mov_b32_e32 v25, v34
	v_pk_add_f32 v[36:37], v[30:31], v[24:25] neg_lo:[0,1] neg_hi:[0,1]
	v_mov_b32_e32 v30, v23
	v_mov_b32_e32 v31, v34
	;; [unrolled: 1-line block ×3, first 2 shown]
	v_pk_add_f32 v[20:21], v[20:21], v[30:31] neg_lo:[0,1] neg_hi:[0,1]
	v_mov_b32_e32 v27, v22
	v_pk_add_f32 v[20:21], v[26:27], v[20:21] neg_lo:[0,1] neg_hi:[0,1]
	v_mov_b32_e32 v36, v32
	v_pk_add_f32 v[22:23], v[36:37], v[20:21]
	s_mov_b32 s2, 0x33800000
	v_mov_b32_e32 v26, v23
	v_pk_add_f32 v[26:27], v[22:23], v[26:27]
	v_cmp_lt_f32_e64 s[66:67], |v38|, s2
	v_pk_add_f32 v[24:25], v[24:25], v[26:27]
	v_mov_b32_e32 v21, v26
	v_mov_b32_e32 v23, v24
	v_pk_add_f32 v[30:31], v[22:23], v[32:33] neg_lo:[0,1] neg_hi:[0,1]
	s_or_b64 s[62:63], s[62:63], s[66:67]
	v_sub_f32_e32 v22, v22, v30
	v_pk_add_f32 v[20:21], v[20:21], v[30:31] neg_lo:[0,1] neg_hi:[0,1]
	v_sub_f32_e32 v22, v32, v22
	v_add_f32_e32 v20, v20, v22
	v_add_f32_e32 v20, v20, v21
	;; [unrolled: 1-line block ×3, first 2 shown]
	v_cndmask_b32_e64 v20, v20, v38, s[62:63]
	v_add_f32_e32 v5, v5, v20
	v_cvt_f16_f32_e32 v30, v5
	v_cvt_f32_f16_e32 v32, v30
	v_mov_b32_e32 v31, v30
.LBB398_62:
	s_or_b64 exec, exec, s[64:65]
	v_cvt_f32_f16_e32 v5, v10
	v_max_f32_e32 v20, v32, v32
	v_cmp_u_f16_e64 s[64:65], v30, v30
	v_cmp_u_f16_e64 s[62:63], v10, v10
	v_min_f32_e32 v21, v20, v5
	v_max_f32_e32 v20, v20, v5
	v_cndmask_b32_e64 v21, v21, v32, s[64:65]
	v_cndmask_b32_e64 v20, v20, v32, s[64:65]
	;; [unrolled: 1-line block ×4, first 2 shown]
	v_cmp_neq_f32_e64 s[64:65], v21, v20
	v_cmp_class_f32_e64 s[66:67], v21, s33
	s_or_b64 s[64:65], s[64:65], s[66:67]
	s_and_saveexec_b64 s[66:67], s[64:65]
	s_cbranch_execz .LBB398_64
; %bb.63:
	v_sub_f32_e32 v21, v21, v20
	s_mov_b32 s2, 0x3fb8aa3b
	v_mul_f32_e32 v22, 0x3fb8aa3b, v21
	v_fma_f32 v23, v21, s2, -v22
	v_rndne_f32_e32 v24, v22
	v_fmamk_f32 v23, v21, 0x32a5705f, v23
	v_sub_f32_e32 v22, v22, v24
	v_add_f32_e32 v22, v22, v23
	v_exp_f32_e32 v22, v22
	v_cvt_i32_f32_e32 v23, v24
	s_mov_b32 s2, 0xc2ce8ed0
	v_cmp_ngt_f32_e64 s[64:65], s2, v21
	s_mov_b32 s2, 0x42b17218
	v_ldexp_f32 v22, v22, v23
	v_cndmask_b32_e64 v22, 0, v22, s[64:65]
	v_mov_b32_e32 v23, 0x7f800000
	v_cmp_nlt_f32_e64 s[64:65], s2, v21
	s_mov_b32 s2, 0x3f2aaaab
	s_mov_b32 s3, 0x7f800000
	v_cndmask_b32_e64 v40, v23, v22, s[64:65]
	v_add_f32_e32 v21, 1.0, v40
	v_add_f32_e32 v22, -1.0, v21
	v_sub_f32_e32 v23, v22, v21
	v_add_f32_e32 v23, 1.0, v23
	v_sub_f32_e32 v22, v40, v22
	v_add_f32_e32 v24, v22, v23
	v_frexp_mant_f32_e32 v25, v21
	v_cvt_f64_f32_e32 v[22:23], v21
	v_frexp_exp_i32_f64_e32 v22, v[22:23]
	v_cmp_gt_f32_e64 s[64:65], s2, v25
	s_mov_b32 s2, 0x3f317218
	s_nop 0
	v_subbrev_co_u32_e64 v32, s[64:65], 0, v22, s[64:65]
	v_sub_u32_e32 v22, 0, v32
	v_ldexp_f32 v21, v21, v22
	v_ldexp_f32 v22, v24, v22
	v_add_f32_e32 v24, -1.0, v21
	v_add_f32_e32 v23, 1.0, v24
	v_sub_f32_e32 v23, v21, v23
	v_add_f32_e32 v25, v22, v23
	v_add_f32_e32 v23, 1.0, v21
	v_add_f32_e32 v26, -1.0, v23
	v_sub_f32_e32 v21, v21, v26
	v_add_f32_e32 v21, v22, v21
	v_add_f32_e32 v33, v23, v21
	v_rcp_f32_e32 v34, v33
	v_sub_f32_e32 v22, v23, v33
	v_add_f32_e32 v23, v24, v25
	v_add_f32_e32 v21, v21, v22
	v_mul_f32_e32 v36, v23, v34
	v_sub_f32_e32 v22, v24, v23
	v_mul_f32_e32 v24, v33, v36
	v_fma_f32 v26, v36, v33, -v24
	v_fmac_f32_e32 v26, v36, v21
	v_add_f32_e32 v35, v25, v22
	v_add_f32_e32 v22, v24, v26
	v_sub_f32_e32 v25, v23, v22
	v_pk_add_f32 v[30:31], v[22:23], v[24:25] neg_lo:[0,1] neg_hi:[0,1]
	v_mov_b32_e32 v27, v22
	v_pk_add_f32 v[22:23], v[30:31], v[26:27] neg_lo:[0,1] neg_hi:[0,1]
	v_cmp_eq_f32_e64 s[64:65], s3, v40
	v_add_f32_e32 v23, v35, v23
	v_add_f32_e32 v22, v22, v23
	;; [unrolled: 1-line block ×3, first 2 shown]
	v_mul_f32_e32 v35, v34, v23
	v_mul_f32_e32 v24, v33, v35
	v_fma_f32 v26, v35, v33, -v24
	v_fmac_f32_e32 v26, v35, v21
	v_sub_f32_e32 v21, v25, v23
	v_add_f32_e32 v21, v22, v21
	v_add_f32_e32 v22, v24, v26
	v_sub_f32_e32 v25, v23, v22
	v_pk_add_f32 v[30:31], v[22:23], v[24:25] neg_lo:[0,1] neg_hi:[0,1]
	v_mov_b32_e32 v27, v22
	v_pk_add_f32 v[22:23], v[30:31], v[26:27] neg_lo:[0,1] neg_hi:[0,1]
	v_cvt_f32_i32_e32 v24, v32
	v_add_f32_e32 v21, v21, v23
	v_add_f32_e32 v21, v22, v21
	;; [unrolled: 1-line block ×4, first 2 shown]
	v_sub_f32_e32 v23, v22, v36
	v_mul_f32_e32 v21, v34, v21
	v_sub_f32_e32 v23, v35, v23
	v_add_f32_e32 v21, v23, v21
	v_add_f32_e32 v25, v22, v21
	v_mul_f32_e32 v26, v25, v25
	v_mov_b32_e32 v23, 0x3ecc95a3
	v_fmac_f32_e32 v23, 0x3e9b6dac, v26
	v_sub_f32_e32 v22, v25, v22
	v_fmaak_f32 v23, v26, v23, 0x3f2aaada
	v_sub_f32_e32 v21, v21, v22
	v_ldexp_f32 v27, v25, 1
	v_mul_f32_e32 v25, v25, v26
	v_mov_b32_e32 v22, 0x3f317218
	v_pk_mul_f32 v[22:23], v[24:25], v[22:23]
	v_ldexp_f32 v21, v21, 1
	v_fma_f32 v25, v24, s2, -v22
	v_fmamk_f32 v26, v24, 0xb102e308, v25
	v_pk_add_f32 v[24:25], v[22:23], v[26:27]
	v_mov_b32_e32 v30, v22
	v_sub_f32_e32 v27, v25, v27
	v_sub_f32_e32 v27, v23, v27
	v_add_f32_e32 v31, v21, v27
	v_pk_add_f32 v[22:23], v[24:25], v[22:23] neg_lo:[0,1] neg_hi:[0,1]
	v_pk_add_f32 v[32:33], v[24:25], v[30:31]
	v_mov_b32_e32 v27, v24
	v_mov_b32_e32 v23, v33
	v_pk_add_f32 v[34:35], v[26:27], v[22:23] neg_lo:[0,1] neg_hi:[0,1]
	v_pk_add_f32 v[22:23], v[26:27], v[22:23]
	v_mov_b32_e32 v30, v31
	v_mov_b32_e32 v26, v23
	v_pk_add_f32 v[36:37], v[26:27], v[24:25] neg_lo:[0,1] neg_hi:[0,1]
	v_mov_b32_e32 v22, v33
	v_mov_b32_e32 v21, v36
	v_pk_add_f32 v[38:39], v[32:33], v[20:21] neg_lo:[0,1] neg_hi:[0,1]
	v_mov_b32_e32 v32, v25
	v_mov_b32_e32 v33, v36
	;; [unrolled: 1-line block ×3, first 2 shown]
	v_pk_add_f32 v[22:23], v[22:23], v[32:33] neg_lo:[0,1] neg_hi:[0,1]
	v_mov_b32_e32 v31, v24
	v_pk_add_f32 v[22:23], v[30:31], v[22:23] neg_lo:[0,1] neg_hi:[0,1]
	v_mov_b32_e32 v38, v34
	v_pk_add_f32 v[24:25], v[38:39], v[22:23]
	s_mov_b32 s2, 0x33800000
	v_mov_b32_e32 v30, v25
	v_pk_add_f32 v[30:31], v[24:25], v[30:31]
	v_cmp_lt_f32_e64 s[68:69], |v40|, s2
	v_pk_add_f32 v[26:27], v[26:27], v[30:31]
	v_mov_b32_e32 v23, v30
	v_mov_b32_e32 v25, v26
	v_pk_add_f32 v[32:33], v[24:25], v[34:35] neg_lo:[0,1] neg_hi:[0,1]
	s_or_b64 s[64:65], s[64:65], s[68:69]
	v_sub_f32_e32 v21, v24, v32
	v_pk_add_f32 v[22:23], v[22:23], v[32:33] neg_lo:[0,1] neg_hi:[0,1]
	v_sub_f32_e32 v21, v34, v21
	v_add_f32_e32 v21, v22, v21
	v_add_f32_e32 v21, v21, v23
	;; [unrolled: 1-line block ×3, first 2 shown]
	v_cndmask_b32_e64 v21, v21, v40, s[64:65]
	v_add_f32_e32 v20, v20, v21
	v_cvt_f16_f32_e32 v30, v20
	v_cvt_f32_f16_e32 v32, v30
	v_mov_b32_e32 v31, v30
.LBB398_64:
	s_or_b64 exec, exec, s[66:67]
	v_cvt_f32_f16_sdwa v20, v10 dst_sel:DWORD dst_unused:UNUSED_PAD src0_sel:WORD_1
	v_max_f32_e32 v22, v32, v32
	v_cmp_u_f16_e64 s[66:67], v30, v30
	v_cmp_u_f16_sdwa s[64:65], v10, v10 src0_sel:WORD_1 src1_sel:WORD_1
	v_min_f32_e32 v21, v22, v20
	v_max_f32_e32 v10, v22, v20
	v_cndmask_b32_e64 v21, v21, v32, s[66:67]
	v_cndmask_b32_e64 v10, v10, v32, s[66:67]
	;; [unrolled: 1-line block ×4, first 2 shown]
	v_cmp_neq_f32_e64 s[66:67], v21, v10
	v_cmp_class_f32_e64 s[68:69], v21, s33
	s_or_b64 s[66:67], s[66:67], s[68:69]
	s_and_saveexec_b64 s[68:69], s[66:67]
	s_cbranch_execz .LBB398_66
; %bb.65:
	v_sub_f32_e32 v21, v21, v10
	s_mov_b32 s2, 0x3fb8aa3b
	v_mul_f32_e32 v22, 0x3fb8aa3b, v21
	v_fma_f32 v23, v21, s2, -v22
	v_rndne_f32_e32 v24, v22
	v_fmamk_f32 v23, v21, 0x32a5705f, v23
	v_sub_f32_e32 v22, v22, v24
	v_add_f32_e32 v22, v22, v23
	v_exp_f32_e32 v22, v22
	v_cvt_i32_f32_e32 v23, v24
	s_mov_b32 s2, 0xc2ce8ed0
	v_cmp_ngt_f32_e64 s[66:67], s2, v21
	s_mov_b32 s2, 0x42b17218
	v_ldexp_f32 v22, v22, v23
	v_cndmask_b32_e64 v22, 0, v22, s[66:67]
	v_mov_b32_e32 v23, 0x7f800000
	v_cmp_nlt_f32_e64 s[66:67], s2, v21
	s_mov_b32 s2, 0x3f2aaaab
	s_mov_b32 s3, 0x7f800000
	v_cndmask_b32_e64 v40, v23, v22, s[66:67]
	v_add_f32_e32 v21, 1.0, v40
	v_add_f32_e32 v22, -1.0, v21
	v_sub_f32_e32 v23, v22, v21
	v_add_f32_e32 v23, 1.0, v23
	v_sub_f32_e32 v22, v40, v22
	v_add_f32_e32 v24, v22, v23
	v_frexp_mant_f32_e32 v25, v21
	v_cvt_f64_f32_e32 v[22:23], v21
	v_frexp_exp_i32_f64_e32 v22, v[22:23]
	v_cmp_gt_f32_e64 s[66:67], s2, v25
	s_mov_b32 s2, 0x3f317218
	s_nop 0
	v_subbrev_co_u32_e64 v32, s[66:67], 0, v22, s[66:67]
	v_sub_u32_e32 v22, 0, v32
	v_ldexp_f32 v21, v21, v22
	v_ldexp_f32 v22, v24, v22
	v_add_f32_e32 v24, -1.0, v21
	v_add_f32_e32 v23, 1.0, v24
	v_sub_f32_e32 v23, v21, v23
	v_add_f32_e32 v25, v22, v23
	v_add_f32_e32 v23, 1.0, v21
	v_add_f32_e32 v26, -1.0, v23
	v_sub_f32_e32 v21, v21, v26
	v_add_f32_e32 v21, v22, v21
	v_add_f32_e32 v33, v23, v21
	v_rcp_f32_e32 v34, v33
	v_sub_f32_e32 v22, v23, v33
	v_add_f32_e32 v23, v24, v25
	v_add_f32_e32 v21, v21, v22
	v_mul_f32_e32 v36, v23, v34
	v_sub_f32_e32 v22, v24, v23
	v_mul_f32_e32 v24, v33, v36
	v_fma_f32 v26, v36, v33, -v24
	v_fmac_f32_e32 v26, v36, v21
	v_add_f32_e32 v35, v25, v22
	v_add_f32_e32 v22, v24, v26
	v_sub_f32_e32 v25, v23, v22
	v_pk_add_f32 v[30:31], v[22:23], v[24:25] neg_lo:[0,1] neg_hi:[0,1]
	v_mov_b32_e32 v27, v22
	v_pk_add_f32 v[22:23], v[30:31], v[26:27] neg_lo:[0,1] neg_hi:[0,1]
	v_cmp_eq_f32_e64 s[66:67], s3, v40
	v_add_f32_e32 v23, v35, v23
	v_add_f32_e32 v22, v22, v23
	;; [unrolled: 1-line block ×3, first 2 shown]
	v_mul_f32_e32 v35, v34, v23
	v_mul_f32_e32 v24, v33, v35
	v_fma_f32 v26, v35, v33, -v24
	v_fmac_f32_e32 v26, v35, v21
	v_sub_f32_e32 v21, v25, v23
	v_add_f32_e32 v21, v22, v21
	v_add_f32_e32 v22, v24, v26
	v_sub_f32_e32 v25, v23, v22
	v_pk_add_f32 v[30:31], v[22:23], v[24:25] neg_lo:[0,1] neg_hi:[0,1]
	v_mov_b32_e32 v27, v22
	v_pk_add_f32 v[22:23], v[30:31], v[26:27] neg_lo:[0,1] neg_hi:[0,1]
	v_cvt_f32_i32_e32 v24, v32
	v_add_f32_e32 v21, v21, v23
	v_add_f32_e32 v21, v22, v21
	;; [unrolled: 1-line block ×4, first 2 shown]
	v_sub_f32_e32 v23, v22, v36
	v_mul_f32_e32 v21, v34, v21
	v_sub_f32_e32 v23, v35, v23
	v_add_f32_e32 v21, v23, v21
	v_add_f32_e32 v25, v22, v21
	v_mul_f32_e32 v26, v25, v25
	v_mov_b32_e32 v23, 0x3ecc95a3
	v_fmac_f32_e32 v23, 0x3e9b6dac, v26
	v_sub_f32_e32 v22, v25, v22
	v_fmaak_f32 v23, v26, v23, 0x3f2aaada
	v_sub_f32_e32 v21, v21, v22
	v_ldexp_f32 v27, v25, 1
	v_mul_f32_e32 v25, v25, v26
	v_mov_b32_e32 v22, 0x3f317218
	v_pk_mul_f32 v[22:23], v[24:25], v[22:23]
	v_ldexp_f32 v21, v21, 1
	v_fma_f32 v25, v24, s2, -v22
	v_fmamk_f32 v26, v24, 0xb102e308, v25
	v_pk_add_f32 v[24:25], v[22:23], v[26:27]
	v_mov_b32_e32 v30, v22
	v_sub_f32_e32 v27, v25, v27
	v_sub_f32_e32 v27, v23, v27
	v_add_f32_e32 v31, v21, v27
	v_pk_add_f32 v[22:23], v[24:25], v[22:23] neg_lo:[0,1] neg_hi:[0,1]
	v_pk_add_f32 v[32:33], v[24:25], v[30:31]
	v_mov_b32_e32 v27, v24
	v_mov_b32_e32 v23, v33
	v_pk_add_f32 v[34:35], v[26:27], v[22:23] neg_lo:[0,1] neg_hi:[0,1]
	v_pk_add_f32 v[22:23], v[26:27], v[22:23]
	v_mov_b32_e32 v30, v31
	v_mov_b32_e32 v26, v23
	v_pk_add_f32 v[36:37], v[26:27], v[24:25] neg_lo:[0,1] neg_hi:[0,1]
	v_mov_b32_e32 v22, v33
	v_mov_b32_e32 v21, v36
	v_pk_add_f32 v[38:39], v[32:33], v[20:21] neg_lo:[0,1] neg_hi:[0,1]
	v_mov_b32_e32 v32, v25
	v_mov_b32_e32 v33, v36
	;; [unrolled: 1-line block ×3, first 2 shown]
	v_pk_add_f32 v[22:23], v[22:23], v[32:33] neg_lo:[0,1] neg_hi:[0,1]
	v_mov_b32_e32 v31, v24
	v_pk_add_f32 v[22:23], v[30:31], v[22:23] neg_lo:[0,1] neg_hi:[0,1]
	v_mov_b32_e32 v38, v34
	v_pk_add_f32 v[24:25], v[38:39], v[22:23]
	s_mov_b32 s2, 0x33800000
	v_mov_b32_e32 v30, v25
	v_pk_add_f32 v[30:31], v[24:25], v[30:31]
	v_cmp_lt_f32_e64 s[70:71], |v40|, s2
	v_pk_add_f32 v[26:27], v[26:27], v[30:31]
	v_mov_b32_e32 v23, v30
	v_mov_b32_e32 v25, v26
	v_pk_add_f32 v[32:33], v[24:25], v[34:35] neg_lo:[0,1] neg_hi:[0,1]
	s_or_b64 s[66:67], s[66:67], s[70:71]
	v_sub_f32_e32 v21, v24, v32
	v_pk_add_f32 v[22:23], v[22:23], v[32:33] neg_lo:[0,1] neg_hi:[0,1]
	v_sub_f32_e32 v21, v34, v21
	v_add_f32_e32 v21, v22, v21
	v_add_f32_e32 v21, v21, v23
	;; [unrolled: 1-line block ×3, first 2 shown]
	v_cndmask_b32_e64 v21, v21, v40, s[66:67]
	v_add_f32_e32 v10, v10, v21
	v_cvt_f16_f32_e32 v30, v10
	v_cvt_f32_f16_e32 v32, v30
	v_mov_b32_e32 v31, v30
.LBB398_66:
	s_or_b64 exec, exec, s[68:69]
	v_cvt_f32_f16_e32 v10, v11
	v_max_f32_e32 v21, v32, v32
	v_cmp_u_f16_e64 s[68:69], v30, v30
	v_cmp_u_f16_e64 s[66:67], v11, v11
	v_min_f32_e32 v22, v21, v10
	v_max_f32_e32 v21, v21, v10
	v_cndmask_b32_e64 v22, v22, v32, s[68:69]
	v_cndmask_b32_e64 v21, v21, v32, s[68:69]
	;; [unrolled: 1-line block ×4, first 2 shown]
	v_cmp_neq_f32_e64 s[68:69], v22, v21
	v_cmp_class_f32_e64 s[70:71], v22, s33
	s_or_b64 s[68:69], s[68:69], s[70:71]
	s_and_saveexec_b64 s[70:71], s[68:69]
	s_cbranch_execz .LBB398_68
; %bb.67:
	v_sub_f32_e32 v22, v22, v21
	s_mov_b32 s2, 0x3fb8aa3b
	v_mul_f32_e32 v23, 0x3fb8aa3b, v22
	v_fma_f32 v24, v22, s2, -v23
	v_rndne_f32_e32 v25, v23
	v_fmamk_f32 v24, v22, 0x32a5705f, v24
	v_sub_f32_e32 v23, v23, v25
	v_add_f32_e32 v23, v23, v24
	v_exp_f32_e32 v23, v23
	v_cvt_i32_f32_e32 v24, v25
	s_mov_b32 s2, 0xc2ce8ed0
	v_cmp_ngt_f32_e64 s[68:69], s2, v22
	s_mov_b32 s2, 0x42b17218
	v_ldexp_f32 v23, v23, v24
	v_cndmask_b32_e64 v23, 0, v23, s[68:69]
	v_mov_b32_e32 v24, 0x7f800000
	v_cmp_nlt_f32_e64 s[68:69], s2, v22
	s_mov_b32 s2, 0x3f2aaaab
	s_mov_b32 s3, 0x7f800000
	v_cndmask_b32_e64 v40, v24, v23, s[68:69]
	v_add_f32_e32 v24, 1.0, v40
	v_add_f32_e32 v22, -1.0, v24
	v_sub_f32_e32 v23, v22, v24
	v_add_f32_e32 v23, 1.0, v23
	v_sub_f32_e32 v22, v40, v22
	v_add_f32_e32 v25, v22, v23
	v_frexp_mant_f32_e32 v26, v24
	v_cvt_f64_f32_e32 v[22:23], v24
	v_frexp_exp_i32_f64_e32 v22, v[22:23]
	v_cmp_gt_f32_e64 s[68:69], s2, v26
	s_mov_b32 s2, 0x3f317218
	s_nop 0
	v_subbrev_co_u32_e64 v32, s[68:69], 0, v22, s[68:69]
	v_sub_u32_e32 v22, 0, v32
	v_ldexp_f32 v23, v24, v22
	v_add_f32_e32 v24, -1.0, v23
	v_add_f32_e32 v26, 1.0, v23
	v_ldexp_f32 v22, v25, v22
	v_add_f32_e32 v25, 1.0, v24
	v_add_f32_e32 v27, -1.0, v26
	v_sub_f32_e32 v25, v23, v25
	v_sub_f32_e32 v23, v23, v27
	v_add_f32_e32 v25, v22, v25
	v_add_f32_e32 v22, v22, v23
	v_add_f32_e32 v33, v26, v22
	v_rcp_f32_e32 v35, v33
	v_sub_f32_e32 v23, v26, v33
	v_add_f32_e32 v34, v22, v23
	v_add_f32_e32 v23, v24, v25
	v_mul_f32_e32 v37, v23, v35
	v_sub_f32_e32 v22, v24, v23
	v_mul_f32_e32 v24, v33, v37
	v_fma_f32 v26, v37, v33, -v24
	v_fmac_f32_e32 v26, v37, v34
	v_add_f32_e32 v36, v25, v22
	v_add_f32_e32 v22, v24, v26
	v_sub_f32_e32 v25, v23, v22
	v_pk_add_f32 v[30:31], v[22:23], v[24:25] neg_lo:[0,1] neg_hi:[0,1]
	v_mov_b32_e32 v27, v22
	v_pk_add_f32 v[22:23], v[30:31], v[26:27] neg_lo:[0,1] neg_hi:[0,1]
	v_cmp_eq_f32_e64 s[68:69], s3, v40
	v_add_f32_e32 v23, v36, v23
	v_add_f32_e32 v22, v22, v23
	;; [unrolled: 1-line block ×3, first 2 shown]
	v_mul_f32_e32 v36, v35, v23
	v_mul_f32_e32 v24, v33, v36
	v_fma_f32 v26, v36, v33, -v24
	v_fmac_f32_e32 v26, v36, v34
	v_sub_f32_e32 v25, v25, v23
	v_add_f32_e32 v33, v22, v25
	v_add_f32_e32 v22, v24, v26
	v_sub_f32_e32 v25, v23, v22
	v_pk_add_f32 v[30:31], v[22:23], v[24:25] neg_lo:[0,1] neg_hi:[0,1]
	v_mov_b32_e32 v27, v22
	v_pk_add_f32 v[22:23], v[30:31], v[26:27] neg_lo:[0,1] neg_hi:[0,1]
	v_cvt_f32_i32_e32 v24, v32
	v_add_f32_e32 v23, v33, v23
	v_add_f32_e32 v22, v22, v23
	;; [unrolled: 1-line block ×4, first 2 shown]
	v_sub_f32_e32 v23, v25, v37
	v_mul_f32_e32 v22, v35, v22
	v_sub_f32_e32 v23, v36, v23
	v_add_f32_e32 v22, v23, v22
	v_add_f32_e32 v26, v25, v22
	v_mul_f32_e32 v30, v26, v26
	v_mov_b32_e32 v23, 0x3ecc95a3
	v_sub_f32_e32 v25, v26, v25
	v_fmac_f32_e32 v23, 0x3e9b6dac, v30
	v_sub_f32_e32 v22, v22, v25
	v_fmaak_f32 v23, v30, v23, 0x3f2aaada
	v_ldexp_f32 v31, v22, 1
	v_mul_f32_e32 v25, v26, v30
	v_mov_b32_e32 v22, 0x3f317218
	v_pk_mul_f32 v[22:23], v[24:25], v[22:23]
	v_ldexp_f32 v27, v26, 1
	v_fma_f32 v25, v24, s2, -v22
	v_fmamk_f32 v26, v24, 0xb102e308, v25
	v_pk_add_f32 v[24:25], v[22:23], v[26:27]
	v_mov_b32_e32 v30, v22
	v_sub_f32_e32 v27, v25, v27
	v_sub_f32_e32 v27, v23, v27
	v_add_f32_e32 v31, v31, v27
	v_pk_add_f32 v[22:23], v[24:25], v[22:23] neg_lo:[0,1] neg_hi:[0,1]
	v_pk_add_f32 v[32:33], v[24:25], v[30:31]
	v_mov_b32_e32 v27, v24
	v_mov_b32_e32 v23, v33
	v_pk_add_f32 v[34:35], v[26:27], v[22:23] neg_lo:[0,1] neg_hi:[0,1]
	v_pk_add_f32 v[22:23], v[26:27], v[22:23]
	v_mov_b32_e32 v30, v31
	v_mov_b32_e32 v26, v23
	v_pk_add_f32 v[36:37], v[26:27], v[24:25] neg_lo:[0,1] neg_hi:[0,1]
	v_mov_b32_e32 v22, v33
	v_mov_b32_e32 v27, v36
	v_pk_add_f32 v[38:39], v[32:33], v[26:27] neg_lo:[0,1] neg_hi:[0,1]
	v_mov_b32_e32 v32, v25
	v_mov_b32_e32 v33, v36
	;; [unrolled: 1-line block ×3, first 2 shown]
	v_pk_add_f32 v[22:23], v[22:23], v[32:33] neg_lo:[0,1] neg_hi:[0,1]
	v_mov_b32_e32 v31, v24
	v_pk_add_f32 v[22:23], v[30:31], v[22:23] neg_lo:[0,1] neg_hi:[0,1]
	v_mov_b32_e32 v38, v34
	v_pk_add_f32 v[24:25], v[38:39], v[22:23]
	s_mov_b32 s2, 0x33800000
	v_mov_b32_e32 v30, v25
	v_pk_add_f32 v[30:31], v[24:25], v[30:31]
	v_cmp_lt_f32_e64 s[72:73], |v40|, s2
	v_pk_add_f32 v[26:27], v[26:27], v[30:31]
	v_mov_b32_e32 v23, v30
	v_mov_b32_e32 v25, v26
	v_pk_add_f32 v[32:33], v[24:25], v[34:35] neg_lo:[0,1] neg_hi:[0,1]
	s_or_b64 s[68:69], s[68:69], s[72:73]
	v_sub_f32_e32 v24, v24, v32
	v_pk_add_f32 v[22:23], v[22:23], v[32:33] neg_lo:[0,1] neg_hi:[0,1]
	v_sub_f32_e32 v24, v34, v24
	v_add_f32_e32 v22, v22, v24
	v_add_f32_e32 v22, v22, v23
	;; [unrolled: 1-line block ×3, first 2 shown]
	v_cndmask_b32_e64 v22, v22, v40, s[68:69]
	v_add_f32_e32 v21, v21, v22
	v_cvt_f16_f32_e32 v30, v21
	v_cvt_f32_f16_e32 v32, v30
	v_mov_b32_e32 v31, v30
.LBB398_68:
	s_or_b64 exec, exec, s[70:71]
	v_cvt_f32_f16_sdwa v21, v11 dst_sel:DWORD dst_unused:UNUSED_PAD src0_sel:WORD_1
	v_max_f32_e32 v23, v32, v32
	v_cmp_u_f16_e64 s[70:71], v30, v30
	v_cmp_u_f16_sdwa s[68:69], v11, v11 src0_sel:WORD_1 src1_sel:WORD_1
	v_min_f32_e32 v22, v23, v21
	v_max_f32_e32 v11, v23, v21
	v_cndmask_b32_e64 v22, v22, v32, s[70:71]
	v_cndmask_b32_e64 v11, v11, v32, s[70:71]
	;; [unrolled: 1-line block ×4, first 2 shown]
	v_cmp_neq_f32_e64 s[70:71], v22, v11
	v_cmp_class_f32_e64 s[72:73], v22, s33
	s_or_b64 s[70:71], s[70:71], s[72:73]
	s_and_saveexec_b64 s[72:73], s[70:71]
	s_cbranch_execz .LBB398_70
; %bb.69:
	v_sub_f32_e32 v22, v22, v11
	s_mov_b32 s2, 0x3fb8aa3b
	v_mul_f32_e32 v23, 0x3fb8aa3b, v22
	v_fma_f32 v24, v22, s2, -v23
	v_rndne_f32_e32 v25, v23
	v_fmamk_f32 v24, v22, 0x32a5705f, v24
	v_sub_f32_e32 v23, v23, v25
	v_add_f32_e32 v23, v23, v24
	v_exp_f32_e32 v23, v23
	v_cvt_i32_f32_e32 v24, v25
	s_mov_b32 s2, 0xc2ce8ed0
	v_cmp_ngt_f32_e64 s[70:71], s2, v22
	s_mov_b32 s2, 0x42b17218
	v_ldexp_f32 v23, v23, v24
	v_cndmask_b32_e64 v23, 0, v23, s[70:71]
	v_mov_b32_e32 v24, 0x7f800000
	v_cmp_nlt_f32_e64 s[70:71], s2, v22
	s_mov_b32 s2, 0x3f2aaaab
	s_mov_b32 s3, 0x7f800000
	v_cndmask_b32_e64 v40, v24, v23, s[70:71]
	v_add_f32_e32 v24, 1.0, v40
	v_add_f32_e32 v22, -1.0, v24
	v_sub_f32_e32 v23, v22, v24
	v_add_f32_e32 v23, 1.0, v23
	v_sub_f32_e32 v22, v40, v22
	v_add_f32_e32 v25, v22, v23
	v_frexp_mant_f32_e32 v26, v24
	v_cvt_f64_f32_e32 v[22:23], v24
	v_frexp_exp_i32_f64_e32 v22, v[22:23]
	v_cmp_gt_f32_e64 s[70:71], s2, v26
	s_mov_b32 s2, 0x3f317218
	s_nop 0
	v_subbrev_co_u32_e64 v32, s[70:71], 0, v22, s[70:71]
	v_sub_u32_e32 v22, 0, v32
	v_ldexp_f32 v23, v24, v22
	v_add_f32_e32 v24, -1.0, v23
	v_add_f32_e32 v26, 1.0, v23
	v_ldexp_f32 v22, v25, v22
	v_add_f32_e32 v25, 1.0, v24
	v_add_f32_e32 v27, -1.0, v26
	v_sub_f32_e32 v25, v23, v25
	v_sub_f32_e32 v23, v23, v27
	v_add_f32_e32 v25, v22, v25
	v_add_f32_e32 v22, v22, v23
	;; [unrolled: 1-line block ×3, first 2 shown]
	v_rcp_f32_e32 v35, v33
	v_sub_f32_e32 v23, v26, v33
	v_add_f32_e32 v34, v22, v23
	v_add_f32_e32 v23, v24, v25
	v_mul_f32_e32 v37, v23, v35
	v_sub_f32_e32 v22, v24, v23
	v_mul_f32_e32 v24, v33, v37
	v_fma_f32 v26, v37, v33, -v24
	v_fmac_f32_e32 v26, v37, v34
	v_add_f32_e32 v36, v25, v22
	v_add_f32_e32 v22, v24, v26
	v_sub_f32_e32 v25, v23, v22
	v_pk_add_f32 v[30:31], v[22:23], v[24:25] neg_lo:[0,1] neg_hi:[0,1]
	v_mov_b32_e32 v27, v22
	v_pk_add_f32 v[22:23], v[30:31], v[26:27] neg_lo:[0,1] neg_hi:[0,1]
	v_cmp_eq_f32_e64 s[70:71], s3, v40
	v_add_f32_e32 v23, v36, v23
	v_add_f32_e32 v22, v22, v23
	;; [unrolled: 1-line block ×3, first 2 shown]
	v_mul_f32_e32 v36, v35, v23
	v_mul_f32_e32 v24, v33, v36
	v_fma_f32 v26, v36, v33, -v24
	v_fmac_f32_e32 v26, v36, v34
	v_sub_f32_e32 v25, v25, v23
	v_add_f32_e32 v33, v22, v25
	v_add_f32_e32 v22, v24, v26
	v_sub_f32_e32 v25, v23, v22
	v_pk_add_f32 v[30:31], v[22:23], v[24:25] neg_lo:[0,1] neg_hi:[0,1]
	v_mov_b32_e32 v27, v22
	v_pk_add_f32 v[22:23], v[30:31], v[26:27] neg_lo:[0,1] neg_hi:[0,1]
	v_cvt_f32_i32_e32 v24, v32
	v_add_f32_e32 v23, v33, v23
	v_add_f32_e32 v22, v22, v23
	;; [unrolled: 1-line block ×4, first 2 shown]
	v_sub_f32_e32 v23, v25, v37
	v_mul_f32_e32 v22, v35, v22
	v_sub_f32_e32 v23, v36, v23
	v_add_f32_e32 v22, v23, v22
	v_add_f32_e32 v26, v25, v22
	v_mul_f32_e32 v30, v26, v26
	v_mov_b32_e32 v23, 0x3ecc95a3
	v_sub_f32_e32 v25, v26, v25
	v_fmac_f32_e32 v23, 0x3e9b6dac, v30
	v_sub_f32_e32 v22, v22, v25
	v_fmaak_f32 v23, v30, v23, 0x3f2aaada
	v_ldexp_f32 v31, v22, 1
	v_mul_f32_e32 v25, v26, v30
	v_mov_b32_e32 v22, 0x3f317218
	v_pk_mul_f32 v[22:23], v[24:25], v[22:23]
	v_ldexp_f32 v27, v26, 1
	v_fma_f32 v25, v24, s2, -v22
	v_fmamk_f32 v26, v24, 0xb102e308, v25
	v_pk_add_f32 v[24:25], v[22:23], v[26:27]
	v_mov_b32_e32 v30, v22
	v_sub_f32_e32 v27, v25, v27
	v_sub_f32_e32 v27, v23, v27
	v_add_f32_e32 v31, v31, v27
	v_pk_add_f32 v[22:23], v[24:25], v[22:23] neg_lo:[0,1] neg_hi:[0,1]
	v_pk_add_f32 v[32:33], v[24:25], v[30:31]
	v_mov_b32_e32 v27, v24
	v_mov_b32_e32 v23, v33
	v_pk_add_f32 v[34:35], v[26:27], v[22:23] neg_lo:[0,1] neg_hi:[0,1]
	v_pk_add_f32 v[22:23], v[26:27], v[22:23]
	v_mov_b32_e32 v30, v31
	v_mov_b32_e32 v26, v23
	v_pk_add_f32 v[36:37], v[26:27], v[24:25] neg_lo:[0,1] neg_hi:[0,1]
	v_mov_b32_e32 v22, v33
	v_mov_b32_e32 v27, v36
	v_pk_add_f32 v[38:39], v[32:33], v[26:27] neg_lo:[0,1] neg_hi:[0,1]
	v_mov_b32_e32 v32, v25
	v_mov_b32_e32 v33, v36
	v_mov_b32_e32 v35, v23
	v_pk_add_f32 v[22:23], v[22:23], v[32:33] neg_lo:[0,1] neg_hi:[0,1]
	v_mov_b32_e32 v31, v24
	v_pk_add_f32 v[22:23], v[30:31], v[22:23] neg_lo:[0,1] neg_hi:[0,1]
	v_mov_b32_e32 v38, v34
	v_pk_add_f32 v[24:25], v[38:39], v[22:23]
	s_mov_b32 s2, 0x33800000
	v_mov_b32_e32 v30, v25
	v_pk_add_f32 v[30:31], v[24:25], v[30:31]
	v_cmp_lt_f32_e64 s[74:75], |v40|, s2
	v_pk_add_f32 v[26:27], v[26:27], v[30:31]
	v_mov_b32_e32 v23, v30
	v_mov_b32_e32 v25, v26
	v_pk_add_f32 v[32:33], v[24:25], v[34:35] neg_lo:[0,1] neg_hi:[0,1]
	s_or_b64 s[70:71], s[70:71], s[74:75]
	v_sub_f32_e32 v24, v24, v32
	v_pk_add_f32 v[22:23], v[22:23], v[32:33] neg_lo:[0,1] neg_hi:[0,1]
	v_sub_f32_e32 v24, v34, v24
	v_add_f32_e32 v22, v22, v24
	v_add_f32_e32 v22, v22, v23
	;; [unrolled: 1-line block ×3, first 2 shown]
	v_cndmask_b32_e64 v22, v22, v40, s[70:71]
	v_add_f32_e32 v11, v11, v22
	v_cvt_f16_f32_e32 v30, v11
	v_cvt_f32_f16_e32 v32, v30
	v_mov_b32_e32 v31, v30
.LBB398_70:
	s_or_b64 exec, exec, s[72:73]
	v_cvt_f32_f16_e32 v11, v12
	v_max_f32_e32 v22, v32, v32
	v_cmp_u_f16_e64 s[72:73], v30, v30
	v_cmp_u_f16_e64 s[70:71], v12, v12
	v_min_f32_e32 v23, v22, v11
	v_max_f32_e32 v22, v22, v11
	v_cndmask_b32_e64 v23, v23, v32, s[72:73]
	v_cndmask_b32_e64 v22, v22, v32, s[72:73]
	v_cndmask_b32_e64 v23, v23, v11, s[70:71]
	v_cndmask_b32_e64 v22, v22, v11, s[70:71]
	v_cmp_neq_f32_e64 s[72:73], v23, v22
	v_cmp_class_f32_e64 s[74:75], v23, s33
	s_or_b64 s[72:73], s[72:73], s[74:75]
	s_and_saveexec_b64 s[74:75], s[72:73]
	s_cbranch_execz .LBB398_72
; %bb.71:
	v_sub_f32_e32 v23, v23, v22
	s_mov_b32 s2, 0x3fb8aa3b
	v_mul_f32_e32 v24, 0x3fb8aa3b, v23
	v_fma_f32 v25, v23, s2, -v24
	v_rndne_f32_e32 v26, v24
	v_fmamk_f32 v25, v23, 0x32a5705f, v25
	v_sub_f32_e32 v24, v24, v26
	v_add_f32_e32 v24, v24, v25
	v_exp_f32_e32 v24, v24
	v_cvt_i32_f32_e32 v25, v26
	s_mov_b32 s2, 0xc2ce8ed0
	v_cmp_ngt_f32_e64 s[72:73], s2, v23
	s_mov_b32 s2, 0x42b17218
	v_ldexp_f32 v24, v24, v25
	v_cndmask_b32_e64 v24, 0, v24, s[72:73]
	v_mov_b32_e32 v25, 0x7f800000
	v_cmp_nlt_f32_e64 s[72:73], s2, v23
	s_mov_b32 s2, 0x3f2aaaab
	s_mov_b32 s3, 0x7f800000
	v_cndmask_b32_e64 v42, v25, v24, s[72:73]
	v_add_f32_e32 v23, 1.0, v42
	v_add_f32_e32 v24, -1.0, v23
	v_sub_f32_e32 v25, v24, v23
	v_add_f32_e32 v25, 1.0, v25
	v_sub_f32_e32 v24, v42, v24
	v_add_f32_e32 v26, v24, v25
	v_frexp_mant_f32_e32 v27, v23
	v_cvt_f64_f32_e32 v[24:25], v23
	v_frexp_exp_i32_f64_e32 v24, v[24:25]
	v_cmp_gt_f32_e64 s[72:73], s2, v27
	s_mov_b32 s2, 0x3f317218
	s_nop 0
	v_subbrev_co_u32_e64 v34, s[72:73], 0, v24, s[72:73]
	v_sub_u32_e32 v24, 0, v34
	v_ldexp_f32 v23, v23, v24
	v_ldexp_f32 v24, v26, v24
	v_add_f32_e32 v26, -1.0, v23
	v_add_f32_e32 v25, 1.0, v26
	v_sub_f32_e32 v25, v23, v25
	v_add_f32_e32 v27, v24, v25
	v_add_f32_e32 v25, 1.0, v23
	v_add_f32_e32 v30, -1.0, v25
	v_sub_f32_e32 v23, v23, v30
	v_add_f32_e32 v23, v24, v23
	v_add_f32_e32 v35, v25, v23
	v_rcp_f32_e32 v36, v35
	v_sub_f32_e32 v24, v25, v35
	v_add_f32_e32 v25, v26, v27
	v_add_f32_e32 v23, v23, v24
	v_mul_f32_e32 v38, v25, v36
	v_sub_f32_e32 v24, v26, v25
	v_mul_f32_e32 v26, v35, v38
	v_fma_f32 v30, v38, v35, -v26
	v_fmac_f32_e32 v30, v38, v23
	v_add_f32_e32 v37, v27, v24
	v_add_f32_e32 v24, v26, v30
	v_sub_f32_e32 v27, v25, v24
	v_pk_add_f32 v[32:33], v[24:25], v[26:27] neg_lo:[0,1] neg_hi:[0,1]
	v_mov_b32_e32 v31, v24
	v_pk_add_f32 v[24:25], v[32:33], v[30:31] neg_lo:[0,1] neg_hi:[0,1]
	v_cmp_eq_f32_e64 s[72:73], s3, v42
	v_add_f32_e32 v25, v37, v25
	v_add_f32_e32 v24, v24, v25
	;; [unrolled: 1-line block ×3, first 2 shown]
	v_mul_f32_e32 v37, v36, v25
	v_mul_f32_e32 v26, v35, v37
	v_fma_f32 v30, v37, v35, -v26
	v_fmac_f32_e32 v30, v37, v23
	v_sub_f32_e32 v23, v27, v25
	v_add_f32_e32 v23, v24, v23
	v_add_f32_e32 v24, v26, v30
	v_sub_f32_e32 v27, v25, v24
	v_pk_add_f32 v[32:33], v[24:25], v[26:27] neg_lo:[0,1] neg_hi:[0,1]
	v_mov_b32_e32 v31, v24
	v_pk_add_f32 v[24:25], v[32:33], v[30:31] neg_lo:[0,1] neg_hi:[0,1]
	v_cvt_f32_i32_e32 v26, v34
	v_add_f32_e32 v23, v23, v25
	v_add_f32_e32 v23, v24, v23
	;; [unrolled: 1-line block ×4, first 2 shown]
	v_sub_f32_e32 v25, v24, v38
	v_mul_f32_e32 v23, v36, v23
	v_sub_f32_e32 v25, v37, v25
	v_add_f32_e32 v23, v25, v23
	v_add_f32_e32 v27, v24, v23
	v_mul_f32_e32 v30, v27, v27
	v_mov_b32_e32 v25, 0x3ecc95a3
	v_fmac_f32_e32 v25, 0x3e9b6dac, v30
	v_sub_f32_e32 v24, v27, v24
	v_fmaak_f32 v25, v30, v25, 0x3f2aaada
	v_sub_f32_e32 v23, v23, v24
	v_ldexp_f32 v31, v27, 1
	v_mul_f32_e32 v27, v27, v30
	v_mov_b32_e32 v24, 0x3f317218
	v_pk_mul_f32 v[24:25], v[26:27], v[24:25]
	v_ldexp_f32 v23, v23, 1
	v_fma_f32 v27, v26, s2, -v24
	v_fmamk_f32 v30, v26, 0xb102e308, v27
	v_pk_add_f32 v[26:27], v[24:25], v[30:31]
	v_mov_b32_e32 v32, v24
	v_sub_f32_e32 v31, v27, v31
	v_sub_f32_e32 v31, v25, v31
	v_add_f32_e32 v33, v23, v31
	v_pk_add_f32 v[24:25], v[26:27], v[24:25] neg_lo:[0,1] neg_hi:[0,1]
	v_pk_add_f32 v[34:35], v[26:27], v[32:33]
	v_mov_b32_e32 v31, v26
	v_mov_b32_e32 v25, v35
	v_pk_add_f32 v[36:37], v[30:31], v[24:25] neg_lo:[0,1] neg_hi:[0,1]
	v_pk_add_f32 v[24:25], v[30:31], v[24:25]
	v_mov_b32_e32 v32, v33
	v_mov_b32_e32 v30, v25
	v_pk_add_f32 v[38:39], v[30:31], v[26:27] neg_lo:[0,1] neg_hi:[0,1]
	v_mov_b32_e32 v24, v35
	v_mov_b32_e32 v23, v38
	v_pk_add_f32 v[40:41], v[34:35], v[22:23] neg_lo:[0,1] neg_hi:[0,1]
	v_mov_b32_e32 v34, v27
	v_mov_b32_e32 v35, v38
	;; [unrolled: 1-line block ×3, first 2 shown]
	v_pk_add_f32 v[24:25], v[24:25], v[34:35] neg_lo:[0,1] neg_hi:[0,1]
	v_mov_b32_e32 v33, v26
	v_pk_add_f32 v[24:25], v[32:33], v[24:25] neg_lo:[0,1] neg_hi:[0,1]
	v_mov_b32_e32 v40, v36
	v_pk_add_f32 v[26:27], v[40:41], v[24:25]
	s_mov_b32 s2, 0x33800000
	v_mov_b32_e32 v32, v27
	v_pk_add_f32 v[32:33], v[26:27], v[32:33]
	v_cmp_lt_f32_e64 s[76:77], |v42|, s2
	v_pk_add_f32 v[30:31], v[30:31], v[32:33]
	v_mov_b32_e32 v25, v32
	v_mov_b32_e32 v27, v30
	v_pk_add_f32 v[34:35], v[26:27], v[36:37] neg_lo:[0,1] neg_hi:[0,1]
	s_or_b64 s[72:73], s[72:73], s[76:77]
	v_sub_f32_e32 v23, v26, v34
	v_pk_add_f32 v[24:25], v[24:25], v[34:35] neg_lo:[0,1] neg_hi:[0,1]
	v_sub_f32_e32 v23, v36, v23
	v_add_f32_e32 v23, v24, v23
	v_add_f32_e32 v23, v23, v25
	v_add_f32_e32 v23, v30, v23
	v_cndmask_b32_e64 v23, v23, v42, s[72:73]
	v_add_f32_e32 v22, v22, v23
	v_cvt_f16_f32_e32 v30, v22
	v_cvt_f32_f16_e32 v32, v30
	v_mov_b32_e32 v31, v30
.LBB398_72:
	s_or_b64 exec, exec, s[74:75]
	v_cvt_f32_f16_sdwa v22, v12 dst_sel:DWORD dst_unused:UNUSED_PAD src0_sel:WORD_1
	v_max_f32_e32 v24, v32, v32
	v_cmp_u_f16_e64 s[74:75], v30, v30
	v_cmp_u_f16_sdwa s[72:73], v12, v12 src0_sel:WORD_1 src1_sel:WORD_1
	v_min_f32_e32 v23, v24, v22
	v_max_f32_e32 v12, v24, v22
	v_cndmask_b32_e64 v23, v23, v32, s[74:75]
	v_cndmask_b32_e64 v12, v12, v32, s[74:75]
	v_cndmask_b32_e64 v23, v23, v22, s[72:73]
	v_cndmask_b32_e64 v12, v12, v22, s[72:73]
	v_cmp_neq_f32_e64 s[74:75], v23, v12
	v_cmp_class_f32_e64 s[76:77], v23, s33
	s_or_b64 s[74:75], s[74:75], s[76:77]
	s_and_saveexec_b64 s[76:77], s[74:75]
	s_cbranch_execz .LBB398_74
; %bb.73:
	v_sub_f32_e32 v23, v23, v12
	s_mov_b32 s2, 0x3fb8aa3b
	v_mul_f32_e32 v24, 0x3fb8aa3b, v23
	v_fma_f32 v25, v23, s2, -v24
	v_rndne_f32_e32 v26, v24
	v_fmamk_f32 v25, v23, 0x32a5705f, v25
	v_sub_f32_e32 v24, v24, v26
	v_add_f32_e32 v24, v24, v25
	v_exp_f32_e32 v24, v24
	v_cvt_i32_f32_e32 v25, v26
	s_mov_b32 s2, 0xc2ce8ed0
	v_cmp_ngt_f32_e64 s[74:75], s2, v23
	s_mov_b32 s2, 0x42b17218
	v_ldexp_f32 v24, v24, v25
	v_cndmask_b32_e64 v24, 0, v24, s[74:75]
	v_mov_b32_e32 v25, 0x7f800000
	v_cmp_nlt_f32_e64 s[74:75], s2, v23
	s_mov_b32 s2, 0x3f2aaaab
	s_mov_b32 s3, 0x7f800000
	v_cndmask_b32_e64 v42, v25, v24, s[74:75]
	v_add_f32_e32 v23, 1.0, v42
	v_add_f32_e32 v24, -1.0, v23
	v_sub_f32_e32 v25, v24, v23
	v_add_f32_e32 v25, 1.0, v25
	v_sub_f32_e32 v24, v42, v24
	v_add_f32_e32 v26, v24, v25
	v_frexp_mant_f32_e32 v27, v23
	v_cvt_f64_f32_e32 v[24:25], v23
	v_frexp_exp_i32_f64_e32 v24, v[24:25]
	v_cmp_gt_f32_e64 s[74:75], s2, v27
	s_mov_b32 s2, 0x3f317218
	s_nop 0
	v_subbrev_co_u32_e64 v34, s[74:75], 0, v24, s[74:75]
	v_sub_u32_e32 v24, 0, v34
	v_ldexp_f32 v23, v23, v24
	v_ldexp_f32 v24, v26, v24
	v_add_f32_e32 v26, -1.0, v23
	v_add_f32_e32 v25, 1.0, v26
	v_sub_f32_e32 v25, v23, v25
	v_add_f32_e32 v27, v24, v25
	v_add_f32_e32 v25, 1.0, v23
	v_add_f32_e32 v30, -1.0, v25
	v_sub_f32_e32 v23, v23, v30
	v_add_f32_e32 v23, v24, v23
	v_add_f32_e32 v35, v25, v23
	v_rcp_f32_e32 v36, v35
	v_sub_f32_e32 v24, v25, v35
	v_add_f32_e32 v25, v26, v27
	v_add_f32_e32 v23, v23, v24
	v_mul_f32_e32 v38, v25, v36
	v_sub_f32_e32 v24, v26, v25
	v_mul_f32_e32 v26, v35, v38
	v_fma_f32 v30, v38, v35, -v26
	v_fmac_f32_e32 v30, v38, v23
	v_add_f32_e32 v37, v27, v24
	v_add_f32_e32 v24, v26, v30
	v_sub_f32_e32 v27, v25, v24
	v_pk_add_f32 v[32:33], v[24:25], v[26:27] neg_lo:[0,1] neg_hi:[0,1]
	v_mov_b32_e32 v31, v24
	v_pk_add_f32 v[24:25], v[32:33], v[30:31] neg_lo:[0,1] neg_hi:[0,1]
	v_cmp_eq_f32_e64 s[74:75], s3, v42
	v_add_f32_e32 v25, v37, v25
	v_add_f32_e32 v24, v24, v25
	;; [unrolled: 1-line block ×3, first 2 shown]
	v_mul_f32_e32 v37, v36, v25
	v_mul_f32_e32 v26, v35, v37
	v_fma_f32 v30, v37, v35, -v26
	v_fmac_f32_e32 v30, v37, v23
	v_sub_f32_e32 v23, v27, v25
	v_add_f32_e32 v23, v24, v23
	v_add_f32_e32 v24, v26, v30
	v_sub_f32_e32 v27, v25, v24
	v_pk_add_f32 v[32:33], v[24:25], v[26:27] neg_lo:[0,1] neg_hi:[0,1]
	v_mov_b32_e32 v31, v24
	v_pk_add_f32 v[24:25], v[32:33], v[30:31] neg_lo:[0,1] neg_hi:[0,1]
	v_cvt_f32_i32_e32 v26, v34
	v_add_f32_e32 v23, v23, v25
	v_add_f32_e32 v23, v24, v23
	;; [unrolled: 1-line block ×4, first 2 shown]
	v_sub_f32_e32 v25, v24, v38
	v_mul_f32_e32 v23, v36, v23
	v_sub_f32_e32 v25, v37, v25
	v_add_f32_e32 v23, v25, v23
	v_add_f32_e32 v27, v24, v23
	v_mul_f32_e32 v30, v27, v27
	v_mov_b32_e32 v25, 0x3ecc95a3
	v_fmac_f32_e32 v25, 0x3e9b6dac, v30
	v_sub_f32_e32 v24, v27, v24
	v_fmaak_f32 v25, v30, v25, 0x3f2aaada
	v_sub_f32_e32 v23, v23, v24
	v_ldexp_f32 v31, v27, 1
	v_mul_f32_e32 v27, v27, v30
	v_mov_b32_e32 v24, 0x3f317218
	v_pk_mul_f32 v[24:25], v[26:27], v[24:25]
	v_ldexp_f32 v23, v23, 1
	v_fma_f32 v27, v26, s2, -v24
	v_fmamk_f32 v30, v26, 0xb102e308, v27
	v_pk_add_f32 v[26:27], v[24:25], v[30:31]
	v_mov_b32_e32 v32, v24
	v_sub_f32_e32 v31, v27, v31
	v_sub_f32_e32 v31, v25, v31
	v_add_f32_e32 v33, v23, v31
	v_pk_add_f32 v[24:25], v[26:27], v[24:25] neg_lo:[0,1] neg_hi:[0,1]
	v_pk_add_f32 v[34:35], v[26:27], v[32:33]
	v_mov_b32_e32 v31, v26
	v_mov_b32_e32 v25, v35
	v_pk_add_f32 v[36:37], v[30:31], v[24:25] neg_lo:[0,1] neg_hi:[0,1]
	v_pk_add_f32 v[24:25], v[30:31], v[24:25]
	v_mov_b32_e32 v32, v33
	v_mov_b32_e32 v30, v25
	v_pk_add_f32 v[38:39], v[30:31], v[26:27] neg_lo:[0,1] neg_hi:[0,1]
	v_mov_b32_e32 v24, v35
	v_mov_b32_e32 v23, v38
	v_pk_add_f32 v[40:41], v[34:35], v[22:23] neg_lo:[0,1] neg_hi:[0,1]
	v_mov_b32_e32 v34, v27
	v_mov_b32_e32 v35, v38
	;; [unrolled: 1-line block ×3, first 2 shown]
	v_pk_add_f32 v[24:25], v[24:25], v[34:35] neg_lo:[0,1] neg_hi:[0,1]
	v_mov_b32_e32 v33, v26
	v_pk_add_f32 v[24:25], v[32:33], v[24:25] neg_lo:[0,1] neg_hi:[0,1]
	v_mov_b32_e32 v40, v36
	v_pk_add_f32 v[26:27], v[40:41], v[24:25]
	s_mov_b32 s2, 0x33800000
	v_mov_b32_e32 v32, v27
	v_pk_add_f32 v[32:33], v[26:27], v[32:33]
	v_cmp_lt_f32_e64 s[78:79], |v42|, s2
	v_pk_add_f32 v[30:31], v[30:31], v[32:33]
	v_mov_b32_e32 v25, v32
	v_mov_b32_e32 v27, v30
	v_pk_add_f32 v[34:35], v[26:27], v[36:37] neg_lo:[0,1] neg_hi:[0,1]
	s_or_b64 s[74:75], s[74:75], s[78:79]
	v_sub_f32_e32 v23, v26, v34
	v_pk_add_f32 v[24:25], v[24:25], v[34:35] neg_lo:[0,1] neg_hi:[0,1]
	v_sub_f32_e32 v23, v36, v23
	v_add_f32_e32 v23, v24, v23
	v_add_f32_e32 v23, v23, v25
	;; [unrolled: 1-line block ×3, first 2 shown]
	v_cndmask_b32_e64 v23, v23, v42, s[74:75]
	v_add_f32_e32 v12, v12, v23
	v_cvt_f16_f32_e32 v30, v12
	v_cvt_f32_f16_e32 v32, v30
	v_mov_b32_e32 v31, v30
.LBB398_74:
	s_or_b64 exec, exec, s[76:77]
	v_cvt_f32_f16_e32 v12, v13
	v_max_f32_e32 v23, v32, v32
	v_cmp_u_f16_e64 s[76:77], v30, v30
	v_cmp_u_f16_e64 s[74:75], v13, v13
	v_min_f32_e32 v24, v23, v12
	v_max_f32_e32 v23, v23, v12
	v_cndmask_b32_e64 v24, v24, v32, s[76:77]
	v_cndmask_b32_e64 v23, v23, v32, s[76:77]
	;; [unrolled: 1-line block ×4, first 2 shown]
	v_cmp_neq_f32_e64 s[76:77], v24, v23
	v_cmp_class_f32_e64 s[78:79], v24, s33
	s_or_b64 s[76:77], s[76:77], s[78:79]
	s_and_saveexec_b64 s[78:79], s[76:77]
	s_cbranch_execz .LBB398_76
; %bb.75:
	v_sub_f32_e32 v24, v24, v23
	s_mov_b32 s2, 0x3fb8aa3b
	v_mul_f32_e32 v25, 0x3fb8aa3b, v24
	v_fma_f32 v26, v24, s2, -v25
	v_rndne_f32_e32 v27, v25
	v_fmamk_f32 v26, v24, 0x32a5705f, v26
	v_sub_f32_e32 v25, v25, v27
	v_add_f32_e32 v25, v25, v26
	v_exp_f32_e32 v25, v25
	v_cvt_i32_f32_e32 v26, v27
	s_mov_b32 s2, 0xc2ce8ed0
	v_cmp_ngt_f32_e64 s[76:77], s2, v24
	s_mov_b32 s2, 0x42b17218
	v_ldexp_f32 v25, v25, v26
	v_cndmask_b32_e64 v25, 0, v25, s[76:77]
	v_mov_b32_e32 v26, 0x7f800000
	v_cmp_nlt_f32_e64 s[76:77], s2, v24
	s_mov_b32 s2, 0x3f2aaaab
	s_mov_b32 s3, 0x7f800000
	v_cndmask_b32_e64 v42, v26, v25, s[76:77]
	v_add_f32_e32 v26, 1.0, v42
	v_add_f32_e32 v24, -1.0, v26
	v_sub_f32_e32 v25, v24, v26
	v_add_f32_e32 v25, 1.0, v25
	v_sub_f32_e32 v24, v42, v24
	v_add_f32_e32 v27, v24, v25
	v_frexp_mant_f32_e32 v30, v26
	v_cvt_f64_f32_e32 v[24:25], v26
	v_frexp_exp_i32_f64_e32 v24, v[24:25]
	v_cmp_gt_f32_e64 s[76:77], s2, v30
	s_mov_b32 s2, 0x3f317218
	s_nop 0
	v_subbrev_co_u32_e64 v34, s[76:77], 0, v24, s[76:77]
	v_sub_u32_e32 v24, 0, v34
	v_ldexp_f32 v25, v26, v24
	v_add_f32_e32 v26, -1.0, v25
	v_add_f32_e32 v30, 1.0, v25
	v_ldexp_f32 v24, v27, v24
	v_add_f32_e32 v27, 1.0, v26
	v_add_f32_e32 v31, -1.0, v30
	v_sub_f32_e32 v27, v25, v27
	v_sub_f32_e32 v25, v25, v31
	v_add_f32_e32 v27, v24, v27
	v_add_f32_e32 v24, v24, v25
	;; [unrolled: 1-line block ×3, first 2 shown]
	v_rcp_f32_e32 v37, v35
	v_sub_f32_e32 v25, v30, v35
	v_add_f32_e32 v36, v24, v25
	v_add_f32_e32 v25, v26, v27
	v_mul_f32_e32 v39, v25, v37
	v_sub_f32_e32 v24, v26, v25
	v_mul_f32_e32 v26, v35, v39
	v_fma_f32 v30, v39, v35, -v26
	v_fmac_f32_e32 v30, v39, v36
	v_add_f32_e32 v38, v27, v24
	v_add_f32_e32 v24, v26, v30
	v_sub_f32_e32 v27, v25, v24
	v_pk_add_f32 v[32:33], v[24:25], v[26:27] neg_lo:[0,1] neg_hi:[0,1]
	v_mov_b32_e32 v31, v24
	v_pk_add_f32 v[24:25], v[32:33], v[30:31] neg_lo:[0,1] neg_hi:[0,1]
	v_cmp_eq_f32_e64 s[76:77], s3, v42
	v_add_f32_e32 v25, v38, v25
	v_add_f32_e32 v24, v24, v25
	v_add_f32_e32 v25, v27, v24
	v_mul_f32_e32 v38, v37, v25
	v_mul_f32_e32 v26, v35, v38
	v_fma_f32 v30, v38, v35, -v26
	v_fmac_f32_e32 v30, v38, v36
	v_sub_f32_e32 v27, v27, v25
	v_add_f32_e32 v35, v24, v27
	v_add_f32_e32 v24, v26, v30
	v_sub_f32_e32 v27, v25, v24
	v_pk_add_f32 v[32:33], v[24:25], v[26:27] neg_lo:[0,1] neg_hi:[0,1]
	v_mov_b32_e32 v31, v24
	v_pk_add_f32 v[24:25], v[32:33], v[30:31] neg_lo:[0,1] neg_hi:[0,1]
	v_cvt_f32_i32_e32 v26, v34
	v_add_f32_e32 v25, v35, v25
	v_add_f32_e32 v24, v24, v25
	;; [unrolled: 1-line block ×4, first 2 shown]
	v_sub_f32_e32 v25, v27, v39
	v_mul_f32_e32 v24, v37, v24
	v_sub_f32_e32 v25, v38, v25
	v_add_f32_e32 v24, v25, v24
	v_add_f32_e32 v30, v27, v24
	v_mul_f32_e32 v32, v30, v30
	v_mov_b32_e32 v25, 0x3ecc95a3
	v_sub_f32_e32 v27, v30, v27
	v_fmac_f32_e32 v25, 0x3e9b6dac, v32
	v_sub_f32_e32 v24, v24, v27
	v_fmaak_f32 v25, v32, v25, 0x3f2aaada
	v_ldexp_f32 v33, v24, 1
	v_mul_f32_e32 v27, v30, v32
	v_mov_b32_e32 v24, 0x3f317218
	v_pk_mul_f32 v[24:25], v[26:27], v[24:25]
	v_ldexp_f32 v31, v30, 1
	v_fma_f32 v27, v26, s2, -v24
	v_fmamk_f32 v30, v26, 0xb102e308, v27
	v_pk_add_f32 v[26:27], v[24:25], v[30:31]
	v_mov_b32_e32 v32, v24
	v_sub_f32_e32 v31, v27, v31
	v_sub_f32_e32 v31, v25, v31
	v_add_f32_e32 v33, v33, v31
	v_pk_add_f32 v[24:25], v[26:27], v[24:25] neg_lo:[0,1] neg_hi:[0,1]
	v_pk_add_f32 v[34:35], v[26:27], v[32:33]
	v_mov_b32_e32 v31, v26
	v_mov_b32_e32 v25, v35
	v_pk_add_f32 v[36:37], v[30:31], v[24:25] neg_lo:[0,1] neg_hi:[0,1]
	v_pk_add_f32 v[24:25], v[30:31], v[24:25]
	v_mov_b32_e32 v32, v33
	v_mov_b32_e32 v30, v25
	v_pk_add_f32 v[38:39], v[30:31], v[26:27] neg_lo:[0,1] neg_hi:[0,1]
	v_mov_b32_e32 v24, v35
	v_mov_b32_e32 v31, v38
	v_pk_add_f32 v[40:41], v[34:35], v[30:31] neg_lo:[0,1] neg_hi:[0,1]
	v_mov_b32_e32 v34, v27
	v_mov_b32_e32 v35, v38
	;; [unrolled: 1-line block ×3, first 2 shown]
	v_pk_add_f32 v[24:25], v[24:25], v[34:35] neg_lo:[0,1] neg_hi:[0,1]
	v_mov_b32_e32 v33, v26
	v_pk_add_f32 v[24:25], v[32:33], v[24:25] neg_lo:[0,1] neg_hi:[0,1]
	v_mov_b32_e32 v40, v36
	v_pk_add_f32 v[26:27], v[40:41], v[24:25]
	s_mov_b32 s2, 0x33800000
	v_mov_b32_e32 v32, v27
	v_pk_add_f32 v[32:33], v[26:27], v[32:33]
	v_cmp_lt_f32_e64 s[80:81], |v42|, s2
	v_pk_add_f32 v[30:31], v[30:31], v[32:33]
	v_mov_b32_e32 v25, v32
	v_mov_b32_e32 v27, v30
	v_pk_add_f32 v[34:35], v[26:27], v[36:37] neg_lo:[0,1] neg_hi:[0,1]
	s_or_b64 s[76:77], s[76:77], s[80:81]
	v_sub_f32_e32 v26, v26, v34
	v_pk_add_f32 v[24:25], v[24:25], v[34:35] neg_lo:[0,1] neg_hi:[0,1]
	v_sub_f32_e32 v26, v36, v26
	v_add_f32_e32 v24, v24, v26
	v_add_f32_e32 v24, v24, v25
	;; [unrolled: 1-line block ×3, first 2 shown]
	v_cndmask_b32_e64 v24, v24, v42, s[76:77]
	v_add_f32_e32 v23, v23, v24
	v_cvt_f16_f32_e32 v30, v23
	v_cvt_f32_f16_e32 v32, v30
	v_mov_b32_e32 v31, v30
.LBB398_76:
	s_or_b64 exec, exec, s[78:79]
	v_cvt_f32_f16_sdwa v23, v13 dst_sel:DWORD dst_unused:UNUSED_PAD src0_sel:WORD_1
	v_max_f32_e32 v25, v32, v32
	v_cmp_u_f16_e64 s[78:79], v30, v30
	v_cmp_u_f16_sdwa s[76:77], v13, v13 src0_sel:WORD_1 src1_sel:WORD_1
	v_min_f32_e32 v24, v25, v23
	v_max_f32_e32 v13, v25, v23
	v_cndmask_b32_e64 v24, v24, v32, s[78:79]
	v_cndmask_b32_e64 v13, v13, v32, s[78:79]
	v_cndmask_b32_e64 v24, v24, v23, s[76:77]
	v_cndmask_b32_e64 v13, v13, v23, s[76:77]
	v_cmp_neq_f32_e64 s[78:79], v24, v13
	v_cmp_class_f32_e64 s[80:81], v24, s33
	s_or_b64 s[78:79], s[78:79], s[80:81]
	s_and_saveexec_b64 s[80:81], s[78:79]
	s_cbranch_execz .LBB398_78
; %bb.77:
	v_sub_f32_e32 v24, v24, v13
	s_mov_b32 s2, 0x3fb8aa3b
	v_mul_f32_e32 v25, 0x3fb8aa3b, v24
	v_fma_f32 v26, v24, s2, -v25
	v_rndne_f32_e32 v27, v25
	v_fmamk_f32 v26, v24, 0x32a5705f, v26
	v_sub_f32_e32 v25, v25, v27
	v_add_f32_e32 v25, v25, v26
	v_exp_f32_e32 v25, v25
	v_cvt_i32_f32_e32 v26, v27
	s_mov_b32 s2, 0xc2ce8ed0
	v_cmp_ngt_f32_e64 s[78:79], s2, v24
	s_mov_b32 s2, 0x42b17218
	v_ldexp_f32 v25, v25, v26
	v_cndmask_b32_e64 v25, 0, v25, s[78:79]
	v_mov_b32_e32 v26, 0x7f800000
	v_cmp_nlt_f32_e64 s[78:79], s2, v24
	s_mov_b32 s2, 0x3f2aaaab
	s_mov_b32 s3, 0x7f800000
	v_cndmask_b32_e64 v42, v26, v25, s[78:79]
	v_add_f32_e32 v26, 1.0, v42
	v_add_f32_e32 v24, -1.0, v26
	v_sub_f32_e32 v25, v24, v26
	v_add_f32_e32 v25, 1.0, v25
	v_sub_f32_e32 v24, v42, v24
	v_add_f32_e32 v27, v24, v25
	v_frexp_mant_f32_e32 v30, v26
	v_cvt_f64_f32_e32 v[24:25], v26
	v_frexp_exp_i32_f64_e32 v24, v[24:25]
	v_cmp_gt_f32_e64 s[78:79], s2, v30
	s_mov_b32 s2, 0x3f317218
	s_nop 0
	v_subbrev_co_u32_e64 v34, s[78:79], 0, v24, s[78:79]
	v_sub_u32_e32 v24, 0, v34
	v_ldexp_f32 v25, v26, v24
	v_add_f32_e32 v26, -1.0, v25
	v_add_f32_e32 v30, 1.0, v25
	v_ldexp_f32 v24, v27, v24
	v_add_f32_e32 v27, 1.0, v26
	v_add_f32_e32 v31, -1.0, v30
	v_sub_f32_e32 v27, v25, v27
	v_sub_f32_e32 v25, v25, v31
	v_add_f32_e32 v27, v24, v27
	v_add_f32_e32 v24, v24, v25
	;; [unrolled: 1-line block ×3, first 2 shown]
	v_rcp_f32_e32 v37, v35
	v_sub_f32_e32 v25, v30, v35
	v_add_f32_e32 v36, v24, v25
	v_add_f32_e32 v25, v26, v27
	v_mul_f32_e32 v39, v25, v37
	v_sub_f32_e32 v24, v26, v25
	v_mul_f32_e32 v26, v35, v39
	v_fma_f32 v30, v39, v35, -v26
	v_fmac_f32_e32 v30, v39, v36
	v_add_f32_e32 v38, v27, v24
	v_add_f32_e32 v24, v26, v30
	v_sub_f32_e32 v27, v25, v24
	v_pk_add_f32 v[32:33], v[24:25], v[26:27] neg_lo:[0,1] neg_hi:[0,1]
	v_mov_b32_e32 v31, v24
	v_pk_add_f32 v[24:25], v[32:33], v[30:31] neg_lo:[0,1] neg_hi:[0,1]
	v_cmp_eq_f32_e64 s[78:79], s3, v42
	v_add_f32_e32 v25, v38, v25
	v_add_f32_e32 v24, v24, v25
	;; [unrolled: 1-line block ×3, first 2 shown]
	v_mul_f32_e32 v38, v37, v25
	v_mul_f32_e32 v26, v35, v38
	v_fma_f32 v30, v38, v35, -v26
	v_fmac_f32_e32 v30, v38, v36
	v_sub_f32_e32 v27, v27, v25
	v_add_f32_e32 v35, v24, v27
	v_add_f32_e32 v24, v26, v30
	v_sub_f32_e32 v27, v25, v24
	v_pk_add_f32 v[32:33], v[24:25], v[26:27] neg_lo:[0,1] neg_hi:[0,1]
	v_mov_b32_e32 v31, v24
	v_pk_add_f32 v[24:25], v[32:33], v[30:31] neg_lo:[0,1] neg_hi:[0,1]
	v_cvt_f32_i32_e32 v26, v34
	v_add_f32_e32 v25, v35, v25
	v_add_f32_e32 v24, v24, v25
	;; [unrolled: 1-line block ×4, first 2 shown]
	v_sub_f32_e32 v25, v27, v39
	v_mul_f32_e32 v24, v37, v24
	v_sub_f32_e32 v25, v38, v25
	v_add_f32_e32 v24, v25, v24
	v_add_f32_e32 v30, v27, v24
	v_mul_f32_e32 v32, v30, v30
	v_mov_b32_e32 v25, 0x3ecc95a3
	v_sub_f32_e32 v27, v30, v27
	v_fmac_f32_e32 v25, 0x3e9b6dac, v32
	v_sub_f32_e32 v24, v24, v27
	v_fmaak_f32 v25, v32, v25, 0x3f2aaada
	v_ldexp_f32 v33, v24, 1
	v_mul_f32_e32 v27, v30, v32
	v_mov_b32_e32 v24, 0x3f317218
	v_pk_mul_f32 v[24:25], v[26:27], v[24:25]
	v_ldexp_f32 v31, v30, 1
	v_fma_f32 v27, v26, s2, -v24
	v_fmamk_f32 v30, v26, 0xb102e308, v27
	v_pk_add_f32 v[26:27], v[24:25], v[30:31]
	v_mov_b32_e32 v32, v24
	v_sub_f32_e32 v31, v27, v31
	v_sub_f32_e32 v31, v25, v31
	v_add_f32_e32 v33, v33, v31
	v_pk_add_f32 v[24:25], v[26:27], v[24:25] neg_lo:[0,1] neg_hi:[0,1]
	v_pk_add_f32 v[34:35], v[26:27], v[32:33]
	v_mov_b32_e32 v31, v26
	v_mov_b32_e32 v25, v35
	v_pk_add_f32 v[36:37], v[30:31], v[24:25] neg_lo:[0,1] neg_hi:[0,1]
	v_pk_add_f32 v[24:25], v[30:31], v[24:25]
	v_mov_b32_e32 v32, v33
	v_mov_b32_e32 v30, v25
	v_pk_add_f32 v[38:39], v[30:31], v[26:27] neg_lo:[0,1] neg_hi:[0,1]
	v_mov_b32_e32 v24, v35
	v_mov_b32_e32 v31, v38
	v_pk_add_f32 v[40:41], v[34:35], v[30:31] neg_lo:[0,1] neg_hi:[0,1]
	v_mov_b32_e32 v34, v27
	v_mov_b32_e32 v35, v38
	;; [unrolled: 1-line block ×3, first 2 shown]
	v_pk_add_f32 v[24:25], v[24:25], v[34:35] neg_lo:[0,1] neg_hi:[0,1]
	v_mov_b32_e32 v33, v26
	v_pk_add_f32 v[24:25], v[32:33], v[24:25] neg_lo:[0,1] neg_hi:[0,1]
	v_mov_b32_e32 v40, v36
	v_pk_add_f32 v[26:27], v[40:41], v[24:25]
	s_mov_b32 s2, 0x33800000
	v_mov_b32_e32 v32, v27
	v_pk_add_f32 v[32:33], v[26:27], v[32:33]
	v_cmp_lt_f32_e64 s[82:83], |v42|, s2
	v_pk_add_f32 v[30:31], v[30:31], v[32:33]
	v_mov_b32_e32 v25, v32
	v_mov_b32_e32 v27, v30
	v_pk_add_f32 v[34:35], v[26:27], v[36:37] neg_lo:[0,1] neg_hi:[0,1]
	s_or_b64 s[78:79], s[78:79], s[82:83]
	v_sub_f32_e32 v26, v26, v34
	v_pk_add_f32 v[24:25], v[24:25], v[34:35] neg_lo:[0,1] neg_hi:[0,1]
	v_sub_f32_e32 v26, v36, v26
	v_add_f32_e32 v24, v24, v26
	v_add_f32_e32 v24, v24, v25
	;; [unrolled: 1-line block ×3, first 2 shown]
	v_cndmask_b32_e64 v24, v24, v42, s[78:79]
	v_add_f32_e32 v13, v13, v24
	v_cvt_f16_f32_e32 v30, v13
	v_cvt_f32_f16_e32 v32, v30
	v_mov_b32_e32 v31, v30
.LBB398_78:
	s_or_b64 exec, exec, s[80:81]
	v_cvt_f32_f16_e32 v13, v6
	v_max_f32_e32 v24, v32, v32
	v_cmp_u_f16_e64 s[80:81], v30, v30
	v_cmp_u_f16_e64 s[78:79], v6, v6
	v_min_f32_e32 v25, v24, v13
	v_max_f32_e32 v24, v24, v13
	v_cndmask_b32_e64 v25, v25, v32, s[80:81]
	v_cndmask_b32_e64 v24, v24, v32, s[80:81]
	;; [unrolled: 1-line block ×4, first 2 shown]
	v_cmp_neq_f32_e64 s[80:81], v25, v24
	v_cmp_class_f32_e64 s[82:83], v25, s33
	s_or_b64 s[80:81], s[80:81], s[82:83]
	s_and_saveexec_b64 s[82:83], s[80:81]
	s_cbranch_execz .LBB398_80
; %bb.79:
	v_sub_f32_e32 v25, v25, v24
	s_mov_b32 s2, 0x3fb8aa3b
	v_mul_f32_e32 v26, 0x3fb8aa3b, v25
	v_fma_f32 v27, v25, s2, -v26
	v_rndne_f32_e32 v30, v26
	v_fmamk_f32 v27, v25, 0x32a5705f, v27
	v_sub_f32_e32 v26, v26, v30
	v_add_f32_e32 v26, v26, v27
	v_exp_f32_e32 v26, v26
	v_cvt_i32_f32_e32 v27, v30
	s_mov_b32 s2, 0xc2ce8ed0
	v_cmp_ngt_f32_e64 s[80:81], s2, v25
	s_mov_b32 s2, 0x42b17218
	v_ldexp_f32 v26, v26, v27
	v_cndmask_b32_e64 v26, 0, v26, s[80:81]
	v_mov_b32_e32 v27, 0x7f800000
	v_cmp_nlt_f32_e64 s[80:81], s2, v25
	s_mov_b32 s2, 0x3f2aaaab
	s_mov_b32 s3, 0x7f800000
	v_cndmask_b32_e64 v44, v27, v26, s[80:81]
	v_add_f32_e32 v25, 1.0, v44
	v_add_f32_e32 v26, -1.0, v25
	v_sub_f32_e32 v27, v26, v25
	v_add_f32_e32 v27, 1.0, v27
	v_sub_f32_e32 v26, v44, v26
	v_add_f32_e32 v30, v26, v27
	v_frexp_mant_f32_e32 v31, v25
	v_cvt_f64_f32_e32 v[26:27], v25
	v_frexp_exp_i32_f64_e32 v26, v[26:27]
	v_cmp_gt_f32_e64 s[80:81], s2, v31
	s_mov_b32 s2, 0x3f317218
	s_nop 0
	v_subbrev_co_u32_e64 v36, s[80:81], 0, v26, s[80:81]
	v_sub_u32_e32 v26, 0, v36
	v_ldexp_f32 v25, v25, v26
	v_ldexp_f32 v26, v30, v26
	v_add_f32_e32 v30, -1.0, v25
	v_add_f32_e32 v27, 1.0, v30
	v_sub_f32_e32 v27, v25, v27
	v_add_f32_e32 v31, v26, v27
	v_add_f32_e32 v27, 1.0, v25
	v_add_f32_e32 v32, -1.0, v27
	v_sub_f32_e32 v25, v25, v32
	v_add_f32_e32 v25, v26, v25
	v_add_f32_e32 v37, v27, v25
	v_rcp_f32_e32 v38, v37
	v_sub_f32_e32 v26, v27, v37
	v_add_f32_e32 v27, v30, v31
	v_add_f32_e32 v25, v25, v26
	v_mul_f32_e32 v40, v27, v38
	v_sub_f32_e32 v26, v30, v27
	v_mul_f32_e32 v30, v37, v40
	v_fma_f32 v32, v40, v37, -v30
	v_fmac_f32_e32 v32, v40, v25
	v_add_f32_e32 v39, v31, v26
	v_add_f32_e32 v26, v30, v32
	v_sub_f32_e32 v31, v27, v26
	v_pk_add_f32 v[34:35], v[26:27], v[30:31] neg_lo:[0,1] neg_hi:[0,1]
	v_mov_b32_e32 v33, v26
	v_pk_add_f32 v[26:27], v[34:35], v[32:33] neg_lo:[0,1] neg_hi:[0,1]
	v_cmp_eq_f32_e64 s[80:81], s3, v44
	v_add_f32_e32 v27, v39, v27
	v_add_f32_e32 v26, v26, v27
	;; [unrolled: 1-line block ×3, first 2 shown]
	v_mul_f32_e32 v39, v38, v27
	v_mul_f32_e32 v30, v37, v39
	v_fma_f32 v32, v39, v37, -v30
	v_fmac_f32_e32 v32, v39, v25
	v_sub_f32_e32 v25, v31, v27
	v_add_f32_e32 v25, v26, v25
	v_add_f32_e32 v26, v30, v32
	v_sub_f32_e32 v31, v27, v26
	v_pk_add_f32 v[34:35], v[26:27], v[30:31] neg_lo:[0,1] neg_hi:[0,1]
	v_mov_b32_e32 v33, v26
	v_pk_add_f32 v[26:27], v[34:35], v[32:33] neg_lo:[0,1] neg_hi:[0,1]
	v_cvt_f32_i32_e32 v30, v36
	v_add_f32_e32 v25, v25, v27
	v_add_f32_e32 v25, v26, v25
	;; [unrolled: 1-line block ×4, first 2 shown]
	v_sub_f32_e32 v27, v26, v40
	v_mul_f32_e32 v25, v38, v25
	v_sub_f32_e32 v27, v39, v27
	v_add_f32_e32 v25, v27, v25
	v_add_f32_e32 v31, v26, v25
	v_mul_f32_e32 v32, v31, v31
	v_mov_b32_e32 v27, 0x3ecc95a3
	v_fmac_f32_e32 v27, 0x3e9b6dac, v32
	v_sub_f32_e32 v26, v31, v26
	v_fmaak_f32 v27, v32, v27, 0x3f2aaada
	v_sub_f32_e32 v25, v25, v26
	v_ldexp_f32 v33, v31, 1
	v_mul_f32_e32 v31, v31, v32
	v_mov_b32_e32 v26, 0x3f317218
	v_pk_mul_f32 v[26:27], v[30:31], v[26:27]
	v_ldexp_f32 v25, v25, 1
	v_fma_f32 v31, v30, s2, -v26
	v_fmamk_f32 v32, v30, 0xb102e308, v31
	v_pk_add_f32 v[30:31], v[26:27], v[32:33]
	v_mov_b32_e32 v34, v26
	v_sub_f32_e32 v33, v31, v33
	v_sub_f32_e32 v33, v27, v33
	v_add_f32_e32 v35, v25, v33
	v_pk_add_f32 v[26:27], v[30:31], v[26:27] neg_lo:[0,1] neg_hi:[0,1]
	v_pk_add_f32 v[36:37], v[30:31], v[34:35]
	v_mov_b32_e32 v33, v30
	v_mov_b32_e32 v27, v37
	v_pk_add_f32 v[38:39], v[32:33], v[26:27] neg_lo:[0,1] neg_hi:[0,1]
	v_pk_add_f32 v[26:27], v[32:33], v[26:27]
	v_mov_b32_e32 v34, v35
	v_mov_b32_e32 v32, v27
	v_pk_add_f32 v[40:41], v[32:33], v[30:31] neg_lo:[0,1] neg_hi:[0,1]
	v_mov_b32_e32 v26, v37
	v_mov_b32_e32 v25, v40
	v_pk_add_f32 v[42:43], v[36:37], v[24:25] neg_lo:[0,1] neg_hi:[0,1]
	v_mov_b32_e32 v36, v31
	v_mov_b32_e32 v37, v40
	;; [unrolled: 1-line block ×3, first 2 shown]
	v_pk_add_f32 v[26:27], v[26:27], v[36:37] neg_lo:[0,1] neg_hi:[0,1]
	v_mov_b32_e32 v35, v30
	v_pk_add_f32 v[26:27], v[34:35], v[26:27] neg_lo:[0,1] neg_hi:[0,1]
	v_mov_b32_e32 v42, v38
	v_pk_add_f32 v[30:31], v[42:43], v[26:27]
	s_mov_b32 s2, 0x33800000
	v_mov_b32_e32 v34, v31
	v_pk_add_f32 v[34:35], v[30:31], v[34:35]
	v_cmp_lt_f32_e64 s[84:85], |v44|, s2
	v_pk_add_f32 v[32:33], v[32:33], v[34:35]
	v_mov_b32_e32 v27, v34
	v_mov_b32_e32 v31, v32
	v_pk_add_f32 v[36:37], v[30:31], v[38:39] neg_lo:[0,1] neg_hi:[0,1]
	s_or_b64 s[80:81], s[80:81], s[84:85]
	v_sub_f32_e32 v25, v30, v36
	v_pk_add_f32 v[26:27], v[26:27], v[36:37] neg_lo:[0,1] neg_hi:[0,1]
	v_sub_f32_e32 v25, v38, v25
	v_add_f32_e32 v25, v26, v25
	v_add_f32_e32 v25, v25, v27
	;; [unrolled: 1-line block ×3, first 2 shown]
	v_cndmask_b32_e64 v25, v25, v44, s[80:81]
	v_add_f32_e32 v24, v24, v25
	v_cvt_f16_f32_e32 v30, v24
	v_cvt_f32_f16_e32 v32, v30
	v_mov_b32_e32 v31, v30
.LBB398_80:
	s_or_b64 exec, exec, s[82:83]
	v_cvt_f32_f16_sdwa v24, v6 dst_sel:DWORD dst_unused:UNUSED_PAD src0_sel:WORD_1
	v_max_f32_e32 v26, v32, v32
	v_cmp_u_f16_e64 s[82:83], v30, v30
	v_cmp_u_f16_sdwa s[80:81], v6, v6 src0_sel:WORD_1 src1_sel:WORD_1
	v_min_f32_e32 v25, v26, v24
	v_max_f32_e32 v6, v26, v24
	v_cndmask_b32_e64 v25, v25, v32, s[82:83]
	v_cndmask_b32_e64 v6, v6, v32, s[82:83]
	;; [unrolled: 1-line block ×4, first 2 shown]
	v_cmp_neq_f32_e64 s[82:83], v25, v6
	v_cmp_class_f32_e64 s[84:85], v25, s33
	s_or_b64 s[82:83], s[82:83], s[84:85]
	s_and_saveexec_b64 s[84:85], s[82:83]
	s_cbranch_execz .LBB398_82
; %bb.81:
	v_sub_f32_e32 v25, v25, v6
	s_mov_b32 s2, 0x3fb8aa3b
	v_mul_f32_e32 v26, 0x3fb8aa3b, v25
	v_fma_f32 v27, v25, s2, -v26
	v_rndne_f32_e32 v30, v26
	v_fmamk_f32 v27, v25, 0x32a5705f, v27
	v_sub_f32_e32 v26, v26, v30
	v_add_f32_e32 v26, v26, v27
	v_exp_f32_e32 v26, v26
	v_cvt_i32_f32_e32 v27, v30
	s_mov_b32 s2, 0xc2ce8ed0
	v_cmp_ngt_f32_e64 s[82:83], s2, v25
	s_mov_b32 s2, 0x42b17218
	v_ldexp_f32 v26, v26, v27
	v_cndmask_b32_e64 v26, 0, v26, s[82:83]
	v_mov_b32_e32 v27, 0x7f800000
	v_cmp_nlt_f32_e64 s[82:83], s2, v25
	s_mov_b32 s2, 0x3f2aaaab
	s_mov_b32 s3, 0x7f800000
	v_cndmask_b32_e64 v44, v27, v26, s[82:83]
	v_add_f32_e32 v25, 1.0, v44
	v_add_f32_e32 v26, -1.0, v25
	v_sub_f32_e32 v27, v26, v25
	v_add_f32_e32 v27, 1.0, v27
	v_sub_f32_e32 v26, v44, v26
	v_add_f32_e32 v30, v26, v27
	v_frexp_mant_f32_e32 v31, v25
	v_cvt_f64_f32_e32 v[26:27], v25
	v_frexp_exp_i32_f64_e32 v26, v[26:27]
	v_cmp_gt_f32_e64 s[82:83], s2, v31
	s_mov_b32 s2, 0x3f317218
	s_nop 0
	v_subbrev_co_u32_e64 v36, s[82:83], 0, v26, s[82:83]
	v_sub_u32_e32 v26, 0, v36
	v_ldexp_f32 v25, v25, v26
	v_ldexp_f32 v26, v30, v26
	v_add_f32_e32 v30, -1.0, v25
	v_add_f32_e32 v27, 1.0, v30
	v_sub_f32_e32 v27, v25, v27
	v_add_f32_e32 v31, v26, v27
	v_add_f32_e32 v27, 1.0, v25
	v_add_f32_e32 v32, -1.0, v27
	v_sub_f32_e32 v25, v25, v32
	v_add_f32_e32 v25, v26, v25
	v_add_f32_e32 v37, v27, v25
	v_rcp_f32_e32 v38, v37
	v_sub_f32_e32 v26, v27, v37
	v_add_f32_e32 v27, v30, v31
	v_add_f32_e32 v25, v25, v26
	v_mul_f32_e32 v40, v27, v38
	v_sub_f32_e32 v26, v30, v27
	v_mul_f32_e32 v30, v37, v40
	v_fma_f32 v32, v40, v37, -v30
	v_fmac_f32_e32 v32, v40, v25
	v_add_f32_e32 v39, v31, v26
	v_add_f32_e32 v26, v30, v32
	v_sub_f32_e32 v31, v27, v26
	v_pk_add_f32 v[34:35], v[26:27], v[30:31] neg_lo:[0,1] neg_hi:[0,1]
	v_mov_b32_e32 v33, v26
	v_pk_add_f32 v[26:27], v[34:35], v[32:33] neg_lo:[0,1] neg_hi:[0,1]
	v_cmp_eq_f32_e64 s[82:83], s3, v44
	v_add_f32_e32 v27, v39, v27
	v_add_f32_e32 v26, v26, v27
	;; [unrolled: 1-line block ×3, first 2 shown]
	v_mul_f32_e32 v39, v38, v27
	v_mul_f32_e32 v30, v37, v39
	v_fma_f32 v32, v39, v37, -v30
	v_fmac_f32_e32 v32, v39, v25
	v_sub_f32_e32 v25, v31, v27
	v_add_f32_e32 v25, v26, v25
	v_add_f32_e32 v26, v30, v32
	v_sub_f32_e32 v31, v27, v26
	v_pk_add_f32 v[34:35], v[26:27], v[30:31] neg_lo:[0,1] neg_hi:[0,1]
	v_mov_b32_e32 v33, v26
	v_pk_add_f32 v[26:27], v[34:35], v[32:33] neg_lo:[0,1] neg_hi:[0,1]
	v_cvt_f32_i32_e32 v30, v36
	v_add_f32_e32 v25, v25, v27
	v_add_f32_e32 v25, v26, v25
	;; [unrolled: 1-line block ×4, first 2 shown]
	v_sub_f32_e32 v27, v26, v40
	v_mul_f32_e32 v25, v38, v25
	v_sub_f32_e32 v27, v39, v27
	v_add_f32_e32 v25, v27, v25
	v_add_f32_e32 v31, v26, v25
	v_mul_f32_e32 v32, v31, v31
	v_mov_b32_e32 v27, 0x3ecc95a3
	v_fmac_f32_e32 v27, 0x3e9b6dac, v32
	v_sub_f32_e32 v26, v31, v26
	v_fmaak_f32 v27, v32, v27, 0x3f2aaada
	v_sub_f32_e32 v25, v25, v26
	v_ldexp_f32 v33, v31, 1
	v_mul_f32_e32 v31, v31, v32
	v_mov_b32_e32 v26, 0x3f317218
	v_pk_mul_f32 v[26:27], v[30:31], v[26:27]
	v_ldexp_f32 v25, v25, 1
	v_fma_f32 v31, v30, s2, -v26
	v_fmamk_f32 v32, v30, 0xb102e308, v31
	v_pk_add_f32 v[30:31], v[26:27], v[32:33]
	v_mov_b32_e32 v34, v26
	v_sub_f32_e32 v33, v31, v33
	v_sub_f32_e32 v33, v27, v33
	v_add_f32_e32 v35, v25, v33
	v_pk_add_f32 v[26:27], v[30:31], v[26:27] neg_lo:[0,1] neg_hi:[0,1]
	v_pk_add_f32 v[36:37], v[30:31], v[34:35]
	v_mov_b32_e32 v33, v30
	v_mov_b32_e32 v27, v37
	v_pk_add_f32 v[38:39], v[32:33], v[26:27] neg_lo:[0,1] neg_hi:[0,1]
	v_pk_add_f32 v[26:27], v[32:33], v[26:27]
	v_mov_b32_e32 v34, v35
	v_mov_b32_e32 v32, v27
	v_pk_add_f32 v[40:41], v[32:33], v[30:31] neg_lo:[0,1] neg_hi:[0,1]
	v_mov_b32_e32 v26, v37
	v_mov_b32_e32 v25, v40
	v_pk_add_f32 v[42:43], v[36:37], v[24:25] neg_lo:[0,1] neg_hi:[0,1]
	v_mov_b32_e32 v36, v31
	v_mov_b32_e32 v37, v40
	;; [unrolled: 1-line block ×3, first 2 shown]
	v_pk_add_f32 v[26:27], v[26:27], v[36:37] neg_lo:[0,1] neg_hi:[0,1]
	v_mov_b32_e32 v35, v30
	v_pk_add_f32 v[26:27], v[34:35], v[26:27] neg_lo:[0,1] neg_hi:[0,1]
	v_mov_b32_e32 v42, v38
	v_pk_add_f32 v[30:31], v[42:43], v[26:27]
	s_mov_b32 s2, 0x33800000
	v_mov_b32_e32 v34, v31
	v_pk_add_f32 v[34:35], v[30:31], v[34:35]
	v_cmp_lt_f32_e64 s[86:87], |v44|, s2
	v_pk_add_f32 v[32:33], v[32:33], v[34:35]
	v_mov_b32_e32 v27, v34
	v_mov_b32_e32 v31, v32
	v_pk_add_f32 v[36:37], v[30:31], v[38:39] neg_lo:[0,1] neg_hi:[0,1]
	s_or_b64 s[82:83], s[82:83], s[86:87]
	v_sub_f32_e32 v25, v30, v36
	v_pk_add_f32 v[26:27], v[26:27], v[36:37] neg_lo:[0,1] neg_hi:[0,1]
	v_sub_f32_e32 v25, v38, v25
	v_add_f32_e32 v25, v26, v25
	v_add_f32_e32 v25, v25, v27
	v_add_f32_e32 v25, v32, v25
	v_cndmask_b32_e64 v25, v25, v44, s[82:83]
	v_add_f32_e32 v6, v6, v25
	v_cvt_f16_f32_e32 v30, v6
	v_cvt_f32_f16_e32 v32, v30
	v_mov_b32_e32 v31, v30
.LBB398_82:
	s_or_b64 exec, exec, s[84:85]
	v_cvt_f32_f16_e32 v6, v7
	v_max_f32_e32 v25, v32, v32
	v_cmp_u_f16_e64 s[84:85], v30, v30
	v_cmp_u_f16_e64 s[82:83], v7, v7
	v_min_f32_e32 v26, v25, v6
	v_max_f32_e32 v25, v25, v6
	v_cndmask_b32_e64 v26, v26, v32, s[84:85]
	v_cndmask_b32_e64 v25, v25, v32, s[84:85]
	;; [unrolled: 1-line block ×4, first 2 shown]
	v_cmp_neq_f32_e64 s[84:85], v26, v25
	v_cmp_class_f32_e64 s[86:87], v26, s33
	s_or_b64 s[84:85], s[84:85], s[86:87]
	s_and_saveexec_b64 s[86:87], s[84:85]
	s_cbranch_execz .LBB398_84
; %bb.83:
	v_sub_f32_e32 v26, v26, v25
	s_mov_b32 s2, 0x3fb8aa3b
	v_mul_f32_e32 v27, 0x3fb8aa3b, v26
	v_fma_f32 v30, v26, s2, -v27
	v_rndne_f32_e32 v31, v27
	v_fmamk_f32 v30, v26, 0x32a5705f, v30
	v_sub_f32_e32 v27, v27, v31
	v_add_f32_e32 v27, v27, v30
	v_exp_f32_e32 v27, v27
	v_cvt_i32_f32_e32 v30, v31
	s_mov_b32 s2, 0xc2ce8ed0
	v_cmp_ngt_f32_e64 s[84:85], s2, v26
	s_mov_b32 s2, 0x42b17218
	v_ldexp_f32 v27, v27, v30
	v_cndmask_b32_e64 v27, 0, v27, s[84:85]
	v_mov_b32_e32 v30, 0x7f800000
	v_cmp_nlt_f32_e64 s[84:85], s2, v26
	s_mov_b32 s2, 0x3f2aaaab
	s_mov_b32 s3, 0x7f800000
	v_cndmask_b32_e64 v44, v30, v27, s[84:85]
	v_add_f32_e32 v30, 1.0, v44
	v_add_f32_e32 v26, -1.0, v30
	v_sub_f32_e32 v27, v26, v30
	v_add_f32_e32 v27, 1.0, v27
	v_sub_f32_e32 v26, v44, v26
	v_add_f32_e32 v31, v26, v27
	v_frexp_mant_f32_e32 v32, v30
	v_cvt_f64_f32_e32 v[26:27], v30
	v_frexp_exp_i32_f64_e32 v26, v[26:27]
	v_cmp_gt_f32_e64 s[84:85], s2, v32
	s_mov_b32 s2, 0x3f317218
	s_nop 0
	v_subbrev_co_u32_e64 v36, s[84:85], 0, v26, s[84:85]
	v_sub_u32_e32 v26, 0, v36
	v_ldexp_f32 v27, v30, v26
	v_add_f32_e32 v30, -1.0, v27
	v_add_f32_e32 v32, 1.0, v27
	v_ldexp_f32 v26, v31, v26
	v_add_f32_e32 v31, 1.0, v30
	v_add_f32_e32 v33, -1.0, v32
	v_sub_f32_e32 v31, v27, v31
	v_sub_f32_e32 v27, v27, v33
	v_add_f32_e32 v31, v26, v31
	v_add_f32_e32 v26, v26, v27
	;; [unrolled: 1-line block ×3, first 2 shown]
	v_rcp_f32_e32 v39, v37
	v_sub_f32_e32 v27, v32, v37
	v_add_f32_e32 v38, v26, v27
	v_add_f32_e32 v27, v30, v31
	v_mul_f32_e32 v41, v27, v39
	v_sub_f32_e32 v26, v30, v27
	v_mul_f32_e32 v30, v37, v41
	v_fma_f32 v32, v41, v37, -v30
	v_fmac_f32_e32 v32, v41, v38
	v_add_f32_e32 v40, v31, v26
	v_add_f32_e32 v26, v30, v32
	v_sub_f32_e32 v31, v27, v26
	v_pk_add_f32 v[34:35], v[26:27], v[30:31] neg_lo:[0,1] neg_hi:[0,1]
	v_mov_b32_e32 v33, v26
	v_pk_add_f32 v[26:27], v[34:35], v[32:33] neg_lo:[0,1] neg_hi:[0,1]
	v_cmp_eq_f32_e64 s[84:85], s3, v44
	v_add_f32_e32 v27, v40, v27
	v_add_f32_e32 v26, v26, v27
	;; [unrolled: 1-line block ×3, first 2 shown]
	v_mul_f32_e32 v40, v39, v27
	v_mul_f32_e32 v30, v37, v40
	v_fma_f32 v32, v40, v37, -v30
	v_fmac_f32_e32 v32, v40, v38
	v_sub_f32_e32 v31, v31, v27
	v_add_f32_e32 v37, v26, v31
	v_add_f32_e32 v26, v30, v32
	v_sub_f32_e32 v31, v27, v26
	v_pk_add_f32 v[34:35], v[26:27], v[30:31] neg_lo:[0,1] neg_hi:[0,1]
	v_mov_b32_e32 v33, v26
	v_pk_add_f32 v[26:27], v[34:35], v[32:33] neg_lo:[0,1] neg_hi:[0,1]
	v_cvt_f32_i32_e32 v30, v36
	v_add_f32_e32 v27, v37, v27
	v_add_f32_e32 v26, v26, v27
	;; [unrolled: 1-line block ×4, first 2 shown]
	v_sub_f32_e32 v27, v31, v41
	v_mul_f32_e32 v26, v39, v26
	v_sub_f32_e32 v27, v40, v27
	v_add_f32_e32 v26, v27, v26
	v_add_f32_e32 v32, v31, v26
	v_mul_f32_e32 v34, v32, v32
	v_mov_b32_e32 v27, 0x3ecc95a3
	v_sub_f32_e32 v31, v32, v31
	v_fmac_f32_e32 v27, 0x3e9b6dac, v34
	v_sub_f32_e32 v26, v26, v31
	v_fmaak_f32 v27, v34, v27, 0x3f2aaada
	v_ldexp_f32 v35, v26, 1
	v_mul_f32_e32 v31, v32, v34
	v_mov_b32_e32 v26, 0x3f317218
	v_pk_mul_f32 v[26:27], v[30:31], v[26:27]
	v_ldexp_f32 v33, v32, 1
	v_fma_f32 v31, v30, s2, -v26
	v_fmamk_f32 v32, v30, 0xb102e308, v31
	v_pk_add_f32 v[30:31], v[26:27], v[32:33]
	v_mov_b32_e32 v34, v26
	v_sub_f32_e32 v33, v31, v33
	v_sub_f32_e32 v33, v27, v33
	v_add_f32_e32 v35, v35, v33
	v_pk_add_f32 v[26:27], v[30:31], v[26:27] neg_lo:[0,1] neg_hi:[0,1]
	v_pk_add_f32 v[36:37], v[30:31], v[34:35]
	v_mov_b32_e32 v33, v30
	v_mov_b32_e32 v27, v37
	v_pk_add_f32 v[38:39], v[32:33], v[26:27] neg_lo:[0,1] neg_hi:[0,1]
	v_pk_add_f32 v[26:27], v[32:33], v[26:27]
	v_mov_b32_e32 v34, v35
	v_mov_b32_e32 v32, v27
	v_pk_add_f32 v[40:41], v[32:33], v[30:31] neg_lo:[0,1] neg_hi:[0,1]
	v_mov_b32_e32 v26, v37
	v_mov_b32_e32 v33, v40
	v_pk_add_f32 v[42:43], v[36:37], v[32:33] neg_lo:[0,1] neg_hi:[0,1]
	v_mov_b32_e32 v36, v31
	v_mov_b32_e32 v37, v40
	;; [unrolled: 1-line block ×3, first 2 shown]
	v_pk_add_f32 v[26:27], v[26:27], v[36:37] neg_lo:[0,1] neg_hi:[0,1]
	v_mov_b32_e32 v35, v30
	v_pk_add_f32 v[26:27], v[34:35], v[26:27] neg_lo:[0,1] neg_hi:[0,1]
	v_mov_b32_e32 v42, v38
	v_pk_add_f32 v[30:31], v[42:43], v[26:27]
	s_mov_b32 s2, 0x33800000
	v_mov_b32_e32 v34, v31
	v_pk_add_f32 v[34:35], v[30:31], v[34:35]
	v_cmp_lt_f32_e64 s[88:89], |v44|, s2
	v_pk_add_f32 v[32:33], v[32:33], v[34:35]
	v_mov_b32_e32 v27, v34
	v_mov_b32_e32 v31, v32
	v_pk_add_f32 v[36:37], v[30:31], v[38:39] neg_lo:[0,1] neg_hi:[0,1]
	s_or_b64 s[84:85], s[84:85], s[88:89]
	v_sub_f32_e32 v30, v30, v36
	v_pk_add_f32 v[26:27], v[26:27], v[36:37] neg_lo:[0,1] neg_hi:[0,1]
	v_sub_f32_e32 v30, v38, v30
	v_add_f32_e32 v26, v26, v30
	v_add_f32_e32 v26, v26, v27
	;; [unrolled: 1-line block ×3, first 2 shown]
	v_cndmask_b32_e64 v26, v26, v44, s[84:85]
	v_add_f32_e32 v25, v25, v26
	v_cvt_f16_f32_e32 v30, v25
	v_cvt_f32_f16_e32 v32, v30
	v_mov_b32_e32 v31, v30
.LBB398_84:
	s_or_b64 exec, exec, s[86:87]
	v_cvt_f32_f16_sdwa v25, v7 dst_sel:DWORD dst_unused:UNUSED_PAD src0_sel:WORD_1
	v_max_f32_e32 v27, v32, v32
	v_cmp_u_f16_e64 s[86:87], v30, v30
	v_cmp_u_f16_sdwa s[84:85], v7, v7 src0_sel:WORD_1 src1_sel:WORD_1
	v_min_f32_e32 v26, v27, v25
	v_max_f32_e32 v7, v27, v25
	v_cndmask_b32_e64 v26, v26, v32, s[86:87]
	v_cndmask_b32_e64 v7, v7, v32, s[86:87]
	;; [unrolled: 1-line block ×4, first 2 shown]
	v_cmp_neq_f32_e64 s[86:87], v26, v7
	v_cmp_class_f32_e64 s[88:89], v26, s33
	s_or_b64 s[86:87], s[86:87], s[88:89]
	s_and_saveexec_b64 s[88:89], s[86:87]
	s_cbranch_execz .LBB398_86
; %bb.85:
	v_sub_f32_e32 v26, v26, v7
	s_mov_b32 s2, 0x3fb8aa3b
	v_mul_f32_e32 v27, 0x3fb8aa3b, v26
	v_fma_f32 v30, v26, s2, -v27
	v_rndne_f32_e32 v31, v27
	v_fmamk_f32 v30, v26, 0x32a5705f, v30
	v_sub_f32_e32 v27, v27, v31
	v_add_f32_e32 v27, v27, v30
	v_exp_f32_e32 v27, v27
	v_cvt_i32_f32_e32 v30, v31
	s_mov_b32 s2, 0xc2ce8ed0
	v_cmp_ngt_f32_e64 s[86:87], s2, v26
	s_mov_b32 s2, 0x42b17218
	v_ldexp_f32 v27, v27, v30
	v_cndmask_b32_e64 v27, 0, v27, s[86:87]
	v_mov_b32_e32 v30, 0x7f800000
	v_cmp_nlt_f32_e64 s[86:87], s2, v26
	s_mov_b32 s2, 0x3f2aaaab
	s_mov_b32 s3, 0x7f800000
	v_cndmask_b32_e64 v44, v30, v27, s[86:87]
	v_add_f32_e32 v30, 1.0, v44
	v_add_f32_e32 v26, -1.0, v30
	v_sub_f32_e32 v27, v26, v30
	v_add_f32_e32 v27, 1.0, v27
	v_sub_f32_e32 v26, v44, v26
	v_add_f32_e32 v31, v26, v27
	v_frexp_mant_f32_e32 v32, v30
	v_cvt_f64_f32_e32 v[26:27], v30
	v_frexp_exp_i32_f64_e32 v26, v[26:27]
	v_cmp_gt_f32_e64 s[86:87], s2, v32
	s_mov_b32 s2, 0x3f317218
	s_nop 0
	v_subbrev_co_u32_e64 v36, s[86:87], 0, v26, s[86:87]
	v_sub_u32_e32 v26, 0, v36
	v_ldexp_f32 v27, v30, v26
	v_add_f32_e32 v30, -1.0, v27
	v_add_f32_e32 v32, 1.0, v27
	v_ldexp_f32 v26, v31, v26
	v_add_f32_e32 v31, 1.0, v30
	v_add_f32_e32 v33, -1.0, v32
	v_sub_f32_e32 v31, v27, v31
	v_sub_f32_e32 v27, v27, v33
	v_add_f32_e32 v31, v26, v31
	v_add_f32_e32 v26, v26, v27
	;; [unrolled: 1-line block ×3, first 2 shown]
	v_rcp_f32_e32 v39, v37
	v_sub_f32_e32 v27, v32, v37
	v_add_f32_e32 v38, v26, v27
	v_add_f32_e32 v27, v30, v31
	v_mul_f32_e32 v41, v27, v39
	v_sub_f32_e32 v26, v30, v27
	v_mul_f32_e32 v30, v37, v41
	v_fma_f32 v32, v41, v37, -v30
	v_fmac_f32_e32 v32, v41, v38
	v_add_f32_e32 v40, v31, v26
	v_add_f32_e32 v26, v30, v32
	v_sub_f32_e32 v31, v27, v26
	v_pk_add_f32 v[34:35], v[26:27], v[30:31] neg_lo:[0,1] neg_hi:[0,1]
	v_mov_b32_e32 v33, v26
	v_pk_add_f32 v[26:27], v[34:35], v[32:33] neg_lo:[0,1] neg_hi:[0,1]
	v_cmp_eq_f32_e64 s[86:87], s3, v44
	v_add_f32_e32 v27, v40, v27
	v_add_f32_e32 v26, v26, v27
	;; [unrolled: 1-line block ×3, first 2 shown]
	v_mul_f32_e32 v40, v39, v27
	v_mul_f32_e32 v30, v37, v40
	v_fma_f32 v32, v40, v37, -v30
	v_fmac_f32_e32 v32, v40, v38
	v_sub_f32_e32 v31, v31, v27
	v_add_f32_e32 v37, v26, v31
	v_add_f32_e32 v26, v30, v32
	v_sub_f32_e32 v31, v27, v26
	v_pk_add_f32 v[34:35], v[26:27], v[30:31] neg_lo:[0,1] neg_hi:[0,1]
	v_mov_b32_e32 v33, v26
	v_pk_add_f32 v[26:27], v[34:35], v[32:33] neg_lo:[0,1] neg_hi:[0,1]
	v_cvt_f32_i32_e32 v30, v36
	v_add_f32_e32 v27, v37, v27
	v_add_f32_e32 v26, v26, v27
	;; [unrolled: 1-line block ×4, first 2 shown]
	v_sub_f32_e32 v27, v31, v41
	v_mul_f32_e32 v26, v39, v26
	v_sub_f32_e32 v27, v40, v27
	v_add_f32_e32 v26, v27, v26
	v_add_f32_e32 v32, v31, v26
	v_mul_f32_e32 v34, v32, v32
	v_mov_b32_e32 v27, 0x3ecc95a3
	v_sub_f32_e32 v31, v32, v31
	v_fmac_f32_e32 v27, 0x3e9b6dac, v34
	v_sub_f32_e32 v26, v26, v31
	v_fmaak_f32 v27, v34, v27, 0x3f2aaada
	v_ldexp_f32 v35, v26, 1
	v_mul_f32_e32 v31, v32, v34
	v_mov_b32_e32 v26, 0x3f317218
	v_pk_mul_f32 v[26:27], v[30:31], v[26:27]
	v_ldexp_f32 v33, v32, 1
	v_fma_f32 v31, v30, s2, -v26
	v_fmamk_f32 v32, v30, 0xb102e308, v31
	v_pk_add_f32 v[30:31], v[26:27], v[32:33]
	v_mov_b32_e32 v34, v26
	v_sub_f32_e32 v33, v31, v33
	v_sub_f32_e32 v33, v27, v33
	v_add_f32_e32 v35, v35, v33
	v_pk_add_f32 v[26:27], v[30:31], v[26:27] neg_lo:[0,1] neg_hi:[0,1]
	v_pk_add_f32 v[36:37], v[30:31], v[34:35]
	v_mov_b32_e32 v33, v30
	v_mov_b32_e32 v27, v37
	v_pk_add_f32 v[38:39], v[32:33], v[26:27] neg_lo:[0,1] neg_hi:[0,1]
	v_pk_add_f32 v[26:27], v[32:33], v[26:27]
	v_mov_b32_e32 v34, v35
	v_mov_b32_e32 v32, v27
	v_pk_add_f32 v[40:41], v[32:33], v[30:31] neg_lo:[0,1] neg_hi:[0,1]
	v_mov_b32_e32 v26, v37
	v_mov_b32_e32 v33, v40
	v_pk_add_f32 v[42:43], v[36:37], v[32:33] neg_lo:[0,1] neg_hi:[0,1]
	v_mov_b32_e32 v36, v31
	v_mov_b32_e32 v37, v40
	;; [unrolled: 1-line block ×3, first 2 shown]
	v_pk_add_f32 v[26:27], v[26:27], v[36:37] neg_lo:[0,1] neg_hi:[0,1]
	v_mov_b32_e32 v35, v30
	v_pk_add_f32 v[26:27], v[34:35], v[26:27] neg_lo:[0,1] neg_hi:[0,1]
	v_mov_b32_e32 v42, v38
	v_pk_add_f32 v[30:31], v[42:43], v[26:27]
	s_mov_b32 s2, 0x33800000
	v_mov_b32_e32 v34, v31
	v_pk_add_f32 v[34:35], v[30:31], v[34:35]
	v_cmp_lt_f32_e64 s[90:91], |v44|, s2
	v_pk_add_f32 v[32:33], v[32:33], v[34:35]
	v_mov_b32_e32 v27, v34
	v_mov_b32_e32 v31, v32
	v_pk_add_f32 v[36:37], v[30:31], v[38:39] neg_lo:[0,1] neg_hi:[0,1]
	s_or_b64 s[86:87], s[86:87], s[90:91]
	v_sub_f32_e32 v30, v30, v36
	v_pk_add_f32 v[26:27], v[26:27], v[36:37] neg_lo:[0,1] neg_hi:[0,1]
	v_sub_f32_e32 v30, v38, v30
	v_add_f32_e32 v26, v26, v30
	v_add_f32_e32 v26, v26, v27
	;; [unrolled: 1-line block ×3, first 2 shown]
	v_cndmask_b32_e64 v26, v26, v44, s[86:87]
	v_add_f32_e32 v7, v7, v26
	v_cvt_f16_f32_e32 v30, v7
	v_cvt_f32_f16_e32 v32, v30
	v_mov_b32_e32 v31, v30
.LBB398_86:
	s_or_b64 exec, exec, s[88:89]
	v_cvt_f32_f16_e32 v7, v8
	v_max_f32_e32 v26, v32, v32
	v_cmp_u_f16_e64 s[88:89], v30, v30
	v_cmp_u_f16_e64 s[86:87], v8, v8
	v_min_f32_e32 v27, v26, v7
	v_max_f32_e32 v26, v26, v7
	v_cndmask_b32_e64 v27, v27, v32, s[88:89]
	v_cndmask_b32_e64 v26, v26, v32, s[88:89]
	;; [unrolled: 1-line block ×4, first 2 shown]
	v_cmp_neq_f32_e64 s[88:89], v27, v26
	v_cmp_class_f32_e64 s[90:91], v27, s33
	s_or_b64 s[88:89], s[88:89], s[90:91]
	s_and_saveexec_b64 s[90:91], s[88:89]
	s_cbranch_execz .LBB398_88
; %bb.87:
	v_sub_f32_e32 v27, v27, v26
	s_mov_b32 s2, 0x3fb8aa3b
	v_mul_f32_e32 v30, 0x3fb8aa3b, v27
	v_fma_f32 v31, v27, s2, -v30
	v_rndne_f32_e32 v32, v30
	v_fmamk_f32 v31, v27, 0x32a5705f, v31
	v_sub_f32_e32 v30, v30, v32
	v_add_f32_e32 v30, v30, v31
	v_exp_f32_e32 v30, v30
	v_cvt_i32_f32_e32 v31, v32
	s_mov_b32 s2, 0xc2ce8ed0
	v_cmp_ngt_f32_e64 s[88:89], s2, v27
	s_mov_b32 s2, 0x42b17218
	v_ldexp_f32 v30, v30, v31
	v_cndmask_b32_e64 v30, 0, v30, s[88:89]
	v_mov_b32_e32 v31, 0x7f800000
	v_cmp_nlt_f32_e64 s[88:89], s2, v27
	s_mov_b32 s2, 0x3f2aaaab
	s_mov_b32 s3, 0x7f800000
	v_cndmask_b32_e64 v46, v31, v30, s[88:89]
	v_add_f32_e32 v27, 1.0, v46
	v_add_f32_e32 v30, -1.0, v27
	v_sub_f32_e32 v31, v30, v27
	v_add_f32_e32 v31, 1.0, v31
	v_sub_f32_e32 v30, v46, v30
	v_add_f32_e32 v32, v30, v31
	v_frexp_mant_f32_e32 v33, v27
	v_cvt_f64_f32_e32 v[30:31], v27
	v_frexp_exp_i32_f64_e32 v30, v[30:31]
	v_cmp_gt_f32_e64 s[88:89], s2, v33
	s_mov_b32 s2, 0x3f317218
	s_nop 0
	v_subbrev_co_u32_e64 v38, s[88:89], 0, v30, s[88:89]
	v_sub_u32_e32 v30, 0, v38
	v_ldexp_f32 v27, v27, v30
	v_ldexp_f32 v30, v32, v30
	v_add_f32_e32 v32, -1.0, v27
	v_add_f32_e32 v31, 1.0, v32
	v_sub_f32_e32 v31, v27, v31
	v_add_f32_e32 v33, v30, v31
	v_add_f32_e32 v31, 1.0, v27
	v_add_f32_e32 v34, -1.0, v31
	v_sub_f32_e32 v27, v27, v34
	v_add_f32_e32 v27, v30, v27
	v_add_f32_e32 v39, v31, v27
	v_rcp_f32_e32 v40, v39
	v_sub_f32_e32 v30, v31, v39
	v_add_f32_e32 v31, v32, v33
	v_add_f32_e32 v27, v27, v30
	v_mul_f32_e32 v42, v31, v40
	v_sub_f32_e32 v30, v32, v31
	v_mul_f32_e32 v32, v39, v42
	v_fma_f32 v34, v42, v39, -v32
	v_fmac_f32_e32 v34, v42, v27
	v_add_f32_e32 v41, v33, v30
	v_add_f32_e32 v30, v32, v34
	v_sub_f32_e32 v33, v31, v30
	v_pk_add_f32 v[36:37], v[30:31], v[32:33] neg_lo:[0,1] neg_hi:[0,1]
	v_mov_b32_e32 v35, v30
	v_pk_add_f32 v[30:31], v[36:37], v[34:35] neg_lo:[0,1] neg_hi:[0,1]
	v_cmp_eq_f32_e64 s[88:89], s3, v46
	v_add_f32_e32 v31, v41, v31
	v_add_f32_e32 v30, v30, v31
	;; [unrolled: 1-line block ×3, first 2 shown]
	v_mul_f32_e32 v41, v40, v31
	v_mul_f32_e32 v32, v39, v41
	v_fma_f32 v34, v41, v39, -v32
	v_fmac_f32_e32 v34, v41, v27
	v_sub_f32_e32 v27, v33, v31
	v_add_f32_e32 v27, v30, v27
	v_add_f32_e32 v30, v32, v34
	v_sub_f32_e32 v33, v31, v30
	v_pk_add_f32 v[36:37], v[30:31], v[32:33] neg_lo:[0,1] neg_hi:[0,1]
	v_mov_b32_e32 v35, v30
	v_pk_add_f32 v[30:31], v[36:37], v[34:35] neg_lo:[0,1] neg_hi:[0,1]
	v_cvt_f32_i32_e32 v32, v38
	v_add_f32_e32 v27, v27, v31
	v_add_f32_e32 v27, v30, v27
	;; [unrolled: 1-line block ×4, first 2 shown]
	v_sub_f32_e32 v31, v30, v42
	v_mul_f32_e32 v27, v40, v27
	v_sub_f32_e32 v31, v41, v31
	v_add_f32_e32 v27, v31, v27
	v_add_f32_e32 v33, v30, v27
	v_mul_f32_e32 v34, v33, v33
	v_mov_b32_e32 v31, 0x3ecc95a3
	v_fmac_f32_e32 v31, 0x3e9b6dac, v34
	v_sub_f32_e32 v30, v33, v30
	v_fmaak_f32 v31, v34, v31, 0x3f2aaada
	v_sub_f32_e32 v27, v27, v30
	v_ldexp_f32 v35, v33, 1
	v_mul_f32_e32 v33, v33, v34
	v_mov_b32_e32 v30, 0x3f317218
	v_pk_mul_f32 v[30:31], v[32:33], v[30:31]
	v_ldexp_f32 v27, v27, 1
	v_fma_f32 v33, v32, s2, -v30
	v_fmamk_f32 v34, v32, 0xb102e308, v33
	v_pk_add_f32 v[32:33], v[30:31], v[34:35]
	v_mov_b32_e32 v36, v30
	v_sub_f32_e32 v35, v33, v35
	v_sub_f32_e32 v35, v31, v35
	v_add_f32_e32 v37, v27, v35
	v_pk_add_f32 v[30:31], v[32:33], v[30:31] neg_lo:[0,1] neg_hi:[0,1]
	v_pk_add_f32 v[38:39], v[32:33], v[36:37]
	v_mov_b32_e32 v35, v32
	v_mov_b32_e32 v31, v39
	v_pk_add_f32 v[40:41], v[34:35], v[30:31] neg_lo:[0,1] neg_hi:[0,1]
	v_pk_add_f32 v[30:31], v[34:35], v[30:31]
	v_mov_b32_e32 v36, v37
	v_mov_b32_e32 v34, v31
	v_pk_add_f32 v[42:43], v[34:35], v[32:33] neg_lo:[0,1] neg_hi:[0,1]
	v_mov_b32_e32 v30, v39
	v_mov_b32_e32 v27, v42
	v_pk_add_f32 v[44:45], v[38:39], v[26:27] neg_lo:[0,1] neg_hi:[0,1]
	v_mov_b32_e32 v38, v33
	v_mov_b32_e32 v39, v42
	;; [unrolled: 1-line block ×3, first 2 shown]
	v_pk_add_f32 v[30:31], v[30:31], v[38:39] neg_lo:[0,1] neg_hi:[0,1]
	v_mov_b32_e32 v37, v32
	v_pk_add_f32 v[30:31], v[36:37], v[30:31] neg_lo:[0,1] neg_hi:[0,1]
	v_mov_b32_e32 v44, v40
	v_pk_add_f32 v[32:33], v[44:45], v[30:31]
	s_mov_b32 s2, 0x33800000
	v_mov_b32_e32 v36, v33
	v_pk_add_f32 v[36:37], v[32:33], v[36:37]
	v_cmp_lt_f32_e64 s[92:93], |v46|, s2
	v_pk_add_f32 v[34:35], v[34:35], v[36:37]
	v_mov_b32_e32 v31, v36
	v_mov_b32_e32 v33, v34
	v_pk_add_f32 v[38:39], v[32:33], v[40:41] neg_lo:[0,1] neg_hi:[0,1]
	s_or_b64 s[88:89], s[88:89], s[92:93]
	v_sub_f32_e32 v27, v32, v38
	v_pk_add_f32 v[30:31], v[30:31], v[38:39] neg_lo:[0,1] neg_hi:[0,1]
	v_sub_f32_e32 v27, v40, v27
	v_add_f32_e32 v27, v30, v27
	v_add_f32_e32 v27, v27, v31
	;; [unrolled: 1-line block ×3, first 2 shown]
	v_cndmask_b32_e64 v27, v27, v46, s[88:89]
	v_add_f32_e32 v26, v26, v27
	v_cvt_f16_f32_e32 v30, v26
	v_cvt_f32_f16_e32 v32, v30
	v_mov_b32_e32 v31, v30
.LBB398_88:
	s_or_b64 exec, exec, s[90:91]
	v_cvt_f32_f16_sdwa v26, v8 dst_sel:DWORD dst_unused:UNUSED_PAD src0_sel:WORD_1
	v_max_f32_e32 v33, v32, v32
	v_cmp_u_f16_e64 s[90:91], v30, v30
	v_cmp_u_f16_sdwa s[88:89], v8, v8 src0_sel:WORD_1 src1_sel:WORD_1
	v_min_f32_e32 v27, v33, v26
	v_max_f32_e32 v8, v33, v26
	v_cndmask_b32_e64 v27, v27, v32, s[90:91]
	v_cndmask_b32_e64 v8, v8, v32, s[90:91]
	;; [unrolled: 1-line block ×4, first 2 shown]
	v_cmp_neq_f32_e64 s[90:91], v27, v8
	v_cmp_class_f32_e64 s[92:93], v27, s33
	s_or_b64 s[90:91], s[90:91], s[92:93]
	s_and_saveexec_b64 s[92:93], s[90:91]
	s_cbranch_execz .LBB398_90
; %bb.89:
	v_sub_f32_e32 v27, v27, v8
	s_mov_b32 s2, 0x3fb8aa3b
	v_mul_f32_e32 v30, 0x3fb8aa3b, v27
	v_fma_f32 v31, v27, s2, -v30
	v_rndne_f32_e32 v32, v30
	v_fmamk_f32 v31, v27, 0x32a5705f, v31
	v_sub_f32_e32 v30, v30, v32
	v_add_f32_e32 v30, v30, v31
	v_exp_f32_e32 v30, v30
	v_cvt_i32_f32_e32 v31, v32
	s_mov_b32 s2, 0xc2ce8ed0
	v_cmp_ngt_f32_e64 s[90:91], s2, v27
	s_mov_b32 s2, 0x42b17218
	v_ldexp_f32 v30, v30, v31
	v_cndmask_b32_e64 v30, 0, v30, s[90:91]
	v_mov_b32_e32 v31, 0x7f800000
	v_cmp_nlt_f32_e64 s[90:91], s2, v27
	s_mov_b32 s2, 0x3f2aaaab
	s_mov_b32 s3, 0x7f800000
	v_cndmask_b32_e64 v46, v31, v30, s[90:91]
	v_add_f32_e32 v27, 1.0, v46
	v_add_f32_e32 v30, -1.0, v27
	v_sub_f32_e32 v31, v30, v27
	v_add_f32_e32 v31, 1.0, v31
	v_sub_f32_e32 v30, v46, v30
	v_add_f32_e32 v32, v30, v31
	v_frexp_mant_f32_e32 v33, v27
	v_cvt_f64_f32_e32 v[30:31], v27
	v_frexp_exp_i32_f64_e32 v30, v[30:31]
	v_cmp_gt_f32_e64 s[90:91], s2, v33
	s_mov_b32 s2, 0x3f317218
	s_nop 0
	v_subbrev_co_u32_e64 v38, s[90:91], 0, v30, s[90:91]
	v_sub_u32_e32 v30, 0, v38
	v_ldexp_f32 v27, v27, v30
	v_ldexp_f32 v30, v32, v30
	v_add_f32_e32 v32, -1.0, v27
	v_add_f32_e32 v31, 1.0, v32
	v_sub_f32_e32 v31, v27, v31
	v_add_f32_e32 v33, v30, v31
	v_add_f32_e32 v31, 1.0, v27
	v_add_f32_e32 v34, -1.0, v31
	v_sub_f32_e32 v27, v27, v34
	v_add_f32_e32 v27, v30, v27
	v_add_f32_e32 v39, v31, v27
	v_rcp_f32_e32 v40, v39
	v_sub_f32_e32 v30, v31, v39
	v_add_f32_e32 v31, v32, v33
	v_add_f32_e32 v27, v27, v30
	v_mul_f32_e32 v42, v31, v40
	v_sub_f32_e32 v30, v32, v31
	v_mul_f32_e32 v32, v39, v42
	v_fma_f32 v34, v42, v39, -v32
	v_fmac_f32_e32 v34, v42, v27
	v_add_f32_e32 v41, v33, v30
	v_add_f32_e32 v30, v32, v34
	v_sub_f32_e32 v33, v31, v30
	v_pk_add_f32 v[36:37], v[30:31], v[32:33] neg_lo:[0,1] neg_hi:[0,1]
	v_mov_b32_e32 v35, v30
	v_pk_add_f32 v[30:31], v[36:37], v[34:35] neg_lo:[0,1] neg_hi:[0,1]
	v_cmp_eq_f32_e64 s[90:91], s3, v46
	v_add_f32_e32 v31, v41, v31
	v_add_f32_e32 v30, v30, v31
	;; [unrolled: 1-line block ×3, first 2 shown]
	v_mul_f32_e32 v41, v40, v31
	v_mul_f32_e32 v32, v39, v41
	v_fma_f32 v34, v41, v39, -v32
	v_fmac_f32_e32 v34, v41, v27
	v_sub_f32_e32 v27, v33, v31
	v_add_f32_e32 v27, v30, v27
	v_add_f32_e32 v30, v32, v34
	v_sub_f32_e32 v33, v31, v30
	v_pk_add_f32 v[36:37], v[30:31], v[32:33] neg_lo:[0,1] neg_hi:[0,1]
	v_mov_b32_e32 v35, v30
	v_pk_add_f32 v[30:31], v[36:37], v[34:35] neg_lo:[0,1] neg_hi:[0,1]
	v_cvt_f32_i32_e32 v32, v38
	v_add_f32_e32 v27, v27, v31
	v_add_f32_e32 v27, v30, v27
	;; [unrolled: 1-line block ×4, first 2 shown]
	v_sub_f32_e32 v31, v30, v42
	v_mul_f32_e32 v27, v40, v27
	v_sub_f32_e32 v31, v41, v31
	v_add_f32_e32 v27, v31, v27
	v_add_f32_e32 v33, v30, v27
	v_mul_f32_e32 v34, v33, v33
	v_mov_b32_e32 v31, 0x3ecc95a3
	v_fmac_f32_e32 v31, 0x3e9b6dac, v34
	v_sub_f32_e32 v30, v33, v30
	v_fmaak_f32 v31, v34, v31, 0x3f2aaada
	v_sub_f32_e32 v27, v27, v30
	v_ldexp_f32 v35, v33, 1
	v_mul_f32_e32 v33, v33, v34
	v_mov_b32_e32 v30, 0x3f317218
	v_pk_mul_f32 v[30:31], v[32:33], v[30:31]
	v_ldexp_f32 v27, v27, 1
	v_fma_f32 v33, v32, s2, -v30
	v_fmamk_f32 v34, v32, 0xb102e308, v33
	v_pk_add_f32 v[32:33], v[30:31], v[34:35]
	v_mov_b32_e32 v36, v30
	v_sub_f32_e32 v35, v33, v35
	v_sub_f32_e32 v35, v31, v35
	v_add_f32_e32 v37, v27, v35
	v_pk_add_f32 v[30:31], v[32:33], v[30:31] neg_lo:[0,1] neg_hi:[0,1]
	v_pk_add_f32 v[38:39], v[32:33], v[36:37]
	v_mov_b32_e32 v35, v32
	v_mov_b32_e32 v31, v39
	v_pk_add_f32 v[40:41], v[34:35], v[30:31] neg_lo:[0,1] neg_hi:[0,1]
	v_pk_add_f32 v[30:31], v[34:35], v[30:31]
	v_mov_b32_e32 v36, v37
	v_mov_b32_e32 v34, v31
	v_pk_add_f32 v[42:43], v[34:35], v[32:33] neg_lo:[0,1] neg_hi:[0,1]
	v_mov_b32_e32 v30, v39
	v_mov_b32_e32 v27, v42
	v_pk_add_f32 v[44:45], v[38:39], v[26:27] neg_lo:[0,1] neg_hi:[0,1]
	v_mov_b32_e32 v38, v33
	v_mov_b32_e32 v39, v42
	v_mov_b32_e32 v41, v31
	v_pk_add_f32 v[30:31], v[30:31], v[38:39] neg_lo:[0,1] neg_hi:[0,1]
	v_mov_b32_e32 v37, v32
	v_pk_add_f32 v[30:31], v[36:37], v[30:31] neg_lo:[0,1] neg_hi:[0,1]
	v_mov_b32_e32 v44, v40
	v_pk_add_f32 v[32:33], v[44:45], v[30:31]
	s_mov_b32 s2, 0x33800000
	v_mov_b32_e32 v36, v33
	v_pk_add_f32 v[36:37], v[32:33], v[36:37]
	v_cmp_lt_f32_e64 s[96:97], |v46|, s2
	v_pk_add_f32 v[34:35], v[34:35], v[36:37]
	v_mov_b32_e32 v31, v36
	v_mov_b32_e32 v33, v34
	v_pk_add_f32 v[38:39], v[32:33], v[40:41] neg_lo:[0,1] neg_hi:[0,1]
	s_or_b64 s[90:91], s[90:91], s[96:97]
	v_sub_f32_e32 v27, v32, v38
	v_pk_add_f32 v[30:31], v[30:31], v[38:39] neg_lo:[0,1] neg_hi:[0,1]
	v_sub_f32_e32 v27, v40, v27
	v_add_f32_e32 v27, v30, v27
	v_add_f32_e32 v27, v27, v31
	;; [unrolled: 1-line block ×3, first 2 shown]
	v_cndmask_b32_e64 v27, v27, v46, s[90:91]
	v_add_f32_e32 v8, v8, v27
	v_cvt_f16_f32_e32 v30, v8
	v_cvt_f32_f16_e32 v32, v30
	v_mov_b32_e32 v31, v30
.LBB398_90:
	s_or_b64 exec, exec, s[92:93]
	v_cvt_f32_f16_e32 v8, v9
	v_max_f32_e32 v27, v32, v32
	v_cmp_u_f16_e64 s[92:93], v30, v30
	v_cmp_u_f16_e64 s[90:91], v9, v9
	v_min_f32_e32 v33, v27, v8
	v_max_f32_e32 v27, v27, v8
	v_cndmask_b32_e64 v33, v33, v32, s[92:93]
	v_cndmask_b32_e64 v27, v27, v32, s[92:93]
	;; [unrolled: 1-line block ×4, first 2 shown]
	v_cmp_neq_f32_e64 s[92:93], v33, v27
	v_cmp_class_f32_e64 s[96:97], v33, s33
	s_or_b64 s[92:93], s[92:93], s[96:97]
	s_and_saveexec_b64 s[96:97], s[92:93]
	s_cbranch_execz .LBB398_92
; %bb.91:
	v_sub_f32_e32 v30, v33, v27
	s_mov_b32 s2, 0x3fb8aa3b
	v_mul_f32_e32 v31, 0x3fb8aa3b, v30
	v_fma_f32 v32, v30, s2, -v31
	v_rndne_f32_e32 v33, v31
	v_fmamk_f32 v32, v30, 0x32a5705f, v32
	v_sub_f32_e32 v31, v31, v33
	v_add_f32_e32 v31, v31, v32
	v_exp_f32_e32 v31, v31
	v_cvt_i32_f32_e32 v32, v33
	s_mov_b32 s2, 0xc2ce8ed0
	v_cmp_ngt_f32_e64 s[92:93], s2, v30
	s_mov_b32 s2, 0x42b17218
	v_ldexp_f32 v31, v31, v32
	v_cndmask_b32_e64 v31, 0, v31, s[92:93]
	v_mov_b32_e32 v32, 0x7f800000
	v_cmp_nlt_f32_e64 s[92:93], s2, v30
	s_mov_b32 s2, 0x3f2aaaab
	s_mov_b32 s3, 0x7f800000
	v_cndmask_b32_e64 v46, v32, v31, s[92:93]
	v_add_f32_e32 v32, 1.0, v46
	v_add_f32_e32 v30, -1.0, v32
	v_sub_f32_e32 v31, v30, v32
	v_add_f32_e32 v31, 1.0, v31
	v_sub_f32_e32 v30, v46, v30
	v_add_f32_e32 v33, v30, v31
	v_frexp_mant_f32_e32 v34, v32
	v_cvt_f64_f32_e32 v[30:31], v32
	v_frexp_exp_i32_f64_e32 v30, v[30:31]
	v_cmp_gt_f32_e64 s[92:93], s2, v34
	s_mov_b32 s2, 0x3f317218
	s_nop 0
	v_subbrev_co_u32_e64 v38, s[92:93], 0, v30, s[92:93]
	v_sub_u32_e32 v30, 0, v38
	v_ldexp_f32 v31, v32, v30
	v_add_f32_e32 v32, -1.0, v31
	v_add_f32_e32 v34, 1.0, v31
	v_ldexp_f32 v30, v33, v30
	v_add_f32_e32 v33, 1.0, v32
	v_add_f32_e32 v35, -1.0, v34
	v_sub_f32_e32 v33, v31, v33
	v_sub_f32_e32 v31, v31, v35
	v_add_f32_e32 v33, v30, v33
	v_add_f32_e32 v30, v30, v31
	v_add_f32_e32 v39, v34, v30
	v_rcp_f32_e32 v41, v39
	v_sub_f32_e32 v31, v34, v39
	v_add_f32_e32 v40, v30, v31
	v_add_f32_e32 v31, v32, v33
	v_mul_f32_e32 v43, v31, v41
	v_sub_f32_e32 v30, v32, v31
	v_mul_f32_e32 v32, v39, v43
	v_fma_f32 v34, v43, v39, -v32
	v_fmac_f32_e32 v34, v43, v40
	v_add_f32_e32 v42, v33, v30
	v_add_f32_e32 v30, v32, v34
	v_sub_f32_e32 v33, v31, v30
	v_pk_add_f32 v[36:37], v[30:31], v[32:33] neg_lo:[0,1] neg_hi:[0,1]
	v_mov_b32_e32 v35, v30
	v_pk_add_f32 v[30:31], v[36:37], v[34:35] neg_lo:[0,1] neg_hi:[0,1]
	v_cmp_eq_f32_e64 s[92:93], s3, v46
	v_add_f32_e32 v31, v42, v31
	v_add_f32_e32 v30, v30, v31
	;; [unrolled: 1-line block ×3, first 2 shown]
	v_mul_f32_e32 v42, v41, v31
	v_mul_f32_e32 v32, v39, v42
	v_fma_f32 v34, v42, v39, -v32
	v_fmac_f32_e32 v34, v42, v40
	v_sub_f32_e32 v33, v33, v31
	v_add_f32_e32 v39, v30, v33
	v_add_f32_e32 v30, v32, v34
	v_sub_f32_e32 v33, v31, v30
	v_pk_add_f32 v[36:37], v[30:31], v[32:33] neg_lo:[0,1] neg_hi:[0,1]
	v_mov_b32_e32 v35, v30
	v_pk_add_f32 v[30:31], v[36:37], v[34:35] neg_lo:[0,1] neg_hi:[0,1]
	v_cvt_f32_i32_e32 v32, v38
	v_add_f32_e32 v31, v39, v31
	v_add_f32_e32 v30, v30, v31
	;; [unrolled: 1-line block ×4, first 2 shown]
	v_sub_f32_e32 v31, v33, v43
	v_mul_f32_e32 v30, v41, v30
	v_sub_f32_e32 v31, v42, v31
	v_add_f32_e32 v30, v31, v30
	v_add_f32_e32 v34, v33, v30
	v_mul_f32_e32 v36, v34, v34
	v_mov_b32_e32 v31, 0x3ecc95a3
	v_sub_f32_e32 v33, v34, v33
	v_fmac_f32_e32 v31, 0x3e9b6dac, v36
	v_sub_f32_e32 v30, v30, v33
	v_fmaak_f32 v31, v36, v31, 0x3f2aaada
	v_ldexp_f32 v37, v30, 1
	v_mul_f32_e32 v33, v34, v36
	v_mov_b32_e32 v30, 0x3f317218
	v_pk_mul_f32 v[30:31], v[32:33], v[30:31]
	v_ldexp_f32 v35, v34, 1
	v_fma_f32 v33, v32, s2, -v30
	v_fmamk_f32 v34, v32, 0xb102e308, v33
	v_pk_add_f32 v[32:33], v[30:31], v[34:35]
	v_mov_b32_e32 v36, v30
	v_sub_f32_e32 v35, v33, v35
	v_sub_f32_e32 v35, v31, v35
	v_add_f32_e32 v37, v37, v35
	v_pk_add_f32 v[30:31], v[32:33], v[30:31] neg_lo:[0,1] neg_hi:[0,1]
	v_pk_add_f32 v[38:39], v[32:33], v[36:37]
	v_mov_b32_e32 v35, v32
	v_mov_b32_e32 v31, v39
	v_pk_add_f32 v[40:41], v[34:35], v[30:31] neg_lo:[0,1] neg_hi:[0,1]
	v_pk_add_f32 v[30:31], v[34:35], v[30:31]
	v_mov_b32_e32 v36, v37
	v_mov_b32_e32 v34, v31
	v_pk_add_f32 v[42:43], v[34:35], v[32:33] neg_lo:[0,1] neg_hi:[0,1]
	v_mov_b32_e32 v30, v39
	v_mov_b32_e32 v35, v42
	v_pk_add_f32 v[44:45], v[38:39], v[34:35] neg_lo:[0,1] neg_hi:[0,1]
	v_mov_b32_e32 v38, v33
	v_mov_b32_e32 v39, v42
	;; [unrolled: 1-line block ×3, first 2 shown]
	v_pk_add_f32 v[30:31], v[30:31], v[38:39] neg_lo:[0,1] neg_hi:[0,1]
	v_mov_b32_e32 v37, v32
	v_pk_add_f32 v[30:31], v[36:37], v[30:31] neg_lo:[0,1] neg_hi:[0,1]
	v_mov_b32_e32 v44, v40
	v_pk_add_f32 v[32:33], v[44:45], v[30:31]
	s_mov_b32 s2, 0x33800000
	v_mov_b32_e32 v36, v33
	v_pk_add_f32 v[36:37], v[32:33], v[36:37]
	v_cmp_lt_f32_e64 s[98:99], |v46|, s2
	v_pk_add_f32 v[34:35], v[34:35], v[36:37]
	v_mov_b32_e32 v31, v36
	v_mov_b32_e32 v33, v34
	v_pk_add_f32 v[38:39], v[32:33], v[40:41] neg_lo:[0,1] neg_hi:[0,1]
	s_or_b64 s[92:93], s[92:93], s[98:99]
	v_sub_f32_e32 v32, v32, v38
	v_pk_add_f32 v[30:31], v[30:31], v[38:39] neg_lo:[0,1] neg_hi:[0,1]
	v_sub_f32_e32 v32, v40, v32
	v_add_f32_e32 v30, v30, v32
	v_add_f32_e32 v30, v30, v31
	;; [unrolled: 1-line block ×3, first 2 shown]
	v_cndmask_b32_e64 v30, v30, v46, s[92:93]
	v_add_f32_e32 v27, v27, v30
	v_cvt_f16_f32_e32 v30, v27
	v_cvt_f32_f16_e32 v32, v30
	v_mov_b32_e32 v31, v30
.LBB398_92:
	s_or_b64 exec, exec, s[96:97]
	v_cvt_f32_f16_sdwa v27, v9 dst_sel:DWORD dst_unused:UNUSED_PAD src0_sel:WORD_1
	v_max_f32_e32 v33, v32, v32
	v_cmp_u_f16_e64 s[98:99], v30, v30
	v_cmp_u_f16_sdwa s[92:93], v9, v9 src0_sel:WORD_1 src1_sel:WORD_1
	v_min_f32_e32 v9, v33, v27
	v_cndmask_b32_e64 v9, v9, v32, s[98:99]
	v_cndmask_b32_e64 v30, v9, v27, s[92:93]
	v_max_f32_e32 v9, v33, v27
	v_cndmask_b32_e64 v9, v9, v32, s[98:99]
	v_cndmask_b32_e64 v9, v9, v27, s[92:93]
	s_movk_i32 s2, 0x1f8
	v_cmp_neq_f32_e64 s[98:99], v30, v9
	v_cmp_class_f32_e64 s[96:97], v30, s2
	s_or_b64 s[98:99], s[98:99], s[96:97]
	s_and_saveexec_b64 s[96:97], s[98:99]
	s_cbranch_execz .LBB398_94
; %bb.93:
	v_sub_f32_e32 v30, v30, v9
	s_mov_b32 s2, 0x3fb8aa3b
	v_mul_f32_e32 v31, 0x3fb8aa3b, v30
	v_fma_f32 v32, v30, s2, -v31
	v_rndne_f32_e32 v33, v31
	v_fmamk_f32 v32, v30, 0x32a5705f, v32
	v_sub_f32_e32 v31, v31, v33
	v_add_f32_e32 v31, v31, v32
	v_exp_f32_e32 v31, v31
	v_cvt_i32_f32_e32 v32, v33
	s_mov_b32 s2, 0xc2ce8ed0
	v_cmp_ngt_f32_e64 s[98:99], s2, v30
	s_mov_b32 s2, 0x42b17218
	v_ldexp_f32 v31, v31, v32
	v_cndmask_b32_e64 v31, 0, v31, s[98:99]
	v_mov_b32_e32 v32, 0x7f800000
	v_cmp_nlt_f32_e64 s[98:99], s2, v30
	s_mov_b32 s2, 0x3f2aaaab
	s_mov_b32 s3, 0x7f800000
	v_cndmask_b32_e64 v46, v32, v31, s[98:99]
	v_add_f32_e32 v32, 1.0, v46
	v_add_f32_e32 v30, -1.0, v32
	v_sub_f32_e32 v31, v30, v32
	v_add_f32_e32 v31, 1.0, v31
	v_sub_f32_e32 v30, v46, v30
	v_add_f32_e32 v33, v30, v31
	v_frexp_mant_f32_e32 v34, v32
	v_cvt_f64_f32_e32 v[30:31], v32
	v_frexp_exp_i32_f64_e32 v30, v[30:31]
	v_cmp_gt_f32_e64 s[98:99], s2, v34
	s_mov_b32 s2, 0x3f317218
	s_nop 0
	v_subbrev_co_u32_e64 v38, s[98:99], 0, v30, s[98:99]
	v_sub_u32_e32 v30, 0, v38
	v_ldexp_f32 v31, v32, v30
	v_add_f32_e32 v32, -1.0, v31
	v_add_f32_e32 v34, 1.0, v31
	v_ldexp_f32 v30, v33, v30
	v_add_f32_e32 v33, 1.0, v32
	v_add_f32_e32 v35, -1.0, v34
	v_sub_f32_e32 v33, v31, v33
	v_sub_f32_e32 v31, v31, v35
	v_add_f32_e32 v33, v30, v33
	v_add_f32_e32 v30, v30, v31
	v_add_f32_e32 v39, v34, v30
	v_rcp_f32_e32 v41, v39
	v_sub_f32_e32 v31, v34, v39
	v_add_f32_e32 v40, v30, v31
	v_add_f32_e32 v31, v32, v33
	v_mul_f32_e32 v43, v31, v41
	v_sub_f32_e32 v30, v32, v31
	v_mul_f32_e32 v32, v39, v43
	v_fma_f32 v34, v43, v39, -v32
	v_fmac_f32_e32 v34, v43, v40
	v_add_f32_e32 v42, v33, v30
	v_add_f32_e32 v30, v32, v34
	v_sub_f32_e32 v33, v31, v30
	v_pk_add_f32 v[36:37], v[30:31], v[32:33] neg_lo:[0,1] neg_hi:[0,1]
	v_mov_b32_e32 v35, v30
	v_pk_add_f32 v[30:31], v[36:37], v[34:35] neg_lo:[0,1] neg_hi:[0,1]
	v_cmp_eq_f32_e64 s[98:99], s3, v46
	v_add_f32_e32 v31, v42, v31
	v_add_f32_e32 v30, v30, v31
	;; [unrolled: 1-line block ×3, first 2 shown]
	v_mul_f32_e32 v42, v41, v31
	v_mul_f32_e32 v32, v39, v42
	v_fma_f32 v34, v42, v39, -v32
	v_fmac_f32_e32 v34, v42, v40
	v_sub_f32_e32 v33, v33, v31
	v_add_f32_e32 v39, v30, v33
	v_add_f32_e32 v30, v32, v34
	v_sub_f32_e32 v33, v31, v30
	v_pk_add_f32 v[36:37], v[30:31], v[32:33] neg_lo:[0,1] neg_hi:[0,1]
	v_mov_b32_e32 v35, v30
	v_pk_add_f32 v[30:31], v[36:37], v[34:35] neg_lo:[0,1] neg_hi:[0,1]
	v_cvt_f32_i32_e32 v32, v38
	v_add_f32_e32 v31, v39, v31
	v_add_f32_e32 v30, v30, v31
	;; [unrolled: 1-line block ×4, first 2 shown]
	v_sub_f32_e32 v31, v33, v43
	v_mul_f32_e32 v30, v41, v30
	v_sub_f32_e32 v31, v42, v31
	v_add_f32_e32 v30, v31, v30
	v_add_f32_e32 v34, v33, v30
	v_mul_f32_e32 v36, v34, v34
	v_mov_b32_e32 v31, 0x3ecc95a3
	v_sub_f32_e32 v33, v34, v33
	v_fmac_f32_e32 v31, 0x3e9b6dac, v36
	v_sub_f32_e32 v30, v30, v33
	v_fmaak_f32 v31, v36, v31, 0x3f2aaada
	v_ldexp_f32 v37, v30, 1
	v_mul_f32_e32 v33, v34, v36
	v_mov_b32_e32 v30, 0x3f317218
	v_pk_mul_f32 v[30:31], v[32:33], v[30:31]
	v_ldexp_f32 v35, v34, 1
	v_fma_f32 v33, v32, s2, -v30
	v_fmamk_f32 v34, v32, 0xb102e308, v33
	v_pk_add_f32 v[32:33], v[30:31], v[34:35]
	v_mov_b32_e32 v36, v30
	v_sub_f32_e32 v35, v33, v35
	v_sub_f32_e32 v35, v31, v35
	v_add_f32_e32 v37, v37, v35
	v_pk_add_f32 v[30:31], v[32:33], v[30:31] neg_lo:[0,1] neg_hi:[0,1]
	v_pk_add_f32 v[38:39], v[32:33], v[36:37]
	v_mov_b32_e32 v35, v32
	v_mov_b32_e32 v31, v39
	v_pk_add_f32 v[40:41], v[34:35], v[30:31] neg_lo:[0,1] neg_hi:[0,1]
	v_pk_add_f32 v[30:31], v[34:35], v[30:31]
	v_mov_b32_e32 v36, v37
	v_mov_b32_e32 v34, v31
	v_pk_add_f32 v[42:43], v[34:35], v[32:33] neg_lo:[0,1] neg_hi:[0,1]
	v_mov_b32_e32 v30, v39
	v_mov_b32_e32 v35, v42
	v_pk_add_f32 v[44:45], v[38:39], v[34:35] neg_lo:[0,1] neg_hi:[0,1]
	v_mov_b32_e32 v38, v33
	v_mov_b32_e32 v39, v42
	;; [unrolled: 1-line block ×3, first 2 shown]
	v_pk_add_f32 v[30:31], v[30:31], v[38:39] neg_lo:[0,1] neg_hi:[0,1]
	v_mov_b32_e32 v37, v32
	v_pk_add_f32 v[30:31], v[36:37], v[30:31] neg_lo:[0,1] neg_hi:[0,1]
	v_mov_b32_e32 v44, v40
	v_pk_add_f32 v[32:33], v[44:45], v[30:31]
	s_mov_b32 s2, 0x33800000
	v_mov_b32_e32 v36, v33
	v_pk_add_f32 v[36:37], v[32:33], v[36:37]
	v_cmp_lt_f32_e64 vcc, |v46|, s2
	v_pk_add_f32 v[34:35], v[34:35], v[36:37]
	v_mov_b32_e32 v31, v36
	v_mov_b32_e32 v33, v34
	v_pk_add_f32 v[38:39], v[32:33], v[40:41] neg_lo:[0,1] neg_hi:[0,1]
	s_or_b64 s[98:99], s[98:99], vcc
	v_sub_f32_e32 v32, v32, v38
	v_pk_add_f32 v[30:31], v[30:31], v[38:39] neg_lo:[0,1] neg_hi:[0,1]
	v_sub_f32_e32 v32, v40, v32
	v_add_f32_e32 v30, v30, v32
	v_add_f32_e32 v30, v30, v31
	;; [unrolled: 1-line block ×3, first 2 shown]
	v_cndmask_b32_e64 v30, v30, v46, s[98:99]
	v_add_f32_e32 v9, v9, v30
	v_cvt_f16_f32_e32 v31, v9
.LBB398_94:
	s_or_b64 exec, exec, s[96:97]
	v_mbcnt_lo_u32_b32 v9, -1, 0
	v_mbcnt_hi_u32_b32 v30, -1, v9
	v_and_b32_e32 v32, 15, v30
	v_and_b32_e32 v33, 0xffff, v31
	v_cmp_ne_u32_e64 s[98:99], 0, v32
	s_nop 0
	v_mov_b32_dpp v34, v33 row_shr:1 row_mask:0xf bank_mask:0xf
	s_and_saveexec_b64 s[96:97], s[98:99]
	s_cbranch_execz .LBB398_98
; %bb.95:
	v_cvt_f32_f16_e32 v9, v34
	v_cvt_f32_f16_e32 v33, v31
	v_cmp_u_f16_e64 s[98:99], v34, v34
	v_cmp_u_f16_e32 vcc, v31, v31
	s_movk_i32 s2, 0x1f8
	v_min_f32_e32 v31, v9, v33
	v_max_f32_e32 v35, v9, v33
	v_cndmask_b32_e64 v31, v31, v9, s[98:99]
	v_cndmask_b32_e64 v9, v35, v9, s[98:99]
	v_cndmask_b32_e32 v31, v31, v33, vcc
	v_cndmask_b32_e32 v9, v9, v33, vcc
	v_cmp_neq_f32_e32 vcc, v31, v9
	v_cmp_class_f32_e64 s[98:99], v31, s2
	s_or_b64 vcc, vcc, s[98:99]
	s_and_saveexec_b64 s[98:99], vcc
	s_cbranch_execz .LBB398_97
; %bb.96:
	v_sub_f32_e32 v31, v31, v9
	s_mov_b32 s2, 0x3fb8aa3b
	v_mul_f32_e32 v33, 0x3fb8aa3b, v31
	v_fma_f32 v34, v31, s2, -v33
	v_rndne_f32_e32 v35, v33
	v_fmamk_f32 v34, v31, 0x32a5705f, v34
	v_sub_f32_e32 v33, v33, v35
	v_add_f32_e32 v33, v33, v34
	v_exp_f32_e32 v33, v33
	v_cvt_i32_f32_e32 v34, v35
	s_mov_b32 s2, 0xc2ce8ed0
	v_cmp_ngt_f32_e32 vcc, s2, v31
	s_mov_b32 s2, 0x42b17218
	v_ldexp_f32 v33, v33, v34
	v_cndmask_b32_e32 v33, 0, v33, vcc
	v_mov_b32_e32 v34, 0x7f800000
	v_cmp_nlt_f32_e32 vcc, s2, v31
	s_mov_b32 s2, 0x3f2aaaab
	s_mov_b32 s3, 0x7f800000
	v_cndmask_b32_e32 v33, v34, v33, vcc
	v_add_f32_e32 v31, 1.0, v33
	v_add_f32_e32 v34, -1.0, v31
	v_sub_f32_e32 v35, v34, v31
	v_add_f32_e32 v35, 1.0, v35
	v_sub_f32_e32 v34, v33, v34
	v_add_f32_e32 v36, v34, v35
	v_frexp_mant_f32_e32 v37, v31
	v_cvt_f64_f32_e32 v[34:35], v31
	v_frexp_exp_i32_f64_e32 v34, v[34:35]
	v_cmp_gt_f32_e32 vcc, s2, v37
	s_mov_b32 s2, 0x3f317218
	s_nop 0
	v_subbrev_co_u32_e32 v42, vcc, 0, v34, vcc
	v_sub_u32_e32 v34, 0, v42
	v_ldexp_f32 v31, v31, v34
	v_ldexp_f32 v34, v36, v34
	v_add_f32_e32 v36, -1.0, v31
	v_add_f32_e32 v35, 1.0, v36
	v_sub_f32_e32 v35, v31, v35
	v_add_f32_e32 v37, v34, v35
	v_add_f32_e32 v35, 1.0, v31
	v_add_f32_e32 v38, -1.0, v35
	v_sub_f32_e32 v31, v31, v38
	v_add_f32_e32 v31, v34, v31
	v_add_f32_e32 v43, v35, v31
	v_rcp_f32_e32 v44, v43
	v_sub_f32_e32 v34, v35, v43
	v_add_f32_e32 v35, v36, v37
	v_add_f32_e32 v31, v31, v34
	v_mul_f32_e32 v46, v35, v44
	v_sub_f32_e32 v34, v36, v35
	v_mul_f32_e32 v36, v43, v46
	v_fma_f32 v38, v46, v43, -v36
	v_fmac_f32_e32 v38, v46, v31
	v_add_f32_e32 v45, v37, v34
	v_add_f32_e32 v34, v36, v38
	v_sub_f32_e32 v37, v35, v34
	v_pk_add_f32 v[40:41], v[34:35], v[36:37] neg_lo:[0,1] neg_hi:[0,1]
	v_mov_b32_e32 v39, v34
	v_pk_add_f32 v[34:35], v[40:41], v[38:39] neg_lo:[0,1] neg_hi:[0,1]
	v_cmp_eq_f32_e32 vcc, s3, v33
	v_add_f32_e32 v35, v45, v35
	v_add_f32_e32 v34, v34, v35
	v_add_f32_e32 v35, v37, v34
	v_mul_f32_e32 v45, v44, v35
	v_mul_f32_e32 v36, v43, v45
	v_fma_f32 v38, v45, v43, -v36
	v_fmac_f32_e32 v38, v45, v31
	v_sub_f32_e32 v31, v37, v35
	v_add_f32_e32 v31, v34, v31
	v_add_f32_e32 v34, v36, v38
	v_sub_f32_e32 v37, v35, v34
	v_pk_add_f32 v[40:41], v[34:35], v[36:37] neg_lo:[0,1] neg_hi:[0,1]
	v_mov_b32_e32 v39, v34
	v_pk_add_f32 v[34:35], v[40:41], v[38:39] neg_lo:[0,1] neg_hi:[0,1]
	v_cvt_f32_i32_e32 v36, v42
	v_add_f32_e32 v31, v31, v35
	v_add_f32_e32 v31, v34, v31
	;; [unrolled: 1-line block ×4, first 2 shown]
	v_sub_f32_e32 v35, v34, v46
	v_mul_f32_e32 v31, v44, v31
	v_sub_f32_e32 v35, v45, v35
	v_add_f32_e32 v31, v35, v31
	v_add_f32_e32 v37, v34, v31
	v_mul_f32_e32 v38, v37, v37
	v_mov_b32_e32 v35, 0x3ecc95a3
	v_fmac_f32_e32 v35, 0x3e9b6dac, v38
	v_sub_f32_e32 v34, v37, v34
	v_fmaak_f32 v35, v38, v35, 0x3f2aaada
	v_sub_f32_e32 v31, v31, v34
	v_ldexp_f32 v39, v37, 1
	v_mul_f32_e32 v37, v37, v38
	v_mov_b32_e32 v34, 0x3f317218
	v_pk_mul_f32 v[34:35], v[36:37], v[34:35]
	v_ldexp_f32 v31, v31, 1
	v_fma_f32 v37, v36, s2, -v34
	v_fmamk_f32 v38, v36, 0xb102e308, v37
	v_pk_add_f32 v[36:37], v[34:35], v[38:39]
	v_mov_b32_e32 v40, v34
	v_sub_f32_e32 v39, v37, v39
	v_sub_f32_e32 v39, v35, v39
	v_add_f32_e32 v41, v31, v39
	v_pk_add_f32 v[34:35], v[36:37], v[34:35] neg_lo:[0,1] neg_hi:[0,1]
	v_pk_add_f32 v[42:43], v[36:37], v[40:41]
	v_mov_b32_e32 v39, v36
	v_mov_b32_e32 v35, v43
	v_pk_add_f32 v[44:45], v[38:39], v[34:35] neg_lo:[0,1] neg_hi:[0,1]
	v_pk_add_f32 v[34:35], v[38:39], v[34:35]
	v_mov_b32_e32 v40, v41
	v_mov_b32_e32 v38, v35
	v_pk_add_f32 v[46:47], v[38:39], v[36:37] neg_lo:[0,1] neg_hi:[0,1]
	v_mov_b32_e32 v34, v43
	v_mov_b32_e32 v31, v46
	v_pk_add_f32 v[48:49], v[42:43], v[30:31] neg_lo:[0,1] neg_hi:[0,1]
	v_mov_b32_e32 v42, v37
	v_mov_b32_e32 v43, v46
	v_mov_b32_e32 v45, v35
	v_pk_add_f32 v[34:35], v[34:35], v[42:43] neg_lo:[0,1] neg_hi:[0,1]
	v_mov_b32_e32 v41, v36
	v_pk_add_f32 v[34:35], v[40:41], v[34:35] neg_lo:[0,1] neg_hi:[0,1]
	v_mov_b32_e32 v48, v44
	v_pk_add_f32 v[36:37], v[48:49], v[34:35]
	s_mov_b32 s2, 0x33800000
	v_mov_b32_e32 v40, v37
	v_pk_add_f32 v[40:41], v[36:37], v[40:41]
	v_cmp_lt_f32_e64 s[2:3], |v33|, s2
	v_pk_add_f32 v[38:39], v[38:39], v[40:41]
	v_mov_b32_e32 v35, v40
	v_mov_b32_e32 v37, v38
	v_pk_add_f32 v[42:43], v[36:37], v[44:45] neg_lo:[0,1] neg_hi:[0,1]
	s_or_b64 vcc, vcc, s[2:3]
	v_sub_f32_e32 v31, v36, v42
	v_pk_add_f32 v[34:35], v[34:35], v[42:43] neg_lo:[0,1] neg_hi:[0,1]
	v_sub_f32_e32 v31, v44, v31
	v_add_f32_e32 v31, v34, v31
	v_add_f32_e32 v31, v31, v35
	;; [unrolled: 1-line block ×3, first 2 shown]
	v_cndmask_b32_e32 v31, v31, v33, vcc
	v_add_f32_e32 v9, v9, v31
	v_cvt_f16_f32_e32 v34, v9
.LBB398_97:
	s_or_b64 exec, exec, s[98:99]
	v_and_b32_e32 v33, 0xffff, v34
	v_mov_b32_e32 v31, v34
.LBB398_98:
	s_or_b64 exec, exec, s[96:97]
	s_load_dwordx2 s[0:1], s[0:1], 0x18
	v_mul_u32_u24_e32 v9, 46, v0
	v_mov_b32_dpp v34, v33 row_shr:2 row_mask:0xf bank_mask:0xf
	v_cmp_lt_u32_e32 vcc, 1, v32
	s_waitcnt lgkmcnt(0)
	v_writelane_b32 v53, s0, 6
	s_nop 1
	v_writelane_b32 v53, s1, 7
	s_and_saveexec_b64 s[96:97], vcc
	s_cbranch_execz .LBB398_102
; %bb.99:
	v_cvt_f32_f16_e32 v35, v34
	v_cvt_f32_f16_e32 v36, v31
	v_cmp_u_f16_e32 vcc, v34, v34
	v_cmp_u_f16_e64 s[0:1], v31, v31
	v_min_f32_e32 v31, v35, v36
	v_cndmask_b32_e32 v31, v31, v35, vcc
	v_cndmask_b32_e64 v33, v31, v36, s[0:1]
	v_max_f32_e32 v31, v35, v36
	v_cndmask_b32_e32 v31, v31, v35, vcc
	v_cndmask_b32_e64 v31, v31, v36, s[0:1]
	s_movk_i32 s0, 0x1f8
	v_cmp_neq_f32_e32 vcc, v33, v31
	v_cmp_class_f32_e64 s[0:1], v33, s0
	s_or_b64 s[2:3], vcc, s[0:1]
	s_and_saveexec_b64 s[0:1], s[2:3]
	s_cbranch_execz .LBB398_101
; %bb.100:
	v_sub_f32_e32 v33, v33, v31
	s_mov_b32 s2, 0x3fb8aa3b
	v_mul_f32_e32 v34, 0x3fb8aa3b, v33
	v_fma_f32 v35, v33, s2, -v34
	v_rndne_f32_e32 v36, v34
	v_fmamk_f32 v35, v33, 0x32a5705f, v35
	v_sub_f32_e32 v34, v34, v36
	v_add_f32_e32 v34, v34, v35
	v_exp_f32_e32 v34, v34
	v_cvt_i32_f32_e32 v35, v36
	s_mov_b32 s2, 0xc2ce8ed0
	v_cmp_ngt_f32_e32 vcc, s2, v33
	s_mov_b32 s2, 0x42b17218
	v_ldexp_f32 v34, v34, v35
	v_cndmask_b32_e32 v34, 0, v34, vcc
	v_mov_b32_e32 v35, 0x7f800000
	v_cmp_nlt_f32_e32 vcc, s2, v33
	s_mov_b32 s2, 0x3f2aaaab
	s_mov_b32 s3, 0x7f800000
	v_cndmask_b32_e32 v50, v35, v34, vcc
	v_add_f32_e32 v33, 1.0, v50
	v_add_f32_e32 v34, -1.0, v33
	v_sub_f32_e32 v35, v34, v33
	v_add_f32_e32 v35, 1.0, v35
	v_sub_f32_e32 v34, v50, v34
	v_add_f32_e32 v36, v34, v35
	v_frexp_mant_f32_e32 v37, v33
	v_cvt_f64_f32_e32 v[34:35], v33
	v_frexp_exp_i32_f64_e32 v34, v[34:35]
	v_cmp_gt_f32_e32 vcc, s2, v37
	s_mov_b32 s2, 0x3f317218
	s_nop 0
	v_subbrev_co_u32_e32 v42, vcc, 0, v34, vcc
	v_sub_u32_e32 v34, 0, v42
	v_ldexp_f32 v33, v33, v34
	v_ldexp_f32 v34, v36, v34
	v_add_f32_e32 v36, -1.0, v33
	v_add_f32_e32 v35, 1.0, v36
	v_sub_f32_e32 v35, v33, v35
	v_add_f32_e32 v37, v34, v35
	v_add_f32_e32 v35, 1.0, v33
	v_add_f32_e32 v38, -1.0, v35
	v_sub_f32_e32 v33, v33, v38
	v_add_f32_e32 v33, v34, v33
	v_add_f32_e32 v43, v35, v33
	v_rcp_f32_e32 v44, v43
	v_sub_f32_e32 v34, v35, v43
	v_add_f32_e32 v35, v36, v37
	v_add_f32_e32 v33, v33, v34
	v_mul_f32_e32 v46, v35, v44
	v_sub_f32_e32 v34, v36, v35
	v_mul_f32_e32 v36, v43, v46
	v_fma_f32 v38, v46, v43, -v36
	v_fmac_f32_e32 v38, v46, v33
	v_add_f32_e32 v45, v37, v34
	v_add_f32_e32 v34, v36, v38
	v_sub_f32_e32 v37, v35, v34
	v_pk_add_f32 v[40:41], v[34:35], v[36:37] neg_lo:[0,1] neg_hi:[0,1]
	v_mov_b32_e32 v39, v34
	v_pk_add_f32 v[34:35], v[40:41], v[38:39] neg_lo:[0,1] neg_hi:[0,1]
	v_cmp_eq_f32_e32 vcc, s3, v50
	v_add_f32_e32 v35, v45, v35
	v_add_f32_e32 v34, v34, v35
	;; [unrolled: 1-line block ×3, first 2 shown]
	v_mul_f32_e32 v45, v44, v35
	v_mul_f32_e32 v36, v43, v45
	v_fma_f32 v38, v45, v43, -v36
	v_fmac_f32_e32 v38, v45, v33
	v_sub_f32_e32 v33, v37, v35
	v_add_f32_e32 v33, v34, v33
	v_add_f32_e32 v34, v36, v38
	v_sub_f32_e32 v37, v35, v34
	v_pk_add_f32 v[40:41], v[34:35], v[36:37] neg_lo:[0,1] neg_hi:[0,1]
	v_mov_b32_e32 v39, v34
	v_pk_add_f32 v[34:35], v[40:41], v[38:39] neg_lo:[0,1] neg_hi:[0,1]
	v_cvt_f32_i32_e32 v36, v42
	v_add_f32_e32 v33, v33, v35
	v_add_f32_e32 v33, v34, v33
	;; [unrolled: 1-line block ×4, first 2 shown]
	v_sub_f32_e32 v35, v34, v46
	v_mul_f32_e32 v33, v44, v33
	v_sub_f32_e32 v35, v45, v35
	v_add_f32_e32 v33, v35, v33
	v_add_f32_e32 v37, v34, v33
	v_mul_f32_e32 v38, v37, v37
	v_mov_b32_e32 v35, 0x3ecc95a3
	v_fmac_f32_e32 v35, 0x3e9b6dac, v38
	v_sub_f32_e32 v34, v37, v34
	v_fmaak_f32 v35, v38, v35, 0x3f2aaada
	v_sub_f32_e32 v33, v33, v34
	v_ldexp_f32 v39, v37, 1
	v_mul_f32_e32 v37, v37, v38
	v_mov_b32_e32 v34, 0x3f317218
	v_pk_mul_f32 v[34:35], v[36:37], v[34:35]
	v_ldexp_f32 v33, v33, 1
	v_fma_f32 v37, v36, s2, -v34
	v_fmamk_f32 v38, v36, 0xb102e308, v37
	v_pk_add_f32 v[36:37], v[34:35], v[38:39]
	v_mov_b32_e32 v40, v34
	v_sub_f32_e32 v39, v37, v39
	v_sub_f32_e32 v39, v35, v39
	v_add_f32_e32 v41, v33, v39
	v_pk_add_f32 v[34:35], v[36:37], v[34:35] neg_lo:[0,1] neg_hi:[0,1]
	v_pk_add_f32 v[42:43], v[36:37], v[40:41]
	v_mov_b32_e32 v39, v36
	v_mov_b32_e32 v35, v43
	v_pk_add_f32 v[44:45], v[38:39], v[34:35] neg_lo:[0,1] neg_hi:[0,1]
	v_pk_add_f32 v[34:35], v[38:39], v[34:35]
	v_mov_b32_e32 v40, v41
	v_mov_b32_e32 v38, v35
	v_pk_add_f32 v[46:47], v[38:39], v[36:37] neg_lo:[0,1] neg_hi:[0,1]
	v_mov_b32_e32 v34, v43
	v_mov_b32_e32 v33, v46
	v_pk_add_f32 v[48:49], v[42:43], v[32:33] neg_lo:[0,1] neg_hi:[0,1]
	v_mov_b32_e32 v42, v37
	v_mov_b32_e32 v43, v46
	v_mov_b32_e32 v45, v35
	v_pk_add_f32 v[34:35], v[34:35], v[42:43] neg_lo:[0,1] neg_hi:[0,1]
	v_mov_b32_e32 v41, v36
	v_pk_add_f32 v[34:35], v[40:41], v[34:35] neg_lo:[0,1] neg_hi:[0,1]
	v_mov_b32_e32 v48, v44
	v_pk_add_f32 v[36:37], v[48:49], v[34:35]
	s_mov_b32 s2, 0x33800000
	v_mov_b32_e32 v40, v37
	v_pk_add_f32 v[40:41], v[36:37], v[40:41]
	v_cmp_lt_f32_e64 s[2:3], |v50|, s2
	v_pk_add_f32 v[38:39], v[38:39], v[40:41]
	v_mov_b32_e32 v35, v40
	v_mov_b32_e32 v37, v38
	v_pk_add_f32 v[42:43], v[36:37], v[44:45] neg_lo:[0,1] neg_hi:[0,1]
	s_or_b64 vcc, vcc, s[2:3]
	v_sub_f32_e32 v33, v36, v42
	v_pk_add_f32 v[34:35], v[34:35], v[42:43] neg_lo:[0,1] neg_hi:[0,1]
	v_sub_f32_e32 v33, v44, v33
	v_add_f32_e32 v33, v34, v33
	v_add_f32_e32 v33, v33, v35
	;; [unrolled: 1-line block ×3, first 2 shown]
	v_cndmask_b32_e32 v33, v33, v50, vcc
	v_add_f32_e32 v31, v31, v33
	v_cvt_f16_f32_e32 v34, v31
.LBB398_101:
	s_or_b64 exec, exec, s[0:1]
	v_and_b32_e32 v33, 0xffff, v34
	v_mov_b32_e32 v31, v34
.LBB398_102:
	s_or_b64 exec, exec, s[96:97]
	v_mov_b32_dpp v34, v33 row_shr:4 row_mask:0xf bank_mask:0xf
	v_cmp_lt_u32_e32 vcc, 3, v32
	s_and_saveexec_b64 s[96:97], vcc
	s_cbranch_execz .LBB398_106
; %bb.103:
	v_cvt_f32_f16_e32 v35, v34
	v_cvt_f32_f16_e32 v36, v31
	v_cmp_u_f16_e32 vcc, v34, v34
	v_cmp_u_f16_e64 s[0:1], v31, v31
	v_min_f32_e32 v31, v35, v36
	v_cndmask_b32_e32 v31, v31, v35, vcc
	v_cndmask_b32_e64 v33, v31, v36, s[0:1]
	v_max_f32_e32 v31, v35, v36
	v_cndmask_b32_e32 v31, v31, v35, vcc
	v_cndmask_b32_e64 v31, v31, v36, s[0:1]
	s_movk_i32 s0, 0x1f8
	v_cmp_neq_f32_e32 vcc, v33, v31
	v_cmp_class_f32_e64 s[0:1], v33, s0
	s_or_b64 s[2:3], vcc, s[0:1]
	s_and_saveexec_b64 s[0:1], s[2:3]
	s_cbranch_execz .LBB398_105
; %bb.104:
	v_sub_f32_e32 v33, v33, v31
	s_mov_b32 s2, 0x3fb8aa3b
	v_mul_f32_e32 v34, 0x3fb8aa3b, v33
	v_fma_f32 v35, v33, s2, -v34
	v_rndne_f32_e32 v36, v34
	v_fmamk_f32 v35, v33, 0x32a5705f, v35
	v_sub_f32_e32 v34, v34, v36
	v_add_f32_e32 v34, v34, v35
	v_exp_f32_e32 v34, v34
	v_cvt_i32_f32_e32 v35, v36
	s_mov_b32 s2, 0xc2ce8ed0
	v_cmp_ngt_f32_e32 vcc, s2, v33
	s_mov_b32 s2, 0x42b17218
	v_ldexp_f32 v34, v34, v35
	v_cndmask_b32_e32 v34, 0, v34, vcc
	v_mov_b32_e32 v35, 0x7f800000
	v_cmp_nlt_f32_e32 vcc, s2, v33
	s_mov_b32 s2, 0x3f2aaaab
	s_mov_b32 s3, 0x7f800000
	v_cndmask_b32_e32 v50, v35, v34, vcc
	v_add_f32_e32 v33, 1.0, v50
	v_add_f32_e32 v34, -1.0, v33
	v_sub_f32_e32 v35, v34, v33
	v_add_f32_e32 v35, 1.0, v35
	v_sub_f32_e32 v34, v50, v34
	v_add_f32_e32 v36, v34, v35
	v_frexp_mant_f32_e32 v37, v33
	v_cvt_f64_f32_e32 v[34:35], v33
	v_frexp_exp_i32_f64_e32 v34, v[34:35]
	v_cmp_gt_f32_e32 vcc, s2, v37
	s_mov_b32 s2, 0x3f317218
	s_nop 0
	v_subbrev_co_u32_e32 v42, vcc, 0, v34, vcc
	v_sub_u32_e32 v34, 0, v42
	v_ldexp_f32 v33, v33, v34
	v_ldexp_f32 v34, v36, v34
	v_add_f32_e32 v36, -1.0, v33
	v_add_f32_e32 v35, 1.0, v36
	v_sub_f32_e32 v35, v33, v35
	v_add_f32_e32 v37, v34, v35
	v_add_f32_e32 v35, 1.0, v33
	v_add_f32_e32 v38, -1.0, v35
	v_sub_f32_e32 v33, v33, v38
	v_add_f32_e32 v33, v34, v33
	v_add_f32_e32 v43, v35, v33
	v_rcp_f32_e32 v44, v43
	v_sub_f32_e32 v34, v35, v43
	v_add_f32_e32 v35, v36, v37
	v_add_f32_e32 v33, v33, v34
	v_mul_f32_e32 v46, v35, v44
	v_sub_f32_e32 v34, v36, v35
	v_mul_f32_e32 v36, v43, v46
	v_fma_f32 v38, v46, v43, -v36
	v_fmac_f32_e32 v38, v46, v33
	v_add_f32_e32 v45, v37, v34
	v_add_f32_e32 v34, v36, v38
	v_sub_f32_e32 v37, v35, v34
	v_pk_add_f32 v[40:41], v[34:35], v[36:37] neg_lo:[0,1] neg_hi:[0,1]
	v_mov_b32_e32 v39, v34
	v_pk_add_f32 v[34:35], v[40:41], v[38:39] neg_lo:[0,1] neg_hi:[0,1]
	v_cmp_eq_f32_e32 vcc, s3, v50
	v_add_f32_e32 v35, v45, v35
	v_add_f32_e32 v34, v34, v35
	;; [unrolled: 1-line block ×3, first 2 shown]
	v_mul_f32_e32 v45, v44, v35
	v_mul_f32_e32 v36, v43, v45
	v_fma_f32 v38, v45, v43, -v36
	v_fmac_f32_e32 v38, v45, v33
	v_sub_f32_e32 v33, v37, v35
	v_add_f32_e32 v33, v34, v33
	v_add_f32_e32 v34, v36, v38
	v_sub_f32_e32 v37, v35, v34
	v_pk_add_f32 v[40:41], v[34:35], v[36:37] neg_lo:[0,1] neg_hi:[0,1]
	v_mov_b32_e32 v39, v34
	v_pk_add_f32 v[34:35], v[40:41], v[38:39] neg_lo:[0,1] neg_hi:[0,1]
	v_cvt_f32_i32_e32 v36, v42
	v_add_f32_e32 v33, v33, v35
	v_add_f32_e32 v33, v34, v33
	;; [unrolled: 1-line block ×4, first 2 shown]
	v_sub_f32_e32 v35, v34, v46
	v_mul_f32_e32 v33, v44, v33
	v_sub_f32_e32 v35, v45, v35
	v_add_f32_e32 v33, v35, v33
	v_add_f32_e32 v37, v34, v33
	v_mul_f32_e32 v38, v37, v37
	v_mov_b32_e32 v35, 0x3ecc95a3
	v_fmac_f32_e32 v35, 0x3e9b6dac, v38
	v_sub_f32_e32 v34, v37, v34
	v_fmaak_f32 v35, v38, v35, 0x3f2aaada
	v_sub_f32_e32 v33, v33, v34
	v_ldexp_f32 v39, v37, 1
	v_mul_f32_e32 v37, v37, v38
	v_mov_b32_e32 v34, 0x3f317218
	v_pk_mul_f32 v[34:35], v[36:37], v[34:35]
	v_ldexp_f32 v33, v33, 1
	v_fma_f32 v37, v36, s2, -v34
	v_fmamk_f32 v38, v36, 0xb102e308, v37
	v_pk_add_f32 v[36:37], v[34:35], v[38:39]
	v_mov_b32_e32 v40, v34
	v_sub_f32_e32 v39, v37, v39
	v_sub_f32_e32 v39, v35, v39
	v_add_f32_e32 v41, v33, v39
	v_pk_add_f32 v[34:35], v[36:37], v[34:35] neg_lo:[0,1] neg_hi:[0,1]
	v_pk_add_f32 v[42:43], v[36:37], v[40:41]
	v_mov_b32_e32 v39, v36
	v_mov_b32_e32 v35, v43
	v_pk_add_f32 v[44:45], v[38:39], v[34:35] neg_lo:[0,1] neg_hi:[0,1]
	v_pk_add_f32 v[34:35], v[38:39], v[34:35]
	v_mov_b32_e32 v40, v41
	v_mov_b32_e32 v38, v35
	v_pk_add_f32 v[46:47], v[38:39], v[36:37] neg_lo:[0,1] neg_hi:[0,1]
	v_mov_b32_e32 v34, v43
	v_mov_b32_e32 v33, v46
	v_pk_add_f32 v[48:49], v[42:43], v[32:33] neg_lo:[0,1] neg_hi:[0,1]
	v_mov_b32_e32 v42, v37
	v_mov_b32_e32 v43, v46
	;; [unrolled: 1-line block ×3, first 2 shown]
	v_pk_add_f32 v[34:35], v[34:35], v[42:43] neg_lo:[0,1] neg_hi:[0,1]
	v_mov_b32_e32 v41, v36
	v_pk_add_f32 v[34:35], v[40:41], v[34:35] neg_lo:[0,1] neg_hi:[0,1]
	v_mov_b32_e32 v48, v44
	v_pk_add_f32 v[36:37], v[48:49], v[34:35]
	s_mov_b32 s2, 0x33800000
	v_mov_b32_e32 v40, v37
	v_pk_add_f32 v[40:41], v[36:37], v[40:41]
	v_cmp_lt_f32_e64 s[2:3], |v50|, s2
	v_pk_add_f32 v[38:39], v[38:39], v[40:41]
	v_mov_b32_e32 v35, v40
	v_mov_b32_e32 v37, v38
	v_pk_add_f32 v[42:43], v[36:37], v[44:45] neg_lo:[0,1] neg_hi:[0,1]
	s_or_b64 vcc, vcc, s[2:3]
	v_sub_f32_e32 v33, v36, v42
	v_pk_add_f32 v[34:35], v[34:35], v[42:43] neg_lo:[0,1] neg_hi:[0,1]
	v_sub_f32_e32 v33, v44, v33
	v_add_f32_e32 v33, v34, v33
	v_add_f32_e32 v33, v33, v35
	;; [unrolled: 1-line block ×3, first 2 shown]
	v_cndmask_b32_e32 v33, v33, v50, vcc
	v_add_f32_e32 v31, v31, v33
	v_cvt_f16_f32_e32 v34, v31
.LBB398_105:
	s_or_b64 exec, exec, s[0:1]
	v_and_b32_e32 v33, 0xffff, v34
	v_mov_b32_e32 v31, v34
.LBB398_106:
	s_or_b64 exec, exec, s[96:97]
	v_mov_b32_dpp v34, v33 row_shr:8 row_mask:0xf bank_mask:0xf
	v_cmp_lt_u32_e32 vcc, 7, v32
	s_and_saveexec_b64 s[96:97], vcc
	s_cbranch_execz .LBB398_110
; %bb.107:
	v_cvt_f32_f16_e32 v33, v34
	v_cvt_f32_f16_e32 v35, v31
	v_cmp_u_f16_e32 vcc, v34, v34
	v_cmp_u_f16_e64 s[0:1], v31, v31
	v_min_f32_e32 v31, v33, v35
	v_cndmask_b32_e32 v31, v31, v33, vcc
	v_cndmask_b32_e64 v32, v31, v35, s[0:1]
	v_max_f32_e32 v31, v33, v35
	v_cndmask_b32_e32 v31, v31, v33, vcc
	v_cndmask_b32_e64 v31, v31, v35, s[0:1]
	s_movk_i32 s0, 0x1f8
	v_cmp_neq_f32_e32 vcc, v32, v31
	v_cmp_class_f32_e64 s[0:1], v32, s0
	s_or_b64 s[2:3], vcc, s[0:1]
	s_and_saveexec_b64 s[0:1], s[2:3]
	s_cbranch_execz .LBB398_109
; %bb.108:
	v_sub_f32_e32 v32, v32, v31
	s_mov_b32 s2, 0x3fb8aa3b
	v_mul_f32_e32 v33, 0x3fb8aa3b, v32
	v_fma_f32 v34, v32, s2, -v33
	v_rndne_f32_e32 v35, v33
	v_fmamk_f32 v34, v32, 0x32a5705f, v34
	v_sub_f32_e32 v33, v33, v35
	v_add_f32_e32 v33, v33, v34
	v_exp_f32_e32 v33, v33
	v_cvt_i32_f32_e32 v34, v35
	s_mov_b32 s2, 0xc2ce8ed0
	v_cmp_ngt_f32_e32 vcc, s2, v32
	s_mov_b32 s2, 0x42b17218
	v_ldexp_f32 v33, v33, v34
	v_cndmask_b32_e32 v33, 0, v33, vcc
	v_mov_b32_e32 v34, 0x7f800000
	v_cmp_nlt_f32_e32 vcc, s2, v32
	s_mov_b32 s2, 0x3f2aaaab
	s_mov_b32 s3, 0x7f800000
	v_cndmask_b32_e32 v48, v34, v33, vcc
	v_add_f32_e32 v34, 1.0, v48
	v_add_f32_e32 v32, -1.0, v34
	v_sub_f32_e32 v33, v32, v34
	v_add_f32_e32 v33, 1.0, v33
	v_sub_f32_e32 v32, v48, v32
	v_add_f32_e32 v35, v32, v33
	v_frexp_mant_f32_e32 v36, v34
	v_cvt_f64_f32_e32 v[32:33], v34
	v_frexp_exp_i32_f64_e32 v32, v[32:33]
	v_cmp_gt_f32_e32 vcc, s2, v36
	s_mov_b32 s2, 0x3f317218
	s_nop 0
	v_subbrev_co_u32_e32 v40, vcc, 0, v32, vcc
	v_sub_u32_e32 v32, 0, v40
	v_ldexp_f32 v33, v34, v32
	v_add_f32_e32 v34, -1.0, v33
	v_add_f32_e32 v36, 1.0, v33
	v_ldexp_f32 v32, v35, v32
	v_add_f32_e32 v35, 1.0, v34
	v_add_f32_e32 v37, -1.0, v36
	v_sub_f32_e32 v35, v33, v35
	v_sub_f32_e32 v33, v33, v37
	v_add_f32_e32 v35, v32, v35
	v_add_f32_e32 v32, v32, v33
	;; [unrolled: 1-line block ×3, first 2 shown]
	v_rcp_f32_e32 v43, v41
	v_sub_f32_e32 v33, v36, v41
	v_add_f32_e32 v42, v32, v33
	v_add_f32_e32 v33, v34, v35
	v_mul_f32_e32 v45, v33, v43
	v_sub_f32_e32 v32, v34, v33
	v_mul_f32_e32 v34, v41, v45
	v_fma_f32 v36, v45, v41, -v34
	v_fmac_f32_e32 v36, v45, v42
	v_add_f32_e32 v44, v35, v32
	v_add_f32_e32 v32, v34, v36
	v_sub_f32_e32 v35, v33, v32
	v_pk_add_f32 v[38:39], v[32:33], v[34:35] neg_lo:[0,1] neg_hi:[0,1]
	v_mov_b32_e32 v37, v32
	v_pk_add_f32 v[32:33], v[38:39], v[36:37] neg_lo:[0,1] neg_hi:[0,1]
	v_cmp_eq_f32_e32 vcc, s3, v48
	v_add_f32_e32 v33, v44, v33
	v_add_f32_e32 v32, v32, v33
	;; [unrolled: 1-line block ×3, first 2 shown]
	v_mul_f32_e32 v44, v43, v33
	v_mul_f32_e32 v34, v41, v44
	v_fma_f32 v36, v44, v41, -v34
	v_fmac_f32_e32 v36, v44, v42
	v_sub_f32_e32 v35, v35, v33
	v_add_f32_e32 v41, v32, v35
	v_add_f32_e32 v32, v34, v36
	v_sub_f32_e32 v35, v33, v32
	v_pk_add_f32 v[38:39], v[32:33], v[34:35] neg_lo:[0,1] neg_hi:[0,1]
	v_mov_b32_e32 v37, v32
	v_pk_add_f32 v[32:33], v[38:39], v[36:37] neg_lo:[0,1] neg_hi:[0,1]
	v_cvt_f32_i32_e32 v34, v40
	v_add_f32_e32 v33, v41, v33
	v_add_f32_e32 v32, v32, v33
	;; [unrolled: 1-line block ×4, first 2 shown]
	v_sub_f32_e32 v33, v35, v45
	v_mul_f32_e32 v32, v43, v32
	v_sub_f32_e32 v33, v44, v33
	v_add_f32_e32 v32, v33, v32
	v_add_f32_e32 v36, v35, v32
	v_mul_f32_e32 v38, v36, v36
	v_mov_b32_e32 v33, 0x3ecc95a3
	v_sub_f32_e32 v35, v36, v35
	v_fmac_f32_e32 v33, 0x3e9b6dac, v38
	v_sub_f32_e32 v32, v32, v35
	v_fmaak_f32 v33, v38, v33, 0x3f2aaada
	v_ldexp_f32 v39, v32, 1
	v_mul_f32_e32 v35, v36, v38
	v_mov_b32_e32 v32, 0x3f317218
	v_pk_mul_f32 v[32:33], v[34:35], v[32:33]
	v_ldexp_f32 v37, v36, 1
	v_fma_f32 v35, v34, s2, -v32
	v_fmamk_f32 v36, v34, 0xb102e308, v35
	v_pk_add_f32 v[34:35], v[32:33], v[36:37]
	v_mov_b32_e32 v38, v32
	v_sub_f32_e32 v37, v35, v37
	v_sub_f32_e32 v37, v33, v37
	v_add_f32_e32 v39, v39, v37
	v_pk_add_f32 v[32:33], v[34:35], v[32:33] neg_lo:[0,1] neg_hi:[0,1]
	v_pk_add_f32 v[40:41], v[34:35], v[38:39]
	v_mov_b32_e32 v37, v34
	v_mov_b32_e32 v33, v41
	v_pk_add_f32 v[42:43], v[36:37], v[32:33] neg_lo:[0,1] neg_hi:[0,1]
	v_pk_add_f32 v[32:33], v[36:37], v[32:33]
	v_mov_b32_e32 v38, v39
	v_mov_b32_e32 v36, v33
	v_pk_add_f32 v[44:45], v[36:37], v[34:35] neg_lo:[0,1] neg_hi:[0,1]
	v_mov_b32_e32 v32, v41
	v_mov_b32_e32 v37, v44
	v_pk_add_f32 v[46:47], v[40:41], v[36:37] neg_lo:[0,1] neg_hi:[0,1]
	v_mov_b32_e32 v40, v35
	v_mov_b32_e32 v41, v44
	;; [unrolled: 1-line block ×3, first 2 shown]
	v_pk_add_f32 v[32:33], v[32:33], v[40:41] neg_lo:[0,1] neg_hi:[0,1]
	v_mov_b32_e32 v39, v34
	v_pk_add_f32 v[32:33], v[38:39], v[32:33] neg_lo:[0,1] neg_hi:[0,1]
	v_mov_b32_e32 v46, v42
	v_pk_add_f32 v[34:35], v[46:47], v[32:33]
	s_mov_b32 s2, 0x33800000
	v_mov_b32_e32 v38, v35
	v_pk_add_f32 v[38:39], v[34:35], v[38:39]
	v_cmp_lt_f32_e64 s[2:3], |v48|, s2
	v_pk_add_f32 v[36:37], v[36:37], v[38:39]
	v_mov_b32_e32 v33, v38
	v_mov_b32_e32 v35, v36
	v_pk_add_f32 v[40:41], v[34:35], v[42:43] neg_lo:[0,1] neg_hi:[0,1]
	s_or_b64 vcc, vcc, s[2:3]
	v_sub_f32_e32 v34, v34, v40
	v_pk_add_f32 v[32:33], v[32:33], v[40:41] neg_lo:[0,1] neg_hi:[0,1]
	v_sub_f32_e32 v34, v42, v34
	v_add_f32_e32 v32, v32, v34
	v_add_f32_e32 v32, v32, v33
	;; [unrolled: 1-line block ×3, first 2 shown]
	v_cndmask_b32_e32 v32, v32, v48, vcc
	v_add_f32_e32 v31, v31, v32
	v_cvt_f16_f32_e32 v34, v31
.LBB398_109:
	s_or_b64 exec, exec, s[0:1]
	v_and_b32_e32 v33, 0xffff, v34
	v_mov_b32_e32 v31, v34
.LBB398_110:
	s_or_b64 exec, exec, s[96:97]
	v_and_b32_e32 v34, 16, v30
	v_mov_b32_dpp v32, v33 row_bcast:15 row_mask:0xf bank_mask:0xf
	v_cmp_ne_u32_e32 vcc, 0, v34
	s_and_saveexec_b64 s[96:97], vcc
	s_cbranch_execz .LBB398_114
; %bb.111:
	v_cvt_f32_f16_e32 v34, v32
	v_cvt_f32_f16_e32 v35, v31
	v_cmp_u_f16_e32 vcc, v32, v32
	v_cmp_u_f16_e64 s[0:1], v31, v31
	v_min_f32_e32 v31, v34, v35
	v_cndmask_b32_e32 v31, v31, v34, vcc
	v_cndmask_b32_e64 v33, v31, v35, s[0:1]
	v_max_f32_e32 v31, v34, v35
	v_cndmask_b32_e32 v31, v31, v34, vcc
	v_cndmask_b32_e64 v31, v31, v35, s[0:1]
	s_movk_i32 s0, 0x1f8
	v_cmp_neq_f32_e32 vcc, v33, v31
	v_cmp_class_f32_e64 s[0:1], v33, s0
	s_or_b64 s[2:3], vcc, s[0:1]
	s_and_saveexec_b64 s[0:1], s[2:3]
	s_cbranch_execz .LBB398_113
; %bb.112:
	v_sub_f32_e32 v32, v33, v31
	s_mov_b32 s2, 0x3fb8aa3b
	v_mul_f32_e32 v33, 0x3fb8aa3b, v32
	v_fma_f32 v34, v32, s2, -v33
	v_rndne_f32_e32 v35, v33
	v_fmamk_f32 v34, v32, 0x32a5705f, v34
	v_sub_f32_e32 v33, v33, v35
	v_add_f32_e32 v33, v33, v34
	v_exp_f32_e32 v33, v33
	v_cvt_i32_f32_e32 v34, v35
	s_mov_b32 s2, 0xc2ce8ed0
	v_cmp_ngt_f32_e32 vcc, s2, v32
	s_mov_b32 s2, 0x42b17218
	v_ldexp_f32 v33, v33, v34
	v_cndmask_b32_e32 v33, 0, v33, vcc
	v_mov_b32_e32 v34, 0x7f800000
	v_cmp_nlt_f32_e32 vcc, s2, v32
	s_mov_b32 s2, 0x3f2aaaab
	s_mov_b32 s3, 0x7f800000
	v_cndmask_b32_e32 v48, v34, v33, vcc
	v_add_f32_e32 v34, 1.0, v48
	v_add_f32_e32 v32, -1.0, v34
	v_sub_f32_e32 v33, v32, v34
	v_add_f32_e32 v33, 1.0, v33
	v_sub_f32_e32 v32, v48, v32
	v_add_f32_e32 v35, v32, v33
	v_frexp_mant_f32_e32 v36, v34
	v_cvt_f64_f32_e32 v[32:33], v34
	v_frexp_exp_i32_f64_e32 v32, v[32:33]
	v_cmp_gt_f32_e32 vcc, s2, v36
	s_mov_b32 s2, 0x3f317218
	s_nop 0
	v_subbrev_co_u32_e32 v40, vcc, 0, v32, vcc
	v_sub_u32_e32 v32, 0, v40
	v_ldexp_f32 v33, v34, v32
	v_add_f32_e32 v34, -1.0, v33
	v_add_f32_e32 v36, 1.0, v33
	v_ldexp_f32 v32, v35, v32
	v_add_f32_e32 v35, 1.0, v34
	v_add_f32_e32 v37, -1.0, v36
	v_sub_f32_e32 v35, v33, v35
	v_sub_f32_e32 v33, v33, v37
	v_add_f32_e32 v35, v32, v35
	v_add_f32_e32 v32, v32, v33
	;; [unrolled: 1-line block ×3, first 2 shown]
	v_rcp_f32_e32 v43, v41
	v_sub_f32_e32 v33, v36, v41
	v_add_f32_e32 v42, v32, v33
	v_add_f32_e32 v33, v34, v35
	v_mul_f32_e32 v45, v33, v43
	v_sub_f32_e32 v32, v34, v33
	v_mul_f32_e32 v34, v41, v45
	v_fma_f32 v36, v45, v41, -v34
	v_fmac_f32_e32 v36, v45, v42
	v_add_f32_e32 v44, v35, v32
	v_add_f32_e32 v32, v34, v36
	v_sub_f32_e32 v35, v33, v32
	v_pk_add_f32 v[38:39], v[32:33], v[34:35] neg_lo:[0,1] neg_hi:[0,1]
	v_mov_b32_e32 v37, v32
	v_pk_add_f32 v[32:33], v[38:39], v[36:37] neg_lo:[0,1] neg_hi:[0,1]
	v_cmp_eq_f32_e32 vcc, s3, v48
	v_add_f32_e32 v33, v44, v33
	v_add_f32_e32 v32, v32, v33
	;; [unrolled: 1-line block ×3, first 2 shown]
	v_mul_f32_e32 v44, v43, v33
	v_mul_f32_e32 v34, v41, v44
	v_fma_f32 v36, v44, v41, -v34
	v_fmac_f32_e32 v36, v44, v42
	v_sub_f32_e32 v35, v35, v33
	v_add_f32_e32 v41, v32, v35
	v_add_f32_e32 v32, v34, v36
	v_sub_f32_e32 v35, v33, v32
	v_pk_add_f32 v[38:39], v[32:33], v[34:35] neg_lo:[0,1] neg_hi:[0,1]
	v_mov_b32_e32 v37, v32
	v_pk_add_f32 v[32:33], v[38:39], v[36:37] neg_lo:[0,1] neg_hi:[0,1]
	v_cvt_f32_i32_e32 v34, v40
	v_add_f32_e32 v33, v41, v33
	v_add_f32_e32 v32, v32, v33
	;; [unrolled: 1-line block ×4, first 2 shown]
	v_sub_f32_e32 v33, v35, v45
	v_mul_f32_e32 v32, v43, v32
	v_sub_f32_e32 v33, v44, v33
	v_add_f32_e32 v32, v33, v32
	v_add_f32_e32 v36, v35, v32
	v_mul_f32_e32 v38, v36, v36
	v_mov_b32_e32 v33, 0x3ecc95a3
	v_sub_f32_e32 v35, v36, v35
	v_fmac_f32_e32 v33, 0x3e9b6dac, v38
	v_sub_f32_e32 v32, v32, v35
	v_fmaak_f32 v33, v38, v33, 0x3f2aaada
	v_ldexp_f32 v39, v32, 1
	v_mul_f32_e32 v35, v36, v38
	v_mov_b32_e32 v32, 0x3f317218
	v_pk_mul_f32 v[32:33], v[34:35], v[32:33]
	v_ldexp_f32 v37, v36, 1
	v_fma_f32 v35, v34, s2, -v32
	v_fmamk_f32 v36, v34, 0xb102e308, v35
	v_pk_add_f32 v[34:35], v[32:33], v[36:37]
	v_mov_b32_e32 v38, v32
	v_sub_f32_e32 v37, v35, v37
	v_sub_f32_e32 v37, v33, v37
	v_add_f32_e32 v39, v39, v37
	v_pk_add_f32 v[32:33], v[34:35], v[32:33] neg_lo:[0,1] neg_hi:[0,1]
	v_pk_add_f32 v[40:41], v[34:35], v[38:39]
	v_mov_b32_e32 v37, v34
	v_mov_b32_e32 v33, v41
	v_pk_add_f32 v[42:43], v[36:37], v[32:33] neg_lo:[0,1] neg_hi:[0,1]
	v_pk_add_f32 v[32:33], v[36:37], v[32:33]
	v_mov_b32_e32 v38, v39
	v_mov_b32_e32 v36, v33
	v_pk_add_f32 v[44:45], v[36:37], v[34:35] neg_lo:[0,1] neg_hi:[0,1]
	v_mov_b32_e32 v32, v41
	v_mov_b32_e32 v37, v44
	v_pk_add_f32 v[46:47], v[40:41], v[36:37] neg_lo:[0,1] neg_hi:[0,1]
	v_mov_b32_e32 v40, v35
	v_mov_b32_e32 v41, v44
	;; [unrolled: 1-line block ×3, first 2 shown]
	v_pk_add_f32 v[32:33], v[32:33], v[40:41] neg_lo:[0,1] neg_hi:[0,1]
	v_mov_b32_e32 v39, v34
	v_pk_add_f32 v[32:33], v[38:39], v[32:33] neg_lo:[0,1] neg_hi:[0,1]
	v_mov_b32_e32 v46, v42
	v_pk_add_f32 v[34:35], v[46:47], v[32:33]
	s_mov_b32 s2, 0x33800000
	v_mov_b32_e32 v38, v35
	v_pk_add_f32 v[38:39], v[34:35], v[38:39]
	v_cmp_lt_f32_e64 s[2:3], |v48|, s2
	v_pk_add_f32 v[36:37], v[36:37], v[38:39]
	v_mov_b32_e32 v33, v38
	v_mov_b32_e32 v35, v36
	v_pk_add_f32 v[40:41], v[34:35], v[42:43] neg_lo:[0,1] neg_hi:[0,1]
	s_or_b64 vcc, vcc, s[2:3]
	v_sub_f32_e32 v34, v34, v40
	v_pk_add_f32 v[32:33], v[32:33], v[40:41] neg_lo:[0,1] neg_hi:[0,1]
	v_sub_f32_e32 v34, v42, v34
	v_add_f32_e32 v32, v32, v34
	v_add_f32_e32 v32, v32, v33
	;; [unrolled: 1-line block ×3, first 2 shown]
	v_cndmask_b32_e32 v32, v32, v48, vcc
	v_add_f32_e32 v31, v31, v32
	v_cvt_f16_f32_e32 v32, v31
.LBB398_113:
	s_or_b64 exec, exec, s[0:1]
	v_and_b32_e32 v33, 0xffff, v32
	v_mov_b32_e32 v31, v32
.LBB398_114:
	s_or_b64 exec, exec, s[96:97]
	v_mov_b32_dpp v32, v33 row_bcast:31 row_mask:0xf bank_mask:0xf
	v_cmp_lt_u32_e32 vcc, 31, v30
	s_and_saveexec_b64 s[96:97], vcc
	s_cbranch_execz .LBB398_118
; %bb.115:
	v_cvt_f32_f16_e32 v34, v32
	v_cvt_f32_f16_e32 v35, v31
	v_cmp_u_f16_e32 vcc, v32, v32
	v_cmp_u_f16_e64 s[0:1], v31, v31
	v_min_f32_e32 v31, v34, v35
	v_cndmask_b32_e32 v31, v31, v34, vcc
	v_cndmask_b32_e64 v33, v31, v35, s[0:1]
	v_max_f32_e32 v31, v34, v35
	v_cndmask_b32_e32 v31, v31, v34, vcc
	v_cndmask_b32_e64 v31, v31, v35, s[0:1]
	s_movk_i32 s0, 0x1f8
	v_cmp_neq_f32_e32 vcc, v33, v31
	v_cmp_class_f32_e64 s[0:1], v33, s0
	s_or_b64 s[2:3], vcc, s[0:1]
	s_and_saveexec_b64 s[0:1], s[2:3]
	s_cbranch_execz .LBB398_117
; %bb.116:
	v_sub_f32_e32 v32, v33, v31
	s_mov_b32 s2, 0x3fb8aa3b
	v_mul_f32_e32 v33, 0x3fb8aa3b, v32
	v_fma_f32 v34, v32, s2, -v33
	v_rndne_f32_e32 v35, v33
	v_fmamk_f32 v34, v32, 0x32a5705f, v34
	v_sub_f32_e32 v33, v33, v35
	v_add_f32_e32 v33, v33, v34
	v_exp_f32_e32 v33, v33
	v_cvt_i32_f32_e32 v34, v35
	s_mov_b32 s2, 0xc2ce8ed0
	v_cmp_ngt_f32_e32 vcc, s2, v32
	s_mov_b32 s2, 0x42b17218
	v_ldexp_f32 v33, v33, v34
	v_cndmask_b32_e32 v33, 0, v33, vcc
	v_mov_b32_e32 v34, 0x7f800000
	v_cmp_nlt_f32_e32 vcc, s2, v32
	s_mov_b32 s2, 0x3f2aaaab
	s_mov_b32 s3, 0x7f800000
	v_cndmask_b32_e32 v48, v34, v33, vcc
	v_add_f32_e32 v34, 1.0, v48
	v_add_f32_e32 v32, -1.0, v34
	v_sub_f32_e32 v33, v32, v34
	v_add_f32_e32 v33, 1.0, v33
	v_sub_f32_e32 v32, v48, v32
	v_add_f32_e32 v35, v32, v33
	v_frexp_mant_f32_e32 v36, v34
	v_cvt_f64_f32_e32 v[32:33], v34
	v_frexp_exp_i32_f64_e32 v32, v[32:33]
	v_cmp_gt_f32_e32 vcc, s2, v36
	s_mov_b32 s2, 0x3f317218
	s_nop 0
	v_subbrev_co_u32_e32 v40, vcc, 0, v32, vcc
	v_sub_u32_e32 v32, 0, v40
	v_ldexp_f32 v33, v34, v32
	v_add_f32_e32 v34, -1.0, v33
	v_add_f32_e32 v36, 1.0, v33
	v_ldexp_f32 v32, v35, v32
	v_add_f32_e32 v35, 1.0, v34
	v_add_f32_e32 v37, -1.0, v36
	v_sub_f32_e32 v35, v33, v35
	v_sub_f32_e32 v33, v33, v37
	v_add_f32_e32 v35, v32, v35
	v_add_f32_e32 v32, v32, v33
	v_add_f32_e32 v41, v36, v32
	v_rcp_f32_e32 v43, v41
	v_sub_f32_e32 v33, v36, v41
	v_add_f32_e32 v42, v32, v33
	v_add_f32_e32 v33, v34, v35
	v_mul_f32_e32 v45, v33, v43
	v_sub_f32_e32 v32, v34, v33
	v_mul_f32_e32 v34, v41, v45
	v_fma_f32 v36, v45, v41, -v34
	v_fmac_f32_e32 v36, v45, v42
	v_add_f32_e32 v44, v35, v32
	v_add_f32_e32 v32, v34, v36
	v_sub_f32_e32 v35, v33, v32
	v_pk_add_f32 v[38:39], v[32:33], v[34:35] neg_lo:[0,1] neg_hi:[0,1]
	v_mov_b32_e32 v37, v32
	v_pk_add_f32 v[32:33], v[38:39], v[36:37] neg_lo:[0,1] neg_hi:[0,1]
	v_cmp_eq_f32_e32 vcc, s3, v48
	v_add_f32_e32 v33, v44, v33
	v_add_f32_e32 v32, v32, v33
	;; [unrolled: 1-line block ×3, first 2 shown]
	v_mul_f32_e32 v44, v43, v33
	v_mul_f32_e32 v34, v41, v44
	v_fma_f32 v36, v44, v41, -v34
	v_fmac_f32_e32 v36, v44, v42
	v_sub_f32_e32 v35, v35, v33
	v_add_f32_e32 v41, v32, v35
	v_add_f32_e32 v32, v34, v36
	v_sub_f32_e32 v35, v33, v32
	v_pk_add_f32 v[38:39], v[32:33], v[34:35] neg_lo:[0,1] neg_hi:[0,1]
	v_mov_b32_e32 v37, v32
	v_pk_add_f32 v[32:33], v[38:39], v[36:37] neg_lo:[0,1] neg_hi:[0,1]
	v_cvt_f32_i32_e32 v34, v40
	v_add_f32_e32 v33, v41, v33
	v_add_f32_e32 v32, v32, v33
	;; [unrolled: 1-line block ×4, first 2 shown]
	v_sub_f32_e32 v33, v35, v45
	v_mul_f32_e32 v32, v43, v32
	v_sub_f32_e32 v33, v44, v33
	v_add_f32_e32 v32, v33, v32
	v_add_f32_e32 v36, v35, v32
	v_mul_f32_e32 v38, v36, v36
	v_mov_b32_e32 v33, 0x3ecc95a3
	v_sub_f32_e32 v35, v36, v35
	v_fmac_f32_e32 v33, 0x3e9b6dac, v38
	v_sub_f32_e32 v32, v32, v35
	v_fmaak_f32 v33, v38, v33, 0x3f2aaada
	v_ldexp_f32 v39, v32, 1
	v_mul_f32_e32 v35, v36, v38
	v_mov_b32_e32 v32, 0x3f317218
	v_pk_mul_f32 v[32:33], v[34:35], v[32:33]
	v_ldexp_f32 v37, v36, 1
	v_fma_f32 v35, v34, s2, -v32
	v_fmamk_f32 v36, v34, 0xb102e308, v35
	v_pk_add_f32 v[34:35], v[32:33], v[36:37]
	v_mov_b32_e32 v38, v32
	v_sub_f32_e32 v37, v35, v37
	v_sub_f32_e32 v37, v33, v37
	v_add_f32_e32 v39, v39, v37
	v_pk_add_f32 v[32:33], v[34:35], v[32:33] neg_lo:[0,1] neg_hi:[0,1]
	v_pk_add_f32 v[40:41], v[34:35], v[38:39]
	v_mov_b32_e32 v37, v34
	v_mov_b32_e32 v33, v41
	v_pk_add_f32 v[42:43], v[36:37], v[32:33] neg_lo:[0,1] neg_hi:[0,1]
	v_pk_add_f32 v[32:33], v[36:37], v[32:33]
	v_mov_b32_e32 v38, v39
	v_mov_b32_e32 v36, v33
	v_pk_add_f32 v[44:45], v[36:37], v[34:35] neg_lo:[0,1] neg_hi:[0,1]
	v_mov_b32_e32 v32, v41
	v_mov_b32_e32 v37, v44
	v_pk_add_f32 v[46:47], v[40:41], v[36:37] neg_lo:[0,1] neg_hi:[0,1]
	v_mov_b32_e32 v40, v35
	v_mov_b32_e32 v41, v44
	;; [unrolled: 1-line block ×3, first 2 shown]
	v_pk_add_f32 v[32:33], v[32:33], v[40:41] neg_lo:[0,1] neg_hi:[0,1]
	v_mov_b32_e32 v39, v34
	v_pk_add_f32 v[32:33], v[38:39], v[32:33] neg_lo:[0,1] neg_hi:[0,1]
	v_mov_b32_e32 v46, v42
	v_pk_add_f32 v[34:35], v[46:47], v[32:33]
	s_mov_b32 s2, 0x33800000
	v_mov_b32_e32 v38, v35
	v_pk_add_f32 v[38:39], v[34:35], v[38:39]
	v_cmp_lt_f32_e64 s[2:3], |v48|, s2
	v_pk_add_f32 v[36:37], v[36:37], v[38:39]
	v_mov_b32_e32 v33, v38
	v_mov_b32_e32 v35, v36
	v_pk_add_f32 v[40:41], v[34:35], v[42:43] neg_lo:[0,1] neg_hi:[0,1]
	s_or_b64 vcc, vcc, s[2:3]
	v_sub_f32_e32 v34, v34, v40
	v_pk_add_f32 v[32:33], v[32:33], v[40:41] neg_lo:[0,1] neg_hi:[0,1]
	v_sub_f32_e32 v34, v42, v34
	v_add_f32_e32 v32, v32, v34
	v_add_f32_e32 v32, v32, v33
	;; [unrolled: 1-line block ×3, first 2 shown]
	v_cndmask_b32_e32 v32, v32, v48, vcc
	v_add_f32_e32 v31, v31, v32
	v_cvt_f16_f32_e32 v32, v31
.LBB398_117:
	s_or_b64 exec, exec, s[0:1]
	v_mov_b32_e32 v31, v32
.LBB398_118:
	s_or_b64 exec, exec, s[96:97]
	v_or_b32_e32 v33, 63, v0
	v_lshrrev_b32_e32 v32, 6, v0
	v_cmp_eq_u32_e32 vcc, v33, v0
	s_and_saveexec_b64 s[0:1], vcc
	s_cbranch_execz .LBB398_120
; %bb.119:
	v_lshlrev_b32_e32 v33, 1, v32
	ds_write_b16 v33, v31
.LBB398_120:
	s_or_b64 exec, exec, s[0:1]
	v_cmp_gt_u32_e32 vcc, 4, v0
	s_waitcnt lgkmcnt(0)
	s_barrier
	s_and_saveexec_b64 s[98:99], vcc
	s_cbranch_execz .LBB398_130
; %bb.121:
	ds_read_u16 v34, v14
	v_and_b32_e32 v33, 3, v30
	v_cmp_ne_u32_e32 vcc, 0, v33
	s_waitcnt lgkmcnt(0)
	v_and_b32_e32 v36, 0xffff, v34
	s_nop 1
	v_mov_b32_dpp v35, v36 row_shr:1 row_mask:0xf bank_mask:0xf
	s_and_saveexec_b64 s[96:97], vcc
	s_cbranch_execz .LBB398_125
; %bb.122:
	v_cvt_f32_f16_e32 v37, v35
	v_cvt_f32_f16_e32 v38, v34
	v_cmp_u_f16_e32 vcc, v35, v35
	v_cmp_u_f16_e64 s[0:1], v34, v34
	v_min_f32_e32 v34, v37, v38
	v_cndmask_b32_e32 v34, v34, v37, vcc
	v_cndmask_b32_e64 v36, v34, v38, s[0:1]
	v_max_f32_e32 v34, v37, v38
	v_cndmask_b32_e32 v34, v34, v37, vcc
	v_cndmask_b32_e64 v34, v34, v38, s[0:1]
	s_movk_i32 s0, 0x1f8
	v_cmp_neq_f32_e32 vcc, v36, v34
	v_cmp_class_f32_e64 s[0:1], v36, s0
	s_or_b64 s[2:3], vcc, s[0:1]
	s_and_saveexec_b64 s[0:1], s[2:3]
	s_cbranch_execz .LBB398_124
; %bb.123:
	v_sub_f32_e32 v35, v36, v34
	s_mov_b32 s2, 0x3fb8aa3b
	v_mul_f32_e32 v36, 0x3fb8aa3b, v35
	v_fma_f32 v37, v35, s2, -v36
	v_rndne_f32_e32 v38, v36
	v_fmamk_f32 v37, v35, 0x32a5705f, v37
	v_sub_f32_e32 v36, v36, v38
	v_add_f32_e32 v36, v36, v37
	v_exp_f32_e32 v36, v36
	v_cvt_i32_f32_e32 v37, v38
	s_mov_b32 s2, 0xc2ce8ed0
	v_cmp_ngt_f32_e32 vcc, s2, v35
	s_mov_b32 s2, 0x42b17218
	v_ldexp_f32 v36, v36, v37
	v_cndmask_b32_e32 v36, 0, v36, vcc
	v_mov_b32_e32 v37, 0x7f800000
	v_cmp_nlt_f32_e32 vcc, s2, v35
	s_mov_b32 s2, 0x3f2aaaab
	s_mov_b32 s3, 0x7f800000
	v_cndmask_b32_e32 v52, v37, v36, vcc
	v_add_f32_e32 v35, 1.0, v52
	v_add_f32_e32 v36, -1.0, v35
	v_sub_f32_e32 v37, v36, v35
	v_add_f32_e32 v37, 1.0, v37
	v_sub_f32_e32 v36, v52, v36
	v_add_f32_e32 v38, v36, v37
	v_frexp_mant_f32_e32 v39, v35
	v_cvt_f64_f32_e32 v[36:37], v35
	v_frexp_exp_i32_f64_e32 v36, v[36:37]
	v_cmp_gt_f32_e32 vcc, s2, v39
	s_mov_b32 s2, 0x3f317218
	s_nop 0
	v_subbrev_co_u32_e32 v44, vcc, 0, v36, vcc
	v_sub_u32_e32 v36, 0, v44
	v_ldexp_f32 v35, v35, v36
	v_ldexp_f32 v36, v38, v36
	v_add_f32_e32 v38, -1.0, v35
	v_add_f32_e32 v37, 1.0, v38
	v_sub_f32_e32 v37, v35, v37
	v_add_f32_e32 v39, v36, v37
	v_add_f32_e32 v37, 1.0, v35
	v_add_f32_e32 v40, -1.0, v37
	v_sub_f32_e32 v35, v35, v40
	v_add_f32_e32 v35, v36, v35
	v_add_f32_e32 v45, v37, v35
	v_rcp_f32_e32 v46, v45
	v_sub_f32_e32 v36, v37, v45
	v_add_f32_e32 v37, v38, v39
	v_add_f32_e32 v35, v35, v36
	v_mul_f32_e32 v48, v37, v46
	v_sub_f32_e32 v36, v38, v37
	v_mul_f32_e32 v38, v45, v48
	v_fma_f32 v40, v48, v45, -v38
	v_fmac_f32_e32 v40, v48, v35
	v_add_f32_e32 v47, v39, v36
	v_add_f32_e32 v36, v38, v40
	v_sub_f32_e32 v39, v37, v36
	v_pk_add_f32 v[42:43], v[36:37], v[38:39] neg_lo:[0,1] neg_hi:[0,1]
	v_mov_b32_e32 v41, v36
	v_pk_add_f32 v[36:37], v[42:43], v[40:41] neg_lo:[0,1] neg_hi:[0,1]
	v_cmp_eq_f32_e32 vcc, s3, v52
	v_add_f32_e32 v37, v47, v37
	v_add_f32_e32 v36, v36, v37
	;; [unrolled: 1-line block ×3, first 2 shown]
	v_mul_f32_e32 v47, v46, v37
	v_mul_f32_e32 v38, v45, v47
	v_fma_f32 v40, v47, v45, -v38
	v_fmac_f32_e32 v40, v47, v35
	v_sub_f32_e32 v35, v39, v37
	v_add_f32_e32 v35, v36, v35
	v_add_f32_e32 v36, v38, v40
	v_sub_f32_e32 v39, v37, v36
	v_pk_add_f32 v[42:43], v[36:37], v[38:39] neg_lo:[0,1] neg_hi:[0,1]
	v_mov_b32_e32 v41, v36
	v_pk_add_f32 v[36:37], v[42:43], v[40:41] neg_lo:[0,1] neg_hi:[0,1]
	v_cvt_f32_i32_e32 v38, v44
	v_add_f32_e32 v35, v35, v37
	v_add_f32_e32 v35, v36, v35
	;; [unrolled: 1-line block ×4, first 2 shown]
	v_sub_f32_e32 v37, v36, v48
	v_mul_f32_e32 v35, v46, v35
	v_sub_f32_e32 v37, v47, v37
	v_add_f32_e32 v35, v37, v35
	v_add_f32_e32 v39, v36, v35
	v_mul_f32_e32 v40, v39, v39
	v_mov_b32_e32 v37, 0x3ecc95a3
	v_fmac_f32_e32 v37, 0x3e9b6dac, v40
	v_sub_f32_e32 v36, v39, v36
	v_fmaak_f32 v37, v40, v37, 0x3f2aaada
	v_sub_f32_e32 v35, v35, v36
	v_ldexp_f32 v41, v39, 1
	v_mul_f32_e32 v39, v39, v40
	v_mov_b32_e32 v36, 0x3f317218
	v_pk_mul_f32 v[36:37], v[38:39], v[36:37]
	v_ldexp_f32 v35, v35, 1
	v_fma_f32 v39, v38, s2, -v36
	v_fmamk_f32 v40, v38, 0xb102e308, v39
	v_pk_add_f32 v[38:39], v[36:37], v[40:41]
	v_mov_b32_e32 v42, v36
	v_sub_f32_e32 v41, v39, v41
	v_sub_f32_e32 v41, v37, v41
	v_add_f32_e32 v43, v35, v41
	v_pk_add_f32 v[36:37], v[38:39], v[36:37] neg_lo:[0,1] neg_hi:[0,1]
	v_pk_add_f32 v[44:45], v[38:39], v[42:43]
	v_mov_b32_e32 v41, v38
	v_mov_b32_e32 v37, v45
	v_pk_add_f32 v[46:47], v[40:41], v[36:37] neg_lo:[0,1] neg_hi:[0,1]
	v_pk_add_f32 v[36:37], v[40:41], v[36:37]
	v_mov_b32_e32 v42, v43
	v_mov_b32_e32 v40, v37
	v_pk_add_f32 v[48:49], v[40:41], v[38:39] neg_lo:[0,1] neg_hi:[0,1]
	v_mov_b32_e32 v36, v45
	v_mov_b32_e32 v35, v48
	v_pk_add_f32 v[50:51], v[44:45], v[34:35] neg_lo:[0,1] neg_hi:[0,1]
	v_mov_b32_e32 v44, v39
	v_mov_b32_e32 v45, v48
	;; [unrolled: 1-line block ×3, first 2 shown]
	v_pk_add_f32 v[36:37], v[36:37], v[44:45] neg_lo:[0,1] neg_hi:[0,1]
	v_mov_b32_e32 v43, v38
	v_pk_add_f32 v[36:37], v[42:43], v[36:37] neg_lo:[0,1] neg_hi:[0,1]
	v_mov_b32_e32 v50, v46
	v_pk_add_f32 v[38:39], v[50:51], v[36:37]
	s_mov_b32 s2, 0x33800000
	v_mov_b32_e32 v42, v39
	v_pk_add_f32 v[42:43], v[38:39], v[42:43]
	v_cmp_lt_f32_e64 s[2:3], |v52|, s2
	v_pk_add_f32 v[40:41], v[40:41], v[42:43]
	v_mov_b32_e32 v37, v42
	v_mov_b32_e32 v39, v40
	v_pk_add_f32 v[44:45], v[38:39], v[46:47] neg_lo:[0,1] neg_hi:[0,1]
	s_or_b64 vcc, vcc, s[2:3]
	v_sub_f32_e32 v35, v38, v44
	v_pk_add_f32 v[36:37], v[36:37], v[44:45] neg_lo:[0,1] neg_hi:[0,1]
	v_sub_f32_e32 v35, v46, v35
	v_add_f32_e32 v35, v36, v35
	v_add_f32_e32 v35, v35, v37
	;; [unrolled: 1-line block ×3, first 2 shown]
	v_cndmask_b32_e32 v35, v35, v52, vcc
	v_add_f32_e32 v34, v34, v35
	v_cvt_f16_f32_e32 v35, v34
.LBB398_124:
	s_or_b64 exec, exec, s[0:1]
	v_and_b32_e32 v36, 0xffff, v35
	v_mov_b32_e32 v34, v35
.LBB398_125:
	s_or_b64 exec, exec, s[96:97]
	v_mov_b32_dpp v35, v36 row_shr:2 row_mask:0xf bank_mask:0xf
	v_cmp_lt_u32_e32 vcc, 1, v33
	s_and_saveexec_b64 s[96:97], vcc
	s_cbranch_execz .LBB398_129
; %bb.126:
	v_cvt_f32_f16_e32 v33, v35
	v_cvt_f32_f16_e32 v36, v34
	v_cmp_u_f16_e32 vcc, v35, v35
	v_cmp_u_f16_e64 s[0:1], v34, v34
	v_min_f32_e32 v34, v33, v36
	v_max_f32_e32 v37, v33, v36
	v_cndmask_b32_e32 v34, v34, v33, vcc
	v_cndmask_b32_e32 v33, v37, v33, vcc
	v_cndmask_b32_e64 v34, v34, v36, s[0:1]
	v_cndmask_b32_e64 v33, v33, v36, s[0:1]
	s_movk_i32 s0, 0x1f8
	v_cmp_neq_f32_e32 vcc, v34, v33
	v_cmp_class_f32_e64 s[0:1], v34, s0
	s_or_b64 s[2:3], vcc, s[0:1]
	s_and_saveexec_b64 s[0:1], s[2:3]
	s_cbranch_execz .LBB398_128
; %bb.127:
	v_sub_f32_e32 v34, v34, v33
	s_mov_b32 s2, 0x3fb8aa3b
	v_mul_f32_e32 v35, 0x3fb8aa3b, v34
	v_fma_f32 v36, v34, s2, -v35
	v_rndne_f32_e32 v37, v35
	v_fmamk_f32 v36, v34, 0x32a5705f, v36
	v_sub_f32_e32 v35, v35, v37
	v_add_f32_e32 v35, v35, v36
	v_exp_f32_e32 v35, v35
	v_cvt_i32_f32_e32 v36, v37
	s_mov_b32 s2, 0xc2ce8ed0
	v_cmp_ngt_f32_e32 vcc, s2, v34
	s_mov_b32 s2, 0x42b17218
	v_ldexp_f32 v35, v35, v36
	v_cndmask_b32_e32 v35, 0, v35, vcc
	v_mov_b32_e32 v36, 0x7f800000
	v_cmp_nlt_f32_e32 vcc, s2, v34
	s_mov_b32 s2, 0x3f2aaaab
	s_mov_b32 s3, 0x7f800000
	v_cndmask_b32_e32 v50, v36, v35, vcc
	v_add_f32_e32 v36, 1.0, v50
	v_add_f32_e32 v34, -1.0, v36
	v_sub_f32_e32 v35, v34, v36
	v_add_f32_e32 v35, 1.0, v35
	v_sub_f32_e32 v34, v50, v34
	v_add_f32_e32 v37, v34, v35
	v_frexp_mant_f32_e32 v38, v36
	v_cvt_f64_f32_e32 v[34:35], v36
	v_frexp_exp_i32_f64_e32 v34, v[34:35]
	v_cmp_gt_f32_e32 vcc, s2, v38
	s_mov_b32 s2, 0x3f317218
	s_nop 0
	v_subbrev_co_u32_e32 v42, vcc, 0, v34, vcc
	v_sub_u32_e32 v34, 0, v42
	v_ldexp_f32 v35, v36, v34
	v_add_f32_e32 v36, -1.0, v35
	v_add_f32_e32 v38, 1.0, v35
	v_ldexp_f32 v34, v37, v34
	v_add_f32_e32 v37, 1.0, v36
	v_add_f32_e32 v39, -1.0, v38
	v_sub_f32_e32 v37, v35, v37
	v_sub_f32_e32 v35, v35, v39
	v_add_f32_e32 v37, v34, v37
	v_add_f32_e32 v34, v34, v35
	;; [unrolled: 1-line block ×3, first 2 shown]
	v_rcp_f32_e32 v45, v43
	v_sub_f32_e32 v35, v38, v43
	v_add_f32_e32 v44, v34, v35
	v_add_f32_e32 v35, v36, v37
	v_mul_f32_e32 v47, v35, v45
	v_sub_f32_e32 v34, v36, v35
	v_mul_f32_e32 v36, v43, v47
	v_fma_f32 v38, v47, v43, -v36
	v_fmac_f32_e32 v38, v47, v44
	v_add_f32_e32 v46, v37, v34
	v_add_f32_e32 v34, v36, v38
	v_sub_f32_e32 v37, v35, v34
	v_pk_add_f32 v[40:41], v[34:35], v[36:37] neg_lo:[0,1] neg_hi:[0,1]
	v_mov_b32_e32 v39, v34
	v_pk_add_f32 v[34:35], v[40:41], v[38:39] neg_lo:[0,1] neg_hi:[0,1]
	v_cmp_eq_f32_e32 vcc, s3, v50
	v_add_f32_e32 v35, v46, v35
	v_add_f32_e32 v34, v34, v35
	;; [unrolled: 1-line block ×3, first 2 shown]
	v_mul_f32_e32 v46, v45, v35
	v_mul_f32_e32 v36, v43, v46
	v_fma_f32 v38, v46, v43, -v36
	v_fmac_f32_e32 v38, v46, v44
	v_sub_f32_e32 v37, v37, v35
	v_add_f32_e32 v43, v34, v37
	v_add_f32_e32 v34, v36, v38
	v_sub_f32_e32 v37, v35, v34
	v_pk_add_f32 v[40:41], v[34:35], v[36:37] neg_lo:[0,1] neg_hi:[0,1]
	v_mov_b32_e32 v39, v34
	v_pk_add_f32 v[34:35], v[40:41], v[38:39] neg_lo:[0,1] neg_hi:[0,1]
	v_cvt_f32_i32_e32 v36, v42
	v_add_f32_e32 v35, v43, v35
	v_add_f32_e32 v34, v34, v35
	;; [unrolled: 1-line block ×4, first 2 shown]
	v_sub_f32_e32 v35, v37, v47
	v_mul_f32_e32 v34, v45, v34
	v_sub_f32_e32 v35, v46, v35
	v_add_f32_e32 v34, v35, v34
	v_add_f32_e32 v38, v37, v34
	v_mul_f32_e32 v40, v38, v38
	v_mov_b32_e32 v35, 0x3ecc95a3
	v_sub_f32_e32 v37, v38, v37
	v_fmac_f32_e32 v35, 0x3e9b6dac, v40
	v_sub_f32_e32 v34, v34, v37
	v_fmaak_f32 v35, v40, v35, 0x3f2aaada
	v_ldexp_f32 v41, v34, 1
	v_mul_f32_e32 v37, v38, v40
	v_mov_b32_e32 v34, 0x3f317218
	v_pk_mul_f32 v[34:35], v[36:37], v[34:35]
	v_ldexp_f32 v39, v38, 1
	v_fma_f32 v37, v36, s2, -v34
	v_fmamk_f32 v38, v36, 0xb102e308, v37
	v_pk_add_f32 v[36:37], v[34:35], v[38:39]
	v_mov_b32_e32 v40, v34
	v_sub_f32_e32 v39, v37, v39
	v_sub_f32_e32 v39, v35, v39
	v_add_f32_e32 v41, v41, v39
	v_pk_add_f32 v[34:35], v[36:37], v[34:35] neg_lo:[0,1] neg_hi:[0,1]
	v_pk_add_f32 v[42:43], v[36:37], v[40:41]
	v_mov_b32_e32 v39, v36
	v_mov_b32_e32 v35, v43
	v_pk_add_f32 v[44:45], v[38:39], v[34:35] neg_lo:[0,1] neg_hi:[0,1]
	v_pk_add_f32 v[34:35], v[38:39], v[34:35]
	v_mov_b32_e32 v40, v41
	v_mov_b32_e32 v38, v35
	v_pk_add_f32 v[46:47], v[38:39], v[36:37] neg_lo:[0,1] neg_hi:[0,1]
	v_mov_b32_e32 v34, v43
	v_mov_b32_e32 v39, v46
	v_pk_add_f32 v[48:49], v[42:43], v[38:39] neg_lo:[0,1] neg_hi:[0,1]
	v_mov_b32_e32 v42, v37
	v_mov_b32_e32 v43, v46
	;; [unrolled: 1-line block ×3, first 2 shown]
	v_pk_add_f32 v[34:35], v[34:35], v[42:43] neg_lo:[0,1] neg_hi:[0,1]
	v_mov_b32_e32 v41, v36
	v_pk_add_f32 v[34:35], v[40:41], v[34:35] neg_lo:[0,1] neg_hi:[0,1]
	v_mov_b32_e32 v48, v44
	v_pk_add_f32 v[36:37], v[48:49], v[34:35]
	s_mov_b32 s2, 0x33800000
	v_mov_b32_e32 v40, v37
	v_pk_add_f32 v[40:41], v[36:37], v[40:41]
	v_cmp_lt_f32_e64 s[2:3], |v50|, s2
	v_pk_add_f32 v[38:39], v[38:39], v[40:41]
	v_mov_b32_e32 v35, v40
	v_mov_b32_e32 v37, v38
	v_pk_add_f32 v[42:43], v[36:37], v[44:45] neg_lo:[0,1] neg_hi:[0,1]
	s_or_b64 vcc, vcc, s[2:3]
	v_sub_f32_e32 v36, v36, v42
	v_pk_add_f32 v[34:35], v[34:35], v[42:43] neg_lo:[0,1] neg_hi:[0,1]
	v_sub_f32_e32 v36, v44, v36
	v_add_f32_e32 v34, v34, v36
	v_add_f32_e32 v34, v34, v35
	;; [unrolled: 1-line block ×3, first 2 shown]
	v_cndmask_b32_e32 v34, v34, v50, vcc
	v_add_f32_e32 v33, v33, v34
	v_cvt_f16_f32_e32 v35, v33
.LBB398_128:
	s_or_b64 exec, exec, s[0:1]
	v_mov_b32_e32 v34, v35
.LBB398_129:
	s_or_b64 exec, exec, s[96:97]
	ds_write_b16 v14, v34
.LBB398_130:
	s_or_b64 exec, exec, s[98:99]
	v_cmp_lt_u32_e32 vcc, 63, v0
	s_waitcnt lgkmcnt(0)
	s_barrier
	s_waitcnt lgkmcnt(0)
                                        ; implicit-def: $vgpr33
	s_and_saveexec_b64 s[98:99], vcc
	s_cbranch_execz .LBB398_134
; %bb.131:
	v_lshl_add_u32 v32, v32, 1, -2
	ds_read_u16 v33, v32
	v_cvt_f32_f16_e32 v32, v31
	v_cmp_u_f16_e32 vcc, v31, v31
	s_movk_i32 s2, 0x1f8
	s_waitcnt lgkmcnt(0)
	v_cvt_f32_f16_e32 v34, v33
	v_cmp_u_f16_e64 s[0:1], v33, v33
	v_min_f32_e32 v31, v34, v32
	v_max_f32_e32 v35, v34, v32
	v_cndmask_b32_e64 v31, v31, v34, s[0:1]
	v_cndmask_b32_e64 v35, v35, v34, s[0:1]
	v_cndmask_b32_e32 v34, v31, v32, vcc
	v_cndmask_b32_e32 v32, v35, v32, vcc
	v_cmp_neq_f32_e32 vcc, v34, v32
	v_cmp_class_f32_e64 s[0:1], v34, s2
	s_or_b64 s[2:3], vcc, s[0:1]
	v_mov_b32_e32 v31, v33
	s_and_saveexec_b64 s[0:1], s[2:3]
	s_cbranch_execz .LBB398_133
; %bb.132:
	v_sub_f32_e32 v31, v34, v32
	s_mov_b32 s2, 0x3fb8aa3b
	v_mul_f32_e32 v34, 0x3fb8aa3b, v31
	v_fma_f32 v35, v31, s2, -v34
	v_rndne_f32_e32 v36, v34
	v_fmamk_f32 v35, v31, 0x32a5705f, v35
	v_sub_f32_e32 v34, v34, v36
	v_add_f32_e32 v34, v34, v35
	v_exp_f32_e32 v34, v34
	v_cvt_i32_f32_e32 v35, v36
	s_mov_b32 s2, 0xc2ce8ed0
	v_cmp_ngt_f32_e32 vcc, s2, v31
	s_mov_b32 s2, 0x42b17218
	v_ldexp_f32 v34, v34, v35
	v_cndmask_b32_e32 v34, 0, v34, vcc
	v_mov_b32_e32 v35, 0x7f800000
	v_cmp_nlt_f32_e32 vcc, s2, v31
	s_mov_b32 s2, 0x3f2aaaab
	s_mov_b32 s3, 0x7f800000
	v_cndmask_b32_e32 v50, v35, v34, vcc
	v_add_f32_e32 v31, 1.0, v50
	v_add_f32_e32 v34, -1.0, v31
	v_sub_f32_e32 v35, v34, v31
	v_add_f32_e32 v35, 1.0, v35
	v_sub_f32_e32 v34, v50, v34
	v_add_f32_e32 v36, v34, v35
	v_frexp_mant_f32_e32 v37, v31
	v_cvt_f64_f32_e32 v[34:35], v31
	v_frexp_exp_i32_f64_e32 v34, v[34:35]
	v_cmp_gt_f32_e32 vcc, s2, v37
	s_mov_b32 s2, 0x3f317218
	s_nop 0
	v_subbrev_co_u32_e32 v42, vcc, 0, v34, vcc
	v_sub_u32_e32 v34, 0, v42
	v_ldexp_f32 v31, v31, v34
	v_ldexp_f32 v34, v36, v34
	v_add_f32_e32 v36, -1.0, v31
	v_add_f32_e32 v35, 1.0, v36
	v_sub_f32_e32 v35, v31, v35
	v_add_f32_e32 v37, v34, v35
	v_add_f32_e32 v35, 1.0, v31
	v_add_f32_e32 v38, -1.0, v35
	v_sub_f32_e32 v31, v31, v38
	v_add_f32_e32 v31, v34, v31
	v_add_f32_e32 v43, v35, v31
	v_rcp_f32_e32 v44, v43
	v_sub_f32_e32 v34, v35, v43
	v_add_f32_e32 v35, v36, v37
	v_add_f32_e32 v31, v31, v34
	v_mul_f32_e32 v46, v35, v44
	v_sub_f32_e32 v34, v36, v35
	v_mul_f32_e32 v36, v43, v46
	v_fma_f32 v38, v46, v43, -v36
	v_fmac_f32_e32 v38, v46, v31
	v_add_f32_e32 v45, v37, v34
	v_add_f32_e32 v34, v36, v38
	v_sub_f32_e32 v37, v35, v34
	v_pk_add_f32 v[40:41], v[34:35], v[36:37] neg_lo:[0,1] neg_hi:[0,1]
	v_mov_b32_e32 v39, v34
	v_pk_add_f32 v[34:35], v[40:41], v[38:39] neg_lo:[0,1] neg_hi:[0,1]
	v_cmp_eq_f32_e32 vcc, s3, v50
	v_add_f32_e32 v35, v45, v35
	v_add_f32_e32 v34, v34, v35
	;; [unrolled: 1-line block ×3, first 2 shown]
	v_mul_f32_e32 v45, v44, v35
	v_mul_f32_e32 v36, v43, v45
	v_fma_f32 v38, v45, v43, -v36
	v_fmac_f32_e32 v38, v45, v31
	v_sub_f32_e32 v31, v37, v35
	v_add_f32_e32 v31, v34, v31
	v_add_f32_e32 v34, v36, v38
	v_sub_f32_e32 v37, v35, v34
	v_pk_add_f32 v[40:41], v[34:35], v[36:37] neg_lo:[0,1] neg_hi:[0,1]
	v_mov_b32_e32 v39, v34
	v_pk_add_f32 v[34:35], v[40:41], v[38:39] neg_lo:[0,1] neg_hi:[0,1]
	v_cvt_f32_i32_e32 v36, v42
	v_add_f32_e32 v31, v31, v35
	v_add_f32_e32 v31, v34, v31
	;; [unrolled: 1-line block ×4, first 2 shown]
	v_sub_f32_e32 v35, v34, v46
	v_mul_f32_e32 v31, v44, v31
	v_sub_f32_e32 v35, v45, v35
	v_add_f32_e32 v31, v35, v31
	v_add_f32_e32 v37, v34, v31
	v_mul_f32_e32 v38, v37, v37
	v_mov_b32_e32 v35, 0x3ecc95a3
	v_fmac_f32_e32 v35, 0x3e9b6dac, v38
	v_sub_f32_e32 v34, v37, v34
	v_fmaak_f32 v35, v38, v35, 0x3f2aaada
	v_sub_f32_e32 v31, v31, v34
	v_ldexp_f32 v39, v37, 1
	v_mul_f32_e32 v37, v37, v38
	v_mov_b32_e32 v34, 0x3f317218
	v_pk_mul_f32 v[34:35], v[36:37], v[34:35]
	v_ldexp_f32 v31, v31, 1
	v_fma_f32 v37, v36, s2, -v34
	v_fmamk_f32 v38, v36, 0xb102e308, v37
	v_pk_add_f32 v[36:37], v[34:35], v[38:39]
	v_mov_b32_e32 v40, v34
	v_sub_f32_e32 v39, v37, v39
	v_sub_f32_e32 v39, v35, v39
	v_add_f32_e32 v41, v31, v39
	v_pk_add_f32 v[34:35], v[36:37], v[34:35] neg_lo:[0,1] neg_hi:[0,1]
	v_pk_add_f32 v[42:43], v[36:37], v[40:41]
	v_mov_b32_e32 v39, v36
	v_mov_b32_e32 v35, v43
	v_pk_add_f32 v[44:45], v[38:39], v[34:35] neg_lo:[0,1] neg_hi:[0,1]
	v_pk_add_f32 v[34:35], v[38:39], v[34:35]
	v_mov_b32_e32 v40, v41
	v_mov_b32_e32 v38, v35
	v_pk_add_f32 v[46:47], v[38:39], v[36:37] neg_lo:[0,1] neg_hi:[0,1]
	v_mov_b32_e32 v34, v43
	v_mov_b32_e32 v31, v46
	v_pk_add_f32 v[48:49], v[42:43], v[30:31] neg_lo:[0,1] neg_hi:[0,1]
	v_mov_b32_e32 v42, v37
	v_mov_b32_e32 v43, v46
	;; [unrolled: 1-line block ×3, first 2 shown]
	v_pk_add_f32 v[34:35], v[34:35], v[42:43] neg_lo:[0,1] neg_hi:[0,1]
	v_mov_b32_e32 v41, v36
	v_pk_add_f32 v[34:35], v[40:41], v[34:35] neg_lo:[0,1] neg_hi:[0,1]
	v_mov_b32_e32 v48, v44
	v_pk_add_f32 v[36:37], v[48:49], v[34:35]
	s_mov_b32 s2, 0x33800000
	v_mov_b32_e32 v40, v37
	v_pk_add_f32 v[40:41], v[36:37], v[40:41]
	v_cmp_lt_f32_e64 s[2:3], |v50|, s2
	v_pk_add_f32 v[38:39], v[38:39], v[40:41]
	v_mov_b32_e32 v35, v40
	v_mov_b32_e32 v37, v38
	v_pk_add_f32 v[42:43], v[36:37], v[44:45] neg_lo:[0,1] neg_hi:[0,1]
	s_or_b64 vcc, vcc, s[2:3]
	v_sub_f32_e32 v31, v36, v42
	v_pk_add_f32 v[34:35], v[34:35], v[42:43] neg_lo:[0,1] neg_hi:[0,1]
	v_sub_f32_e32 v31, v44, v31
	v_add_f32_e32 v31, v34, v31
	v_add_f32_e32 v31, v31, v35
	;; [unrolled: 1-line block ×3, first 2 shown]
	v_cndmask_b32_e32 v31, v31, v50, vcc
	v_add_f32_e32 v31, v32, v31
	v_cvt_f16_f32_e32 v31, v31
.LBB398_133:
	s_or_b64 exec, exec, s[0:1]
.LBB398_134:
	s_or_b64 exec, exec, s[98:99]
	v_add_u32_e32 v32, -1, v30
	v_and_b32_e32 v34, 64, v30
	v_cmp_lt_i32_e32 vcc, v32, v34
	v_and_b32_e32 v31, 0xffff, v31
	s_nop 0
	v_cndmask_b32_e32 v32, v32, v30, vcc
	v_lshlrev_b32_e32 v32, 2, v32
	ds_bpermute_b32 v32, v32, v31
	v_cmp_ne_u32_e32 vcc, 0, v0
	v_mov_b32_e32 v31, v2
	s_and_saveexec_b64 s[0:1], vcc
	s_cbranch_execz .LBB398_138
; %bb.135:
	v_cmp_eq_u32_e32 vcc, 0, v30
	v_max_f32_e32 v0, v1, v1
	s_movk_i32 s2, 0x1f8
	s_waitcnt lgkmcnt(0)
	v_cndmask_b32_e32 v2, v32, v33, vcc
	v_cvt_f32_f16_e32 v30, v2
	v_cmp_u_f16_e32 vcc, v2, v2
	v_min_f32_e32 v28, v30, v0
	v_max_f32_e32 v0, v30, v0
	v_cndmask_b32_e32 v28, v28, v30, vcc
	v_cndmask_b32_e32 v0, v0, v30, vcc
	v_cndmask_b32_e64 v28, v28, v1, s[94:95]
	v_cndmask_b32_e64 v0, v0, v1, s[94:95]
	v_cmp_neq_f32_e32 vcc, v28, v0
	v_cmp_class_f32_e64 s[2:3], v28, s2
	s_or_b64 s[2:3], vcc, s[2:3]
	s_and_saveexec_b64 s[94:95], s[2:3]
	s_cbranch_execz .LBB398_137
; %bb.136:
	v_sub_f32_e32 v1, v28, v0
	s_mov_b32 s2, 0x3fb8aa3b
	v_mul_f32_e32 v2, 0x3fb8aa3b, v1
	v_fma_f32 v28, v1, s2, -v2
	v_rndne_f32_e32 v29, v2
	v_fmamk_f32 v28, v1, 0x32a5705f, v28
	v_sub_f32_e32 v2, v2, v29
	v_add_f32_e32 v2, v2, v28
	v_exp_f32_e32 v2, v2
	v_cvt_i32_f32_e32 v28, v29
	s_mov_b32 s2, 0xc2ce8ed0
	v_cmp_ngt_f32_e32 vcc, s2, v1
	s_mov_b32 s2, 0x42b17218
	v_ldexp_f32 v2, v2, v28
	v_cndmask_b32_e32 v2, 0, v2, vcc
	v_mov_b32_e32 v28, 0x7f800000
	v_cmp_nlt_f32_e32 vcc, s2, v1
	s_mov_b32 s2, 0x3f2aaaab
	s_mov_b32 s3, 0x7f800000
	v_cndmask_b32_e32 v42, v28, v2, vcc
	v_add_f32_e32 v1, 1.0, v42
	v_add_f32_e32 v2, -1.0, v1
	v_sub_f32_e32 v28, v2, v1
	v_add_f32_e32 v28, 1.0, v28
	v_sub_f32_e32 v2, v42, v2
	v_add_f32_e32 v2, v2, v28
	v_frexp_mant_f32_e32 v30, v1
	v_cvt_f64_f32_e32 v[28:29], v1
	v_frexp_exp_i32_f64_e32 v28, v[28:29]
	v_cmp_gt_f32_e32 vcc, s2, v30
	s_mov_b32 s2, 0x3f317218
	s_nop 0
	v_subbrev_co_u32_e32 v36, vcc, 0, v28, vcc
	v_sub_u32_e32 v28, 0, v36
	v_ldexp_f32 v1, v1, v28
	v_ldexp_f32 v2, v2, v28
	v_add_f32_e32 v28, -1.0, v1
	v_add_f32_e32 v29, 1.0, v28
	v_sub_f32_e32 v29, v1, v29
	v_add_f32_e32 v30, v2, v29
	v_add_f32_e32 v29, 1.0, v1
	v_add_f32_e32 v31, -1.0, v29
	v_sub_f32_e32 v1, v1, v31
	v_add_f32_e32 v1, v2, v1
	v_add_f32_e32 v2, v29, v1
	v_rcp_f32_e32 v37, v2
	v_sub_f32_e32 v29, v29, v2
	v_add_f32_e32 v1, v1, v29
	v_add_f32_e32 v29, v28, v30
	v_sub_f32_e32 v28, v28, v29
	v_mul_f32_e32 v39, v29, v37
	v_add_f32_e32 v38, v30, v28
	v_mul_f32_e32 v30, v2, v39
	v_fma_f32 v32, v39, v2, -v30
	v_fmac_f32_e32 v32, v39, v1
	v_add_f32_e32 v28, v30, v32
	v_sub_f32_e32 v31, v29, v28
	v_pk_add_f32 v[34:35], v[28:29], v[30:31] neg_lo:[0,1] neg_hi:[0,1]
	v_mov_b32_e32 v33, v28
	v_pk_add_f32 v[28:29], v[34:35], v[32:33] neg_lo:[0,1] neg_hi:[0,1]
	v_cmp_eq_f32_e32 vcc, s3, v42
	v_add_f32_e32 v29, v38, v29
	v_add_f32_e32 v28, v28, v29
	;; [unrolled: 1-line block ×3, first 2 shown]
	v_mul_f32_e32 v38, v37, v29
	v_mul_f32_e32 v30, v2, v38
	v_fma_f32 v32, v38, v2, -v30
	v_fmac_f32_e32 v32, v38, v1
	v_sub_f32_e32 v1, v31, v29
	v_add_f32_e32 v1, v28, v1
	v_add_f32_e32 v28, v30, v32
	v_sub_f32_e32 v31, v29, v28
	v_pk_add_f32 v[34:35], v[28:29], v[30:31] neg_lo:[0,1] neg_hi:[0,1]
	v_mov_b32_e32 v33, v28
	v_pk_add_f32 v[28:29], v[34:35], v[32:33] neg_lo:[0,1] neg_hi:[0,1]
	v_add_f32_e32 v2, v39, v38
	v_add_f32_e32 v1, v1, v29
	;; [unrolled: 1-line block ×4, first 2 shown]
	v_sub_f32_e32 v28, v2, v39
	v_mul_f32_e32 v1, v37, v1
	v_sub_f32_e32 v28, v38, v28
	v_add_f32_e32 v1, v28, v1
	v_add_f32_e32 v28, v2, v1
	v_cvt_f32_i32_e32 v30, v36
	v_mul_f32_e32 v31, v28, v28
	v_mov_b32_e32 v29, 0x3ecc95a3
	v_fmac_f32_e32 v29, 0x3e9b6dac, v31
	v_fmaak_f32 v29, v31, v29, 0x3f2aaada
	v_sub_f32_e32 v2, v28, v2
	v_ldexp_f32 v33, v28, 1
	v_mul_f32_e32 v31, v28, v31
	v_mov_b32_e32 v28, 0x3f317218
	v_pk_mul_f32 v[28:29], v[30:31], v[28:29]
	v_sub_f32_e32 v1, v1, v2
	v_fma_f32 v2, v30, s2, -v28
	v_fmamk_f32 v32, v30, 0xb102e308, v2
	v_pk_add_f32 v[30:31], v[28:29], v[32:33]
	v_ldexp_f32 v1, v1, 1
	v_sub_f32_e32 v2, v31, v33
	v_sub_f32_e32 v2, v29, v2
	v_add_f32_e32 v35, v1, v2
	v_mov_b32_e32 v34, v28
	v_pk_add_f32 v[28:29], v[30:31], v[28:29] neg_lo:[0,1] neg_hi:[0,1]
	v_pk_add_f32 v[36:37], v[30:31], v[34:35]
	v_mov_b32_e32 v33, v30
	v_mov_b32_e32 v29, v37
	v_pk_add_f32 v[38:39], v[32:33], v[28:29] neg_lo:[0,1] neg_hi:[0,1]
	v_pk_add_f32 v[28:29], v[32:33], v[28:29]
	s_mov_b32 s2, 0x33800000
	v_mov_b32_e32 v2, v29
	v_pk_add_f32 v[32:33], v[2:3], v[30:31] neg_lo:[0,1] neg_hi:[0,1]
	v_mov_b32_e32 v28, v37
	v_mov_b32_e32 v1, v32
	v_pk_add_f32 v[40:41], v[36:37], v[0:1] neg_lo:[0,1] neg_hi:[0,1]
	v_mov_b32_e32 v36, v31
	v_mov_b32_e32 v37, v32
	;; [unrolled: 1-line block ×3, first 2 shown]
	v_pk_add_f32 v[28:29], v[28:29], v[36:37] neg_lo:[0,1] neg_hi:[0,1]
	v_mov_b32_e32 v32, v35
	v_mov_b32_e32 v33, v30
	v_pk_add_f32 v[28:29], v[32:33], v[28:29] neg_lo:[0,1] neg_hi:[0,1]
	v_mov_b32_e32 v40, v38
	v_pk_add_f32 v[30:31], v[40:41], v[28:29]
	v_cmp_lt_f32_e64 s[2:3], |v42|, s2
	v_mov_b32_e32 v32, v31
	v_pk_add_f32 v[32:33], v[30:31], v[32:33]
	s_or_b64 vcc, vcc, s[2:3]
	v_pk_add_f32 v[34:35], v[2:3], v[32:33]
	v_mov_b32_e32 v29, v32
	v_mov_b32_e32 v31, v34
	v_pk_add_f32 v[36:37], v[30:31], v[38:39] neg_lo:[0,1] neg_hi:[0,1]
	s_nop 0
	v_sub_f32_e32 v1, v30, v36
	v_pk_add_f32 v[28:29], v[28:29], v[36:37] neg_lo:[0,1] neg_hi:[0,1]
	v_sub_f32_e32 v1, v38, v1
	v_add_f32_e32 v1, v28, v1
	v_add_f32_e32 v1, v1, v29
	;; [unrolled: 1-line block ×3, first 2 shown]
	v_cndmask_b32_e32 v1, v1, v42, vcc
	v_add_f32_e32 v0, v0, v1
	v_cvt_f16_f32_e32 v2, v0
	v_cvt_f32_f16_e32 v30, v2
.LBB398_137:
	s_or_b64 exec, exec, s[94:95]
	v_max_f32_e32 v0, v15, v15
	v_max_f32_e32 v1, v30, v30
	v_min_f32_e32 v28, v1, v0
	v_max_f32_e32 v29, v1, v0
	v_mov_b32_e32 v31, v2
	v_mov_b32_e32 v1, v30
	;;#ASMSTART
	;;#ASMEND
.LBB398_138:
	s_or_b64 exec, exec, s[0:1]
	v_cmp_u_f16_e32 vcc, v31, v31
	s_nop 1
	v_cndmask_b32_e32 v0, v28, v1, vcc
	v_cndmask_b32_e64 v28, v0, v15, s[48:49]
	v_cndmask_b32_e32 v0, v29, v1, vcc
	v_cndmask_b32_e64 v15, v0, v15, s[48:49]
	v_cmp_neq_f32_e32 vcc, v28, v15
	v_cmp_class_f32_e64 s[0:1], v28, s33
	s_or_b64 s[2:3], vcc, s[0:1]
	v_mov_b32_e32 v0, v2
	s_and_saveexec_b64 s[0:1], s[2:3]
	s_cbranch_execz .LBB398_140
; %bb.139:
	v_sub_f32_e32 v0, v28, v15
	s_mov_b32 s2, 0x3fb8aa3b
	v_mul_f32_e32 v1, 0x3fb8aa3b, v0
	v_fma_f32 v28, v0, s2, -v1
	v_rndne_f32_e32 v29, v1
	v_fmamk_f32 v28, v0, 0x32a5705f, v28
	v_sub_f32_e32 v1, v1, v29
	v_add_f32_e32 v1, v1, v28
	v_exp_f32_e32 v1, v1
	v_cvt_i32_f32_e32 v28, v29
	s_mov_b32 s2, 0xc2ce8ed0
	v_cmp_ngt_f32_e32 vcc, s2, v0
	s_mov_b32 s2, 0x42b17218
	v_ldexp_f32 v1, v1, v28
	v_cndmask_b32_e32 v1, 0, v1, vcc
	v_mov_b32_e32 v28, 0x7f800000
	v_cmp_nlt_f32_e32 vcc, s2, v0
	s_mov_b32 s2, 0x3f2aaaab
	s_mov_b32 s3, 0x7f800000
	v_cndmask_b32_e32 v42, v28, v1, vcc
	v_add_f32_e32 v28, 1.0, v42
	v_add_f32_e32 v0, -1.0, v28
	v_sub_f32_e32 v1, v0, v28
	v_add_f32_e32 v1, 1.0, v1
	v_sub_f32_e32 v0, v42, v0
	v_add_f32_e32 v29, v0, v1
	v_frexp_mant_f32_e32 v30, v28
	v_cvt_f64_f32_e32 v[0:1], v28
	v_frexp_exp_i32_f64_e32 v0, v[0:1]
	v_cmp_gt_f32_e32 vcc, s2, v30
	s_mov_b32 s2, 0x3f317218
	s_nop 0
	v_subbrev_co_u32_e32 v34, vcc, 0, v0, vcc
	v_sub_u32_e32 v0, 0, v34
	v_ldexp_f32 v1, v28, v0
	v_add_f32_e32 v28, -1.0, v1
	v_add_f32_e32 v30, 1.0, v1
	v_ldexp_f32 v0, v29, v0
	v_add_f32_e32 v29, 1.0, v28
	v_add_f32_e32 v31, -1.0, v30
	v_sub_f32_e32 v29, v1, v29
	v_sub_f32_e32 v1, v1, v31
	v_add_f32_e32 v29, v0, v29
	v_add_f32_e32 v0, v0, v1
	;; [unrolled: 1-line block ×3, first 2 shown]
	v_rcp_f32_e32 v37, v35
	v_sub_f32_e32 v1, v30, v35
	v_add_f32_e32 v36, v0, v1
	v_add_f32_e32 v1, v28, v29
	v_mul_f32_e32 v39, v1, v37
	v_sub_f32_e32 v0, v28, v1
	v_mul_f32_e32 v28, v35, v39
	v_fma_f32 v30, v39, v35, -v28
	v_fmac_f32_e32 v30, v39, v36
	v_add_f32_e32 v38, v29, v0
	v_add_f32_e32 v0, v28, v30
	v_sub_f32_e32 v29, v1, v0
	s_waitcnt lgkmcnt(0)
	v_pk_add_f32 v[32:33], v[0:1], v[28:29] neg_lo:[0,1] neg_hi:[0,1]
	v_mov_b32_e32 v31, v0
	v_pk_add_f32 v[0:1], v[32:33], v[30:31] neg_lo:[0,1] neg_hi:[0,1]
	v_cmp_eq_f32_e32 vcc, s3, v42
	v_add_f32_e32 v1, v38, v1
	v_add_f32_e32 v0, v0, v1
	;; [unrolled: 1-line block ×3, first 2 shown]
	v_mul_f32_e32 v38, v37, v1
	v_mul_f32_e32 v28, v35, v38
	v_fma_f32 v30, v38, v35, -v28
	v_fmac_f32_e32 v30, v38, v36
	v_sub_f32_e32 v29, v29, v1
	v_add_f32_e32 v35, v0, v29
	v_add_f32_e32 v0, v28, v30
	v_sub_f32_e32 v29, v1, v0
	v_pk_add_f32 v[32:33], v[0:1], v[28:29] neg_lo:[0,1] neg_hi:[0,1]
	v_mov_b32_e32 v31, v0
	v_pk_add_f32 v[0:1], v[32:33], v[30:31] neg_lo:[0,1] neg_hi:[0,1]
	v_cvt_f32_i32_e32 v28, v34
	v_add_f32_e32 v1, v35, v1
	v_add_f32_e32 v0, v0, v1
	v_add_f32_e32 v0, v29, v0
	v_add_f32_e32 v29, v39, v38
	v_sub_f32_e32 v1, v29, v39
	v_mul_f32_e32 v0, v37, v0
	v_sub_f32_e32 v1, v38, v1
	v_add_f32_e32 v0, v1, v0
	v_add_f32_e32 v30, v29, v0
	v_mul_f32_e32 v32, v30, v30
	v_mov_b32_e32 v1, 0x3ecc95a3
	v_sub_f32_e32 v29, v30, v29
	v_fmac_f32_e32 v1, 0x3e9b6dac, v32
	v_sub_f32_e32 v0, v0, v29
	v_fmaak_f32 v1, v32, v1, 0x3f2aaada
	v_ldexp_f32 v33, v0, 1
	v_mul_f32_e32 v29, v30, v32
	v_mov_b32_e32 v0, 0x3f317218
	v_pk_mul_f32 v[0:1], v[28:29], v[0:1]
	v_ldexp_f32 v31, v30, 1
	v_fma_f32 v29, v28, s2, -v0
	v_fmamk_f32 v30, v28, 0xb102e308, v29
	v_pk_add_f32 v[28:29], v[0:1], v[30:31]
	v_mov_b32_e32 v32, v0
	v_sub_f32_e32 v31, v29, v31
	v_sub_f32_e32 v31, v1, v31
	v_add_f32_e32 v33, v33, v31
	v_pk_add_f32 v[0:1], v[28:29], v[0:1] neg_lo:[0,1] neg_hi:[0,1]
	v_pk_add_f32 v[34:35], v[28:29], v[32:33]
	v_mov_b32_e32 v31, v28
	v_mov_b32_e32 v1, v35
	v_pk_add_f32 v[36:37], v[30:31], v[0:1] neg_lo:[0,1] neg_hi:[0,1]
	v_pk_add_f32 v[0:1], v[30:31], v[0:1]
	v_mov_b32_e32 v32, v33
	v_mov_b32_e32 v30, v1
	v_pk_add_f32 v[38:39], v[30:31], v[28:29] neg_lo:[0,1] neg_hi:[0,1]
	v_mov_b32_e32 v0, v35
	v_mov_b32_e32 v31, v38
	v_pk_add_f32 v[40:41], v[34:35], v[30:31] neg_lo:[0,1] neg_hi:[0,1]
	v_mov_b32_e32 v34, v29
	v_mov_b32_e32 v35, v38
	;; [unrolled: 1-line block ×3, first 2 shown]
	v_pk_add_f32 v[0:1], v[0:1], v[34:35] neg_lo:[0,1] neg_hi:[0,1]
	v_mov_b32_e32 v33, v28
	v_pk_add_f32 v[0:1], v[32:33], v[0:1] neg_lo:[0,1] neg_hi:[0,1]
	v_mov_b32_e32 v40, v36
	v_pk_add_f32 v[28:29], v[40:41], v[0:1]
	s_mov_b32 s2, 0x33800000
	v_mov_b32_e32 v32, v29
	v_pk_add_f32 v[32:33], v[28:29], v[32:33]
	v_cmp_lt_f32_e64 s[2:3], |v42|, s2
	v_pk_add_f32 v[30:31], v[30:31], v[32:33]
	v_mov_b32_e32 v1, v32
	v_mov_b32_e32 v29, v30
	v_pk_add_f32 v[34:35], v[28:29], v[36:37] neg_lo:[0,1] neg_hi:[0,1]
	s_or_b64 vcc, vcc, s[2:3]
	v_sub_f32_e32 v28, v28, v34
	v_pk_add_f32 v[0:1], v[0:1], v[34:35] neg_lo:[0,1] neg_hi:[0,1]
	v_sub_f32_e32 v28, v36, v28
	v_add_f32_e32 v0, v0, v28
	v_add_f32_e32 v0, v0, v1
	;; [unrolled: 1-line block ×3, first 2 shown]
	v_cndmask_b32_e32 v0, v0, v42, vcc
	v_add_f32_e32 v0, v15, v0
	v_cvt_f16_f32_e32 v31, v0
	v_cvt_f32_f16_e32 v1, v31
	v_mov_b32_e32 v0, v31
.LBB398_140:
	s_or_b64 exec, exec, s[0:1]
	v_max_f32_e32 v15, v16, v16
	v_max_f32_e32 v29, v1, v1
	v_min_f32_e32 v28, v29, v15
	v_cmp_u_f16_e32 vcc, v31, v31
	v_max_f32_e32 v15, v29, v15
	s_nop 0
	v_cndmask_b32_e32 v28, v28, v1, vcc
	v_cndmask_b32_e32 v15, v15, v1, vcc
	v_cndmask_b32_e64 v28, v28, v16, s[50:51]
	v_cndmask_b32_e64 v16, v15, v16, s[50:51]
	v_cmp_neq_f32_e32 vcc, v28, v16
	v_cmp_class_f32_e64 s[0:1], v28, s33
	s_or_b64 s[2:3], vcc, s[0:1]
	v_mov_b32_e32 v15, v0
	s_and_saveexec_b64 s[0:1], s[2:3]
	s_cbranch_execz .LBB398_142
; %bb.141:
	v_sub_f32_e32 v1, v28, v16
	s_mov_b32 s2, 0x3fb8aa3b
	v_mul_f32_e32 v15, 0x3fb8aa3b, v1
	v_fma_f32 v28, v1, s2, -v15
	v_rndne_f32_e32 v29, v15
	v_fmamk_f32 v28, v1, 0x32a5705f, v28
	v_sub_f32_e32 v15, v15, v29
	v_add_f32_e32 v15, v15, v28
	v_exp_f32_e32 v15, v15
	v_cvt_i32_f32_e32 v28, v29
	s_mov_b32 s2, 0xc2ce8ed0
	v_cmp_ngt_f32_e32 vcc, s2, v1
	s_mov_b32 s2, 0x42b17218
	v_ldexp_f32 v15, v15, v28
	v_cndmask_b32_e32 v15, 0, v15, vcc
	v_mov_b32_e32 v28, 0x7f800000
	v_cmp_nlt_f32_e32 vcc, s2, v1
	s_mov_b32 s2, 0x3f2aaaab
	s_mov_b32 s3, 0x7f800000
	v_cndmask_b32_e32 v15, v28, v15, vcc
	v_add_f32_e32 v1, 1.0, v15
	v_add_f32_e32 v28, -1.0, v1
	v_sub_f32_e32 v29, v28, v1
	v_add_f32_e32 v29, 1.0, v29
	v_sub_f32_e32 v28, v15, v28
	v_add_f32_e32 v30, v28, v29
	v_frexp_mant_f32_e32 v31, v1
	v_cvt_f64_f32_e32 v[28:29], v1
	v_frexp_exp_i32_f64_e32 v28, v[28:29]
	v_cmp_gt_f32_e32 vcc, s2, v31
	s_mov_b32 s2, 0x3f317218
	s_nop 0
	v_subbrev_co_u32_e32 v36, vcc, 0, v28, vcc
	v_sub_u32_e32 v28, 0, v36
	v_ldexp_f32 v1, v1, v28
	v_ldexp_f32 v28, v30, v28
	v_add_f32_e32 v30, -1.0, v1
	v_add_f32_e32 v29, 1.0, v30
	v_sub_f32_e32 v29, v1, v29
	v_add_f32_e32 v31, v28, v29
	v_add_f32_e32 v29, 1.0, v1
	s_waitcnt lgkmcnt(0)
	v_add_f32_e32 v32, -1.0, v29
	v_sub_f32_e32 v1, v1, v32
	v_add_f32_e32 v1, v28, v1
	v_add_f32_e32 v37, v29, v1
	v_rcp_f32_e32 v38, v37
	v_sub_f32_e32 v28, v29, v37
	v_add_f32_e32 v29, v30, v31
	v_add_f32_e32 v1, v1, v28
	v_mul_f32_e32 v40, v29, v38
	v_sub_f32_e32 v28, v30, v29
	v_mul_f32_e32 v30, v37, v40
	v_fma_f32 v32, v40, v37, -v30
	v_fmac_f32_e32 v32, v40, v1
	v_add_f32_e32 v39, v31, v28
	v_add_f32_e32 v28, v30, v32
	v_sub_f32_e32 v31, v29, v28
	v_pk_add_f32 v[34:35], v[28:29], v[30:31] neg_lo:[0,1] neg_hi:[0,1]
	v_mov_b32_e32 v33, v28
	v_pk_add_f32 v[28:29], v[34:35], v[32:33] neg_lo:[0,1] neg_hi:[0,1]
	v_cmp_eq_f32_e32 vcc, s3, v15
	v_add_f32_e32 v29, v39, v29
	v_add_f32_e32 v28, v28, v29
	;; [unrolled: 1-line block ×3, first 2 shown]
	v_mul_f32_e32 v39, v38, v29
	v_mul_f32_e32 v30, v37, v39
	v_fma_f32 v32, v39, v37, -v30
	v_fmac_f32_e32 v32, v39, v1
	v_sub_f32_e32 v1, v31, v29
	v_add_f32_e32 v1, v28, v1
	v_add_f32_e32 v28, v30, v32
	v_sub_f32_e32 v31, v29, v28
	v_pk_add_f32 v[34:35], v[28:29], v[30:31] neg_lo:[0,1] neg_hi:[0,1]
	v_mov_b32_e32 v33, v28
	v_pk_add_f32 v[28:29], v[34:35], v[32:33] neg_lo:[0,1] neg_hi:[0,1]
	v_cvt_f32_i32_e32 v30, v36
	v_add_f32_e32 v1, v1, v29
	v_add_f32_e32 v1, v28, v1
	;; [unrolled: 1-line block ×4, first 2 shown]
	v_sub_f32_e32 v29, v28, v40
	v_mul_f32_e32 v1, v38, v1
	v_sub_f32_e32 v29, v39, v29
	v_add_f32_e32 v1, v29, v1
	v_add_f32_e32 v31, v28, v1
	v_mul_f32_e32 v32, v31, v31
	v_mov_b32_e32 v29, 0x3ecc95a3
	v_fmac_f32_e32 v29, 0x3e9b6dac, v32
	v_sub_f32_e32 v28, v31, v28
	v_fmaak_f32 v29, v32, v29, 0x3f2aaada
	v_sub_f32_e32 v1, v1, v28
	v_ldexp_f32 v33, v31, 1
	v_mul_f32_e32 v31, v31, v32
	v_mov_b32_e32 v28, 0x3f317218
	v_pk_mul_f32 v[28:29], v[30:31], v[28:29]
	v_ldexp_f32 v1, v1, 1
	v_fma_f32 v31, v30, s2, -v28
	v_fmamk_f32 v32, v30, 0xb102e308, v31
	v_pk_add_f32 v[30:31], v[28:29], v[32:33]
	v_mov_b32_e32 v34, v28
	v_sub_f32_e32 v33, v31, v33
	v_sub_f32_e32 v33, v29, v33
	v_add_f32_e32 v35, v1, v33
	v_pk_add_f32 v[28:29], v[30:31], v[28:29] neg_lo:[0,1] neg_hi:[0,1]
	v_pk_add_f32 v[36:37], v[30:31], v[34:35]
	v_mov_b32_e32 v33, v30
	v_mov_b32_e32 v29, v37
	v_pk_add_f32 v[38:39], v[32:33], v[28:29] neg_lo:[0,1] neg_hi:[0,1]
	v_pk_add_f32 v[28:29], v[32:33], v[28:29]
	v_mov_b32_e32 v34, v35
	v_mov_b32_e32 v32, v29
	v_pk_add_f32 v[40:41], v[32:33], v[30:31] neg_lo:[0,1] neg_hi:[0,1]
	v_mov_b32_e32 v28, v37
	v_mov_b32_e32 v1, v40
	v_pk_add_f32 v[42:43], v[36:37], v[0:1] neg_lo:[0,1] neg_hi:[0,1]
	v_mov_b32_e32 v36, v31
	v_mov_b32_e32 v37, v40
	;; [unrolled: 1-line block ×3, first 2 shown]
	v_pk_add_f32 v[28:29], v[28:29], v[36:37] neg_lo:[0,1] neg_hi:[0,1]
	v_mov_b32_e32 v35, v30
	v_pk_add_f32 v[28:29], v[34:35], v[28:29] neg_lo:[0,1] neg_hi:[0,1]
	v_mov_b32_e32 v42, v38
	v_pk_add_f32 v[30:31], v[42:43], v[28:29]
	s_mov_b32 s2, 0x33800000
	v_mov_b32_e32 v34, v31
	v_pk_add_f32 v[34:35], v[30:31], v[34:35]
	v_cmp_lt_f32_e64 s[2:3], |v15|, s2
	v_pk_add_f32 v[32:33], v[32:33], v[34:35]
	v_mov_b32_e32 v29, v34
	v_mov_b32_e32 v31, v32
	v_pk_add_f32 v[36:37], v[30:31], v[38:39] neg_lo:[0,1] neg_hi:[0,1]
	s_or_b64 vcc, vcc, s[2:3]
	v_sub_f32_e32 v1, v30, v36
	v_pk_add_f32 v[28:29], v[28:29], v[36:37] neg_lo:[0,1] neg_hi:[0,1]
	v_sub_f32_e32 v1, v38, v1
	v_add_f32_e32 v1, v28, v1
	v_add_f32_e32 v1, v1, v29
	;; [unrolled: 1-line block ×3, first 2 shown]
	v_cndmask_b32_e32 v1, v1, v15, vcc
	v_add_f32_e32 v1, v16, v1
	v_cvt_f16_f32_e32 v31, v1
	v_cvt_f32_f16_e32 v1, v31
	v_mov_b32_e32 v15, v31
.LBB398_142:
	s_or_b64 exec, exec, s[0:1]
	v_max_f32_e32 v16, v17, v17
	v_max_f32_e32 v29, v1, v1
	v_min_f32_e32 v28, v29, v16
	v_cmp_u_f16_e32 vcc, v31, v31
	v_max_f32_e32 v16, v29, v16
	s_nop 0
	v_cndmask_b32_e32 v28, v28, v1, vcc
	v_cndmask_b32_e32 v16, v16, v1, vcc
	v_cndmask_b32_e64 v28, v28, v17, s[52:53]
	v_cndmask_b32_e64 v17, v16, v17, s[52:53]
	v_cmp_neq_f32_e32 vcc, v28, v17
	v_cmp_class_f32_e64 s[0:1], v28, s33
	s_or_b64 s[2:3], vcc, s[0:1]
	v_mov_b32_e32 v16, v15
	s_and_saveexec_b64 s[0:1], s[2:3]
	s_cbranch_execz .LBB398_144
; %bb.143:
	v_sub_f32_e32 v1, v28, v17
	s_mov_b32 s2, 0x3fb8aa3b
	v_mul_f32_e32 v16, 0x3fb8aa3b, v1
	v_fma_f32 v28, v1, s2, -v16
	v_rndne_f32_e32 v29, v16
	v_fmamk_f32 v28, v1, 0x32a5705f, v28
	v_sub_f32_e32 v16, v16, v29
	v_add_f32_e32 v16, v16, v28
	v_exp_f32_e32 v16, v16
	v_cvt_i32_f32_e32 v28, v29
	s_mov_b32 s2, 0xc2ce8ed0
	v_cmp_ngt_f32_e32 vcc, s2, v1
	s_mov_b32 s2, 0x42b17218
	v_ldexp_f32 v16, v16, v28
	v_cndmask_b32_e32 v16, 0, v16, vcc
	v_mov_b32_e32 v28, 0x7f800000
	v_cmp_nlt_f32_e32 vcc, s2, v1
	s_mov_b32 s2, 0x3f2aaaab
	s_mov_b32 s3, 0x7f800000
	v_cndmask_b32_e32 v42, v28, v16, vcc
	v_add_f32_e32 v1, 1.0, v42
	v_add_f32_e32 v16, -1.0, v1
	v_sub_f32_e32 v28, v16, v1
	v_add_f32_e32 v28, 1.0, v28
	v_sub_f32_e32 v16, v42, v16
	v_add_f32_e32 v16, v16, v28
	v_frexp_mant_f32_e32 v30, v1
	v_cvt_f64_f32_e32 v[28:29], v1
	v_frexp_exp_i32_f64_e32 v28, v[28:29]
	v_cmp_gt_f32_e32 vcc, s2, v30
	s_mov_b32 s2, 0x3f317218
	s_nop 0
	v_subbrev_co_u32_e32 v36, vcc, 0, v28, vcc
	v_sub_u32_e32 v28, 0, v36
	v_ldexp_f32 v1, v1, v28
	v_ldexp_f32 v16, v16, v28
	v_add_f32_e32 v28, -1.0, v1
	v_add_f32_e32 v29, 1.0, v28
	v_sub_f32_e32 v29, v1, v29
	v_add_f32_e32 v30, v16, v29
	v_add_f32_e32 v29, 1.0, v1
	v_add_f32_e32 v31, -1.0, v29
	v_sub_f32_e32 v1, v1, v31
	v_add_f32_e32 v1, v16, v1
	v_add_f32_e32 v16, v29, v1
	v_rcp_f32_e32 v37, v16
	v_sub_f32_e32 v29, v29, v16
	v_add_f32_e32 v1, v1, v29
	v_add_f32_e32 v29, v28, v30
	v_sub_f32_e32 v28, v28, v29
	v_mul_f32_e32 v39, v29, v37
	v_add_f32_e32 v38, v30, v28
	v_mul_f32_e32 v30, v16, v39
	s_waitcnt lgkmcnt(0)
	v_fma_f32 v32, v39, v16, -v30
	v_fmac_f32_e32 v32, v39, v1
	v_add_f32_e32 v28, v30, v32
	v_sub_f32_e32 v31, v29, v28
	v_pk_add_f32 v[34:35], v[28:29], v[30:31] neg_lo:[0,1] neg_hi:[0,1]
	v_mov_b32_e32 v33, v28
	v_pk_add_f32 v[28:29], v[34:35], v[32:33] neg_lo:[0,1] neg_hi:[0,1]
	v_cmp_eq_f32_e32 vcc, s3, v42
	v_add_f32_e32 v29, v38, v29
	v_add_f32_e32 v28, v28, v29
	;; [unrolled: 1-line block ×3, first 2 shown]
	v_mul_f32_e32 v38, v37, v29
	v_mul_f32_e32 v30, v16, v38
	v_fma_f32 v32, v38, v16, -v30
	v_fmac_f32_e32 v32, v38, v1
	v_sub_f32_e32 v1, v31, v29
	v_add_f32_e32 v1, v28, v1
	v_add_f32_e32 v28, v30, v32
	v_sub_f32_e32 v31, v29, v28
	v_pk_add_f32 v[34:35], v[28:29], v[30:31] neg_lo:[0,1] neg_hi:[0,1]
	v_mov_b32_e32 v33, v28
	v_pk_add_f32 v[28:29], v[34:35], v[32:33] neg_lo:[0,1] neg_hi:[0,1]
	v_add_f32_e32 v16, v39, v38
	v_add_f32_e32 v1, v1, v29
	;; [unrolled: 1-line block ×4, first 2 shown]
	v_sub_f32_e32 v28, v16, v39
	v_mul_f32_e32 v1, v37, v1
	v_sub_f32_e32 v28, v38, v28
	v_add_f32_e32 v1, v28, v1
	v_add_f32_e32 v28, v16, v1
	v_cvt_f32_i32_e32 v30, v36
	v_mul_f32_e32 v31, v28, v28
	v_mov_b32_e32 v29, 0x3ecc95a3
	v_fmac_f32_e32 v29, 0x3e9b6dac, v31
	v_fmaak_f32 v29, v31, v29, 0x3f2aaada
	v_sub_f32_e32 v16, v28, v16
	v_ldexp_f32 v33, v28, 1
	v_mul_f32_e32 v31, v28, v31
	v_mov_b32_e32 v28, 0x3f317218
	v_pk_mul_f32 v[28:29], v[30:31], v[28:29]
	v_sub_f32_e32 v1, v1, v16
	v_fma_f32 v16, v30, s2, -v28
	v_fmamk_f32 v32, v30, 0xb102e308, v16
	v_pk_add_f32 v[30:31], v[28:29], v[32:33]
	v_ldexp_f32 v1, v1, 1
	v_sub_f32_e32 v16, v31, v33
	v_sub_f32_e32 v16, v29, v16
	v_add_f32_e32 v35, v1, v16
	v_mov_b32_e32 v34, v28
	v_pk_add_f32 v[28:29], v[30:31], v[28:29] neg_lo:[0,1] neg_hi:[0,1]
	v_pk_add_f32 v[36:37], v[30:31], v[34:35]
	v_mov_b32_e32 v33, v30
	v_mov_b32_e32 v29, v37
	v_pk_add_f32 v[38:39], v[32:33], v[28:29] neg_lo:[0,1] neg_hi:[0,1]
	v_pk_add_f32 v[28:29], v[32:33], v[28:29]
	s_mov_b32 s2, 0x33800000
	v_mov_b32_e32 v16, v29
	v_pk_add_f32 v[32:33], v[16:17], v[30:31] neg_lo:[0,1] neg_hi:[0,1]
	v_mov_b32_e32 v28, v37
	v_mov_b32_e32 v1, v32
	v_pk_add_f32 v[40:41], v[36:37], v[0:1] neg_lo:[0,1] neg_hi:[0,1]
	v_mov_b32_e32 v36, v31
	v_mov_b32_e32 v37, v32
	;; [unrolled: 1-line block ×3, first 2 shown]
	v_pk_add_f32 v[28:29], v[28:29], v[36:37] neg_lo:[0,1] neg_hi:[0,1]
	v_mov_b32_e32 v32, v35
	v_mov_b32_e32 v33, v30
	v_pk_add_f32 v[28:29], v[32:33], v[28:29] neg_lo:[0,1] neg_hi:[0,1]
	v_mov_b32_e32 v40, v38
	v_pk_add_f32 v[30:31], v[40:41], v[28:29]
	v_cmp_lt_f32_e64 s[2:3], |v42|, s2
	v_mov_b32_e32 v32, v31
	v_pk_add_f32 v[32:33], v[30:31], v[32:33]
	s_or_b64 vcc, vcc, s[2:3]
	v_pk_add_f32 v[34:35], v[16:17], v[32:33]
	v_mov_b32_e32 v29, v32
	v_mov_b32_e32 v31, v34
	v_pk_add_f32 v[36:37], v[30:31], v[38:39] neg_lo:[0,1] neg_hi:[0,1]
	s_nop 0
	v_sub_f32_e32 v1, v30, v36
	v_pk_add_f32 v[28:29], v[28:29], v[36:37] neg_lo:[0,1] neg_hi:[0,1]
	v_sub_f32_e32 v1, v38, v1
	v_add_f32_e32 v1, v28, v1
	v_add_f32_e32 v1, v1, v29
	;; [unrolled: 1-line block ×3, first 2 shown]
	v_cndmask_b32_e32 v1, v1, v42, vcc
	v_add_f32_e32 v1, v17, v1
	v_cvt_f16_f32_e32 v31, v1
	v_cvt_f32_f16_e32 v1, v31
	v_mov_b32_e32 v16, v31
.LBB398_144:
	s_or_b64 exec, exec, s[0:1]
	v_max_f32_e32 v17, v3, v3
	v_max_f32_e32 v29, v1, v1
	v_min_f32_e32 v28, v29, v17
	v_cmp_u_f16_e32 vcc, v31, v31
	v_max_f32_e32 v17, v29, v17
	s_nop 0
	v_cndmask_b32_e32 v28, v28, v1, vcc
	v_cndmask_b32_e32 v17, v17, v1, vcc
	v_cndmask_b32_e64 v28, v28, v3, s[54:55]
	v_cndmask_b32_e64 v17, v17, v3, s[54:55]
	v_cmp_neq_f32_e32 vcc, v28, v17
	v_cmp_class_f32_e64 s[0:1], v28, s33
	s_or_b64 s[2:3], vcc, s[0:1]
	v_mov_b32_e32 v3, v16
	s_and_saveexec_b64 s[0:1], s[2:3]
	s_cbranch_execz .LBB398_146
; %bb.145:
	v_sub_f32_e32 v1, v28, v17
	s_mov_b32 s2, 0x3fb8aa3b
	v_mul_f32_e32 v3, 0x3fb8aa3b, v1
	v_fma_f32 v28, v1, s2, -v3
	v_rndne_f32_e32 v29, v3
	v_fmamk_f32 v28, v1, 0x32a5705f, v28
	v_sub_f32_e32 v3, v3, v29
	v_add_f32_e32 v3, v3, v28
	v_exp_f32_e32 v3, v3
	v_cvt_i32_f32_e32 v28, v29
	s_mov_b32 s2, 0xc2ce8ed0
	v_cmp_ngt_f32_e32 vcc, s2, v1
	s_mov_b32 s2, 0x42b17218
	v_ldexp_f32 v3, v3, v28
	v_cndmask_b32_e32 v3, 0, v3, vcc
	v_mov_b32_e32 v28, 0x7f800000
	v_cmp_nlt_f32_e32 vcc, s2, v1
	s_mov_b32 s2, 0x3f2aaaab
	s_mov_b32 s3, 0x7f800000
	v_cndmask_b32_e32 v3, v28, v3, vcc
	v_add_f32_e32 v1, 1.0, v3
	v_add_f32_e32 v28, -1.0, v1
	v_sub_f32_e32 v29, v28, v1
	v_add_f32_e32 v29, 1.0, v29
	v_sub_f32_e32 v28, v3, v28
	v_add_f32_e32 v30, v28, v29
	v_frexp_mant_f32_e32 v31, v1
	v_cvt_f64_f32_e32 v[28:29], v1
	v_frexp_exp_i32_f64_e32 v28, v[28:29]
	v_cmp_gt_f32_e32 vcc, s2, v31
	s_mov_b32 s2, 0x3f317218
	s_nop 0
	v_subbrev_co_u32_e32 v36, vcc, 0, v28, vcc
	v_sub_u32_e32 v28, 0, v36
	v_ldexp_f32 v1, v1, v28
	v_ldexp_f32 v28, v30, v28
	v_add_f32_e32 v30, -1.0, v1
	v_add_f32_e32 v29, 1.0, v30
	v_sub_f32_e32 v29, v1, v29
	v_add_f32_e32 v31, v28, v29
	v_add_f32_e32 v29, 1.0, v1
	s_waitcnt lgkmcnt(0)
	v_add_f32_e32 v32, -1.0, v29
	v_sub_f32_e32 v1, v1, v32
	v_add_f32_e32 v1, v28, v1
	v_add_f32_e32 v37, v29, v1
	v_rcp_f32_e32 v38, v37
	v_sub_f32_e32 v28, v29, v37
	v_add_f32_e32 v29, v30, v31
	v_add_f32_e32 v1, v1, v28
	v_mul_f32_e32 v40, v29, v38
	v_sub_f32_e32 v28, v30, v29
	v_mul_f32_e32 v30, v37, v40
	v_fma_f32 v32, v40, v37, -v30
	v_fmac_f32_e32 v32, v40, v1
	v_add_f32_e32 v39, v31, v28
	v_add_f32_e32 v28, v30, v32
	v_sub_f32_e32 v31, v29, v28
	v_pk_add_f32 v[34:35], v[28:29], v[30:31] neg_lo:[0,1] neg_hi:[0,1]
	v_mov_b32_e32 v33, v28
	v_pk_add_f32 v[28:29], v[34:35], v[32:33] neg_lo:[0,1] neg_hi:[0,1]
	v_cmp_eq_f32_e32 vcc, s3, v3
	v_add_f32_e32 v29, v39, v29
	v_add_f32_e32 v28, v28, v29
	;; [unrolled: 1-line block ×3, first 2 shown]
	v_mul_f32_e32 v39, v38, v29
	v_mul_f32_e32 v30, v37, v39
	v_fma_f32 v32, v39, v37, -v30
	v_fmac_f32_e32 v32, v39, v1
	v_sub_f32_e32 v1, v31, v29
	v_add_f32_e32 v1, v28, v1
	v_add_f32_e32 v28, v30, v32
	v_sub_f32_e32 v31, v29, v28
	v_pk_add_f32 v[34:35], v[28:29], v[30:31] neg_lo:[0,1] neg_hi:[0,1]
	v_mov_b32_e32 v33, v28
	v_pk_add_f32 v[28:29], v[34:35], v[32:33] neg_lo:[0,1] neg_hi:[0,1]
	v_cvt_f32_i32_e32 v30, v36
	v_add_f32_e32 v1, v1, v29
	v_add_f32_e32 v1, v28, v1
	;; [unrolled: 1-line block ×4, first 2 shown]
	v_sub_f32_e32 v29, v28, v40
	v_mul_f32_e32 v1, v38, v1
	v_sub_f32_e32 v29, v39, v29
	v_add_f32_e32 v1, v29, v1
	v_add_f32_e32 v31, v28, v1
	v_mul_f32_e32 v32, v31, v31
	v_mov_b32_e32 v29, 0x3ecc95a3
	v_fmac_f32_e32 v29, 0x3e9b6dac, v32
	v_sub_f32_e32 v28, v31, v28
	v_fmaak_f32 v29, v32, v29, 0x3f2aaada
	v_sub_f32_e32 v1, v1, v28
	v_ldexp_f32 v33, v31, 1
	v_mul_f32_e32 v31, v31, v32
	v_mov_b32_e32 v28, 0x3f317218
	v_pk_mul_f32 v[28:29], v[30:31], v[28:29]
	v_ldexp_f32 v1, v1, 1
	v_fma_f32 v31, v30, s2, -v28
	v_fmamk_f32 v32, v30, 0xb102e308, v31
	v_pk_add_f32 v[30:31], v[28:29], v[32:33]
	v_mov_b32_e32 v34, v28
	v_sub_f32_e32 v33, v31, v33
	v_sub_f32_e32 v33, v29, v33
	v_add_f32_e32 v35, v1, v33
	v_pk_add_f32 v[28:29], v[30:31], v[28:29] neg_lo:[0,1] neg_hi:[0,1]
	v_pk_add_f32 v[36:37], v[30:31], v[34:35]
	v_mov_b32_e32 v33, v30
	v_mov_b32_e32 v29, v37
	v_pk_add_f32 v[38:39], v[32:33], v[28:29] neg_lo:[0,1] neg_hi:[0,1]
	v_pk_add_f32 v[28:29], v[32:33], v[28:29]
	v_mov_b32_e32 v34, v35
	v_mov_b32_e32 v32, v29
	v_pk_add_f32 v[40:41], v[32:33], v[30:31] neg_lo:[0,1] neg_hi:[0,1]
	v_mov_b32_e32 v28, v37
	v_mov_b32_e32 v1, v40
	v_pk_add_f32 v[42:43], v[36:37], v[0:1] neg_lo:[0,1] neg_hi:[0,1]
	v_mov_b32_e32 v36, v31
	v_mov_b32_e32 v37, v40
	;; [unrolled: 1-line block ×3, first 2 shown]
	v_pk_add_f32 v[28:29], v[28:29], v[36:37] neg_lo:[0,1] neg_hi:[0,1]
	v_mov_b32_e32 v35, v30
	v_pk_add_f32 v[28:29], v[34:35], v[28:29] neg_lo:[0,1] neg_hi:[0,1]
	v_mov_b32_e32 v42, v38
	v_pk_add_f32 v[30:31], v[42:43], v[28:29]
	s_mov_b32 s2, 0x33800000
	v_mov_b32_e32 v34, v31
	v_pk_add_f32 v[34:35], v[30:31], v[34:35]
	v_cmp_lt_f32_e64 s[2:3], |v3|, s2
	v_pk_add_f32 v[32:33], v[32:33], v[34:35]
	v_mov_b32_e32 v29, v34
	v_mov_b32_e32 v31, v32
	v_pk_add_f32 v[36:37], v[30:31], v[38:39] neg_lo:[0,1] neg_hi:[0,1]
	s_or_b64 vcc, vcc, s[2:3]
	v_sub_f32_e32 v1, v30, v36
	v_pk_add_f32 v[28:29], v[28:29], v[36:37] neg_lo:[0,1] neg_hi:[0,1]
	v_sub_f32_e32 v1, v38, v1
	v_add_f32_e32 v1, v28, v1
	v_add_f32_e32 v1, v1, v29
	;; [unrolled: 1-line block ×3, first 2 shown]
	v_cndmask_b32_e32 v1, v1, v3, vcc
	v_add_f32_e32 v1, v17, v1
	v_cvt_f16_f32_e32 v31, v1
	v_cvt_f32_f16_e32 v1, v31
	v_mov_b32_e32 v3, v31
.LBB398_146:
	s_or_b64 exec, exec, s[0:1]
	v_max_f32_e32 v17, v18, v18
	v_max_f32_e32 v29, v1, v1
	v_min_f32_e32 v28, v29, v17
	v_cmp_u_f16_e32 vcc, v31, v31
	v_max_f32_e32 v17, v29, v17
	s_nop 0
	v_cndmask_b32_e32 v28, v28, v1, vcc
	v_cndmask_b32_e32 v17, v17, v1, vcc
	v_cndmask_b32_e64 v28, v28, v18, s[56:57]
	v_cndmask_b32_e64 v18, v17, v18, s[56:57]
	v_cmp_neq_f32_e32 vcc, v28, v18
	v_cmp_class_f32_e64 s[0:1], v28, s33
	s_or_b64 s[2:3], vcc, s[0:1]
	v_mov_b32_e32 v17, v3
	s_and_saveexec_b64 s[0:1], s[2:3]
	s_cbranch_execz .LBB398_148
; %bb.147:
	v_sub_f32_e32 v1, v28, v18
	s_mov_b32 s2, 0x3fb8aa3b
	v_mul_f32_e32 v17, 0x3fb8aa3b, v1
	v_fma_f32 v28, v1, s2, -v17
	v_rndne_f32_e32 v29, v17
	v_fmamk_f32 v28, v1, 0x32a5705f, v28
	v_sub_f32_e32 v17, v17, v29
	v_add_f32_e32 v17, v17, v28
	v_exp_f32_e32 v17, v17
	v_cvt_i32_f32_e32 v28, v29
	s_mov_b32 s2, 0xc2ce8ed0
	v_cmp_ngt_f32_e32 vcc, s2, v1
	s_mov_b32 s2, 0x42b17218
	v_ldexp_f32 v17, v17, v28
	v_cndmask_b32_e32 v17, 0, v17, vcc
	v_mov_b32_e32 v28, 0x7f800000
	v_cmp_nlt_f32_e32 vcc, s2, v1
	s_mov_b32 s2, 0x3f2aaaab
	s_mov_b32 s3, 0x7f800000
	v_cndmask_b32_e32 v17, v28, v17, vcc
	v_add_f32_e32 v1, 1.0, v17
	v_add_f32_e32 v28, -1.0, v1
	v_sub_f32_e32 v29, v28, v1
	v_add_f32_e32 v29, 1.0, v29
	v_sub_f32_e32 v28, v17, v28
	v_add_f32_e32 v30, v28, v29
	v_frexp_mant_f32_e32 v31, v1
	v_cvt_f64_f32_e32 v[28:29], v1
	v_frexp_exp_i32_f64_e32 v28, v[28:29]
	v_cmp_gt_f32_e32 vcc, s2, v31
	s_mov_b32 s2, 0x3f317218
	s_nop 0
	v_subbrev_co_u32_e32 v36, vcc, 0, v28, vcc
	v_sub_u32_e32 v28, 0, v36
	v_ldexp_f32 v1, v1, v28
	v_ldexp_f32 v28, v30, v28
	v_add_f32_e32 v30, -1.0, v1
	v_add_f32_e32 v29, 1.0, v30
	v_sub_f32_e32 v29, v1, v29
	v_add_f32_e32 v31, v28, v29
	v_add_f32_e32 v29, 1.0, v1
	s_waitcnt lgkmcnt(0)
	v_add_f32_e32 v32, -1.0, v29
	v_sub_f32_e32 v1, v1, v32
	v_add_f32_e32 v1, v28, v1
	v_add_f32_e32 v37, v29, v1
	v_rcp_f32_e32 v38, v37
	v_sub_f32_e32 v28, v29, v37
	v_add_f32_e32 v29, v30, v31
	v_add_f32_e32 v1, v1, v28
	v_mul_f32_e32 v40, v29, v38
	v_sub_f32_e32 v28, v30, v29
	v_mul_f32_e32 v30, v37, v40
	v_fma_f32 v32, v40, v37, -v30
	v_fmac_f32_e32 v32, v40, v1
	v_add_f32_e32 v39, v31, v28
	v_add_f32_e32 v28, v30, v32
	v_sub_f32_e32 v31, v29, v28
	v_pk_add_f32 v[34:35], v[28:29], v[30:31] neg_lo:[0,1] neg_hi:[0,1]
	v_mov_b32_e32 v33, v28
	v_pk_add_f32 v[28:29], v[34:35], v[32:33] neg_lo:[0,1] neg_hi:[0,1]
	v_cmp_eq_f32_e32 vcc, s3, v17
	v_add_f32_e32 v29, v39, v29
	v_add_f32_e32 v28, v28, v29
	;; [unrolled: 1-line block ×3, first 2 shown]
	v_mul_f32_e32 v39, v38, v29
	v_mul_f32_e32 v30, v37, v39
	v_fma_f32 v32, v39, v37, -v30
	v_fmac_f32_e32 v32, v39, v1
	v_sub_f32_e32 v1, v31, v29
	v_add_f32_e32 v1, v28, v1
	v_add_f32_e32 v28, v30, v32
	v_sub_f32_e32 v31, v29, v28
	v_pk_add_f32 v[34:35], v[28:29], v[30:31] neg_lo:[0,1] neg_hi:[0,1]
	v_mov_b32_e32 v33, v28
	v_pk_add_f32 v[28:29], v[34:35], v[32:33] neg_lo:[0,1] neg_hi:[0,1]
	v_cvt_f32_i32_e32 v30, v36
	v_add_f32_e32 v1, v1, v29
	v_add_f32_e32 v1, v28, v1
	;; [unrolled: 1-line block ×4, first 2 shown]
	v_sub_f32_e32 v29, v28, v40
	v_mul_f32_e32 v1, v38, v1
	v_sub_f32_e32 v29, v39, v29
	v_add_f32_e32 v1, v29, v1
	v_add_f32_e32 v31, v28, v1
	v_mul_f32_e32 v32, v31, v31
	v_mov_b32_e32 v29, 0x3ecc95a3
	v_fmac_f32_e32 v29, 0x3e9b6dac, v32
	v_sub_f32_e32 v28, v31, v28
	v_fmaak_f32 v29, v32, v29, 0x3f2aaada
	v_sub_f32_e32 v1, v1, v28
	v_ldexp_f32 v33, v31, 1
	v_mul_f32_e32 v31, v31, v32
	v_mov_b32_e32 v28, 0x3f317218
	v_pk_mul_f32 v[28:29], v[30:31], v[28:29]
	v_ldexp_f32 v1, v1, 1
	v_fma_f32 v31, v30, s2, -v28
	v_fmamk_f32 v32, v30, 0xb102e308, v31
	v_pk_add_f32 v[30:31], v[28:29], v[32:33]
	v_mov_b32_e32 v34, v28
	v_sub_f32_e32 v33, v31, v33
	v_sub_f32_e32 v33, v29, v33
	v_add_f32_e32 v35, v1, v33
	v_pk_add_f32 v[28:29], v[30:31], v[28:29] neg_lo:[0,1] neg_hi:[0,1]
	v_pk_add_f32 v[36:37], v[30:31], v[34:35]
	v_mov_b32_e32 v33, v30
	v_mov_b32_e32 v29, v37
	v_pk_add_f32 v[38:39], v[32:33], v[28:29] neg_lo:[0,1] neg_hi:[0,1]
	v_pk_add_f32 v[28:29], v[32:33], v[28:29]
	v_mov_b32_e32 v34, v35
	v_mov_b32_e32 v32, v29
	v_pk_add_f32 v[40:41], v[32:33], v[30:31] neg_lo:[0,1] neg_hi:[0,1]
	v_mov_b32_e32 v28, v37
	v_mov_b32_e32 v1, v40
	v_pk_add_f32 v[42:43], v[36:37], v[0:1] neg_lo:[0,1] neg_hi:[0,1]
	v_mov_b32_e32 v36, v31
	v_mov_b32_e32 v37, v40
	;; [unrolled: 1-line block ×3, first 2 shown]
	v_pk_add_f32 v[28:29], v[28:29], v[36:37] neg_lo:[0,1] neg_hi:[0,1]
	v_mov_b32_e32 v35, v30
	v_pk_add_f32 v[28:29], v[34:35], v[28:29] neg_lo:[0,1] neg_hi:[0,1]
	v_mov_b32_e32 v42, v38
	v_pk_add_f32 v[30:31], v[42:43], v[28:29]
	s_mov_b32 s2, 0x33800000
	v_mov_b32_e32 v34, v31
	v_pk_add_f32 v[34:35], v[30:31], v[34:35]
	v_cmp_lt_f32_e64 s[2:3], |v17|, s2
	v_pk_add_f32 v[32:33], v[32:33], v[34:35]
	v_mov_b32_e32 v29, v34
	v_mov_b32_e32 v31, v32
	v_pk_add_f32 v[36:37], v[30:31], v[38:39] neg_lo:[0,1] neg_hi:[0,1]
	s_or_b64 vcc, vcc, s[2:3]
	v_sub_f32_e32 v1, v30, v36
	v_pk_add_f32 v[28:29], v[28:29], v[36:37] neg_lo:[0,1] neg_hi:[0,1]
	v_sub_f32_e32 v1, v38, v1
	v_add_f32_e32 v1, v28, v1
	v_add_f32_e32 v1, v1, v29
	;; [unrolled: 1-line block ×3, first 2 shown]
	v_cndmask_b32_e32 v1, v1, v17, vcc
	v_add_f32_e32 v1, v18, v1
	v_cvt_f16_f32_e32 v31, v1
	v_cvt_f32_f16_e32 v1, v31
	v_mov_b32_e32 v17, v31
.LBB398_148:
	s_or_b64 exec, exec, s[0:1]
	v_max_f32_e32 v18, v4, v4
	v_max_f32_e32 v29, v1, v1
	v_min_f32_e32 v28, v29, v18
	v_cmp_u_f16_e32 vcc, v31, v31
	v_max_f32_e32 v18, v29, v18
	s_nop 0
	v_cndmask_b32_e32 v28, v28, v1, vcc
	v_cndmask_b32_e32 v18, v18, v1, vcc
	v_cndmask_b32_e64 v28, v28, v4, s[58:59]
	v_cndmask_b32_e64 v18, v18, v4, s[58:59]
	v_cmp_neq_f32_e32 vcc, v28, v18
	v_cmp_class_f32_e64 s[0:1], v28, s33
	s_or_b64 s[2:3], vcc, s[0:1]
	v_mov_b32_e32 v4, v17
	s_and_saveexec_b64 s[0:1], s[2:3]
	s_cbranch_execz .LBB398_150
; %bb.149:
	v_sub_f32_e32 v1, v28, v18
	s_mov_b32 s2, 0x3fb8aa3b
	v_mul_f32_e32 v4, 0x3fb8aa3b, v1
	v_fma_f32 v28, v1, s2, -v4
	v_rndne_f32_e32 v29, v4
	v_fmamk_f32 v28, v1, 0x32a5705f, v28
	v_sub_f32_e32 v4, v4, v29
	v_add_f32_e32 v4, v4, v28
	v_exp_f32_e32 v4, v4
	v_cvt_i32_f32_e32 v28, v29
	s_mov_b32 s2, 0xc2ce8ed0
	v_cmp_ngt_f32_e32 vcc, s2, v1
	s_mov_b32 s2, 0x42b17218
	v_ldexp_f32 v4, v4, v28
	v_cndmask_b32_e32 v4, 0, v4, vcc
	v_mov_b32_e32 v28, 0x7f800000
	v_cmp_nlt_f32_e32 vcc, s2, v1
	s_mov_b32 s2, 0x3f2aaaab
	s_mov_b32 s3, 0x7f800000
	v_cndmask_b32_e32 v42, v28, v4, vcc
	v_add_f32_e32 v1, 1.0, v42
	v_add_f32_e32 v4, -1.0, v1
	v_sub_f32_e32 v28, v4, v1
	v_add_f32_e32 v28, 1.0, v28
	v_sub_f32_e32 v4, v42, v4
	v_add_f32_e32 v4, v4, v28
	v_frexp_mant_f32_e32 v30, v1
	v_cvt_f64_f32_e32 v[28:29], v1
	v_frexp_exp_i32_f64_e32 v28, v[28:29]
	v_cmp_gt_f32_e32 vcc, s2, v30
	s_mov_b32 s2, 0x3f317218
	s_nop 0
	v_subbrev_co_u32_e32 v36, vcc, 0, v28, vcc
	v_sub_u32_e32 v28, 0, v36
	v_ldexp_f32 v1, v1, v28
	v_ldexp_f32 v4, v4, v28
	v_add_f32_e32 v28, -1.0, v1
	v_add_f32_e32 v29, 1.0, v28
	v_sub_f32_e32 v29, v1, v29
	v_add_f32_e32 v30, v4, v29
	v_add_f32_e32 v29, 1.0, v1
	v_add_f32_e32 v31, -1.0, v29
	v_sub_f32_e32 v1, v1, v31
	v_add_f32_e32 v1, v4, v1
	v_add_f32_e32 v4, v29, v1
	v_rcp_f32_e32 v37, v4
	v_sub_f32_e32 v29, v29, v4
	v_add_f32_e32 v1, v1, v29
	v_add_f32_e32 v29, v28, v30
	v_sub_f32_e32 v28, v28, v29
	v_mul_f32_e32 v39, v29, v37
	v_add_f32_e32 v38, v30, v28
	v_mul_f32_e32 v30, v4, v39
	s_waitcnt lgkmcnt(0)
	v_fma_f32 v32, v39, v4, -v30
	v_fmac_f32_e32 v32, v39, v1
	v_add_f32_e32 v28, v30, v32
	v_sub_f32_e32 v31, v29, v28
	v_pk_add_f32 v[34:35], v[28:29], v[30:31] neg_lo:[0,1] neg_hi:[0,1]
	v_mov_b32_e32 v33, v28
	v_pk_add_f32 v[28:29], v[34:35], v[32:33] neg_lo:[0,1] neg_hi:[0,1]
	v_cmp_eq_f32_e32 vcc, s3, v42
	v_add_f32_e32 v29, v38, v29
	v_add_f32_e32 v28, v28, v29
	;; [unrolled: 1-line block ×3, first 2 shown]
	v_mul_f32_e32 v38, v37, v29
	v_mul_f32_e32 v30, v4, v38
	v_fma_f32 v32, v38, v4, -v30
	v_fmac_f32_e32 v32, v38, v1
	v_sub_f32_e32 v1, v31, v29
	v_add_f32_e32 v1, v28, v1
	v_add_f32_e32 v28, v30, v32
	v_sub_f32_e32 v31, v29, v28
	v_pk_add_f32 v[34:35], v[28:29], v[30:31] neg_lo:[0,1] neg_hi:[0,1]
	v_mov_b32_e32 v33, v28
	v_pk_add_f32 v[28:29], v[34:35], v[32:33] neg_lo:[0,1] neg_hi:[0,1]
	v_add_f32_e32 v4, v39, v38
	v_add_f32_e32 v1, v1, v29
	;; [unrolled: 1-line block ×4, first 2 shown]
	v_sub_f32_e32 v28, v4, v39
	v_mul_f32_e32 v1, v37, v1
	v_sub_f32_e32 v28, v38, v28
	v_add_f32_e32 v1, v28, v1
	v_add_f32_e32 v28, v4, v1
	v_cvt_f32_i32_e32 v30, v36
	v_mul_f32_e32 v31, v28, v28
	v_mov_b32_e32 v29, 0x3ecc95a3
	v_fmac_f32_e32 v29, 0x3e9b6dac, v31
	v_fmaak_f32 v29, v31, v29, 0x3f2aaada
	v_sub_f32_e32 v4, v28, v4
	v_ldexp_f32 v33, v28, 1
	v_mul_f32_e32 v31, v28, v31
	v_mov_b32_e32 v28, 0x3f317218
	v_pk_mul_f32 v[28:29], v[30:31], v[28:29]
	v_sub_f32_e32 v1, v1, v4
	v_fma_f32 v4, v30, s2, -v28
	v_fmamk_f32 v32, v30, 0xb102e308, v4
	v_pk_add_f32 v[30:31], v[28:29], v[32:33]
	v_ldexp_f32 v1, v1, 1
	v_sub_f32_e32 v4, v31, v33
	v_sub_f32_e32 v4, v29, v4
	v_add_f32_e32 v35, v1, v4
	v_mov_b32_e32 v34, v28
	v_pk_add_f32 v[28:29], v[30:31], v[28:29] neg_lo:[0,1] neg_hi:[0,1]
	v_pk_add_f32 v[36:37], v[30:31], v[34:35]
	v_mov_b32_e32 v33, v30
	v_mov_b32_e32 v29, v37
	v_pk_add_f32 v[38:39], v[32:33], v[28:29] neg_lo:[0,1] neg_hi:[0,1]
	v_pk_add_f32 v[28:29], v[32:33], v[28:29]
	s_mov_b32 s2, 0x33800000
	v_mov_b32_e32 v4, v29
	v_pk_add_f32 v[32:33], v[4:5], v[30:31] neg_lo:[0,1] neg_hi:[0,1]
	v_mov_b32_e32 v28, v37
	v_mov_b32_e32 v1, v32
	v_pk_add_f32 v[40:41], v[36:37], v[0:1] neg_lo:[0,1] neg_hi:[0,1]
	v_mov_b32_e32 v36, v31
	v_mov_b32_e32 v37, v32
	;; [unrolled: 1-line block ×3, first 2 shown]
	v_pk_add_f32 v[28:29], v[28:29], v[36:37] neg_lo:[0,1] neg_hi:[0,1]
	v_mov_b32_e32 v32, v35
	v_mov_b32_e32 v33, v30
	v_pk_add_f32 v[28:29], v[32:33], v[28:29] neg_lo:[0,1] neg_hi:[0,1]
	v_mov_b32_e32 v40, v38
	v_pk_add_f32 v[30:31], v[40:41], v[28:29]
	v_cmp_lt_f32_e64 s[2:3], |v42|, s2
	v_mov_b32_e32 v32, v31
	v_pk_add_f32 v[32:33], v[30:31], v[32:33]
	s_or_b64 vcc, vcc, s[2:3]
	v_pk_add_f32 v[34:35], v[4:5], v[32:33]
	v_mov_b32_e32 v29, v32
	v_mov_b32_e32 v31, v34
	v_pk_add_f32 v[36:37], v[30:31], v[38:39] neg_lo:[0,1] neg_hi:[0,1]
	s_nop 0
	v_sub_f32_e32 v1, v30, v36
	v_pk_add_f32 v[28:29], v[28:29], v[36:37] neg_lo:[0,1] neg_hi:[0,1]
	v_sub_f32_e32 v1, v38, v1
	v_add_f32_e32 v1, v28, v1
	v_add_f32_e32 v1, v1, v29
	;; [unrolled: 1-line block ×3, first 2 shown]
	v_cndmask_b32_e32 v1, v1, v42, vcc
	v_add_f32_e32 v1, v18, v1
	v_cvt_f16_f32_e32 v31, v1
	v_cvt_f32_f16_e32 v1, v31
	v_mov_b32_e32 v4, v31
.LBB398_150:
	s_or_b64 exec, exec, s[0:1]
	v_max_f32_e32 v18, v19, v19
	v_max_f32_e32 v29, v1, v1
	v_min_f32_e32 v28, v29, v18
	v_cmp_u_f16_e32 vcc, v31, v31
	v_max_f32_e32 v18, v29, v18
	s_nop 0
	v_cndmask_b32_e32 v28, v28, v1, vcc
	v_cndmask_b32_e32 v18, v18, v1, vcc
	v_cndmask_b32_e64 v28, v28, v19, s[60:61]
	v_cndmask_b32_e64 v19, v18, v19, s[60:61]
	v_cmp_neq_f32_e32 vcc, v28, v19
	v_cmp_class_f32_e64 s[0:1], v28, s33
	s_or_b64 s[2:3], vcc, s[0:1]
	v_mov_b32_e32 v18, v4
	s_and_saveexec_b64 s[0:1], s[2:3]
	s_cbranch_execz .LBB398_152
; %bb.151:
	v_sub_f32_e32 v1, v28, v19
	s_mov_b32 s2, 0x3fb8aa3b
	v_mul_f32_e32 v18, 0x3fb8aa3b, v1
	v_fma_f32 v28, v1, s2, -v18
	v_rndne_f32_e32 v29, v18
	v_fmamk_f32 v28, v1, 0x32a5705f, v28
	v_sub_f32_e32 v18, v18, v29
	v_add_f32_e32 v18, v18, v28
	v_exp_f32_e32 v18, v18
	v_cvt_i32_f32_e32 v28, v29
	s_mov_b32 s2, 0xc2ce8ed0
	v_cmp_ngt_f32_e32 vcc, s2, v1
	s_mov_b32 s2, 0x42b17218
	v_ldexp_f32 v18, v18, v28
	v_cndmask_b32_e32 v18, 0, v18, vcc
	v_mov_b32_e32 v28, 0x7f800000
	v_cmp_nlt_f32_e32 vcc, s2, v1
	s_mov_b32 s2, 0x3f2aaaab
	s_mov_b32 s3, 0x7f800000
	v_cndmask_b32_e32 v42, v28, v18, vcc
	v_add_f32_e32 v1, 1.0, v42
	v_add_f32_e32 v18, -1.0, v1
	v_sub_f32_e32 v28, v18, v1
	v_add_f32_e32 v28, 1.0, v28
	v_sub_f32_e32 v18, v42, v18
	v_add_f32_e32 v18, v18, v28
	v_frexp_mant_f32_e32 v30, v1
	v_cvt_f64_f32_e32 v[28:29], v1
	v_frexp_exp_i32_f64_e32 v28, v[28:29]
	v_cmp_gt_f32_e32 vcc, s2, v30
	s_mov_b32 s2, 0x3f317218
	s_nop 0
	v_subbrev_co_u32_e32 v36, vcc, 0, v28, vcc
	v_sub_u32_e32 v28, 0, v36
	v_ldexp_f32 v1, v1, v28
	v_ldexp_f32 v18, v18, v28
	v_add_f32_e32 v28, -1.0, v1
	v_add_f32_e32 v29, 1.0, v28
	v_sub_f32_e32 v29, v1, v29
	v_add_f32_e32 v30, v18, v29
	v_add_f32_e32 v29, 1.0, v1
	v_add_f32_e32 v31, -1.0, v29
	v_sub_f32_e32 v1, v1, v31
	v_add_f32_e32 v1, v18, v1
	v_add_f32_e32 v18, v29, v1
	v_rcp_f32_e32 v37, v18
	v_sub_f32_e32 v29, v29, v18
	v_add_f32_e32 v1, v1, v29
	v_add_f32_e32 v29, v28, v30
	v_sub_f32_e32 v28, v28, v29
	v_mul_f32_e32 v39, v29, v37
	v_add_f32_e32 v38, v30, v28
	v_mul_f32_e32 v30, v18, v39
	s_waitcnt lgkmcnt(0)
	v_fma_f32 v32, v39, v18, -v30
	v_fmac_f32_e32 v32, v39, v1
	v_add_f32_e32 v28, v30, v32
	v_sub_f32_e32 v31, v29, v28
	v_pk_add_f32 v[34:35], v[28:29], v[30:31] neg_lo:[0,1] neg_hi:[0,1]
	v_mov_b32_e32 v33, v28
	v_pk_add_f32 v[28:29], v[34:35], v[32:33] neg_lo:[0,1] neg_hi:[0,1]
	v_cmp_eq_f32_e32 vcc, s3, v42
	v_add_f32_e32 v29, v38, v29
	v_add_f32_e32 v28, v28, v29
	v_add_f32_e32 v29, v31, v28
	v_mul_f32_e32 v38, v37, v29
	v_mul_f32_e32 v30, v18, v38
	v_fma_f32 v32, v38, v18, -v30
	v_fmac_f32_e32 v32, v38, v1
	v_sub_f32_e32 v1, v31, v29
	v_add_f32_e32 v1, v28, v1
	v_add_f32_e32 v28, v30, v32
	v_sub_f32_e32 v31, v29, v28
	v_pk_add_f32 v[34:35], v[28:29], v[30:31] neg_lo:[0,1] neg_hi:[0,1]
	v_mov_b32_e32 v33, v28
	v_pk_add_f32 v[28:29], v[34:35], v[32:33] neg_lo:[0,1] neg_hi:[0,1]
	v_add_f32_e32 v18, v39, v38
	v_add_f32_e32 v1, v1, v29
	v_add_f32_e32 v1, v28, v1
	v_add_f32_e32 v1, v31, v1
	v_sub_f32_e32 v28, v18, v39
	v_mul_f32_e32 v1, v37, v1
	v_sub_f32_e32 v28, v38, v28
	v_add_f32_e32 v1, v28, v1
	v_add_f32_e32 v28, v18, v1
	v_cvt_f32_i32_e32 v30, v36
	v_mul_f32_e32 v31, v28, v28
	v_mov_b32_e32 v29, 0x3ecc95a3
	v_fmac_f32_e32 v29, 0x3e9b6dac, v31
	v_fmaak_f32 v29, v31, v29, 0x3f2aaada
	v_sub_f32_e32 v18, v28, v18
	v_ldexp_f32 v33, v28, 1
	v_mul_f32_e32 v31, v28, v31
	v_mov_b32_e32 v28, 0x3f317218
	v_pk_mul_f32 v[28:29], v[30:31], v[28:29]
	v_sub_f32_e32 v1, v1, v18
	v_fma_f32 v18, v30, s2, -v28
	v_fmamk_f32 v32, v30, 0xb102e308, v18
	v_pk_add_f32 v[30:31], v[28:29], v[32:33]
	v_ldexp_f32 v1, v1, 1
	v_sub_f32_e32 v18, v31, v33
	v_sub_f32_e32 v18, v29, v18
	v_add_f32_e32 v35, v1, v18
	v_mov_b32_e32 v34, v28
	v_pk_add_f32 v[28:29], v[30:31], v[28:29] neg_lo:[0,1] neg_hi:[0,1]
	v_pk_add_f32 v[36:37], v[30:31], v[34:35]
	v_mov_b32_e32 v33, v30
	v_mov_b32_e32 v29, v37
	v_pk_add_f32 v[38:39], v[32:33], v[28:29] neg_lo:[0,1] neg_hi:[0,1]
	v_pk_add_f32 v[28:29], v[32:33], v[28:29]
	s_mov_b32 s2, 0x33800000
	v_mov_b32_e32 v18, v29
	v_pk_add_f32 v[32:33], v[18:19], v[30:31] neg_lo:[0,1] neg_hi:[0,1]
	v_mov_b32_e32 v28, v37
	v_mov_b32_e32 v1, v32
	v_pk_add_f32 v[40:41], v[36:37], v[0:1] neg_lo:[0,1] neg_hi:[0,1]
	v_mov_b32_e32 v36, v31
	v_mov_b32_e32 v37, v32
	;; [unrolled: 1-line block ×3, first 2 shown]
	v_pk_add_f32 v[28:29], v[28:29], v[36:37] neg_lo:[0,1] neg_hi:[0,1]
	v_mov_b32_e32 v32, v35
	v_mov_b32_e32 v33, v30
	v_pk_add_f32 v[28:29], v[32:33], v[28:29] neg_lo:[0,1] neg_hi:[0,1]
	v_mov_b32_e32 v40, v38
	v_pk_add_f32 v[30:31], v[40:41], v[28:29]
	v_cmp_lt_f32_e64 s[2:3], |v42|, s2
	v_mov_b32_e32 v32, v31
	v_pk_add_f32 v[32:33], v[30:31], v[32:33]
	s_or_b64 vcc, vcc, s[2:3]
	v_pk_add_f32 v[34:35], v[18:19], v[32:33]
	v_mov_b32_e32 v29, v32
	v_mov_b32_e32 v31, v34
	v_pk_add_f32 v[36:37], v[30:31], v[38:39] neg_lo:[0,1] neg_hi:[0,1]
	s_nop 0
	v_sub_f32_e32 v1, v30, v36
	v_pk_add_f32 v[28:29], v[28:29], v[36:37] neg_lo:[0,1] neg_hi:[0,1]
	v_sub_f32_e32 v1, v38, v1
	v_add_f32_e32 v1, v28, v1
	v_add_f32_e32 v1, v1, v29
	;; [unrolled: 1-line block ×3, first 2 shown]
	v_cndmask_b32_e32 v1, v1, v42, vcc
	v_add_f32_e32 v1, v19, v1
	v_cvt_f16_f32_e32 v31, v1
	v_cvt_f32_f16_e32 v1, v31
	v_mov_b32_e32 v18, v31
.LBB398_152:
	s_or_b64 exec, exec, s[0:1]
	v_max_f32_e32 v19, v5, v5
	v_max_f32_e32 v29, v1, v1
	v_min_f32_e32 v28, v29, v19
	v_cmp_u_f16_e32 vcc, v31, v31
	v_max_f32_e32 v19, v29, v19
	s_nop 0
	v_cndmask_b32_e32 v28, v28, v1, vcc
	v_cndmask_b32_e32 v19, v19, v1, vcc
	v_cndmask_b32_e64 v28, v28, v5, s[62:63]
	v_cndmask_b32_e64 v19, v19, v5, s[62:63]
	v_cmp_neq_f32_e32 vcc, v28, v19
	v_cmp_class_f32_e64 s[0:1], v28, s33
	s_or_b64 s[2:3], vcc, s[0:1]
	v_mov_b32_e32 v5, v18
	s_and_saveexec_b64 s[0:1], s[2:3]
	s_cbranch_execz .LBB398_154
; %bb.153:
	v_sub_f32_e32 v1, v28, v19
	s_mov_b32 s2, 0x3fb8aa3b
	v_mul_f32_e32 v5, 0x3fb8aa3b, v1
	v_fma_f32 v28, v1, s2, -v5
	v_rndne_f32_e32 v29, v5
	v_fmamk_f32 v28, v1, 0x32a5705f, v28
	v_sub_f32_e32 v5, v5, v29
	v_add_f32_e32 v5, v5, v28
	v_exp_f32_e32 v5, v5
	v_cvt_i32_f32_e32 v28, v29
	s_mov_b32 s2, 0xc2ce8ed0
	v_cmp_ngt_f32_e32 vcc, s2, v1
	s_mov_b32 s2, 0x42b17218
	v_ldexp_f32 v5, v5, v28
	v_cndmask_b32_e32 v5, 0, v5, vcc
	v_mov_b32_e32 v28, 0x7f800000
	v_cmp_nlt_f32_e32 vcc, s2, v1
	s_mov_b32 s2, 0x3f2aaaab
	s_mov_b32 s3, 0x7f800000
	v_cndmask_b32_e32 v5, v28, v5, vcc
	v_add_f32_e32 v1, 1.0, v5
	v_add_f32_e32 v28, -1.0, v1
	v_sub_f32_e32 v29, v28, v1
	v_add_f32_e32 v29, 1.0, v29
	v_sub_f32_e32 v28, v5, v28
	v_add_f32_e32 v30, v28, v29
	v_frexp_mant_f32_e32 v31, v1
	v_cvt_f64_f32_e32 v[28:29], v1
	v_frexp_exp_i32_f64_e32 v28, v[28:29]
	v_cmp_gt_f32_e32 vcc, s2, v31
	s_mov_b32 s2, 0x3f317218
	s_nop 0
	v_subbrev_co_u32_e32 v36, vcc, 0, v28, vcc
	v_sub_u32_e32 v28, 0, v36
	v_ldexp_f32 v1, v1, v28
	v_ldexp_f32 v28, v30, v28
	v_add_f32_e32 v30, -1.0, v1
	v_add_f32_e32 v29, 1.0, v30
	v_sub_f32_e32 v29, v1, v29
	v_add_f32_e32 v31, v28, v29
	v_add_f32_e32 v29, 1.0, v1
	s_waitcnt lgkmcnt(0)
	v_add_f32_e32 v32, -1.0, v29
	v_sub_f32_e32 v1, v1, v32
	v_add_f32_e32 v1, v28, v1
	v_add_f32_e32 v37, v29, v1
	v_rcp_f32_e32 v38, v37
	v_sub_f32_e32 v28, v29, v37
	v_add_f32_e32 v29, v30, v31
	v_add_f32_e32 v1, v1, v28
	v_mul_f32_e32 v40, v29, v38
	v_sub_f32_e32 v28, v30, v29
	v_mul_f32_e32 v30, v37, v40
	v_fma_f32 v32, v40, v37, -v30
	v_fmac_f32_e32 v32, v40, v1
	v_add_f32_e32 v39, v31, v28
	v_add_f32_e32 v28, v30, v32
	v_sub_f32_e32 v31, v29, v28
	v_pk_add_f32 v[34:35], v[28:29], v[30:31] neg_lo:[0,1] neg_hi:[0,1]
	v_mov_b32_e32 v33, v28
	v_pk_add_f32 v[28:29], v[34:35], v[32:33] neg_lo:[0,1] neg_hi:[0,1]
	v_cmp_eq_f32_e32 vcc, s3, v5
	v_add_f32_e32 v29, v39, v29
	v_add_f32_e32 v28, v28, v29
	;; [unrolled: 1-line block ×3, first 2 shown]
	v_mul_f32_e32 v39, v38, v29
	v_mul_f32_e32 v30, v37, v39
	v_fma_f32 v32, v39, v37, -v30
	v_fmac_f32_e32 v32, v39, v1
	v_sub_f32_e32 v1, v31, v29
	v_add_f32_e32 v1, v28, v1
	v_add_f32_e32 v28, v30, v32
	v_sub_f32_e32 v31, v29, v28
	v_pk_add_f32 v[34:35], v[28:29], v[30:31] neg_lo:[0,1] neg_hi:[0,1]
	v_mov_b32_e32 v33, v28
	v_pk_add_f32 v[28:29], v[34:35], v[32:33] neg_lo:[0,1] neg_hi:[0,1]
	v_cvt_f32_i32_e32 v30, v36
	v_add_f32_e32 v1, v1, v29
	v_add_f32_e32 v1, v28, v1
	;; [unrolled: 1-line block ×4, first 2 shown]
	v_sub_f32_e32 v29, v28, v40
	v_mul_f32_e32 v1, v38, v1
	v_sub_f32_e32 v29, v39, v29
	v_add_f32_e32 v1, v29, v1
	v_add_f32_e32 v31, v28, v1
	v_mul_f32_e32 v32, v31, v31
	v_mov_b32_e32 v29, 0x3ecc95a3
	v_fmac_f32_e32 v29, 0x3e9b6dac, v32
	v_sub_f32_e32 v28, v31, v28
	v_fmaak_f32 v29, v32, v29, 0x3f2aaada
	v_sub_f32_e32 v1, v1, v28
	v_ldexp_f32 v33, v31, 1
	v_mul_f32_e32 v31, v31, v32
	v_mov_b32_e32 v28, 0x3f317218
	v_pk_mul_f32 v[28:29], v[30:31], v[28:29]
	v_ldexp_f32 v1, v1, 1
	v_fma_f32 v31, v30, s2, -v28
	v_fmamk_f32 v32, v30, 0xb102e308, v31
	v_pk_add_f32 v[30:31], v[28:29], v[32:33]
	v_mov_b32_e32 v34, v28
	v_sub_f32_e32 v33, v31, v33
	v_sub_f32_e32 v33, v29, v33
	v_add_f32_e32 v35, v1, v33
	v_pk_add_f32 v[28:29], v[30:31], v[28:29] neg_lo:[0,1] neg_hi:[0,1]
	v_pk_add_f32 v[36:37], v[30:31], v[34:35]
	v_mov_b32_e32 v33, v30
	v_mov_b32_e32 v29, v37
	v_pk_add_f32 v[38:39], v[32:33], v[28:29] neg_lo:[0,1] neg_hi:[0,1]
	v_pk_add_f32 v[28:29], v[32:33], v[28:29]
	v_mov_b32_e32 v34, v35
	v_mov_b32_e32 v32, v29
	v_pk_add_f32 v[40:41], v[32:33], v[30:31] neg_lo:[0,1] neg_hi:[0,1]
	v_mov_b32_e32 v28, v37
	v_mov_b32_e32 v1, v40
	v_pk_add_f32 v[42:43], v[36:37], v[0:1] neg_lo:[0,1] neg_hi:[0,1]
	v_mov_b32_e32 v36, v31
	v_mov_b32_e32 v37, v40
	;; [unrolled: 1-line block ×3, first 2 shown]
	v_pk_add_f32 v[28:29], v[28:29], v[36:37] neg_lo:[0,1] neg_hi:[0,1]
	v_mov_b32_e32 v35, v30
	v_pk_add_f32 v[28:29], v[34:35], v[28:29] neg_lo:[0,1] neg_hi:[0,1]
	v_mov_b32_e32 v42, v38
	v_pk_add_f32 v[30:31], v[42:43], v[28:29]
	s_mov_b32 s2, 0x33800000
	v_mov_b32_e32 v34, v31
	v_pk_add_f32 v[34:35], v[30:31], v[34:35]
	v_cmp_lt_f32_e64 s[2:3], |v5|, s2
	v_pk_add_f32 v[32:33], v[32:33], v[34:35]
	v_mov_b32_e32 v29, v34
	v_mov_b32_e32 v31, v32
	v_pk_add_f32 v[36:37], v[30:31], v[38:39] neg_lo:[0,1] neg_hi:[0,1]
	s_or_b64 vcc, vcc, s[2:3]
	v_sub_f32_e32 v1, v30, v36
	v_pk_add_f32 v[28:29], v[28:29], v[36:37] neg_lo:[0,1] neg_hi:[0,1]
	v_sub_f32_e32 v1, v38, v1
	v_add_f32_e32 v1, v28, v1
	v_add_f32_e32 v1, v1, v29
	;; [unrolled: 1-line block ×3, first 2 shown]
	v_cndmask_b32_e32 v1, v1, v5, vcc
	v_add_f32_e32 v1, v19, v1
	v_cvt_f16_f32_e32 v31, v1
	v_cvt_f32_f16_e32 v1, v31
	v_mov_b32_e32 v5, v31
.LBB398_154:
	s_or_b64 exec, exec, s[0:1]
	v_max_f32_e32 v19, v20, v20
	v_max_f32_e32 v29, v1, v1
	v_min_f32_e32 v28, v29, v19
	v_cmp_u_f16_e32 vcc, v31, v31
	v_max_f32_e32 v19, v29, v19
	s_nop 0
	v_cndmask_b32_e32 v28, v28, v1, vcc
	v_cndmask_b32_e32 v19, v19, v1, vcc
	v_cndmask_b32_e64 v28, v28, v20, s[64:65]
	v_cndmask_b32_e64 v20, v19, v20, s[64:65]
	v_cmp_neq_f32_e32 vcc, v28, v20
	v_cmp_class_f32_e64 s[0:1], v28, s33
	s_or_b64 s[2:3], vcc, s[0:1]
	v_mov_b32_e32 v19, v5
	s_and_saveexec_b64 s[0:1], s[2:3]
	s_cbranch_execz .LBB398_156
; %bb.155:
	v_sub_f32_e32 v1, v28, v20
	s_mov_b32 s2, 0x3fb8aa3b
	v_mul_f32_e32 v19, 0x3fb8aa3b, v1
	v_fma_f32 v28, v1, s2, -v19
	v_rndne_f32_e32 v29, v19
	v_fmamk_f32 v28, v1, 0x32a5705f, v28
	v_sub_f32_e32 v19, v19, v29
	v_add_f32_e32 v19, v19, v28
	v_exp_f32_e32 v19, v19
	v_cvt_i32_f32_e32 v28, v29
	s_mov_b32 s2, 0xc2ce8ed0
	v_cmp_ngt_f32_e32 vcc, s2, v1
	s_mov_b32 s2, 0x42b17218
	v_ldexp_f32 v19, v19, v28
	v_cndmask_b32_e32 v19, 0, v19, vcc
	v_mov_b32_e32 v28, 0x7f800000
	v_cmp_nlt_f32_e32 vcc, s2, v1
	s_mov_b32 s2, 0x3f2aaaab
	s_mov_b32 s3, 0x7f800000
	v_cndmask_b32_e32 v19, v28, v19, vcc
	v_add_f32_e32 v1, 1.0, v19
	v_add_f32_e32 v28, -1.0, v1
	v_sub_f32_e32 v29, v28, v1
	v_add_f32_e32 v29, 1.0, v29
	v_sub_f32_e32 v28, v19, v28
	v_add_f32_e32 v30, v28, v29
	v_frexp_mant_f32_e32 v31, v1
	v_cvt_f64_f32_e32 v[28:29], v1
	v_frexp_exp_i32_f64_e32 v28, v[28:29]
	v_cmp_gt_f32_e32 vcc, s2, v31
	s_mov_b32 s2, 0x3f317218
	s_nop 0
	v_subbrev_co_u32_e32 v36, vcc, 0, v28, vcc
	v_sub_u32_e32 v28, 0, v36
	v_ldexp_f32 v1, v1, v28
	v_ldexp_f32 v28, v30, v28
	v_add_f32_e32 v30, -1.0, v1
	v_add_f32_e32 v29, 1.0, v30
	v_sub_f32_e32 v29, v1, v29
	v_add_f32_e32 v31, v28, v29
	v_add_f32_e32 v29, 1.0, v1
	s_waitcnt lgkmcnt(0)
	v_add_f32_e32 v32, -1.0, v29
	v_sub_f32_e32 v1, v1, v32
	v_add_f32_e32 v1, v28, v1
	v_add_f32_e32 v37, v29, v1
	v_rcp_f32_e32 v38, v37
	v_sub_f32_e32 v28, v29, v37
	v_add_f32_e32 v29, v30, v31
	v_add_f32_e32 v1, v1, v28
	v_mul_f32_e32 v40, v29, v38
	v_sub_f32_e32 v28, v30, v29
	v_mul_f32_e32 v30, v37, v40
	v_fma_f32 v32, v40, v37, -v30
	v_fmac_f32_e32 v32, v40, v1
	v_add_f32_e32 v39, v31, v28
	v_add_f32_e32 v28, v30, v32
	v_sub_f32_e32 v31, v29, v28
	v_pk_add_f32 v[34:35], v[28:29], v[30:31] neg_lo:[0,1] neg_hi:[0,1]
	v_mov_b32_e32 v33, v28
	v_pk_add_f32 v[28:29], v[34:35], v[32:33] neg_lo:[0,1] neg_hi:[0,1]
	v_cmp_eq_f32_e32 vcc, s3, v19
	v_add_f32_e32 v29, v39, v29
	v_add_f32_e32 v28, v28, v29
	;; [unrolled: 1-line block ×3, first 2 shown]
	v_mul_f32_e32 v39, v38, v29
	v_mul_f32_e32 v30, v37, v39
	v_fma_f32 v32, v39, v37, -v30
	v_fmac_f32_e32 v32, v39, v1
	v_sub_f32_e32 v1, v31, v29
	v_add_f32_e32 v1, v28, v1
	v_add_f32_e32 v28, v30, v32
	v_sub_f32_e32 v31, v29, v28
	v_pk_add_f32 v[34:35], v[28:29], v[30:31] neg_lo:[0,1] neg_hi:[0,1]
	v_mov_b32_e32 v33, v28
	v_pk_add_f32 v[28:29], v[34:35], v[32:33] neg_lo:[0,1] neg_hi:[0,1]
	v_cvt_f32_i32_e32 v30, v36
	v_add_f32_e32 v1, v1, v29
	v_add_f32_e32 v1, v28, v1
	;; [unrolled: 1-line block ×4, first 2 shown]
	v_sub_f32_e32 v29, v28, v40
	v_mul_f32_e32 v1, v38, v1
	v_sub_f32_e32 v29, v39, v29
	v_add_f32_e32 v1, v29, v1
	v_add_f32_e32 v31, v28, v1
	v_mul_f32_e32 v32, v31, v31
	v_mov_b32_e32 v29, 0x3ecc95a3
	v_fmac_f32_e32 v29, 0x3e9b6dac, v32
	v_sub_f32_e32 v28, v31, v28
	v_fmaak_f32 v29, v32, v29, 0x3f2aaada
	v_sub_f32_e32 v1, v1, v28
	v_ldexp_f32 v33, v31, 1
	v_mul_f32_e32 v31, v31, v32
	v_mov_b32_e32 v28, 0x3f317218
	v_pk_mul_f32 v[28:29], v[30:31], v[28:29]
	v_ldexp_f32 v1, v1, 1
	v_fma_f32 v31, v30, s2, -v28
	v_fmamk_f32 v32, v30, 0xb102e308, v31
	v_pk_add_f32 v[30:31], v[28:29], v[32:33]
	v_mov_b32_e32 v34, v28
	v_sub_f32_e32 v33, v31, v33
	v_sub_f32_e32 v33, v29, v33
	v_add_f32_e32 v35, v1, v33
	v_pk_add_f32 v[28:29], v[30:31], v[28:29] neg_lo:[0,1] neg_hi:[0,1]
	v_pk_add_f32 v[36:37], v[30:31], v[34:35]
	v_mov_b32_e32 v33, v30
	v_mov_b32_e32 v29, v37
	v_pk_add_f32 v[38:39], v[32:33], v[28:29] neg_lo:[0,1] neg_hi:[0,1]
	v_pk_add_f32 v[28:29], v[32:33], v[28:29]
	v_mov_b32_e32 v34, v35
	v_mov_b32_e32 v32, v29
	v_pk_add_f32 v[40:41], v[32:33], v[30:31] neg_lo:[0,1] neg_hi:[0,1]
	v_mov_b32_e32 v28, v37
	v_mov_b32_e32 v1, v40
	v_pk_add_f32 v[42:43], v[36:37], v[0:1] neg_lo:[0,1] neg_hi:[0,1]
	v_mov_b32_e32 v36, v31
	v_mov_b32_e32 v37, v40
	;; [unrolled: 1-line block ×3, first 2 shown]
	v_pk_add_f32 v[28:29], v[28:29], v[36:37] neg_lo:[0,1] neg_hi:[0,1]
	v_mov_b32_e32 v35, v30
	v_pk_add_f32 v[28:29], v[34:35], v[28:29] neg_lo:[0,1] neg_hi:[0,1]
	v_mov_b32_e32 v42, v38
	v_pk_add_f32 v[30:31], v[42:43], v[28:29]
	s_mov_b32 s2, 0x33800000
	v_mov_b32_e32 v34, v31
	v_pk_add_f32 v[34:35], v[30:31], v[34:35]
	v_cmp_lt_f32_e64 s[2:3], |v19|, s2
	v_pk_add_f32 v[32:33], v[32:33], v[34:35]
	v_mov_b32_e32 v29, v34
	v_mov_b32_e32 v31, v32
	v_pk_add_f32 v[36:37], v[30:31], v[38:39] neg_lo:[0,1] neg_hi:[0,1]
	s_or_b64 vcc, vcc, s[2:3]
	v_sub_f32_e32 v1, v30, v36
	v_pk_add_f32 v[28:29], v[28:29], v[36:37] neg_lo:[0,1] neg_hi:[0,1]
	v_sub_f32_e32 v1, v38, v1
	v_add_f32_e32 v1, v28, v1
	v_add_f32_e32 v1, v1, v29
	v_add_f32_e32 v1, v32, v1
	v_cndmask_b32_e32 v1, v1, v19, vcc
	v_add_f32_e32 v1, v20, v1
	v_cvt_f16_f32_e32 v31, v1
	v_cvt_f32_f16_e32 v1, v31
	v_mov_b32_e32 v19, v31
.LBB398_156:
	s_or_b64 exec, exec, s[0:1]
	v_max_f32_e32 v20, v10, v10
	v_max_f32_e32 v29, v1, v1
	v_min_f32_e32 v28, v29, v20
	v_cmp_u_f16_e32 vcc, v31, v31
	v_max_f32_e32 v20, v29, v20
	s_nop 0
	v_cndmask_b32_e32 v28, v28, v1, vcc
	v_cndmask_b32_e32 v20, v20, v1, vcc
	v_cndmask_b32_e64 v28, v28, v10, s[66:67]
	v_cndmask_b32_e64 v20, v20, v10, s[66:67]
	v_cmp_neq_f32_e32 vcc, v28, v20
	v_cmp_class_f32_e64 s[0:1], v28, s33
	s_or_b64 s[2:3], vcc, s[0:1]
	v_mov_b32_e32 v10, v19
	s_and_saveexec_b64 s[0:1], s[2:3]
	s_cbranch_execz .LBB398_158
; %bb.157:
	v_sub_f32_e32 v1, v28, v20
	s_mov_b32 s2, 0x3fb8aa3b
	v_mul_f32_e32 v10, 0x3fb8aa3b, v1
	v_fma_f32 v28, v1, s2, -v10
	v_rndne_f32_e32 v29, v10
	v_fmamk_f32 v28, v1, 0x32a5705f, v28
	v_sub_f32_e32 v10, v10, v29
	v_add_f32_e32 v10, v10, v28
	v_exp_f32_e32 v10, v10
	v_cvt_i32_f32_e32 v28, v29
	s_mov_b32 s2, 0xc2ce8ed0
	v_cmp_ngt_f32_e32 vcc, s2, v1
	s_mov_b32 s2, 0x42b17218
	v_ldexp_f32 v10, v10, v28
	v_cndmask_b32_e32 v10, 0, v10, vcc
	v_mov_b32_e32 v28, 0x7f800000
	v_cmp_nlt_f32_e32 vcc, s2, v1
	s_mov_b32 s2, 0x3f2aaaab
	s_mov_b32 s3, 0x7f800000
	v_cndmask_b32_e32 v42, v28, v10, vcc
	v_add_f32_e32 v1, 1.0, v42
	v_add_f32_e32 v10, -1.0, v1
	v_sub_f32_e32 v28, v10, v1
	v_add_f32_e32 v28, 1.0, v28
	v_sub_f32_e32 v10, v42, v10
	v_add_f32_e32 v10, v10, v28
	v_frexp_mant_f32_e32 v30, v1
	v_cvt_f64_f32_e32 v[28:29], v1
	v_frexp_exp_i32_f64_e32 v28, v[28:29]
	v_cmp_gt_f32_e32 vcc, s2, v30
	s_mov_b32 s2, 0x3f317218
	s_nop 0
	v_subbrev_co_u32_e32 v36, vcc, 0, v28, vcc
	v_sub_u32_e32 v28, 0, v36
	v_ldexp_f32 v1, v1, v28
	v_ldexp_f32 v10, v10, v28
	v_add_f32_e32 v28, -1.0, v1
	v_add_f32_e32 v29, 1.0, v28
	v_sub_f32_e32 v29, v1, v29
	v_add_f32_e32 v30, v10, v29
	v_add_f32_e32 v29, 1.0, v1
	v_add_f32_e32 v31, -1.0, v29
	v_sub_f32_e32 v1, v1, v31
	v_add_f32_e32 v1, v10, v1
	v_add_f32_e32 v10, v29, v1
	v_rcp_f32_e32 v37, v10
	v_sub_f32_e32 v29, v29, v10
	v_add_f32_e32 v1, v1, v29
	v_add_f32_e32 v29, v28, v30
	v_sub_f32_e32 v28, v28, v29
	v_mul_f32_e32 v39, v29, v37
	v_add_f32_e32 v38, v30, v28
	v_mul_f32_e32 v30, v10, v39
	s_waitcnt lgkmcnt(0)
	v_fma_f32 v32, v39, v10, -v30
	v_fmac_f32_e32 v32, v39, v1
	v_add_f32_e32 v28, v30, v32
	v_sub_f32_e32 v31, v29, v28
	v_pk_add_f32 v[34:35], v[28:29], v[30:31] neg_lo:[0,1] neg_hi:[0,1]
	v_mov_b32_e32 v33, v28
	v_pk_add_f32 v[28:29], v[34:35], v[32:33] neg_lo:[0,1] neg_hi:[0,1]
	v_cmp_eq_f32_e32 vcc, s3, v42
	v_add_f32_e32 v29, v38, v29
	v_add_f32_e32 v28, v28, v29
	;; [unrolled: 1-line block ×3, first 2 shown]
	v_mul_f32_e32 v38, v37, v29
	v_mul_f32_e32 v30, v10, v38
	v_fma_f32 v32, v38, v10, -v30
	v_fmac_f32_e32 v32, v38, v1
	v_sub_f32_e32 v1, v31, v29
	v_add_f32_e32 v1, v28, v1
	v_add_f32_e32 v28, v30, v32
	v_sub_f32_e32 v31, v29, v28
	v_pk_add_f32 v[34:35], v[28:29], v[30:31] neg_lo:[0,1] neg_hi:[0,1]
	v_mov_b32_e32 v33, v28
	v_pk_add_f32 v[28:29], v[34:35], v[32:33] neg_lo:[0,1] neg_hi:[0,1]
	v_add_f32_e32 v10, v39, v38
	v_add_f32_e32 v1, v1, v29
	;; [unrolled: 1-line block ×4, first 2 shown]
	v_sub_f32_e32 v28, v10, v39
	v_mul_f32_e32 v1, v37, v1
	v_sub_f32_e32 v28, v38, v28
	v_add_f32_e32 v1, v28, v1
	v_add_f32_e32 v28, v10, v1
	v_cvt_f32_i32_e32 v30, v36
	v_mul_f32_e32 v31, v28, v28
	v_mov_b32_e32 v29, 0x3ecc95a3
	v_fmac_f32_e32 v29, 0x3e9b6dac, v31
	v_fmaak_f32 v29, v31, v29, 0x3f2aaada
	v_sub_f32_e32 v10, v28, v10
	v_ldexp_f32 v33, v28, 1
	v_mul_f32_e32 v31, v28, v31
	v_mov_b32_e32 v28, 0x3f317218
	v_pk_mul_f32 v[28:29], v[30:31], v[28:29]
	v_sub_f32_e32 v1, v1, v10
	v_fma_f32 v10, v30, s2, -v28
	v_fmamk_f32 v32, v30, 0xb102e308, v10
	v_pk_add_f32 v[30:31], v[28:29], v[32:33]
	v_ldexp_f32 v1, v1, 1
	v_sub_f32_e32 v10, v31, v33
	v_sub_f32_e32 v10, v29, v10
	v_add_f32_e32 v35, v1, v10
	v_mov_b32_e32 v34, v28
	v_pk_add_f32 v[28:29], v[30:31], v[28:29] neg_lo:[0,1] neg_hi:[0,1]
	v_pk_add_f32 v[36:37], v[30:31], v[34:35]
	v_mov_b32_e32 v33, v30
	v_mov_b32_e32 v29, v37
	v_pk_add_f32 v[38:39], v[32:33], v[28:29] neg_lo:[0,1] neg_hi:[0,1]
	v_pk_add_f32 v[28:29], v[32:33], v[28:29]
	s_mov_b32 s2, 0x33800000
	v_mov_b32_e32 v10, v29
	v_pk_add_f32 v[32:33], v[10:11], v[30:31] neg_lo:[0,1] neg_hi:[0,1]
	v_mov_b32_e32 v28, v37
	v_mov_b32_e32 v1, v32
	v_pk_add_f32 v[40:41], v[36:37], v[0:1] neg_lo:[0,1] neg_hi:[0,1]
	v_mov_b32_e32 v36, v31
	v_mov_b32_e32 v37, v32
	;; [unrolled: 1-line block ×3, first 2 shown]
	v_pk_add_f32 v[28:29], v[28:29], v[36:37] neg_lo:[0,1] neg_hi:[0,1]
	v_mov_b32_e32 v32, v35
	v_mov_b32_e32 v33, v30
	v_pk_add_f32 v[28:29], v[32:33], v[28:29] neg_lo:[0,1] neg_hi:[0,1]
	v_mov_b32_e32 v40, v38
	v_pk_add_f32 v[30:31], v[40:41], v[28:29]
	v_cmp_lt_f32_e64 s[2:3], |v42|, s2
	v_mov_b32_e32 v32, v31
	v_pk_add_f32 v[32:33], v[30:31], v[32:33]
	s_or_b64 vcc, vcc, s[2:3]
	v_pk_add_f32 v[34:35], v[10:11], v[32:33]
	v_mov_b32_e32 v29, v32
	v_mov_b32_e32 v31, v34
	v_pk_add_f32 v[36:37], v[30:31], v[38:39] neg_lo:[0,1] neg_hi:[0,1]
	s_nop 0
	v_sub_f32_e32 v1, v30, v36
	v_pk_add_f32 v[28:29], v[28:29], v[36:37] neg_lo:[0,1] neg_hi:[0,1]
	v_sub_f32_e32 v1, v38, v1
	v_add_f32_e32 v1, v28, v1
	v_add_f32_e32 v1, v1, v29
	;; [unrolled: 1-line block ×3, first 2 shown]
	v_cndmask_b32_e32 v1, v1, v42, vcc
	v_add_f32_e32 v1, v20, v1
	v_cvt_f16_f32_e32 v31, v1
	v_cvt_f32_f16_e32 v1, v31
	v_mov_b32_e32 v10, v31
.LBB398_158:
	s_or_b64 exec, exec, s[0:1]
	v_max_f32_e32 v20, v21, v21
	v_max_f32_e32 v29, v1, v1
	v_min_f32_e32 v28, v29, v20
	v_cmp_u_f16_e32 vcc, v31, v31
	v_max_f32_e32 v20, v29, v20
	s_nop 0
	v_cndmask_b32_e32 v28, v28, v1, vcc
	v_cndmask_b32_e32 v20, v20, v1, vcc
	v_cndmask_b32_e64 v28, v28, v21, s[68:69]
	v_cndmask_b32_e64 v21, v20, v21, s[68:69]
	v_cmp_neq_f32_e32 vcc, v28, v21
	v_cmp_class_f32_e64 s[0:1], v28, s33
	s_or_b64 s[2:3], vcc, s[0:1]
	v_mov_b32_e32 v20, v10
	s_and_saveexec_b64 s[0:1], s[2:3]
	s_cbranch_execz .LBB398_160
; %bb.159:
	v_sub_f32_e32 v1, v28, v21
	s_mov_b32 s2, 0x3fb8aa3b
	v_mul_f32_e32 v20, 0x3fb8aa3b, v1
	v_fma_f32 v28, v1, s2, -v20
	v_rndne_f32_e32 v29, v20
	v_fmamk_f32 v28, v1, 0x32a5705f, v28
	v_sub_f32_e32 v20, v20, v29
	v_add_f32_e32 v20, v20, v28
	v_exp_f32_e32 v20, v20
	v_cvt_i32_f32_e32 v28, v29
	s_mov_b32 s2, 0xc2ce8ed0
	v_cmp_ngt_f32_e32 vcc, s2, v1
	s_mov_b32 s2, 0x42b17218
	v_ldexp_f32 v20, v20, v28
	v_cndmask_b32_e32 v20, 0, v20, vcc
	v_mov_b32_e32 v28, 0x7f800000
	v_cmp_nlt_f32_e32 vcc, s2, v1
	s_mov_b32 s2, 0x3f2aaaab
	s_mov_b32 s3, 0x7f800000
	v_cndmask_b32_e32 v42, v28, v20, vcc
	v_add_f32_e32 v1, 1.0, v42
	v_add_f32_e32 v20, -1.0, v1
	v_sub_f32_e32 v28, v20, v1
	v_add_f32_e32 v28, 1.0, v28
	v_sub_f32_e32 v20, v42, v20
	v_add_f32_e32 v20, v20, v28
	v_frexp_mant_f32_e32 v30, v1
	v_cvt_f64_f32_e32 v[28:29], v1
	v_frexp_exp_i32_f64_e32 v28, v[28:29]
	v_cmp_gt_f32_e32 vcc, s2, v30
	s_mov_b32 s2, 0x3f317218
	s_nop 0
	v_subbrev_co_u32_e32 v36, vcc, 0, v28, vcc
	v_sub_u32_e32 v28, 0, v36
	v_ldexp_f32 v1, v1, v28
	v_ldexp_f32 v20, v20, v28
	v_add_f32_e32 v28, -1.0, v1
	v_add_f32_e32 v29, 1.0, v28
	v_sub_f32_e32 v29, v1, v29
	v_add_f32_e32 v30, v20, v29
	v_add_f32_e32 v29, 1.0, v1
	v_add_f32_e32 v31, -1.0, v29
	v_sub_f32_e32 v1, v1, v31
	v_add_f32_e32 v1, v20, v1
	v_add_f32_e32 v20, v29, v1
	v_rcp_f32_e32 v37, v20
	v_sub_f32_e32 v29, v29, v20
	v_add_f32_e32 v1, v1, v29
	v_add_f32_e32 v29, v28, v30
	v_sub_f32_e32 v28, v28, v29
	v_mul_f32_e32 v39, v29, v37
	v_add_f32_e32 v38, v30, v28
	v_mul_f32_e32 v30, v20, v39
	s_waitcnt lgkmcnt(0)
	v_fma_f32 v32, v39, v20, -v30
	v_fmac_f32_e32 v32, v39, v1
	v_add_f32_e32 v28, v30, v32
	v_sub_f32_e32 v31, v29, v28
	v_pk_add_f32 v[34:35], v[28:29], v[30:31] neg_lo:[0,1] neg_hi:[0,1]
	v_mov_b32_e32 v33, v28
	v_pk_add_f32 v[28:29], v[34:35], v[32:33] neg_lo:[0,1] neg_hi:[0,1]
	v_cmp_eq_f32_e32 vcc, s3, v42
	v_add_f32_e32 v29, v38, v29
	v_add_f32_e32 v28, v28, v29
	;; [unrolled: 1-line block ×3, first 2 shown]
	v_mul_f32_e32 v38, v37, v29
	v_mul_f32_e32 v30, v20, v38
	v_fma_f32 v32, v38, v20, -v30
	v_fmac_f32_e32 v32, v38, v1
	v_sub_f32_e32 v1, v31, v29
	v_add_f32_e32 v1, v28, v1
	v_add_f32_e32 v28, v30, v32
	v_sub_f32_e32 v31, v29, v28
	v_pk_add_f32 v[34:35], v[28:29], v[30:31] neg_lo:[0,1] neg_hi:[0,1]
	v_mov_b32_e32 v33, v28
	v_pk_add_f32 v[28:29], v[34:35], v[32:33] neg_lo:[0,1] neg_hi:[0,1]
	v_add_f32_e32 v20, v39, v38
	v_add_f32_e32 v1, v1, v29
	;; [unrolled: 1-line block ×4, first 2 shown]
	v_sub_f32_e32 v28, v20, v39
	v_mul_f32_e32 v1, v37, v1
	v_sub_f32_e32 v28, v38, v28
	v_add_f32_e32 v1, v28, v1
	v_add_f32_e32 v28, v20, v1
	v_cvt_f32_i32_e32 v30, v36
	v_mul_f32_e32 v31, v28, v28
	v_mov_b32_e32 v29, 0x3ecc95a3
	v_fmac_f32_e32 v29, 0x3e9b6dac, v31
	v_fmaak_f32 v29, v31, v29, 0x3f2aaada
	v_sub_f32_e32 v20, v28, v20
	v_ldexp_f32 v33, v28, 1
	v_mul_f32_e32 v31, v28, v31
	v_mov_b32_e32 v28, 0x3f317218
	v_pk_mul_f32 v[28:29], v[30:31], v[28:29]
	v_sub_f32_e32 v1, v1, v20
	v_fma_f32 v20, v30, s2, -v28
	v_fmamk_f32 v32, v30, 0xb102e308, v20
	v_pk_add_f32 v[30:31], v[28:29], v[32:33]
	v_ldexp_f32 v1, v1, 1
	v_sub_f32_e32 v20, v31, v33
	v_sub_f32_e32 v20, v29, v20
	v_add_f32_e32 v35, v1, v20
	v_mov_b32_e32 v34, v28
	v_pk_add_f32 v[28:29], v[30:31], v[28:29] neg_lo:[0,1] neg_hi:[0,1]
	v_pk_add_f32 v[36:37], v[30:31], v[34:35]
	v_mov_b32_e32 v33, v30
	v_mov_b32_e32 v29, v37
	v_pk_add_f32 v[38:39], v[32:33], v[28:29] neg_lo:[0,1] neg_hi:[0,1]
	v_pk_add_f32 v[28:29], v[32:33], v[28:29]
	s_mov_b32 s2, 0x33800000
	v_mov_b32_e32 v20, v29
	v_pk_add_f32 v[32:33], v[20:21], v[30:31] neg_lo:[0,1] neg_hi:[0,1]
	v_mov_b32_e32 v28, v37
	v_mov_b32_e32 v1, v32
	v_pk_add_f32 v[40:41], v[36:37], v[0:1] neg_lo:[0,1] neg_hi:[0,1]
	v_mov_b32_e32 v36, v31
	v_mov_b32_e32 v37, v32
	;; [unrolled: 1-line block ×3, first 2 shown]
	v_pk_add_f32 v[28:29], v[28:29], v[36:37] neg_lo:[0,1] neg_hi:[0,1]
	v_mov_b32_e32 v32, v35
	v_mov_b32_e32 v33, v30
	v_pk_add_f32 v[28:29], v[32:33], v[28:29] neg_lo:[0,1] neg_hi:[0,1]
	v_mov_b32_e32 v40, v38
	v_pk_add_f32 v[30:31], v[40:41], v[28:29]
	v_cmp_lt_f32_e64 s[2:3], |v42|, s2
	v_mov_b32_e32 v32, v31
	v_pk_add_f32 v[32:33], v[30:31], v[32:33]
	s_or_b64 vcc, vcc, s[2:3]
	v_pk_add_f32 v[34:35], v[20:21], v[32:33]
	v_mov_b32_e32 v29, v32
	v_mov_b32_e32 v31, v34
	v_pk_add_f32 v[36:37], v[30:31], v[38:39] neg_lo:[0,1] neg_hi:[0,1]
	s_nop 0
	v_sub_f32_e32 v1, v30, v36
	v_pk_add_f32 v[28:29], v[28:29], v[36:37] neg_lo:[0,1] neg_hi:[0,1]
	v_sub_f32_e32 v1, v38, v1
	v_add_f32_e32 v1, v28, v1
	v_add_f32_e32 v1, v1, v29
	;; [unrolled: 1-line block ×3, first 2 shown]
	v_cndmask_b32_e32 v1, v1, v42, vcc
	v_add_f32_e32 v1, v21, v1
	v_cvt_f16_f32_e32 v31, v1
	v_cvt_f32_f16_e32 v1, v31
	v_mov_b32_e32 v20, v31
.LBB398_160:
	s_or_b64 exec, exec, s[0:1]
	v_max_f32_e32 v21, v11, v11
	v_max_f32_e32 v29, v1, v1
	v_min_f32_e32 v28, v29, v21
	v_cmp_u_f16_e32 vcc, v31, v31
	v_max_f32_e32 v21, v29, v21
	s_nop 0
	v_cndmask_b32_e32 v28, v28, v1, vcc
	v_cndmask_b32_e32 v21, v21, v1, vcc
	v_cndmask_b32_e64 v28, v28, v11, s[70:71]
	v_cndmask_b32_e64 v21, v21, v11, s[70:71]
	v_cmp_neq_f32_e32 vcc, v28, v21
	v_cmp_class_f32_e64 s[0:1], v28, s33
	s_or_b64 s[2:3], vcc, s[0:1]
	v_mov_b32_e32 v11, v20
	s_and_saveexec_b64 s[0:1], s[2:3]
	s_cbranch_execz .LBB398_162
; %bb.161:
	v_sub_f32_e32 v1, v28, v21
	s_mov_b32 s2, 0x3fb8aa3b
	v_mul_f32_e32 v11, 0x3fb8aa3b, v1
	v_fma_f32 v28, v1, s2, -v11
	v_rndne_f32_e32 v29, v11
	v_fmamk_f32 v28, v1, 0x32a5705f, v28
	v_sub_f32_e32 v11, v11, v29
	v_add_f32_e32 v11, v11, v28
	v_exp_f32_e32 v11, v11
	v_cvt_i32_f32_e32 v28, v29
	s_mov_b32 s2, 0xc2ce8ed0
	v_cmp_ngt_f32_e32 vcc, s2, v1
	s_mov_b32 s2, 0x42b17218
	v_ldexp_f32 v11, v11, v28
	v_cndmask_b32_e32 v11, 0, v11, vcc
	v_mov_b32_e32 v28, 0x7f800000
	v_cmp_nlt_f32_e32 vcc, s2, v1
	s_mov_b32 s2, 0x3f2aaaab
	s_mov_b32 s3, 0x7f800000
	v_cndmask_b32_e32 v11, v28, v11, vcc
	v_add_f32_e32 v1, 1.0, v11
	v_add_f32_e32 v28, -1.0, v1
	v_sub_f32_e32 v29, v28, v1
	v_add_f32_e32 v29, 1.0, v29
	v_sub_f32_e32 v28, v11, v28
	v_add_f32_e32 v30, v28, v29
	v_frexp_mant_f32_e32 v31, v1
	v_cvt_f64_f32_e32 v[28:29], v1
	v_frexp_exp_i32_f64_e32 v28, v[28:29]
	v_cmp_gt_f32_e32 vcc, s2, v31
	s_mov_b32 s2, 0x3f317218
	s_nop 0
	v_subbrev_co_u32_e32 v36, vcc, 0, v28, vcc
	v_sub_u32_e32 v28, 0, v36
	v_ldexp_f32 v1, v1, v28
	v_ldexp_f32 v28, v30, v28
	v_add_f32_e32 v30, -1.0, v1
	v_add_f32_e32 v29, 1.0, v30
	v_sub_f32_e32 v29, v1, v29
	v_add_f32_e32 v31, v28, v29
	v_add_f32_e32 v29, 1.0, v1
	s_waitcnt lgkmcnt(0)
	v_add_f32_e32 v32, -1.0, v29
	v_sub_f32_e32 v1, v1, v32
	v_add_f32_e32 v1, v28, v1
	v_add_f32_e32 v37, v29, v1
	v_rcp_f32_e32 v38, v37
	v_sub_f32_e32 v28, v29, v37
	v_add_f32_e32 v29, v30, v31
	v_add_f32_e32 v1, v1, v28
	v_mul_f32_e32 v40, v29, v38
	v_sub_f32_e32 v28, v30, v29
	v_mul_f32_e32 v30, v37, v40
	v_fma_f32 v32, v40, v37, -v30
	v_fmac_f32_e32 v32, v40, v1
	v_add_f32_e32 v39, v31, v28
	v_add_f32_e32 v28, v30, v32
	v_sub_f32_e32 v31, v29, v28
	v_pk_add_f32 v[34:35], v[28:29], v[30:31] neg_lo:[0,1] neg_hi:[0,1]
	v_mov_b32_e32 v33, v28
	v_pk_add_f32 v[28:29], v[34:35], v[32:33] neg_lo:[0,1] neg_hi:[0,1]
	v_cmp_eq_f32_e32 vcc, s3, v11
	v_add_f32_e32 v29, v39, v29
	v_add_f32_e32 v28, v28, v29
	;; [unrolled: 1-line block ×3, first 2 shown]
	v_mul_f32_e32 v39, v38, v29
	v_mul_f32_e32 v30, v37, v39
	v_fma_f32 v32, v39, v37, -v30
	v_fmac_f32_e32 v32, v39, v1
	v_sub_f32_e32 v1, v31, v29
	v_add_f32_e32 v1, v28, v1
	v_add_f32_e32 v28, v30, v32
	v_sub_f32_e32 v31, v29, v28
	v_pk_add_f32 v[34:35], v[28:29], v[30:31] neg_lo:[0,1] neg_hi:[0,1]
	v_mov_b32_e32 v33, v28
	v_pk_add_f32 v[28:29], v[34:35], v[32:33] neg_lo:[0,1] neg_hi:[0,1]
	v_cvt_f32_i32_e32 v30, v36
	v_add_f32_e32 v1, v1, v29
	v_add_f32_e32 v1, v28, v1
	;; [unrolled: 1-line block ×4, first 2 shown]
	v_sub_f32_e32 v29, v28, v40
	v_mul_f32_e32 v1, v38, v1
	v_sub_f32_e32 v29, v39, v29
	v_add_f32_e32 v1, v29, v1
	v_add_f32_e32 v31, v28, v1
	v_mul_f32_e32 v32, v31, v31
	v_mov_b32_e32 v29, 0x3ecc95a3
	v_fmac_f32_e32 v29, 0x3e9b6dac, v32
	v_sub_f32_e32 v28, v31, v28
	v_fmaak_f32 v29, v32, v29, 0x3f2aaada
	v_sub_f32_e32 v1, v1, v28
	v_ldexp_f32 v33, v31, 1
	v_mul_f32_e32 v31, v31, v32
	v_mov_b32_e32 v28, 0x3f317218
	v_pk_mul_f32 v[28:29], v[30:31], v[28:29]
	v_ldexp_f32 v1, v1, 1
	v_fma_f32 v31, v30, s2, -v28
	v_fmamk_f32 v32, v30, 0xb102e308, v31
	v_pk_add_f32 v[30:31], v[28:29], v[32:33]
	v_mov_b32_e32 v34, v28
	v_sub_f32_e32 v33, v31, v33
	v_sub_f32_e32 v33, v29, v33
	v_add_f32_e32 v35, v1, v33
	v_pk_add_f32 v[28:29], v[30:31], v[28:29] neg_lo:[0,1] neg_hi:[0,1]
	v_pk_add_f32 v[36:37], v[30:31], v[34:35]
	v_mov_b32_e32 v33, v30
	v_mov_b32_e32 v29, v37
	v_pk_add_f32 v[38:39], v[32:33], v[28:29] neg_lo:[0,1] neg_hi:[0,1]
	v_pk_add_f32 v[28:29], v[32:33], v[28:29]
	v_mov_b32_e32 v34, v35
	v_mov_b32_e32 v32, v29
	v_pk_add_f32 v[40:41], v[32:33], v[30:31] neg_lo:[0,1] neg_hi:[0,1]
	v_mov_b32_e32 v28, v37
	v_mov_b32_e32 v1, v40
	v_pk_add_f32 v[42:43], v[36:37], v[0:1] neg_lo:[0,1] neg_hi:[0,1]
	v_mov_b32_e32 v36, v31
	v_mov_b32_e32 v37, v40
	;; [unrolled: 1-line block ×3, first 2 shown]
	v_pk_add_f32 v[28:29], v[28:29], v[36:37] neg_lo:[0,1] neg_hi:[0,1]
	v_mov_b32_e32 v35, v30
	v_pk_add_f32 v[28:29], v[34:35], v[28:29] neg_lo:[0,1] neg_hi:[0,1]
	v_mov_b32_e32 v42, v38
	v_pk_add_f32 v[30:31], v[42:43], v[28:29]
	s_mov_b32 s2, 0x33800000
	v_mov_b32_e32 v34, v31
	v_pk_add_f32 v[34:35], v[30:31], v[34:35]
	v_cmp_lt_f32_e64 s[2:3], |v11|, s2
	v_pk_add_f32 v[32:33], v[32:33], v[34:35]
	v_mov_b32_e32 v29, v34
	v_mov_b32_e32 v31, v32
	v_pk_add_f32 v[36:37], v[30:31], v[38:39] neg_lo:[0,1] neg_hi:[0,1]
	s_or_b64 vcc, vcc, s[2:3]
	v_sub_f32_e32 v1, v30, v36
	v_pk_add_f32 v[28:29], v[28:29], v[36:37] neg_lo:[0,1] neg_hi:[0,1]
	v_sub_f32_e32 v1, v38, v1
	v_add_f32_e32 v1, v28, v1
	v_add_f32_e32 v1, v1, v29
	;; [unrolled: 1-line block ×3, first 2 shown]
	v_cndmask_b32_e32 v1, v1, v11, vcc
	v_add_f32_e32 v1, v21, v1
	v_cvt_f16_f32_e32 v31, v1
	v_cvt_f32_f16_e32 v1, v31
	v_mov_b32_e32 v11, v31
.LBB398_162:
	s_or_b64 exec, exec, s[0:1]
	v_max_f32_e32 v21, v22, v22
	v_max_f32_e32 v29, v1, v1
	v_min_f32_e32 v28, v29, v21
	v_cmp_u_f16_e32 vcc, v31, v31
	v_max_f32_e32 v21, v29, v21
	s_nop 0
	v_cndmask_b32_e32 v28, v28, v1, vcc
	v_cndmask_b32_e32 v21, v21, v1, vcc
	v_cndmask_b32_e64 v28, v28, v22, s[72:73]
	v_cndmask_b32_e64 v22, v21, v22, s[72:73]
	v_cmp_neq_f32_e32 vcc, v28, v22
	v_cmp_class_f32_e64 s[0:1], v28, s33
	s_or_b64 s[2:3], vcc, s[0:1]
	v_mov_b32_e32 v21, v11
	s_and_saveexec_b64 s[0:1], s[2:3]
	s_cbranch_execz .LBB398_164
; %bb.163:
	v_sub_f32_e32 v1, v28, v22
	s_mov_b32 s2, 0x3fb8aa3b
	v_mul_f32_e32 v21, 0x3fb8aa3b, v1
	v_fma_f32 v28, v1, s2, -v21
	v_rndne_f32_e32 v29, v21
	v_fmamk_f32 v28, v1, 0x32a5705f, v28
	v_sub_f32_e32 v21, v21, v29
	v_add_f32_e32 v21, v21, v28
	v_exp_f32_e32 v21, v21
	v_cvt_i32_f32_e32 v28, v29
	s_mov_b32 s2, 0xc2ce8ed0
	v_cmp_ngt_f32_e32 vcc, s2, v1
	s_mov_b32 s2, 0x42b17218
	v_ldexp_f32 v21, v21, v28
	v_cndmask_b32_e32 v21, 0, v21, vcc
	v_mov_b32_e32 v28, 0x7f800000
	v_cmp_nlt_f32_e32 vcc, s2, v1
	s_mov_b32 s2, 0x3f2aaaab
	s_mov_b32 s3, 0x7f800000
	v_cndmask_b32_e32 v21, v28, v21, vcc
	v_add_f32_e32 v1, 1.0, v21
	v_add_f32_e32 v28, -1.0, v1
	v_sub_f32_e32 v29, v28, v1
	v_add_f32_e32 v29, 1.0, v29
	v_sub_f32_e32 v28, v21, v28
	v_add_f32_e32 v30, v28, v29
	v_frexp_mant_f32_e32 v31, v1
	v_cvt_f64_f32_e32 v[28:29], v1
	v_frexp_exp_i32_f64_e32 v28, v[28:29]
	v_cmp_gt_f32_e32 vcc, s2, v31
	s_mov_b32 s2, 0x3f317218
	s_nop 0
	v_subbrev_co_u32_e32 v36, vcc, 0, v28, vcc
	v_sub_u32_e32 v28, 0, v36
	v_ldexp_f32 v1, v1, v28
	v_ldexp_f32 v28, v30, v28
	v_add_f32_e32 v30, -1.0, v1
	v_add_f32_e32 v29, 1.0, v30
	v_sub_f32_e32 v29, v1, v29
	v_add_f32_e32 v31, v28, v29
	v_add_f32_e32 v29, 1.0, v1
	s_waitcnt lgkmcnt(0)
	v_add_f32_e32 v32, -1.0, v29
	v_sub_f32_e32 v1, v1, v32
	v_add_f32_e32 v1, v28, v1
	v_add_f32_e32 v37, v29, v1
	v_rcp_f32_e32 v38, v37
	v_sub_f32_e32 v28, v29, v37
	v_add_f32_e32 v29, v30, v31
	v_add_f32_e32 v1, v1, v28
	v_mul_f32_e32 v40, v29, v38
	v_sub_f32_e32 v28, v30, v29
	v_mul_f32_e32 v30, v37, v40
	v_fma_f32 v32, v40, v37, -v30
	v_fmac_f32_e32 v32, v40, v1
	v_add_f32_e32 v39, v31, v28
	v_add_f32_e32 v28, v30, v32
	v_sub_f32_e32 v31, v29, v28
	v_pk_add_f32 v[34:35], v[28:29], v[30:31] neg_lo:[0,1] neg_hi:[0,1]
	v_mov_b32_e32 v33, v28
	v_pk_add_f32 v[28:29], v[34:35], v[32:33] neg_lo:[0,1] neg_hi:[0,1]
	v_cmp_eq_f32_e32 vcc, s3, v21
	v_add_f32_e32 v29, v39, v29
	v_add_f32_e32 v28, v28, v29
	;; [unrolled: 1-line block ×3, first 2 shown]
	v_mul_f32_e32 v39, v38, v29
	v_mul_f32_e32 v30, v37, v39
	v_fma_f32 v32, v39, v37, -v30
	v_fmac_f32_e32 v32, v39, v1
	v_sub_f32_e32 v1, v31, v29
	v_add_f32_e32 v1, v28, v1
	v_add_f32_e32 v28, v30, v32
	v_sub_f32_e32 v31, v29, v28
	v_pk_add_f32 v[34:35], v[28:29], v[30:31] neg_lo:[0,1] neg_hi:[0,1]
	v_mov_b32_e32 v33, v28
	v_pk_add_f32 v[28:29], v[34:35], v[32:33] neg_lo:[0,1] neg_hi:[0,1]
	v_cvt_f32_i32_e32 v30, v36
	v_add_f32_e32 v1, v1, v29
	v_add_f32_e32 v1, v28, v1
	;; [unrolled: 1-line block ×4, first 2 shown]
	v_sub_f32_e32 v29, v28, v40
	v_mul_f32_e32 v1, v38, v1
	v_sub_f32_e32 v29, v39, v29
	v_add_f32_e32 v1, v29, v1
	v_add_f32_e32 v31, v28, v1
	v_mul_f32_e32 v32, v31, v31
	v_mov_b32_e32 v29, 0x3ecc95a3
	v_fmac_f32_e32 v29, 0x3e9b6dac, v32
	v_sub_f32_e32 v28, v31, v28
	v_fmaak_f32 v29, v32, v29, 0x3f2aaada
	v_sub_f32_e32 v1, v1, v28
	v_ldexp_f32 v33, v31, 1
	v_mul_f32_e32 v31, v31, v32
	v_mov_b32_e32 v28, 0x3f317218
	v_pk_mul_f32 v[28:29], v[30:31], v[28:29]
	v_ldexp_f32 v1, v1, 1
	v_fma_f32 v31, v30, s2, -v28
	v_fmamk_f32 v32, v30, 0xb102e308, v31
	v_pk_add_f32 v[30:31], v[28:29], v[32:33]
	v_mov_b32_e32 v34, v28
	v_sub_f32_e32 v33, v31, v33
	v_sub_f32_e32 v33, v29, v33
	v_add_f32_e32 v35, v1, v33
	v_pk_add_f32 v[28:29], v[30:31], v[28:29] neg_lo:[0,1] neg_hi:[0,1]
	v_pk_add_f32 v[36:37], v[30:31], v[34:35]
	v_mov_b32_e32 v33, v30
	v_mov_b32_e32 v29, v37
	v_pk_add_f32 v[38:39], v[32:33], v[28:29] neg_lo:[0,1] neg_hi:[0,1]
	v_pk_add_f32 v[28:29], v[32:33], v[28:29]
	v_mov_b32_e32 v34, v35
	v_mov_b32_e32 v32, v29
	v_pk_add_f32 v[40:41], v[32:33], v[30:31] neg_lo:[0,1] neg_hi:[0,1]
	v_mov_b32_e32 v28, v37
	v_mov_b32_e32 v1, v40
	v_pk_add_f32 v[42:43], v[36:37], v[0:1] neg_lo:[0,1] neg_hi:[0,1]
	v_mov_b32_e32 v36, v31
	v_mov_b32_e32 v37, v40
	;; [unrolled: 1-line block ×3, first 2 shown]
	v_pk_add_f32 v[28:29], v[28:29], v[36:37] neg_lo:[0,1] neg_hi:[0,1]
	v_mov_b32_e32 v35, v30
	v_pk_add_f32 v[28:29], v[34:35], v[28:29] neg_lo:[0,1] neg_hi:[0,1]
	v_mov_b32_e32 v42, v38
	v_pk_add_f32 v[30:31], v[42:43], v[28:29]
	s_mov_b32 s2, 0x33800000
	v_mov_b32_e32 v34, v31
	v_pk_add_f32 v[34:35], v[30:31], v[34:35]
	v_cmp_lt_f32_e64 s[2:3], |v21|, s2
	v_pk_add_f32 v[32:33], v[32:33], v[34:35]
	v_mov_b32_e32 v29, v34
	v_mov_b32_e32 v31, v32
	v_pk_add_f32 v[36:37], v[30:31], v[38:39] neg_lo:[0,1] neg_hi:[0,1]
	s_or_b64 vcc, vcc, s[2:3]
	v_sub_f32_e32 v1, v30, v36
	v_pk_add_f32 v[28:29], v[28:29], v[36:37] neg_lo:[0,1] neg_hi:[0,1]
	v_sub_f32_e32 v1, v38, v1
	v_add_f32_e32 v1, v28, v1
	v_add_f32_e32 v1, v1, v29
	;; [unrolled: 1-line block ×3, first 2 shown]
	v_cndmask_b32_e32 v1, v1, v21, vcc
	v_add_f32_e32 v1, v22, v1
	v_cvt_f16_f32_e32 v31, v1
	v_cvt_f32_f16_e32 v1, v31
	v_mov_b32_e32 v21, v31
.LBB398_164:
	s_or_b64 exec, exec, s[0:1]
	v_max_f32_e32 v22, v12, v12
	v_max_f32_e32 v29, v1, v1
	v_min_f32_e32 v28, v29, v22
	v_cmp_u_f16_e32 vcc, v31, v31
	v_max_f32_e32 v22, v29, v22
	s_nop 0
	v_cndmask_b32_e32 v28, v28, v1, vcc
	v_cndmask_b32_e32 v22, v22, v1, vcc
	v_cndmask_b32_e64 v28, v28, v12, s[74:75]
	v_cndmask_b32_e64 v22, v22, v12, s[74:75]
	v_cmp_neq_f32_e32 vcc, v28, v22
	v_cmp_class_f32_e64 s[0:1], v28, s33
	s_or_b64 s[2:3], vcc, s[0:1]
	v_mov_b32_e32 v12, v21
	s_and_saveexec_b64 s[0:1], s[2:3]
	s_cbranch_execz .LBB398_166
; %bb.165:
	v_sub_f32_e32 v1, v28, v22
	s_mov_b32 s2, 0x3fb8aa3b
	v_mul_f32_e32 v12, 0x3fb8aa3b, v1
	v_fma_f32 v28, v1, s2, -v12
	v_rndne_f32_e32 v29, v12
	v_fmamk_f32 v28, v1, 0x32a5705f, v28
	v_sub_f32_e32 v12, v12, v29
	v_add_f32_e32 v12, v12, v28
	v_exp_f32_e32 v12, v12
	v_cvt_i32_f32_e32 v28, v29
	s_mov_b32 s2, 0xc2ce8ed0
	v_cmp_ngt_f32_e32 vcc, s2, v1
	s_mov_b32 s2, 0x42b17218
	v_ldexp_f32 v12, v12, v28
	v_cndmask_b32_e32 v12, 0, v12, vcc
	v_mov_b32_e32 v28, 0x7f800000
	v_cmp_nlt_f32_e32 vcc, s2, v1
	s_mov_b32 s2, 0x3f2aaaab
	s_mov_b32 s3, 0x7f800000
	v_cndmask_b32_e32 v42, v28, v12, vcc
	v_add_f32_e32 v1, 1.0, v42
	v_add_f32_e32 v12, -1.0, v1
	v_sub_f32_e32 v28, v12, v1
	v_add_f32_e32 v28, 1.0, v28
	v_sub_f32_e32 v12, v42, v12
	v_add_f32_e32 v12, v12, v28
	v_frexp_mant_f32_e32 v30, v1
	v_cvt_f64_f32_e32 v[28:29], v1
	v_frexp_exp_i32_f64_e32 v28, v[28:29]
	v_cmp_gt_f32_e32 vcc, s2, v30
	s_mov_b32 s2, 0x3f317218
	s_nop 0
	v_subbrev_co_u32_e32 v36, vcc, 0, v28, vcc
	v_sub_u32_e32 v28, 0, v36
	v_ldexp_f32 v1, v1, v28
	v_ldexp_f32 v12, v12, v28
	v_add_f32_e32 v28, -1.0, v1
	v_add_f32_e32 v29, 1.0, v28
	v_sub_f32_e32 v29, v1, v29
	v_add_f32_e32 v30, v12, v29
	v_add_f32_e32 v29, 1.0, v1
	v_add_f32_e32 v31, -1.0, v29
	v_sub_f32_e32 v1, v1, v31
	v_add_f32_e32 v1, v12, v1
	v_add_f32_e32 v12, v29, v1
	v_rcp_f32_e32 v37, v12
	v_sub_f32_e32 v29, v29, v12
	v_add_f32_e32 v1, v1, v29
	v_add_f32_e32 v29, v28, v30
	v_sub_f32_e32 v28, v28, v29
	v_mul_f32_e32 v39, v29, v37
	v_add_f32_e32 v38, v30, v28
	v_mul_f32_e32 v30, v12, v39
	s_waitcnt lgkmcnt(0)
	v_fma_f32 v32, v39, v12, -v30
	v_fmac_f32_e32 v32, v39, v1
	v_add_f32_e32 v28, v30, v32
	v_sub_f32_e32 v31, v29, v28
	v_pk_add_f32 v[34:35], v[28:29], v[30:31] neg_lo:[0,1] neg_hi:[0,1]
	v_mov_b32_e32 v33, v28
	v_pk_add_f32 v[28:29], v[34:35], v[32:33] neg_lo:[0,1] neg_hi:[0,1]
	v_cmp_eq_f32_e32 vcc, s3, v42
	v_add_f32_e32 v29, v38, v29
	v_add_f32_e32 v28, v28, v29
	;; [unrolled: 1-line block ×3, first 2 shown]
	v_mul_f32_e32 v38, v37, v29
	v_mul_f32_e32 v30, v12, v38
	v_fma_f32 v32, v38, v12, -v30
	v_fmac_f32_e32 v32, v38, v1
	v_sub_f32_e32 v1, v31, v29
	v_add_f32_e32 v1, v28, v1
	v_add_f32_e32 v28, v30, v32
	v_sub_f32_e32 v31, v29, v28
	v_pk_add_f32 v[34:35], v[28:29], v[30:31] neg_lo:[0,1] neg_hi:[0,1]
	v_mov_b32_e32 v33, v28
	v_pk_add_f32 v[28:29], v[34:35], v[32:33] neg_lo:[0,1] neg_hi:[0,1]
	v_add_f32_e32 v12, v39, v38
	v_add_f32_e32 v1, v1, v29
	v_add_f32_e32 v1, v28, v1
	v_add_f32_e32 v1, v31, v1
	v_sub_f32_e32 v28, v12, v39
	v_mul_f32_e32 v1, v37, v1
	v_sub_f32_e32 v28, v38, v28
	v_add_f32_e32 v1, v28, v1
	v_add_f32_e32 v28, v12, v1
	v_cvt_f32_i32_e32 v30, v36
	v_mul_f32_e32 v31, v28, v28
	v_mov_b32_e32 v29, 0x3ecc95a3
	v_fmac_f32_e32 v29, 0x3e9b6dac, v31
	v_fmaak_f32 v29, v31, v29, 0x3f2aaada
	v_sub_f32_e32 v12, v28, v12
	v_ldexp_f32 v33, v28, 1
	v_mul_f32_e32 v31, v28, v31
	v_mov_b32_e32 v28, 0x3f317218
	v_pk_mul_f32 v[28:29], v[30:31], v[28:29]
	v_sub_f32_e32 v1, v1, v12
	v_fma_f32 v12, v30, s2, -v28
	v_fmamk_f32 v32, v30, 0xb102e308, v12
	v_pk_add_f32 v[30:31], v[28:29], v[32:33]
	v_ldexp_f32 v1, v1, 1
	v_sub_f32_e32 v12, v31, v33
	v_sub_f32_e32 v12, v29, v12
	v_add_f32_e32 v35, v1, v12
	v_mov_b32_e32 v34, v28
	v_pk_add_f32 v[28:29], v[30:31], v[28:29] neg_lo:[0,1] neg_hi:[0,1]
	v_pk_add_f32 v[36:37], v[30:31], v[34:35]
	v_mov_b32_e32 v33, v30
	v_mov_b32_e32 v29, v37
	v_pk_add_f32 v[38:39], v[32:33], v[28:29] neg_lo:[0,1] neg_hi:[0,1]
	v_pk_add_f32 v[28:29], v[32:33], v[28:29]
	s_mov_b32 s2, 0x33800000
	v_mov_b32_e32 v12, v29
	v_pk_add_f32 v[32:33], v[12:13], v[30:31] neg_lo:[0,1] neg_hi:[0,1]
	v_mov_b32_e32 v28, v37
	v_mov_b32_e32 v1, v32
	v_pk_add_f32 v[40:41], v[36:37], v[0:1] neg_lo:[0,1] neg_hi:[0,1]
	v_mov_b32_e32 v36, v31
	v_mov_b32_e32 v37, v32
	;; [unrolled: 1-line block ×3, first 2 shown]
	v_pk_add_f32 v[28:29], v[28:29], v[36:37] neg_lo:[0,1] neg_hi:[0,1]
	v_mov_b32_e32 v32, v35
	v_mov_b32_e32 v33, v30
	v_pk_add_f32 v[28:29], v[32:33], v[28:29] neg_lo:[0,1] neg_hi:[0,1]
	v_mov_b32_e32 v40, v38
	v_pk_add_f32 v[30:31], v[40:41], v[28:29]
	v_cmp_lt_f32_e64 s[2:3], |v42|, s2
	v_mov_b32_e32 v32, v31
	v_pk_add_f32 v[32:33], v[30:31], v[32:33]
	s_or_b64 vcc, vcc, s[2:3]
	v_pk_add_f32 v[34:35], v[12:13], v[32:33]
	v_mov_b32_e32 v29, v32
	v_mov_b32_e32 v31, v34
	v_pk_add_f32 v[36:37], v[30:31], v[38:39] neg_lo:[0,1] neg_hi:[0,1]
	s_nop 0
	v_sub_f32_e32 v1, v30, v36
	v_pk_add_f32 v[28:29], v[28:29], v[36:37] neg_lo:[0,1] neg_hi:[0,1]
	v_sub_f32_e32 v1, v38, v1
	v_add_f32_e32 v1, v28, v1
	v_add_f32_e32 v1, v1, v29
	;; [unrolled: 1-line block ×3, first 2 shown]
	v_cndmask_b32_e32 v1, v1, v42, vcc
	v_add_f32_e32 v1, v22, v1
	v_cvt_f16_f32_e32 v31, v1
	v_cvt_f32_f16_e32 v1, v31
	v_mov_b32_e32 v12, v31
.LBB398_166:
	s_or_b64 exec, exec, s[0:1]
	v_max_f32_e32 v22, v23, v23
	v_max_f32_e32 v29, v1, v1
	v_min_f32_e32 v28, v29, v22
	v_cmp_u_f16_e32 vcc, v31, v31
	v_max_f32_e32 v22, v29, v22
	s_nop 0
	v_cndmask_b32_e32 v28, v28, v1, vcc
	v_cndmask_b32_e32 v22, v22, v1, vcc
	v_cndmask_b32_e64 v28, v28, v23, s[76:77]
	v_cndmask_b32_e64 v23, v22, v23, s[76:77]
	v_cmp_neq_f32_e32 vcc, v28, v23
	v_cmp_class_f32_e64 s[0:1], v28, s33
	s_or_b64 s[2:3], vcc, s[0:1]
	v_mov_b32_e32 v22, v12
	s_and_saveexec_b64 s[0:1], s[2:3]
	s_cbranch_execz .LBB398_168
; %bb.167:
	v_sub_f32_e32 v1, v28, v23
	s_mov_b32 s2, 0x3fb8aa3b
	v_mul_f32_e32 v22, 0x3fb8aa3b, v1
	v_fma_f32 v28, v1, s2, -v22
	v_rndne_f32_e32 v29, v22
	v_fmamk_f32 v28, v1, 0x32a5705f, v28
	v_sub_f32_e32 v22, v22, v29
	v_add_f32_e32 v22, v22, v28
	v_exp_f32_e32 v22, v22
	v_cvt_i32_f32_e32 v28, v29
	s_mov_b32 s2, 0xc2ce8ed0
	v_cmp_ngt_f32_e32 vcc, s2, v1
	s_mov_b32 s2, 0x42b17218
	v_ldexp_f32 v22, v22, v28
	v_cndmask_b32_e32 v22, 0, v22, vcc
	v_mov_b32_e32 v28, 0x7f800000
	v_cmp_nlt_f32_e32 vcc, s2, v1
	s_mov_b32 s2, 0x3f2aaaab
	s_mov_b32 s3, 0x7f800000
	v_cndmask_b32_e32 v42, v28, v22, vcc
	v_add_f32_e32 v1, 1.0, v42
	v_add_f32_e32 v22, -1.0, v1
	v_sub_f32_e32 v28, v22, v1
	v_add_f32_e32 v28, 1.0, v28
	v_sub_f32_e32 v22, v42, v22
	v_add_f32_e32 v22, v22, v28
	v_frexp_mant_f32_e32 v30, v1
	v_cvt_f64_f32_e32 v[28:29], v1
	v_frexp_exp_i32_f64_e32 v28, v[28:29]
	v_cmp_gt_f32_e32 vcc, s2, v30
	s_mov_b32 s2, 0x3f317218
	s_nop 0
	v_subbrev_co_u32_e32 v36, vcc, 0, v28, vcc
	v_sub_u32_e32 v28, 0, v36
	v_ldexp_f32 v1, v1, v28
	v_ldexp_f32 v22, v22, v28
	v_add_f32_e32 v28, -1.0, v1
	v_add_f32_e32 v29, 1.0, v28
	v_sub_f32_e32 v29, v1, v29
	v_add_f32_e32 v30, v22, v29
	v_add_f32_e32 v29, 1.0, v1
	v_add_f32_e32 v31, -1.0, v29
	v_sub_f32_e32 v1, v1, v31
	v_add_f32_e32 v1, v22, v1
	v_add_f32_e32 v22, v29, v1
	v_rcp_f32_e32 v37, v22
	v_sub_f32_e32 v29, v29, v22
	v_add_f32_e32 v1, v1, v29
	v_add_f32_e32 v29, v28, v30
	v_sub_f32_e32 v28, v28, v29
	v_mul_f32_e32 v39, v29, v37
	v_add_f32_e32 v38, v30, v28
	v_mul_f32_e32 v30, v22, v39
	s_waitcnt lgkmcnt(0)
	v_fma_f32 v32, v39, v22, -v30
	v_fmac_f32_e32 v32, v39, v1
	v_add_f32_e32 v28, v30, v32
	v_sub_f32_e32 v31, v29, v28
	v_pk_add_f32 v[34:35], v[28:29], v[30:31] neg_lo:[0,1] neg_hi:[0,1]
	v_mov_b32_e32 v33, v28
	v_pk_add_f32 v[28:29], v[34:35], v[32:33] neg_lo:[0,1] neg_hi:[0,1]
	v_cmp_eq_f32_e32 vcc, s3, v42
	v_add_f32_e32 v29, v38, v29
	v_add_f32_e32 v28, v28, v29
	;; [unrolled: 1-line block ×3, first 2 shown]
	v_mul_f32_e32 v38, v37, v29
	v_mul_f32_e32 v30, v22, v38
	v_fma_f32 v32, v38, v22, -v30
	v_fmac_f32_e32 v32, v38, v1
	v_sub_f32_e32 v1, v31, v29
	v_add_f32_e32 v1, v28, v1
	v_add_f32_e32 v28, v30, v32
	v_sub_f32_e32 v31, v29, v28
	v_pk_add_f32 v[34:35], v[28:29], v[30:31] neg_lo:[0,1] neg_hi:[0,1]
	v_mov_b32_e32 v33, v28
	v_pk_add_f32 v[28:29], v[34:35], v[32:33] neg_lo:[0,1] neg_hi:[0,1]
	v_add_f32_e32 v22, v39, v38
	v_add_f32_e32 v1, v1, v29
	;; [unrolled: 1-line block ×4, first 2 shown]
	v_sub_f32_e32 v28, v22, v39
	v_mul_f32_e32 v1, v37, v1
	v_sub_f32_e32 v28, v38, v28
	v_add_f32_e32 v1, v28, v1
	v_add_f32_e32 v28, v22, v1
	v_cvt_f32_i32_e32 v30, v36
	v_mul_f32_e32 v31, v28, v28
	v_mov_b32_e32 v29, 0x3ecc95a3
	v_fmac_f32_e32 v29, 0x3e9b6dac, v31
	v_fmaak_f32 v29, v31, v29, 0x3f2aaada
	v_sub_f32_e32 v22, v28, v22
	v_ldexp_f32 v33, v28, 1
	v_mul_f32_e32 v31, v28, v31
	v_mov_b32_e32 v28, 0x3f317218
	v_pk_mul_f32 v[28:29], v[30:31], v[28:29]
	v_sub_f32_e32 v1, v1, v22
	v_fma_f32 v22, v30, s2, -v28
	v_fmamk_f32 v32, v30, 0xb102e308, v22
	v_pk_add_f32 v[30:31], v[28:29], v[32:33]
	v_ldexp_f32 v1, v1, 1
	v_sub_f32_e32 v22, v31, v33
	v_sub_f32_e32 v22, v29, v22
	v_add_f32_e32 v35, v1, v22
	v_mov_b32_e32 v34, v28
	v_pk_add_f32 v[28:29], v[30:31], v[28:29] neg_lo:[0,1] neg_hi:[0,1]
	v_pk_add_f32 v[36:37], v[30:31], v[34:35]
	v_mov_b32_e32 v33, v30
	v_mov_b32_e32 v29, v37
	v_pk_add_f32 v[38:39], v[32:33], v[28:29] neg_lo:[0,1] neg_hi:[0,1]
	v_pk_add_f32 v[28:29], v[32:33], v[28:29]
	s_mov_b32 s2, 0x33800000
	v_mov_b32_e32 v22, v29
	v_pk_add_f32 v[32:33], v[22:23], v[30:31] neg_lo:[0,1] neg_hi:[0,1]
	v_mov_b32_e32 v28, v37
	v_mov_b32_e32 v1, v32
	v_pk_add_f32 v[40:41], v[36:37], v[0:1] neg_lo:[0,1] neg_hi:[0,1]
	v_mov_b32_e32 v36, v31
	v_mov_b32_e32 v37, v32
	;; [unrolled: 1-line block ×3, first 2 shown]
	v_pk_add_f32 v[28:29], v[28:29], v[36:37] neg_lo:[0,1] neg_hi:[0,1]
	v_mov_b32_e32 v32, v35
	v_mov_b32_e32 v33, v30
	v_pk_add_f32 v[28:29], v[32:33], v[28:29] neg_lo:[0,1] neg_hi:[0,1]
	v_mov_b32_e32 v40, v38
	v_pk_add_f32 v[30:31], v[40:41], v[28:29]
	v_cmp_lt_f32_e64 s[2:3], |v42|, s2
	v_mov_b32_e32 v32, v31
	v_pk_add_f32 v[32:33], v[30:31], v[32:33]
	s_or_b64 vcc, vcc, s[2:3]
	v_pk_add_f32 v[34:35], v[22:23], v[32:33]
	v_mov_b32_e32 v29, v32
	v_mov_b32_e32 v31, v34
	v_pk_add_f32 v[36:37], v[30:31], v[38:39] neg_lo:[0,1] neg_hi:[0,1]
	s_nop 0
	v_sub_f32_e32 v1, v30, v36
	v_pk_add_f32 v[28:29], v[28:29], v[36:37] neg_lo:[0,1] neg_hi:[0,1]
	v_sub_f32_e32 v1, v38, v1
	v_add_f32_e32 v1, v28, v1
	v_add_f32_e32 v1, v1, v29
	;; [unrolled: 1-line block ×3, first 2 shown]
	v_cndmask_b32_e32 v1, v1, v42, vcc
	v_add_f32_e32 v1, v23, v1
	v_cvt_f16_f32_e32 v31, v1
	v_cvt_f32_f16_e32 v1, v31
	v_mov_b32_e32 v22, v31
.LBB398_168:
	s_or_b64 exec, exec, s[0:1]
	v_max_f32_e32 v23, v13, v13
	v_max_f32_e32 v29, v1, v1
	v_min_f32_e32 v28, v29, v23
	v_cmp_u_f16_e32 vcc, v31, v31
	v_max_f32_e32 v23, v29, v23
	s_nop 0
	v_cndmask_b32_e32 v28, v28, v1, vcc
	v_cndmask_b32_e32 v23, v23, v1, vcc
	v_cndmask_b32_e64 v28, v28, v13, s[78:79]
	v_cndmask_b32_e64 v23, v23, v13, s[78:79]
	v_cmp_neq_f32_e32 vcc, v28, v23
	v_cmp_class_f32_e64 s[0:1], v28, s33
	s_or_b64 s[2:3], vcc, s[0:1]
	v_mov_b32_e32 v13, v22
	s_and_saveexec_b64 s[0:1], s[2:3]
	s_cbranch_execz .LBB398_170
; %bb.169:
	v_sub_f32_e32 v1, v28, v23
	s_mov_b32 s2, 0x3fb8aa3b
	v_mul_f32_e32 v13, 0x3fb8aa3b, v1
	v_fma_f32 v28, v1, s2, -v13
	v_rndne_f32_e32 v29, v13
	v_fmamk_f32 v28, v1, 0x32a5705f, v28
	v_sub_f32_e32 v13, v13, v29
	v_add_f32_e32 v13, v13, v28
	v_exp_f32_e32 v13, v13
	v_cvt_i32_f32_e32 v28, v29
	s_mov_b32 s2, 0xc2ce8ed0
	v_cmp_ngt_f32_e32 vcc, s2, v1
	s_mov_b32 s2, 0x42b17218
	v_ldexp_f32 v13, v13, v28
	v_cndmask_b32_e32 v13, 0, v13, vcc
	v_mov_b32_e32 v28, 0x7f800000
	v_cmp_nlt_f32_e32 vcc, s2, v1
	s_mov_b32 s2, 0x3f2aaaab
	s_mov_b32 s3, 0x7f800000
	v_cndmask_b32_e32 v13, v28, v13, vcc
	v_add_f32_e32 v1, 1.0, v13
	v_add_f32_e32 v28, -1.0, v1
	v_sub_f32_e32 v29, v28, v1
	v_add_f32_e32 v29, 1.0, v29
	v_sub_f32_e32 v28, v13, v28
	v_add_f32_e32 v30, v28, v29
	v_frexp_mant_f32_e32 v31, v1
	v_cvt_f64_f32_e32 v[28:29], v1
	v_frexp_exp_i32_f64_e32 v28, v[28:29]
	v_cmp_gt_f32_e32 vcc, s2, v31
	s_mov_b32 s2, 0x3f317218
	s_nop 0
	v_subbrev_co_u32_e32 v36, vcc, 0, v28, vcc
	v_sub_u32_e32 v28, 0, v36
	v_ldexp_f32 v1, v1, v28
	v_ldexp_f32 v28, v30, v28
	v_add_f32_e32 v30, -1.0, v1
	v_add_f32_e32 v29, 1.0, v30
	v_sub_f32_e32 v29, v1, v29
	v_add_f32_e32 v31, v28, v29
	v_add_f32_e32 v29, 1.0, v1
	s_waitcnt lgkmcnt(0)
	v_add_f32_e32 v32, -1.0, v29
	v_sub_f32_e32 v1, v1, v32
	v_add_f32_e32 v1, v28, v1
	v_add_f32_e32 v37, v29, v1
	v_rcp_f32_e32 v38, v37
	v_sub_f32_e32 v28, v29, v37
	v_add_f32_e32 v29, v30, v31
	v_add_f32_e32 v1, v1, v28
	v_mul_f32_e32 v40, v29, v38
	v_sub_f32_e32 v28, v30, v29
	v_mul_f32_e32 v30, v37, v40
	v_fma_f32 v32, v40, v37, -v30
	v_fmac_f32_e32 v32, v40, v1
	v_add_f32_e32 v39, v31, v28
	v_add_f32_e32 v28, v30, v32
	v_sub_f32_e32 v31, v29, v28
	v_pk_add_f32 v[34:35], v[28:29], v[30:31] neg_lo:[0,1] neg_hi:[0,1]
	v_mov_b32_e32 v33, v28
	v_pk_add_f32 v[28:29], v[34:35], v[32:33] neg_lo:[0,1] neg_hi:[0,1]
	v_cmp_eq_f32_e32 vcc, s3, v13
	v_add_f32_e32 v29, v39, v29
	v_add_f32_e32 v28, v28, v29
	;; [unrolled: 1-line block ×3, first 2 shown]
	v_mul_f32_e32 v39, v38, v29
	v_mul_f32_e32 v30, v37, v39
	v_fma_f32 v32, v39, v37, -v30
	v_fmac_f32_e32 v32, v39, v1
	v_sub_f32_e32 v1, v31, v29
	v_add_f32_e32 v1, v28, v1
	v_add_f32_e32 v28, v30, v32
	v_sub_f32_e32 v31, v29, v28
	v_pk_add_f32 v[34:35], v[28:29], v[30:31] neg_lo:[0,1] neg_hi:[0,1]
	v_mov_b32_e32 v33, v28
	v_pk_add_f32 v[28:29], v[34:35], v[32:33] neg_lo:[0,1] neg_hi:[0,1]
	v_cvt_f32_i32_e32 v30, v36
	v_add_f32_e32 v1, v1, v29
	v_add_f32_e32 v1, v28, v1
	;; [unrolled: 1-line block ×4, first 2 shown]
	v_sub_f32_e32 v29, v28, v40
	v_mul_f32_e32 v1, v38, v1
	v_sub_f32_e32 v29, v39, v29
	v_add_f32_e32 v1, v29, v1
	v_add_f32_e32 v31, v28, v1
	v_mul_f32_e32 v32, v31, v31
	v_mov_b32_e32 v29, 0x3ecc95a3
	v_fmac_f32_e32 v29, 0x3e9b6dac, v32
	v_sub_f32_e32 v28, v31, v28
	v_fmaak_f32 v29, v32, v29, 0x3f2aaada
	v_sub_f32_e32 v1, v1, v28
	v_ldexp_f32 v33, v31, 1
	v_mul_f32_e32 v31, v31, v32
	v_mov_b32_e32 v28, 0x3f317218
	v_pk_mul_f32 v[28:29], v[30:31], v[28:29]
	v_ldexp_f32 v1, v1, 1
	v_fma_f32 v31, v30, s2, -v28
	v_fmamk_f32 v32, v30, 0xb102e308, v31
	v_pk_add_f32 v[30:31], v[28:29], v[32:33]
	v_mov_b32_e32 v34, v28
	v_sub_f32_e32 v33, v31, v33
	v_sub_f32_e32 v33, v29, v33
	v_add_f32_e32 v35, v1, v33
	v_pk_add_f32 v[28:29], v[30:31], v[28:29] neg_lo:[0,1] neg_hi:[0,1]
	v_pk_add_f32 v[36:37], v[30:31], v[34:35]
	v_mov_b32_e32 v33, v30
	v_mov_b32_e32 v29, v37
	v_pk_add_f32 v[38:39], v[32:33], v[28:29] neg_lo:[0,1] neg_hi:[0,1]
	v_pk_add_f32 v[28:29], v[32:33], v[28:29]
	v_mov_b32_e32 v34, v35
	v_mov_b32_e32 v32, v29
	v_pk_add_f32 v[40:41], v[32:33], v[30:31] neg_lo:[0,1] neg_hi:[0,1]
	v_mov_b32_e32 v28, v37
	v_mov_b32_e32 v1, v40
	v_pk_add_f32 v[42:43], v[36:37], v[0:1] neg_lo:[0,1] neg_hi:[0,1]
	v_mov_b32_e32 v36, v31
	v_mov_b32_e32 v37, v40
	;; [unrolled: 1-line block ×3, first 2 shown]
	v_pk_add_f32 v[28:29], v[28:29], v[36:37] neg_lo:[0,1] neg_hi:[0,1]
	v_mov_b32_e32 v35, v30
	v_pk_add_f32 v[28:29], v[34:35], v[28:29] neg_lo:[0,1] neg_hi:[0,1]
	v_mov_b32_e32 v42, v38
	v_pk_add_f32 v[30:31], v[42:43], v[28:29]
	s_mov_b32 s2, 0x33800000
	v_mov_b32_e32 v34, v31
	v_pk_add_f32 v[34:35], v[30:31], v[34:35]
	v_cmp_lt_f32_e64 s[2:3], |v13|, s2
	v_pk_add_f32 v[32:33], v[32:33], v[34:35]
	v_mov_b32_e32 v29, v34
	v_mov_b32_e32 v31, v32
	v_pk_add_f32 v[36:37], v[30:31], v[38:39] neg_lo:[0,1] neg_hi:[0,1]
	s_or_b64 vcc, vcc, s[2:3]
	v_sub_f32_e32 v1, v30, v36
	v_pk_add_f32 v[28:29], v[28:29], v[36:37] neg_lo:[0,1] neg_hi:[0,1]
	v_sub_f32_e32 v1, v38, v1
	v_add_f32_e32 v1, v28, v1
	v_add_f32_e32 v1, v1, v29
	v_add_f32_e32 v1, v32, v1
	v_cndmask_b32_e32 v1, v1, v13, vcc
	v_add_f32_e32 v1, v23, v1
	v_cvt_f16_f32_e32 v31, v1
	v_cvt_f32_f16_e32 v1, v31
	v_mov_b32_e32 v13, v31
.LBB398_170:
	s_or_b64 exec, exec, s[0:1]
	v_max_f32_e32 v23, v24, v24
	v_max_f32_e32 v29, v1, v1
	v_min_f32_e32 v28, v29, v23
	v_cmp_u_f16_e32 vcc, v31, v31
	v_max_f32_e32 v23, v29, v23
	s_nop 0
	v_cndmask_b32_e32 v28, v28, v1, vcc
	v_cndmask_b32_e32 v23, v23, v1, vcc
	v_cndmask_b32_e64 v28, v28, v24, s[80:81]
	v_cndmask_b32_e64 v24, v23, v24, s[80:81]
	v_cmp_neq_f32_e32 vcc, v28, v24
	v_cmp_class_f32_e64 s[0:1], v28, s33
	s_or_b64 s[2:3], vcc, s[0:1]
	v_mov_b32_e32 v23, v13
	s_and_saveexec_b64 s[0:1], s[2:3]
	s_cbranch_execz .LBB398_172
; %bb.171:
	v_sub_f32_e32 v1, v28, v24
	s_mov_b32 s2, 0x3fb8aa3b
	v_mul_f32_e32 v23, 0x3fb8aa3b, v1
	v_fma_f32 v28, v1, s2, -v23
	v_rndne_f32_e32 v29, v23
	v_fmamk_f32 v28, v1, 0x32a5705f, v28
	v_sub_f32_e32 v23, v23, v29
	v_add_f32_e32 v23, v23, v28
	v_exp_f32_e32 v23, v23
	v_cvt_i32_f32_e32 v28, v29
	s_mov_b32 s2, 0xc2ce8ed0
	v_cmp_ngt_f32_e32 vcc, s2, v1
	s_mov_b32 s2, 0x42b17218
	v_ldexp_f32 v23, v23, v28
	v_cndmask_b32_e32 v23, 0, v23, vcc
	v_mov_b32_e32 v28, 0x7f800000
	v_cmp_nlt_f32_e32 vcc, s2, v1
	s_mov_b32 s2, 0x3f2aaaab
	s_mov_b32 s3, 0x7f800000
	v_cndmask_b32_e32 v23, v28, v23, vcc
	v_add_f32_e32 v1, 1.0, v23
	v_add_f32_e32 v28, -1.0, v1
	v_sub_f32_e32 v29, v28, v1
	v_add_f32_e32 v29, 1.0, v29
	v_sub_f32_e32 v28, v23, v28
	v_add_f32_e32 v30, v28, v29
	v_frexp_mant_f32_e32 v31, v1
	v_cvt_f64_f32_e32 v[28:29], v1
	v_frexp_exp_i32_f64_e32 v28, v[28:29]
	v_cmp_gt_f32_e32 vcc, s2, v31
	s_mov_b32 s2, 0x3f317218
	s_nop 0
	v_subbrev_co_u32_e32 v36, vcc, 0, v28, vcc
	v_sub_u32_e32 v28, 0, v36
	v_ldexp_f32 v1, v1, v28
	v_ldexp_f32 v28, v30, v28
	v_add_f32_e32 v30, -1.0, v1
	v_add_f32_e32 v29, 1.0, v30
	v_sub_f32_e32 v29, v1, v29
	v_add_f32_e32 v31, v28, v29
	v_add_f32_e32 v29, 1.0, v1
	s_waitcnt lgkmcnt(0)
	v_add_f32_e32 v32, -1.0, v29
	v_sub_f32_e32 v1, v1, v32
	v_add_f32_e32 v1, v28, v1
	v_add_f32_e32 v37, v29, v1
	v_rcp_f32_e32 v38, v37
	v_sub_f32_e32 v28, v29, v37
	v_add_f32_e32 v29, v30, v31
	v_add_f32_e32 v1, v1, v28
	v_mul_f32_e32 v40, v29, v38
	v_sub_f32_e32 v28, v30, v29
	v_mul_f32_e32 v30, v37, v40
	v_fma_f32 v32, v40, v37, -v30
	v_fmac_f32_e32 v32, v40, v1
	v_add_f32_e32 v39, v31, v28
	v_add_f32_e32 v28, v30, v32
	v_sub_f32_e32 v31, v29, v28
	v_pk_add_f32 v[34:35], v[28:29], v[30:31] neg_lo:[0,1] neg_hi:[0,1]
	v_mov_b32_e32 v33, v28
	v_pk_add_f32 v[28:29], v[34:35], v[32:33] neg_lo:[0,1] neg_hi:[0,1]
	v_cmp_eq_f32_e32 vcc, s3, v23
	v_add_f32_e32 v29, v39, v29
	v_add_f32_e32 v28, v28, v29
	;; [unrolled: 1-line block ×3, first 2 shown]
	v_mul_f32_e32 v39, v38, v29
	v_mul_f32_e32 v30, v37, v39
	v_fma_f32 v32, v39, v37, -v30
	v_fmac_f32_e32 v32, v39, v1
	v_sub_f32_e32 v1, v31, v29
	v_add_f32_e32 v1, v28, v1
	v_add_f32_e32 v28, v30, v32
	v_sub_f32_e32 v31, v29, v28
	v_pk_add_f32 v[34:35], v[28:29], v[30:31] neg_lo:[0,1] neg_hi:[0,1]
	v_mov_b32_e32 v33, v28
	v_pk_add_f32 v[28:29], v[34:35], v[32:33] neg_lo:[0,1] neg_hi:[0,1]
	v_cvt_f32_i32_e32 v30, v36
	v_add_f32_e32 v1, v1, v29
	v_add_f32_e32 v1, v28, v1
	;; [unrolled: 1-line block ×4, first 2 shown]
	v_sub_f32_e32 v29, v28, v40
	v_mul_f32_e32 v1, v38, v1
	v_sub_f32_e32 v29, v39, v29
	v_add_f32_e32 v1, v29, v1
	v_add_f32_e32 v31, v28, v1
	v_mul_f32_e32 v32, v31, v31
	v_mov_b32_e32 v29, 0x3ecc95a3
	v_fmac_f32_e32 v29, 0x3e9b6dac, v32
	v_sub_f32_e32 v28, v31, v28
	v_fmaak_f32 v29, v32, v29, 0x3f2aaada
	v_sub_f32_e32 v1, v1, v28
	v_ldexp_f32 v33, v31, 1
	v_mul_f32_e32 v31, v31, v32
	v_mov_b32_e32 v28, 0x3f317218
	v_pk_mul_f32 v[28:29], v[30:31], v[28:29]
	v_ldexp_f32 v1, v1, 1
	v_fma_f32 v31, v30, s2, -v28
	v_fmamk_f32 v32, v30, 0xb102e308, v31
	v_pk_add_f32 v[30:31], v[28:29], v[32:33]
	v_mov_b32_e32 v34, v28
	v_sub_f32_e32 v33, v31, v33
	v_sub_f32_e32 v33, v29, v33
	v_add_f32_e32 v35, v1, v33
	v_pk_add_f32 v[28:29], v[30:31], v[28:29] neg_lo:[0,1] neg_hi:[0,1]
	v_pk_add_f32 v[36:37], v[30:31], v[34:35]
	v_mov_b32_e32 v33, v30
	v_mov_b32_e32 v29, v37
	v_pk_add_f32 v[38:39], v[32:33], v[28:29] neg_lo:[0,1] neg_hi:[0,1]
	v_pk_add_f32 v[28:29], v[32:33], v[28:29]
	v_mov_b32_e32 v34, v35
	v_mov_b32_e32 v32, v29
	v_pk_add_f32 v[40:41], v[32:33], v[30:31] neg_lo:[0,1] neg_hi:[0,1]
	v_mov_b32_e32 v28, v37
	v_mov_b32_e32 v1, v40
	v_pk_add_f32 v[42:43], v[36:37], v[0:1] neg_lo:[0,1] neg_hi:[0,1]
	v_mov_b32_e32 v36, v31
	v_mov_b32_e32 v37, v40
	;; [unrolled: 1-line block ×3, first 2 shown]
	v_pk_add_f32 v[28:29], v[28:29], v[36:37] neg_lo:[0,1] neg_hi:[0,1]
	v_mov_b32_e32 v35, v30
	v_pk_add_f32 v[28:29], v[34:35], v[28:29] neg_lo:[0,1] neg_hi:[0,1]
	v_mov_b32_e32 v42, v38
	v_pk_add_f32 v[30:31], v[42:43], v[28:29]
	s_mov_b32 s2, 0x33800000
	v_mov_b32_e32 v34, v31
	v_pk_add_f32 v[34:35], v[30:31], v[34:35]
	v_cmp_lt_f32_e64 s[2:3], |v23|, s2
	v_pk_add_f32 v[32:33], v[32:33], v[34:35]
	v_mov_b32_e32 v29, v34
	v_mov_b32_e32 v31, v32
	v_pk_add_f32 v[36:37], v[30:31], v[38:39] neg_lo:[0,1] neg_hi:[0,1]
	s_or_b64 vcc, vcc, s[2:3]
	v_sub_f32_e32 v1, v30, v36
	v_pk_add_f32 v[28:29], v[28:29], v[36:37] neg_lo:[0,1] neg_hi:[0,1]
	v_sub_f32_e32 v1, v38, v1
	v_add_f32_e32 v1, v28, v1
	v_add_f32_e32 v1, v1, v29
	;; [unrolled: 1-line block ×3, first 2 shown]
	v_cndmask_b32_e32 v1, v1, v23, vcc
	v_add_f32_e32 v1, v24, v1
	v_cvt_f16_f32_e32 v31, v1
	v_cvt_f32_f16_e32 v1, v31
	v_mov_b32_e32 v23, v31
.LBB398_172:
	s_or_b64 exec, exec, s[0:1]
	v_max_f32_e32 v24, v6, v6
	v_max_f32_e32 v29, v1, v1
	v_min_f32_e32 v28, v29, v24
	v_cmp_u_f16_e32 vcc, v31, v31
	v_max_f32_e32 v24, v29, v24
	s_nop 0
	v_cndmask_b32_e32 v28, v28, v1, vcc
	v_cndmask_b32_e32 v24, v24, v1, vcc
	v_cndmask_b32_e64 v28, v28, v6, s[82:83]
	v_cndmask_b32_e64 v24, v24, v6, s[82:83]
	v_cmp_neq_f32_e32 vcc, v28, v24
	v_cmp_class_f32_e64 s[0:1], v28, s33
	s_or_b64 s[2:3], vcc, s[0:1]
	v_mov_b32_e32 v6, v23
	s_and_saveexec_b64 s[0:1], s[2:3]
	s_cbranch_execz .LBB398_174
; %bb.173:
	v_sub_f32_e32 v1, v28, v24
	s_mov_b32 s2, 0x3fb8aa3b
	v_mul_f32_e32 v6, 0x3fb8aa3b, v1
	v_fma_f32 v28, v1, s2, -v6
	v_rndne_f32_e32 v29, v6
	v_fmamk_f32 v28, v1, 0x32a5705f, v28
	v_sub_f32_e32 v6, v6, v29
	v_add_f32_e32 v6, v6, v28
	v_exp_f32_e32 v6, v6
	v_cvt_i32_f32_e32 v28, v29
	s_mov_b32 s2, 0xc2ce8ed0
	v_cmp_ngt_f32_e32 vcc, s2, v1
	s_mov_b32 s2, 0x42b17218
	v_ldexp_f32 v6, v6, v28
	v_cndmask_b32_e32 v6, 0, v6, vcc
	v_mov_b32_e32 v28, 0x7f800000
	v_cmp_nlt_f32_e32 vcc, s2, v1
	s_mov_b32 s2, 0x3f2aaaab
	s_mov_b32 s3, 0x7f800000
	v_cndmask_b32_e32 v42, v28, v6, vcc
	v_add_f32_e32 v1, 1.0, v42
	v_add_f32_e32 v6, -1.0, v1
	v_sub_f32_e32 v28, v6, v1
	v_add_f32_e32 v28, 1.0, v28
	v_sub_f32_e32 v6, v42, v6
	v_add_f32_e32 v6, v6, v28
	v_frexp_mant_f32_e32 v30, v1
	v_cvt_f64_f32_e32 v[28:29], v1
	v_frexp_exp_i32_f64_e32 v28, v[28:29]
	v_cmp_gt_f32_e32 vcc, s2, v30
	s_mov_b32 s2, 0x3f317218
	s_nop 0
	v_subbrev_co_u32_e32 v36, vcc, 0, v28, vcc
	v_sub_u32_e32 v28, 0, v36
	v_ldexp_f32 v1, v1, v28
	v_ldexp_f32 v6, v6, v28
	v_add_f32_e32 v28, -1.0, v1
	v_add_f32_e32 v29, 1.0, v28
	v_sub_f32_e32 v29, v1, v29
	v_add_f32_e32 v30, v6, v29
	v_add_f32_e32 v29, 1.0, v1
	v_add_f32_e32 v31, -1.0, v29
	v_sub_f32_e32 v1, v1, v31
	v_add_f32_e32 v1, v6, v1
	v_add_f32_e32 v6, v29, v1
	v_rcp_f32_e32 v37, v6
	v_sub_f32_e32 v29, v29, v6
	v_add_f32_e32 v1, v1, v29
	v_add_f32_e32 v29, v28, v30
	v_sub_f32_e32 v28, v28, v29
	v_mul_f32_e32 v39, v29, v37
	v_add_f32_e32 v38, v30, v28
	v_mul_f32_e32 v30, v6, v39
	s_waitcnt lgkmcnt(0)
	v_fma_f32 v32, v39, v6, -v30
	v_fmac_f32_e32 v32, v39, v1
	v_add_f32_e32 v28, v30, v32
	v_sub_f32_e32 v31, v29, v28
	v_pk_add_f32 v[34:35], v[28:29], v[30:31] neg_lo:[0,1] neg_hi:[0,1]
	v_mov_b32_e32 v33, v28
	v_pk_add_f32 v[28:29], v[34:35], v[32:33] neg_lo:[0,1] neg_hi:[0,1]
	v_cmp_eq_f32_e32 vcc, s3, v42
	v_add_f32_e32 v29, v38, v29
	v_add_f32_e32 v28, v28, v29
	;; [unrolled: 1-line block ×3, first 2 shown]
	v_mul_f32_e32 v38, v37, v29
	v_mul_f32_e32 v30, v6, v38
	v_fma_f32 v32, v38, v6, -v30
	v_fmac_f32_e32 v32, v38, v1
	v_sub_f32_e32 v1, v31, v29
	v_add_f32_e32 v1, v28, v1
	v_add_f32_e32 v28, v30, v32
	v_sub_f32_e32 v31, v29, v28
	v_pk_add_f32 v[34:35], v[28:29], v[30:31] neg_lo:[0,1] neg_hi:[0,1]
	v_mov_b32_e32 v33, v28
	v_pk_add_f32 v[28:29], v[34:35], v[32:33] neg_lo:[0,1] neg_hi:[0,1]
	v_add_f32_e32 v6, v39, v38
	v_add_f32_e32 v1, v1, v29
	;; [unrolled: 1-line block ×4, first 2 shown]
	v_sub_f32_e32 v28, v6, v39
	v_mul_f32_e32 v1, v37, v1
	v_sub_f32_e32 v28, v38, v28
	v_add_f32_e32 v1, v28, v1
	v_add_f32_e32 v28, v6, v1
	v_cvt_f32_i32_e32 v30, v36
	v_mul_f32_e32 v31, v28, v28
	v_mov_b32_e32 v29, 0x3ecc95a3
	v_fmac_f32_e32 v29, 0x3e9b6dac, v31
	v_fmaak_f32 v29, v31, v29, 0x3f2aaada
	v_sub_f32_e32 v6, v28, v6
	v_ldexp_f32 v33, v28, 1
	v_mul_f32_e32 v31, v28, v31
	v_mov_b32_e32 v28, 0x3f317218
	v_pk_mul_f32 v[28:29], v[30:31], v[28:29]
	v_sub_f32_e32 v1, v1, v6
	v_fma_f32 v6, v30, s2, -v28
	v_fmamk_f32 v32, v30, 0xb102e308, v6
	v_pk_add_f32 v[30:31], v[28:29], v[32:33]
	v_ldexp_f32 v1, v1, 1
	v_sub_f32_e32 v6, v31, v33
	v_sub_f32_e32 v6, v29, v6
	v_add_f32_e32 v35, v1, v6
	v_mov_b32_e32 v34, v28
	v_pk_add_f32 v[28:29], v[30:31], v[28:29] neg_lo:[0,1] neg_hi:[0,1]
	v_pk_add_f32 v[36:37], v[30:31], v[34:35]
	v_mov_b32_e32 v33, v30
	v_mov_b32_e32 v29, v37
	v_pk_add_f32 v[38:39], v[32:33], v[28:29] neg_lo:[0,1] neg_hi:[0,1]
	v_pk_add_f32 v[28:29], v[32:33], v[28:29]
	s_mov_b32 s2, 0x33800000
	v_mov_b32_e32 v6, v29
	v_pk_add_f32 v[32:33], v[6:7], v[30:31] neg_lo:[0,1] neg_hi:[0,1]
	v_mov_b32_e32 v28, v37
	v_mov_b32_e32 v1, v32
	v_pk_add_f32 v[40:41], v[36:37], v[0:1] neg_lo:[0,1] neg_hi:[0,1]
	v_mov_b32_e32 v36, v31
	v_mov_b32_e32 v37, v32
	;; [unrolled: 1-line block ×3, first 2 shown]
	v_pk_add_f32 v[28:29], v[28:29], v[36:37] neg_lo:[0,1] neg_hi:[0,1]
	v_mov_b32_e32 v32, v35
	v_mov_b32_e32 v33, v30
	v_pk_add_f32 v[28:29], v[32:33], v[28:29] neg_lo:[0,1] neg_hi:[0,1]
	v_mov_b32_e32 v40, v38
	v_pk_add_f32 v[30:31], v[40:41], v[28:29]
	v_cmp_lt_f32_e64 s[2:3], |v42|, s2
	v_mov_b32_e32 v32, v31
	v_pk_add_f32 v[32:33], v[30:31], v[32:33]
	s_or_b64 vcc, vcc, s[2:3]
	v_pk_add_f32 v[34:35], v[6:7], v[32:33]
	v_mov_b32_e32 v29, v32
	v_mov_b32_e32 v31, v34
	v_pk_add_f32 v[36:37], v[30:31], v[38:39] neg_lo:[0,1] neg_hi:[0,1]
	s_nop 0
	v_sub_f32_e32 v1, v30, v36
	v_pk_add_f32 v[28:29], v[28:29], v[36:37] neg_lo:[0,1] neg_hi:[0,1]
	v_sub_f32_e32 v1, v38, v1
	v_add_f32_e32 v1, v28, v1
	v_add_f32_e32 v1, v1, v29
	v_add_f32_e32 v1, v34, v1
	v_cndmask_b32_e32 v1, v1, v42, vcc
	v_add_f32_e32 v1, v24, v1
	v_cvt_f16_f32_e32 v31, v1
	v_cvt_f32_f16_e32 v1, v31
	v_mov_b32_e32 v6, v31
.LBB398_174:
	s_or_b64 exec, exec, s[0:1]
	v_max_f32_e32 v24, v25, v25
	v_max_f32_e32 v29, v1, v1
	v_min_f32_e32 v28, v29, v24
	v_cmp_u_f16_e32 vcc, v31, v31
	v_max_f32_e32 v24, v29, v24
	s_nop 0
	v_cndmask_b32_e32 v28, v28, v1, vcc
	v_cndmask_b32_e32 v24, v24, v1, vcc
	v_cndmask_b32_e64 v28, v28, v25, s[84:85]
	v_cndmask_b32_e64 v25, v24, v25, s[84:85]
	v_cmp_neq_f32_e32 vcc, v28, v25
	v_cmp_class_f32_e64 s[0:1], v28, s33
	s_or_b64 s[2:3], vcc, s[0:1]
	v_mov_b32_e32 v24, v6
	s_and_saveexec_b64 s[0:1], s[2:3]
	s_cbranch_execz .LBB398_176
; %bb.175:
	v_sub_f32_e32 v1, v28, v25
	s_mov_b32 s2, 0x3fb8aa3b
	v_mul_f32_e32 v24, 0x3fb8aa3b, v1
	v_fma_f32 v28, v1, s2, -v24
	v_rndne_f32_e32 v29, v24
	v_fmamk_f32 v28, v1, 0x32a5705f, v28
	v_sub_f32_e32 v24, v24, v29
	v_add_f32_e32 v24, v24, v28
	v_exp_f32_e32 v24, v24
	v_cvt_i32_f32_e32 v28, v29
	s_mov_b32 s2, 0xc2ce8ed0
	v_cmp_ngt_f32_e32 vcc, s2, v1
	s_mov_b32 s2, 0x42b17218
	v_ldexp_f32 v24, v24, v28
	v_cndmask_b32_e32 v24, 0, v24, vcc
	v_mov_b32_e32 v28, 0x7f800000
	v_cmp_nlt_f32_e32 vcc, s2, v1
	s_mov_b32 s2, 0x3f2aaaab
	s_mov_b32 s3, 0x7f800000
	v_cndmask_b32_e32 v42, v28, v24, vcc
	v_add_f32_e32 v1, 1.0, v42
	v_add_f32_e32 v24, -1.0, v1
	v_sub_f32_e32 v28, v24, v1
	v_add_f32_e32 v28, 1.0, v28
	v_sub_f32_e32 v24, v42, v24
	v_add_f32_e32 v24, v24, v28
	v_frexp_mant_f32_e32 v30, v1
	v_cvt_f64_f32_e32 v[28:29], v1
	v_frexp_exp_i32_f64_e32 v28, v[28:29]
	v_cmp_gt_f32_e32 vcc, s2, v30
	s_mov_b32 s2, 0x3f317218
	s_nop 0
	v_subbrev_co_u32_e32 v36, vcc, 0, v28, vcc
	v_sub_u32_e32 v28, 0, v36
	v_ldexp_f32 v1, v1, v28
	v_ldexp_f32 v24, v24, v28
	v_add_f32_e32 v28, -1.0, v1
	v_add_f32_e32 v29, 1.0, v28
	v_sub_f32_e32 v29, v1, v29
	v_add_f32_e32 v30, v24, v29
	v_add_f32_e32 v29, 1.0, v1
	v_add_f32_e32 v31, -1.0, v29
	v_sub_f32_e32 v1, v1, v31
	v_add_f32_e32 v1, v24, v1
	v_add_f32_e32 v24, v29, v1
	v_rcp_f32_e32 v37, v24
	v_sub_f32_e32 v29, v29, v24
	v_add_f32_e32 v1, v1, v29
	v_add_f32_e32 v29, v28, v30
	v_sub_f32_e32 v28, v28, v29
	v_mul_f32_e32 v39, v29, v37
	v_add_f32_e32 v38, v30, v28
	v_mul_f32_e32 v30, v24, v39
	s_waitcnt lgkmcnt(0)
	v_fma_f32 v32, v39, v24, -v30
	v_fmac_f32_e32 v32, v39, v1
	v_add_f32_e32 v28, v30, v32
	v_sub_f32_e32 v31, v29, v28
	v_pk_add_f32 v[34:35], v[28:29], v[30:31] neg_lo:[0,1] neg_hi:[0,1]
	v_mov_b32_e32 v33, v28
	v_pk_add_f32 v[28:29], v[34:35], v[32:33] neg_lo:[0,1] neg_hi:[0,1]
	v_cmp_eq_f32_e32 vcc, s3, v42
	v_add_f32_e32 v29, v38, v29
	v_add_f32_e32 v28, v28, v29
	;; [unrolled: 1-line block ×3, first 2 shown]
	v_mul_f32_e32 v38, v37, v29
	v_mul_f32_e32 v30, v24, v38
	v_fma_f32 v32, v38, v24, -v30
	v_fmac_f32_e32 v32, v38, v1
	v_sub_f32_e32 v1, v31, v29
	v_add_f32_e32 v1, v28, v1
	v_add_f32_e32 v28, v30, v32
	v_sub_f32_e32 v31, v29, v28
	v_pk_add_f32 v[34:35], v[28:29], v[30:31] neg_lo:[0,1] neg_hi:[0,1]
	v_mov_b32_e32 v33, v28
	v_pk_add_f32 v[28:29], v[34:35], v[32:33] neg_lo:[0,1] neg_hi:[0,1]
	v_add_f32_e32 v24, v39, v38
	v_add_f32_e32 v1, v1, v29
	;; [unrolled: 1-line block ×4, first 2 shown]
	v_sub_f32_e32 v28, v24, v39
	v_mul_f32_e32 v1, v37, v1
	v_sub_f32_e32 v28, v38, v28
	v_add_f32_e32 v1, v28, v1
	v_add_f32_e32 v28, v24, v1
	v_cvt_f32_i32_e32 v30, v36
	v_mul_f32_e32 v31, v28, v28
	v_mov_b32_e32 v29, 0x3ecc95a3
	v_fmac_f32_e32 v29, 0x3e9b6dac, v31
	v_fmaak_f32 v29, v31, v29, 0x3f2aaada
	v_sub_f32_e32 v24, v28, v24
	v_ldexp_f32 v33, v28, 1
	v_mul_f32_e32 v31, v28, v31
	v_mov_b32_e32 v28, 0x3f317218
	v_pk_mul_f32 v[28:29], v[30:31], v[28:29]
	v_sub_f32_e32 v1, v1, v24
	v_fma_f32 v24, v30, s2, -v28
	v_fmamk_f32 v32, v30, 0xb102e308, v24
	v_pk_add_f32 v[30:31], v[28:29], v[32:33]
	v_ldexp_f32 v1, v1, 1
	v_sub_f32_e32 v24, v31, v33
	v_sub_f32_e32 v24, v29, v24
	v_add_f32_e32 v35, v1, v24
	v_mov_b32_e32 v34, v28
	v_pk_add_f32 v[28:29], v[30:31], v[28:29] neg_lo:[0,1] neg_hi:[0,1]
	v_pk_add_f32 v[36:37], v[30:31], v[34:35]
	v_mov_b32_e32 v33, v30
	v_mov_b32_e32 v29, v37
	v_pk_add_f32 v[38:39], v[32:33], v[28:29] neg_lo:[0,1] neg_hi:[0,1]
	v_pk_add_f32 v[28:29], v[32:33], v[28:29]
	s_mov_b32 s2, 0x33800000
	v_mov_b32_e32 v24, v29
	v_pk_add_f32 v[32:33], v[24:25], v[30:31] neg_lo:[0,1] neg_hi:[0,1]
	v_mov_b32_e32 v28, v37
	v_mov_b32_e32 v1, v32
	v_pk_add_f32 v[40:41], v[36:37], v[0:1] neg_lo:[0,1] neg_hi:[0,1]
	v_mov_b32_e32 v36, v31
	v_mov_b32_e32 v37, v32
	;; [unrolled: 1-line block ×3, first 2 shown]
	v_pk_add_f32 v[28:29], v[28:29], v[36:37] neg_lo:[0,1] neg_hi:[0,1]
	v_mov_b32_e32 v32, v35
	v_mov_b32_e32 v33, v30
	v_pk_add_f32 v[28:29], v[32:33], v[28:29] neg_lo:[0,1] neg_hi:[0,1]
	v_mov_b32_e32 v40, v38
	v_pk_add_f32 v[30:31], v[40:41], v[28:29]
	v_cmp_lt_f32_e64 s[2:3], |v42|, s2
	v_mov_b32_e32 v32, v31
	v_pk_add_f32 v[32:33], v[30:31], v[32:33]
	s_or_b64 vcc, vcc, s[2:3]
	v_pk_add_f32 v[34:35], v[24:25], v[32:33]
	v_mov_b32_e32 v29, v32
	v_mov_b32_e32 v31, v34
	v_pk_add_f32 v[36:37], v[30:31], v[38:39] neg_lo:[0,1] neg_hi:[0,1]
	s_nop 0
	v_sub_f32_e32 v1, v30, v36
	v_pk_add_f32 v[28:29], v[28:29], v[36:37] neg_lo:[0,1] neg_hi:[0,1]
	v_sub_f32_e32 v1, v38, v1
	v_add_f32_e32 v1, v28, v1
	v_add_f32_e32 v1, v1, v29
	;; [unrolled: 1-line block ×3, first 2 shown]
	v_cndmask_b32_e32 v1, v1, v42, vcc
	v_add_f32_e32 v1, v25, v1
	v_cvt_f16_f32_e32 v31, v1
	v_cvt_f32_f16_e32 v1, v31
	v_mov_b32_e32 v24, v31
.LBB398_176:
	s_or_b64 exec, exec, s[0:1]
	v_max_f32_e32 v25, v7, v7
	v_max_f32_e32 v29, v1, v1
	v_min_f32_e32 v28, v29, v25
	v_cmp_u_f16_e32 vcc, v31, v31
	v_max_f32_e32 v25, v29, v25
	s_nop 0
	v_cndmask_b32_e32 v28, v28, v1, vcc
	v_cndmask_b32_e32 v25, v25, v1, vcc
	v_cndmask_b32_e64 v28, v28, v7, s[86:87]
	v_cndmask_b32_e64 v25, v25, v7, s[86:87]
	v_cmp_neq_f32_e32 vcc, v28, v25
	v_cmp_class_f32_e64 s[0:1], v28, s33
	s_or_b64 s[2:3], vcc, s[0:1]
	v_mov_b32_e32 v7, v24
	s_and_saveexec_b64 s[0:1], s[2:3]
	s_cbranch_execz .LBB398_178
; %bb.177:
	v_sub_f32_e32 v1, v28, v25
	s_mov_b32 s2, 0x3fb8aa3b
	v_mul_f32_e32 v7, 0x3fb8aa3b, v1
	v_fma_f32 v28, v1, s2, -v7
	v_rndne_f32_e32 v29, v7
	v_fmamk_f32 v28, v1, 0x32a5705f, v28
	v_sub_f32_e32 v7, v7, v29
	v_add_f32_e32 v7, v7, v28
	v_exp_f32_e32 v7, v7
	v_cvt_i32_f32_e32 v28, v29
	s_mov_b32 s2, 0xc2ce8ed0
	v_cmp_ngt_f32_e32 vcc, s2, v1
	s_mov_b32 s2, 0x42b17218
	v_ldexp_f32 v7, v7, v28
	v_cndmask_b32_e32 v7, 0, v7, vcc
	v_mov_b32_e32 v28, 0x7f800000
	v_cmp_nlt_f32_e32 vcc, s2, v1
	s_mov_b32 s2, 0x3f2aaaab
	s_mov_b32 s3, 0x7f800000
	v_cndmask_b32_e32 v7, v28, v7, vcc
	v_add_f32_e32 v1, 1.0, v7
	v_add_f32_e32 v28, -1.0, v1
	v_sub_f32_e32 v29, v28, v1
	v_add_f32_e32 v29, 1.0, v29
	v_sub_f32_e32 v28, v7, v28
	v_add_f32_e32 v30, v28, v29
	v_frexp_mant_f32_e32 v31, v1
	v_cvt_f64_f32_e32 v[28:29], v1
	v_frexp_exp_i32_f64_e32 v28, v[28:29]
	v_cmp_gt_f32_e32 vcc, s2, v31
	s_mov_b32 s2, 0x3f317218
	s_nop 0
	v_subbrev_co_u32_e32 v36, vcc, 0, v28, vcc
	v_sub_u32_e32 v28, 0, v36
	v_ldexp_f32 v1, v1, v28
	v_ldexp_f32 v28, v30, v28
	v_add_f32_e32 v30, -1.0, v1
	v_add_f32_e32 v29, 1.0, v30
	v_sub_f32_e32 v29, v1, v29
	v_add_f32_e32 v31, v28, v29
	v_add_f32_e32 v29, 1.0, v1
	s_waitcnt lgkmcnt(0)
	v_add_f32_e32 v32, -1.0, v29
	v_sub_f32_e32 v1, v1, v32
	v_add_f32_e32 v1, v28, v1
	v_add_f32_e32 v37, v29, v1
	v_rcp_f32_e32 v38, v37
	v_sub_f32_e32 v28, v29, v37
	v_add_f32_e32 v29, v30, v31
	v_add_f32_e32 v1, v1, v28
	v_mul_f32_e32 v40, v29, v38
	v_sub_f32_e32 v28, v30, v29
	v_mul_f32_e32 v30, v37, v40
	v_fma_f32 v32, v40, v37, -v30
	v_fmac_f32_e32 v32, v40, v1
	v_add_f32_e32 v39, v31, v28
	v_add_f32_e32 v28, v30, v32
	v_sub_f32_e32 v31, v29, v28
	v_pk_add_f32 v[34:35], v[28:29], v[30:31] neg_lo:[0,1] neg_hi:[0,1]
	v_mov_b32_e32 v33, v28
	v_pk_add_f32 v[28:29], v[34:35], v[32:33] neg_lo:[0,1] neg_hi:[0,1]
	v_cmp_eq_f32_e32 vcc, s3, v7
	v_add_f32_e32 v29, v39, v29
	v_add_f32_e32 v28, v28, v29
	;; [unrolled: 1-line block ×3, first 2 shown]
	v_mul_f32_e32 v39, v38, v29
	v_mul_f32_e32 v30, v37, v39
	v_fma_f32 v32, v39, v37, -v30
	v_fmac_f32_e32 v32, v39, v1
	v_sub_f32_e32 v1, v31, v29
	v_add_f32_e32 v1, v28, v1
	v_add_f32_e32 v28, v30, v32
	v_sub_f32_e32 v31, v29, v28
	v_pk_add_f32 v[34:35], v[28:29], v[30:31] neg_lo:[0,1] neg_hi:[0,1]
	v_mov_b32_e32 v33, v28
	v_pk_add_f32 v[28:29], v[34:35], v[32:33] neg_lo:[0,1] neg_hi:[0,1]
	v_cvt_f32_i32_e32 v30, v36
	v_add_f32_e32 v1, v1, v29
	v_add_f32_e32 v1, v28, v1
	;; [unrolled: 1-line block ×4, first 2 shown]
	v_sub_f32_e32 v29, v28, v40
	v_mul_f32_e32 v1, v38, v1
	v_sub_f32_e32 v29, v39, v29
	v_add_f32_e32 v1, v29, v1
	v_add_f32_e32 v31, v28, v1
	v_mul_f32_e32 v32, v31, v31
	v_mov_b32_e32 v29, 0x3ecc95a3
	v_fmac_f32_e32 v29, 0x3e9b6dac, v32
	v_sub_f32_e32 v28, v31, v28
	v_fmaak_f32 v29, v32, v29, 0x3f2aaada
	v_sub_f32_e32 v1, v1, v28
	v_ldexp_f32 v33, v31, 1
	v_mul_f32_e32 v31, v31, v32
	v_mov_b32_e32 v28, 0x3f317218
	v_pk_mul_f32 v[28:29], v[30:31], v[28:29]
	v_ldexp_f32 v1, v1, 1
	v_fma_f32 v31, v30, s2, -v28
	v_fmamk_f32 v32, v30, 0xb102e308, v31
	v_pk_add_f32 v[30:31], v[28:29], v[32:33]
	v_mov_b32_e32 v34, v28
	v_sub_f32_e32 v33, v31, v33
	v_sub_f32_e32 v33, v29, v33
	v_add_f32_e32 v35, v1, v33
	v_pk_add_f32 v[28:29], v[30:31], v[28:29] neg_lo:[0,1] neg_hi:[0,1]
	v_pk_add_f32 v[36:37], v[30:31], v[34:35]
	v_mov_b32_e32 v33, v30
	v_mov_b32_e32 v29, v37
	v_pk_add_f32 v[38:39], v[32:33], v[28:29] neg_lo:[0,1] neg_hi:[0,1]
	v_pk_add_f32 v[28:29], v[32:33], v[28:29]
	v_mov_b32_e32 v34, v35
	v_mov_b32_e32 v32, v29
	v_pk_add_f32 v[40:41], v[32:33], v[30:31] neg_lo:[0,1] neg_hi:[0,1]
	v_mov_b32_e32 v28, v37
	v_mov_b32_e32 v1, v40
	v_pk_add_f32 v[42:43], v[36:37], v[0:1] neg_lo:[0,1] neg_hi:[0,1]
	v_mov_b32_e32 v36, v31
	v_mov_b32_e32 v37, v40
	;; [unrolled: 1-line block ×3, first 2 shown]
	v_pk_add_f32 v[28:29], v[28:29], v[36:37] neg_lo:[0,1] neg_hi:[0,1]
	v_mov_b32_e32 v35, v30
	v_pk_add_f32 v[28:29], v[34:35], v[28:29] neg_lo:[0,1] neg_hi:[0,1]
	v_mov_b32_e32 v42, v38
	v_pk_add_f32 v[30:31], v[42:43], v[28:29]
	s_mov_b32 s2, 0x33800000
	v_mov_b32_e32 v34, v31
	v_pk_add_f32 v[34:35], v[30:31], v[34:35]
	v_cmp_lt_f32_e64 s[2:3], |v7|, s2
	v_pk_add_f32 v[32:33], v[32:33], v[34:35]
	v_mov_b32_e32 v29, v34
	v_mov_b32_e32 v31, v32
	v_pk_add_f32 v[36:37], v[30:31], v[38:39] neg_lo:[0,1] neg_hi:[0,1]
	s_or_b64 vcc, vcc, s[2:3]
	v_sub_f32_e32 v1, v30, v36
	v_pk_add_f32 v[28:29], v[28:29], v[36:37] neg_lo:[0,1] neg_hi:[0,1]
	v_sub_f32_e32 v1, v38, v1
	v_add_f32_e32 v1, v28, v1
	v_add_f32_e32 v1, v1, v29
	;; [unrolled: 1-line block ×3, first 2 shown]
	v_cndmask_b32_e32 v1, v1, v7, vcc
	v_add_f32_e32 v1, v25, v1
	v_cvt_f16_f32_e32 v31, v1
	v_cvt_f32_f16_e32 v1, v31
	v_mov_b32_e32 v7, v31
.LBB398_178:
	s_or_b64 exec, exec, s[0:1]
	v_max_f32_e32 v25, v26, v26
	v_max_f32_e32 v29, v1, v1
	v_min_f32_e32 v28, v29, v25
	v_cmp_u_f16_e32 vcc, v31, v31
	v_max_f32_e32 v25, v29, v25
	s_nop 0
	v_cndmask_b32_e32 v28, v28, v1, vcc
	v_cndmask_b32_e32 v25, v25, v1, vcc
	v_cndmask_b32_e64 v28, v28, v26, s[88:89]
	v_cndmask_b32_e64 v26, v25, v26, s[88:89]
	v_cmp_neq_f32_e32 vcc, v28, v26
	v_cmp_class_f32_e64 s[0:1], v28, s33
	s_or_b64 s[2:3], vcc, s[0:1]
	v_mov_b32_e32 v25, v7
	s_and_saveexec_b64 s[0:1], s[2:3]
	s_cbranch_execz .LBB398_180
; %bb.179:
	v_sub_f32_e32 v1, v28, v26
	s_mov_b32 s2, 0x3fb8aa3b
	v_mul_f32_e32 v25, 0x3fb8aa3b, v1
	v_fma_f32 v28, v1, s2, -v25
	v_rndne_f32_e32 v29, v25
	v_fmamk_f32 v28, v1, 0x32a5705f, v28
	v_sub_f32_e32 v25, v25, v29
	v_add_f32_e32 v25, v25, v28
	v_exp_f32_e32 v25, v25
	v_cvt_i32_f32_e32 v28, v29
	s_mov_b32 s2, 0xc2ce8ed0
	v_cmp_ngt_f32_e32 vcc, s2, v1
	s_mov_b32 s2, 0x42b17218
	v_ldexp_f32 v25, v25, v28
	v_cndmask_b32_e32 v25, 0, v25, vcc
	v_mov_b32_e32 v28, 0x7f800000
	v_cmp_nlt_f32_e32 vcc, s2, v1
	s_mov_b32 s2, 0x3f2aaaab
	s_mov_b32 s3, 0x7f800000
	v_cndmask_b32_e32 v25, v28, v25, vcc
	v_add_f32_e32 v1, 1.0, v25
	v_add_f32_e32 v28, -1.0, v1
	v_sub_f32_e32 v29, v28, v1
	v_add_f32_e32 v29, 1.0, v29
	v_sub_f32_e32 v28, v25, v28
	v_add_f32_e32 v30, v28, v29
	v_frexp_mant_f32_e32 v31, v1
	v_cvt_f64_f32_e32 v[28:29], v1
	v_frexp_exp_i32_f64_e32 v28, v[28:29]
	v_cmp_gt_f32_e32 vcc, s2, v31
	s_mov_b32 s2, 0x3f317218
	s_nop 0
	v_subbrev_co_u32_e32 v36, vcc, 0, v28, vcc
	v_sub_u32_e32 v28, 0, v36
	v_ldexp_f32 v1, v1, v28
	v_ldexp_f32 v28, v30, v28
	v_add_f32_e32 v30, -1.0, v1
	v_add_f32_e32 v29, 1.0, v30
	v_sub_f32_e32 v29, v1, v29
	v_add_f32_e32 v31, v28, v29
	v_add_f32_e32 v29, 1.0, v1
	s_waitcnt lgkmcnt(0)
	v_add_f32_e32 v32, -1.0, v29
	v_sub_f32_e32 v1, v1, v32
	v_add_f32_e32 v1, v28, v1
	v_add_f32_e32 v37, v29, v1
	v_rcp_f32_e32 v38, v37
	v_sub_f32_e32 v28, v29, v37
	v_add_f32_e32 v29, v30, v31
	v_add_f32_e32 v1, v1, v28
	v_mul_f32_e32 v40, v29, v38
	v_sub_f32_e32 v28, v30, v29
	v_mul_f32_e32 v30, v37, v40
	v_fma_f32 v32, v40, v37, -v30
	v_fmac_f32_e32 v32, v40, v1
	v_add_f32_e32 v39, v31, v28
	v_add_f32_e32 v28, v30, v32
	v_sub_f32_e32 v31, v29, v28
	v_pk_add_f32 v[34:35], v[28:29], v[30:31] neg_lo:[0,1] neg_hi:[0,1]
	v_mov_b32_e32 v33, v28
	v_pk_add_f32 v[28:29], v[34:35], v[32:33] neg_lo:[0,1] neg_hi:[0,1]
	v_cmp_eq_f32_e32 vcc, s3, v25
	v_add_f32_e32 v29, v39, v29
	v_add_f32_e32 v28, v28, v29
	;; [unrolled: 1-line block ×3, first 2 shown]
	v_mul_f32_e32 v39, v38, v29
	v_mul_f32_e32 v30, v37, v39
	v_fma_f32 v32, v39, v37, -v30
	v_fmac_f32_e32 v32, v39, v1
	v_sub_f32_e32 v1, v31, v29
	v_add_f32_e32 v1, v28, v1
	v_add_f32_e32 v28, v30, v32
	v_sub_f32_e32 v31, v29, v28
	v_pk_add_f32 v[34:35], v[28:29], v[30:31] neg_lo:[0,1] neg_hi:[0,1]
	v_mov_b32_e32 v33, v28
	v_pk_add_f32 v[28:29], v[34:35], v[32:33] neg_lo:[0,1] neg_hi:[0,1]
	v_cvt_f32_i32_e32 v30, v36
	v_add_f32_e32 v1, v1, v29
	v_add_f32_e32 v1, v28, v1
	;; [unrolled: 1-line block ×4, first 2 shown]
	v_sub_f32_e32 v29, v28, v40
	v_mul_f32_e32 v1, v38, v1
	v_sub_f32_e32 v29, v39, v29
	v_add_f32_e32 v1, v29, v1
	v_add_f32_e32 v31, v28, v1
	v_mul_f32_e32 v32, v31, v31
	v_mov_b32_e32 v29, 0x3ecc95a3
	v_fmac_f32_e32 v29, 0x3e9b6dac, v32
	v_sub_f32_e32 v28, v31, v28
	v_fmaak_f32 v29, v32, v29, 0x3f2aaada
	v_sub_f32_e32 v1, v1, v28
	v_ldexp_f32 v33, v31, 1
	v_mul_f32_e32 v31, v31, v32
	v_mov_b32_e32 v28, 0x3f317218
	v_pk_mul_f32 v[28:29], v[30:31], v[28:29]
	v_ldexp_f32 v1, v1, 1
	v_fma_f32 v31, v30, s2, -v28
	v_fmamk_f32 v32, v30, 0xb102e308, v31
	v_pk_add_f32 v[30:31], v[28:29], v[32:33]
	v_mov_b32_e32 v34, v28
	v_sub_f32_e32 v33, v31, v33
	v_sub_f32_e32 v33, v29, v33
	v_add_f32_e32 v35, v1, v33
	v_pk_add_f32 v[28:29], v[30:31], v[28:29] neg_lo:[0,1] neg_hi:[0,1]
	v_pk_add_f32 v[36:37], v[30:31], v[34:35]
	v_mov_b32_e32 v33, v30
	v_mov_b32_e32 v29, v37
	v_pk_add_f32 v[38:39], v[32:33], v[28:29] neg_lo:[0,1] neg_hi:[0,1]
	v_pk_add_f32 v[28:29], v[32:33], v[28:29]
	v_mov_b32_e32 v34, v35
	v_mov_b32_e32 v32, v29
	v_pk_add_f32 v[40:41], v[32:33], v[30:31] neg_lo:[0,1] neg_hi:[0,1]
	v_mov_b32_e32 v28, v37
	v_mov_b32_e32 v1, v40
	v_pk_add_f32 v[42:43], v[36:37], v[0:1] neg_lo:[0,1] neg_hi:[0,1]
	v_mov_b32_e32 v36, v31
	v_mov_b32_e32 v37, v40
	;; [unrolled: 1-line block ×3, first 2 shown]
	v_pk_add_f32 v[28:29], v[28:29], v[36:37] neg_lo:[0,1] neg_hi:[0,1]
	v_mov_b32_e32 v35, v30
	v_pk_add_f32 v[28:29], v[34:35], v[28:29] neg_lo:[0,1] neg_hi:[0,1]
	v_mov_b32_e32 v42, v38
	v_pk_add_f32 v[30:31], v[42:43], v[28:29]
	s_mov_b32 s2, 0x33800000
	v_mov_b32_e32 v34, v31
	v_pk_add_f32 v[34:35], v[30:31], v[34:35]
	v_cmp_lt_f32_e64 s[2:3], |v25|, s2
	v_pk_add_f32 v[32:33], v[32:33], v[34:35]
	v_mov_b32_e32 v29, v34
	v_mov_b32_e32 v31, v32
	v_pk_add_f32 v[36:37], v[30:31], v[38:39] neg_lo:[0,1] neg_hi:[0,1]
	s_or_b64 vcc, vcc, s[2:3]
	v_sub_f32_e32 v1, v30, v36
	v_pk_add_f32 v[28:29], v[28:29], v[36:37] neg_lo:[0,1] neg_hi:[0,1]
	v_sub_f32_e32 v1, v38, v1
	v_add_f32_e32 v1, v28, v1
	v_add_f32_e32 v1, v1, v29
	;; [unrolled: 1-line block ×3, first 2 shown]
	v_cndmask_b32_e32 v1, v1, v25, vcc
	v_add_f32_e32 v1, v26, v1
	v_cvt_f16_f32_e32 v31, v1
	v_cvt_f32_f16_e32 v1, v31
	v_mov_b32_e32 v25, v31
.LBB398_180:
	s_or_b64 exec, exec, s[0:1]
	v_max_f32_e32 v26, v8, v8
	v_max_f32_e32 v29, v1, v1
	v_min_f32_e32 v28, v29, v26
	v_cmp_u_f16_e32 vcc, v31, v31
	v_max_f32_e32 v26, v29, v26
	s_nop 0
	v_cndmask_b32_e32 v28, v28, v1, vcc
	v_cndmask_b32_e32 v26, v26, v1, vcc
	v_cndmask_b32_e64 v28, v28, v8, s[90:91]
	v_cndmask_b32_e64 v26, v26, v8, s[90:91]
	v_cmp_neq_f32_e32 vcc, v28, v26
	v_cmp_class_f32_e64 s[0:1], v28, s33
	s_or_b64 s[2:3], vcc, s[0:1]
	v_mov_b32_e32 v8, v25
	s_and_saveexec_b64 s[0:1], s[2:3]
	s_cbranch_execz .LBB398_182
; %bb.181:
	v_sub_f32_e32 v1, v28, v26
	s_mov_b32 s2, 0x3fb8aa3b
	v_mul_f32_e32 v8, 0x3fb8aa3b, v1
	v_fma_f32 v28, v1, s2, -v8
	v_rndne_f32_e32 v29, v8
	v_fmamk_f32 v28, v1, 0x32a5705f, v28
	v_sub_f32_e32 v8, v8, v29
	v_add_f32_e32 v8, v8, v28
	v_exp_f32_e32 v8, v8
	v_cvt_i32_f32_e32 v28, v29
	s_mov_b32 s2, 0xc2ce8ed0
	v_cmp_ngt_f32_e32 vcc, s2, v1
	s_mov_b32 s2, 0x42b17218
	v_ldexp_f32 v8, v8, v28
	v_cndmask_b32_e32 v8, 0, v8, vcc
	v_mov_b32_e32 v28, 0x7f800000
	v_cmp_nlt_f32_e32 vcc, s2, v1
	s_mov_b32 s2, 0x3f2aaaab
	s_mov_b32 s3, 0x7f800000
	v_cndmask_b32_e32 v42, v28, v8, vcc
	v_add_f32_e32 v1, 1.0, v42
	v_add_f32_e32 v8, -1.0, v1
	v_sub_f32_e32 v28, v8, v1
	v_add_f32_e32 v28, 1.0, v28
	v_sub_f32_e32 v8, v42, v8
	v_add_f32_e32 v8, v8, v28
	v_frexp_mant_f32_e32 v30, v1
	v_cvt_f64_f32_e32 v[28:29], v1
	v_frexp_exp_i32_f64_e32 v28, v[28:29]
	v_cmp_gt_f32_e32 vcc, s2, v30
	s_mov_b32 s2, 0x3f317218
	s_nop 0
	v_subbrev_co_u32_e32 v36, vcc, 0, v28, vcc
	v_sub_u32_e32 v28, 0, v36
	v_ldexp_f32 v1, v1, v28
	v_ldexp_f32 v8, v8, v28
	v_add_f32_e32 v28, -1.0, v1
	v_add_f32_e32 v29, 1.0, v28
	v_sub_f32_e32 v29, v1, v29
	v_add_f32_e32 v30, v8, v29
	v_add_f32_e32 v29, 1.0, v1
	v_add_f32_e32 v31, -1.0, v29
	v_sub_f32_e32 v1, v1, v31
	v_add_f32_e32 v1, v8, v1
	v_add_f32_e32 v8, v29, v1
	v_rcp_f32_e32 v37, v8
	v_sub_f32_e32 v29, v29, v8
	v_add_f32_e32 v1, v1, v29
	v_add_f32_e32 v29, v28, v30
	v_sub_f32_e32 v28, v28, v29
	v_mul_f32_e32 v39, v29, v37
	v_add_f32_e32 v38, v30, v28
	v_mul_f32_e32 v30, v8, v39
	s_waitcnt lgkmcnt(0)
	v_fma_f32 v32, v39, v8, -v30
	v_fmac_f32_e32 v32, v39, v1
	v_add_f32_e32 v28, v30, v32
	v_sub_f32_e32 v31, v29, v28
	v_pk_add_f32 v[34:35], v[28:29], v[30:31] neg_lo:[0,1] neg_hi:[0,1]
	v_mov_b32_e32 v33, v28
	v_pk_add_f32 v[28:29], v[34:35], v[32:33] neg_lo:[0,1] neg_hi:[0,1]
	v_cmp_eq_f32_e32 vcc, s3, v42
	v_add_f32_e32 v29, v38, v29
	v_add_f32_e32 v28, v28, v29
	;; [unrolled: 1-line block ×3, first 2 shown]
	v_mul_f32_e32 v38, v37, v29
	v_mul_f32_e32 v30, v8, v38
	v_fma_f32 v32, v38, v8, -v30
	v_fmac_f32_e32 v32, v38, v1
	v_sub_f32_e32 v1, v31, v29
	v_add_f32_e32 v1, v28, v1
	v_add_f32_e32 v28, v30, v32
	v_sub_f32_e32 v31, v29, v28
	v_pk_add_f32 v[34:35], v[28:29], v[30:31] neg_lo:[0,1] neg_hi:[0,1]
	v_mov_b32_e32 v33, v28
	v_pk_add_f32 v[28:29], v[34:35], v[32:33] neg_lo:[0,1] neg_hi:[0,1]
	v_add_f32_e32 v8, v39, v38
	v_add_f32_e32 v1, v1, v29
	;; [unrolled: 1-line block ×4, first 2 shown]
	v_sub_f32_e32 v28, v8, v39
	v_mul_f32_e32 v1, v37, v1
	v_sub_f32_e32 v28, v38, v28
	v_add_f32_e32 v1, v28, v1
	v_add_f32_e32 v28, v8, v1
	v_cvt_f32_i32_e32 v30, v36
	v_mul_f32_e32 v31, v28, v28
	v_mov_b32_e32 v29, 0x3ecc95a3
	v_fmac_f32_e32 v29, 0x3e9b6dac, v31
	v_fmaak_f32 v29, v31, v29, 0x3f2aaada
	v_sub_f32_e32 v8, v28, v8
	v_ldexp_f32 v33, v28, 1
	v_mul_f32_e32 v31, v28, v31
	v_mov_b32_e32 v28, 0x3f317218
	v_pk_mul_f32 v[28:29], v[30:31], v[28:29]
	v_sub_f32_e32 v1, v1, v8
	v_fma_f32 v8, v30, s2, -v28
	v_fmamk_f32 v32, v30, 0xb102e308, v8
	v_pk_add_f32 v[30:31], v[28:29], v[32:33]
	v_ldexp_f32 v1, v1, 1
	v_sub_f32_e32 v8, v31, v33
	v_sub_f32_e32 v8, v29, v8
	v_add_f32_e32 v35, v1, v8
	v_mov_b32_e32 v34, v28
	v_pk_add_f32 v[28:29], v[30:31], v[28:29] neg_lo:[0,1] neg_hi:[0,1]
	v_pk_add_f32 v[36:37], v[30:31], v[34:35]
	v_mov_b32_e32 v33, v30
	v_mov_b32_e32 v29, v37
	v_pk_add_f32 v[38:39], v[32:33], v[28:29] neg_lo:[0,1] neg_hi:[0,1]
	v_pk_add_f32 v[28:29], v[32:33], v[28:29]
	s_mov_b32 s2, 0x33800000
	v_mov_b32_e32 v8, v29
	v_pk_add_f32 v[32:33], v[8:9], v[30:31] neg_lo:[0,1] neg_hi:[0,1]
	v_mov_b32_e32 v28, v37
	v_mov_b32_e32 v1, v32
	v_pk_add_f32 v[40:41], v[36:37], v[0:1] neg_lo:[0,1] neg_hi:[0,1]
	v_mov_b32_e32 v36, v31
	v_mov_b32_e32 v37, v32
	;; [unrolled: 1-line block ×3, first 2 shown]
	v_pk_add_f32 v[28:29], v[28:29], v[36:37] neg_lo:[0,1] neg_hi:[0,1]
	v_mov_b32_e32 v32, v35
	v_mov_b32_e32 v33, v30
	v_pk_add_f32 v[28:29], v[32:33], v[28:29] neg_lo:[0,1] neg_hi:[0,1]
	v_mov_b32_e32 v40, v38
	v_pk_add_f32 v[30:31], v[40:41], v[28:29]
	v_cmp_lt_f32_e64 s[2:3], |v42|, s2
	v_mov_b32_e32 v32, v31
	v_pk_add_f32 v[32:33], v[30:31], v[32:33]
	s_or_b64 vcc, vcc, s[2:3]
	v_pk_add_f32 v[34:35], v[8:9], v[32:33]
	v_mov_b32_e32 v29, v32
	v_mov_b32_e32 v31, v34
	v_pk_add_f32 v[36:37], v[30:31], v[38:39] neg_lo:[0,1] neg_hi:[0,1]
	s_nop 0
	v_sub_f32_e32 v1, v30, v36
	v_pk_add_f32 v[28:29], v[28:29], v[36:37] neg_lo:[0,1] neg_hi:[0,1]
	v_sub_f32_e32 v1, v38, v1
	v_add_f32_e32 v1, v28, v1
	v_add_f32_e32 v1, v1, v29
	;; [unrolled: 1-line block ×3, first 2 shown]
	v_cndmask_b32_e32 v1, v1, v42, vcc
	v_add_f32_e32 v1, v26, v1
	v_cvt_f16_f32_e32 v31, v1
	v_cvt_f32_f16_e32 v1, v31
	v_mov_b32_e32 v8, v31
.LBB398_182:
	s_or_b64 exec, exec, s[0:1]
	v_max_f32_e32 v26, v27, v27
	v_max_f32_e32 v29, v1, v1
	v_min_f32_e32 v28, v29, v26
	v_cmp_u_f16_e32 vcc, v31, v31
	v_max_f32_e32 v26, v29, v26
	s_movk_i32 s0, 0x1f8
	v_cndmask_b32_e32 v28, v28, v1, vcc
	v_cndmask_b32_e32 v1, v26, v1, vcc
	v_cndmask_b32_e64 v28, v28, v27, s[92:93]
	v_cndmask_b32_e64 v1, v1, v27, s[92:93]
	v_cmp_neq_f32_e32 vcc, v28, v1
	v_cmp_class_f32_e64 s[0:1], v28, s0
	s_or_b64 s[2:3], vcc, s[0:1]
	v_mov_b32_e32 v26, v8
	s_and_saveexec_b64 s[0:1], s[2:3]
	s_cbranch_execz .LBB398_184
; %bb.183:
	v_sub_f32_e32 v26, v28, v1
	s_mov_b32 s2, 0x3fb8aa3b
	v_mul_f32_e32 v27, 0x3fb8aa3b, v26
	v_fma_f32 v28, v26, s2, -v27
	v_rndne_f32_e32 v29, v27
	v_fmamk_f32 v28, v26, 0x32a5705f, v28
	v_sub_f32_e32 v27, v27, v29
	v_add_f32_e32 v27, v27, v28
	v_exp_f32_e32 v27, v27
	v_cvt_i32_f32_e32 v28, v29
	s_mov_b32 s2, 0xc2ce8ed0
	v_cmp_ngt_f32_e32 vcc, s2, v26
	s_mov_b32 s2, 0x42b17218
	v_ldexp_f32 v27, v27, v28
	v_cndmask_b32_e32 v27, 0, v27, vcc
	v_mov_b32_e32 v28, 0x7f800000
	v_cmp_nlt_f32_e32 vcc, s2, v26
	s_mov_b32 s2, 0x3f2aaaab
	s_mov_b32 s3, 0x7f800000
	v_cndmask_b32_e32 v42, v28, v27, vcc
	v_add_f32_e32 v28, 1.0, v42
	v_add_f32_e32 v26, -1.0, v28
	v_sub_f32_e32 v27, v26, v28
	v_add_f32_e32 v27, 1.0, v27
	v_sub_f32_e32 v26, v42, v26
	v_add_f32_e32 v29, v26, v27
	v_frexp_mant_f32_e32 v30, v28
	v_cvt_f64_f32_e32 v[26:27], v28
	v_frexp_exp_i32_f64_e32 v26, v[26:27]
	v_cmp_gt_f32_e32 vcc, s2, v30
	s_mov_b32 s2, 0x3f317218
	s_nop 0
	v_subbrev_co_u32_e32 v34, vcc, 0, v26, vcc
	v_sub_u32_e32 v26, 0, v34
	v_ldexp_f32 v27, v28, v26
	v_add_f32_e32 v28, -1.0, v27
	v_add_f32_e32 v30, 1.0, v27
	v_ldexp_f32 v26, v29, v26
	v_add_f32_e32 v29, 1.0, v28
	v_add_f32_e32 v31, -1.0, v30
	v_sub_f32_e32 v29, v27, v29
	v_sub_f32_e32 v27, v27, v31
	v_add_f32_e32 v29, v26, v29
	v_add_f32_e32 v26, v26, v27
	;; [unrolled: 1-line block ×3, first 2 shown]
	v_rcp_f32_e32 v37, v35
	v_sub_f32_e32 v27, v30, v35
	v_add_f32_e32 v36, v26, v27
	v_add_f32_e32 v27, v28, v29
	v_mul_f32_e32 v39, v27, v37
	v_sub_f32_e32 v26, v28, v27
	v_mul_f32_e32 v28, v35, v39
	v_fma_f32 v30, v39, v35, -v28
	v_fmac_f32_e32 v30, v39, v36
	v_add_f32_e32 v38, v29, v26
	v_add_f32_e32 v26, v28, v30
	v_sub_f32_e32 v29, v27, v26
	s_waitcnt lgkmcnt(0)
	v_pk_add_f32 v[32:33], v[26:27], v[28:29] neg_lo:[0,1] neg_hi:[0,1]
	v_mov_b32_e32 v31, v26
	v_pk_add_f32 v[26:27], v[32:33], v[30:31] neg_lo:[0,1] neg_hi:[0,1]
	v_cmp_eq_f32_e32 vcc, s3, v42
	v_add_f32_e32 v27, v38, v27
	v_add_f32_e32 v26, v26, v27
	;; [unrolled: 1-line block ×3, first 2 shown]
	v_mul_f32_e32 v38, v37, v27
	v_mul_f32_e32 v28, v35, v38
	v_fma_f32 v30, v38, v35, -v28
	v_fmac_f32_e32 v30, v38, v36
	v_sub_f32_e32 v29, v29, v27
	v_add_f32_e32 v35, v26, v29
	v_add_f32_e32 v26, v28, v30
	v_sub_f32_e32 v29, v27, v26
	v_pk_add_f32 v[32:33], v[26:27], v[28:29] neg_lo:[0,1] neg_hi:[0,1]
	v_mov_b32_e32 v31, v26
	v_pk_add_f32 v[26:27], v[32:33], v[30:31] neg_lo:[0,1] neg_hi:[0,1]
	v_cvt_f32_i32_e32 v28, v34
	v_add_f32_e32 v27, v35, v27
	v_add_f32_e32 v26, v26, v27
	;; [unrolled: 1-line block ×4, first 2 shown]
	v_sub_f32_e32 v27, v29, v39
	v_mul_f32_e32 v26, v37, v26
	v_sub_f32_e32 v27, v38, v27
	v_add_f32_e32 v26, v27, v26
	v_add_f32_e32 v30, v29, v26
	v_mul_f32_e32 v32, v30, v30
	v_mov_b32_e32 v27, 0x3ecc95a3
	v_sub_f32_e32 v29, v30, v29
	v_fmac_f32_e32 v27, 0x3e9b6dac, v32
	v_sub_f32_e32 v26, v26, v29
	v_fmaak_f32 v27, v32, v27, 0x3f2aaada
	v_ldexp_f32 v33, v26, 1
	v_mul_f32_e32 v29, v30, v32
	v_mov_b32_e32 v26, 0x3f317218
	v_pk_mul_f32 v[26:27], v[28:29], v[26:27]
	v_ldexp_f32 v31, v30, 1
	v_fma_f32 v29, v28, s2, -v26
	v_fmamk_f32 v30, v28, 0xb102e308, v29
	v_pk_add_f32 v[28:29], v[26:27], v[30:31]
	v_mov_b32_e32 v32, v26
	v_sub_f32_e32 v31, v29, v31
	v_sub_f32_e32 v31, v27, v31
	v_add_f32_e32 v33, v33, v31
	v_pk_add_f32 v[26:27], v[28:29], v[26:27] neg_lo:[0,1] neg_hi:[0,1]
	v_pk_add_f32 v[34:35], v[28:29], v[32:33]
	v_mov_b32_e32 v31, v28
	v_mov_b32_e32 v27, v35
	v_pk_add_f32 v[36:37], v[30:31], v[26:27] neg_lo:[0,1] neg_hi:[0,1]
	v_pk_add_f32 v[26:27], v[30:31], v[26:27]
	v_mov_b32_e32 v32, v33
	v_mov_b32_e32 v30, v27
	v_pk_add_f32 v[38:39], v[30:31], v[28:29] neg_lo:[0,1] neg_hi:[0,1]
	v_mov_b32_e32 v26, v35
	v_mov_b32_e32 v31, v38
	v_pk_add_f32 v[40:41], v[34:35], v[30:31] neg_lo:[0,1] neg_hi:[0,1]
	v_mov_b32_e32 v34, v29
	v_mov_b32_e32 v35, v38
	;; [unrolled: 1-line block ×3, first 2 shown]
	v_pk_add_f32 v[26:27], v[26:27], v[34:35] neg_lo:[0,1] neg_hi:[0,1]
	v_mov_b32_e32 v33, v28
	v_pk_add_f32 v[26:27], v[32:33], v[26:27] neg_lo:[0,1] neg_hi:[0,1]
	v_mov_b32_e32 v40, v36
	v_pk_add_f32 v[28:29], v[40:41], v[26:27]
	s_mov_b32 s2, 0x33800000
	v_mov_b32_e32 v32, v29
	v_pk_add_f32 v[32:33], v[28:29], v[32:33]
	v_cmp_lt_f32_e64 s[2:3], |v42|, s2
	v_pk_add_f32 v[30:31], v[30:31], v[32:33]
	v_mov_b32_e32 v27, v32
	v_mov_b32_e32 v29, v30
	v_pk_add_f32 v[34:35], v[28:29], v[36:37] neg_lo:[0,1] neg_hi:[0,1]
	s_or_b64 vcc, vcc, s[2:3]
	v_sub_f32_e32 v28, v28, v34
	v_pk_add_f32 v[26:27], v[26:27], v[34:35] neg_lo:[0,1] neg_hi:[0,1]
	v_sub_f32_e32 v28, v36, v28
	v_add_f32_e32 v26, v26, v28
	v_add_f32_e32 v26, v26, v27
	;; [unrolled: 1-line block ×3, first 2 shown]
	v_cndmask_b32_e32 v26, v26, v42, vcc
	v_add_f32_e32 v1, v1, v26
	v_cvt_f16_f32_e32 v26, v1
.LBB398_184:
	s_or_b64 exec, exec, s[0:1]
	s_mov_b32 s0, 0x5040100
	v_add_u32_e32 v9, v14, v9
	v_perm_b32 v30, v17, v3, s0
	v_perm_b32 v28, v0, v2, s0
	;; [unrolled: 1-line block ×6, first 2 shown]
	s_waitcnt lgkmcnt(0)
	s_barrier
	v_perm_b32 v31, v18, v4, s0
	v_perm_b32 v29, v16, v15, s0
	ds_write_b128 v9, v[0:3] offset:16
	v_perm_b32 v3, v26, v8, s0
	v_perm_b32 v2, v25, v7, s0
	;; [unrolled: 1-line block ×4, first 2 shown]
	ds_write_b128 v9, v[28:31]
	ds_write_b128 v9, v[0:3] offset:32
	s_waitcnt lgkmcnt(0)
	s_barrier
	ds_read_u16 v26, v14 offset:512
	ds_read_u16 v25, v14 offset:1024
	;; [unrolled: 1-line block ×23, first 2 shown]
	v_readlane_b32 s0, v53, 6
	v_mov_b32_e32 v15, 0
	v_readlane_b32 s1, v53, 7
	s_nop 1
	v_lshl_add_u64 v[0:1], s[0:1], 0, v[14:15]
	s_mov_b64 s[0:1], exec
	v_readlane_b32 s2, v53, 0
	v_readlane_b32 s3, v53, 1
	s_and_b64 s[2:3], s[0:1], s[2:3]
	s_mov_b64 exec, s[2:3]
	s_cbranch_execz .LBB398_186
; %bb.185:
	ds_read_u16 v14, v14
	s_waitcnt lgkmcnt(0)
	global_store_short v[0:1], v14, off
.LBB398_186:
	s_or_b64 exec, exec, s[0:1]
	s_mov_b64 s[0:1], exec
	v_readlane_b32 s2, v53, 2
	v_readlane_b32 s3, v53, 3
	s_and_b64 s[2:3], s[0:1], s[2:3]
	s_mov_b64 exec, s[2:3]
	s_cbranch_execz .LBB398_188
; %bb.187:
	s_waitcnt lgkmcnt(14)
	global_store_short v[0:1], v26, off offset:512
.LBB398_188:
	s_or_b64 exec, exec, s[0:1]
	s_mov_b64 s[0:1], exec
	v_readlane_b32 s2, v53, 4
	v_readlane_b32 s3, v53, 5
	s_and_b64 s[2:3], s[0:1], s[2:3]
	s_mov_b64 exec, s[2:3]
	s_cbranch_execnz .LBB398_211
; %bb.189:
	s_or_b64 exec, exec, s[0:1]
	s_and_saveexec_b64 s[0:1], s[4:5]
	s_cbranch_execnz .LBB398_212
.LBB398_190:
	s_or_b64 exec, exec, s[0:1]
	s_and_saveexec_b64 s[0:1], s[6:7]
	s_cbranch_execnz .LBB398_213
.LBB398_191:
	s_or_b64 exec, exec, s[0:1]
	s_and_saveexec_b64 s[0:1], s[8:9]
	s_cbranch_execnz .LBB398_214
.LBB398_192:
	s_or_b64 exec, exec, s[0:1]
	s_and_saveexec_b64 s[0:1], s[10:11]
	s_cbranch_execnz .LBB398_215
.LBB398_193:
	s_or_b64 exec, exec, s[0:1]
	s_and_saveexec_b64 s[0:1], s[12:13]
	s_cbranch_execnz .LBB398_216
.LBB398_194:
	s_or_b64 exec, exec, s[0:1]
	s_and_saveexec_b64 s[0:1], s[14:15]
	s_cbranch_execnz .LBB398_217
.LBB398_195:
	s_or_b64 exec, exec, s[0:1]
	s_and_saveexec_b64 s[0:1], s[16:17]
	s_cbranch_execnz .LBB398_218
.LBB398_196:
	s_or_b64 exec, exec, s[0:1]
	s_and_saveexec_b64 s[0:1], s[18:19]
	s_cbranch_execnz .LBB398_219
.LBB398_197:
	s_or_b64 exec, exec, s[0:1]
	s_and_saveexec_b64 s[0:1], s[20:21]
	s_cbranch_execnz .LBB398_220
.LBB398_198:
	s_or_b64 exec, exec, s[0:1]
	s_and_saveexec_b64 s[0:1], s[22:23]
	s_cbranch_execnz .LBB398_221
.LBB398_199:
	s_or_b64 exec, exec, s[0:1]
	s_and_saveexec_b64 s[0:1], s[24:25]
	s_cbranch_execnz .LBB398_222
.LBB398_200:
	s_or_b64 exec, exec, s[0:1]
	s_and_saveexec_b64 s[0:1], s[26:27]
	s_cbranch_execnz .LBB398_223
.LBB398_201:
	s_or_b64 exec, exec, s[0:1]
	s_and_saveexec_b64 s[0:1], s[28:29]
	s_cbranch_execnz .LBB398_224
.LBB398_202:
	s_or_b64 exec, exec, s[0:1]
	s_and_saveexec_b64 s[0:1], s[30:31]
	s_cbranch_execnz .LBB398_225
.LBB398_203:
	s_or_b64 exec, exec, s[0:1]
	s_and_saveexec_b64 s[0:1], s[34:35]
	s_cbranch_execnz .LBB398_226
.LBB398_204:
	s_or_b64 exec, exec, s[0:1]
	s_and_saveexec_b64 s[0:1], s[36:37]
	s_cbranch_execnz .LBB398_227
.LBB398_205:
	s_or_b64 exec, exec, s[0:1]
	s_and_saveexec_b64 s[0:1], s[38:39]
	s_cbranch_execnz .LBB398_228
.LBB398_206:
	s_or_b64 exec, exec, s[0:1]
	s_and_saveexec_b64 s[0:1], s[40:41]
	s_cbranch_execnz .LBB398_229
.LBB398_207:
	s_or_b64 exec, exec, s[0:1]
	s_and_saveexec_b64 s[0:1], s[42:43]
	s_cbranch_execnz .LBB398_230
.LBB398_208:
	s_or_b64 exec, exec, s[0:1]
	s_and_saveexec_b64 s[0:1], s[44:45]
	s_cbranch_execnz .LBB398_231
.LBB398_209:
	s_or_b64 exec, exec, s[0:1]
	s_and_saveexec_b64 s[0:1], s[46:47]
	s_cbranch_execnz .LBB398_232
.LBB398_210:
	s_endpgm
.LBB398_211:
	s_waitcnt lgkmcnt(14)
	global_store_short v[0:1], v25, off offset:1024
	s_or_b64 exec, exec, s[0:1]
	s_and_saveexec_b64 s[0:1], s[4:5]
	s_cbranch_execz .LBB398_190
.LBB398_212:
	s_waitcnt lgkmcnt(14)
	global_store_short v[0:1], v24, off offset:1536
	s_or_b64 exec, exec, s[0:1]
	s_and_saveexec_b64 s[0:1], s[6:7]
	s_cbranch_execz .LBB398_191
.LBB398_213:
	s_waitcnt lgkmcnt(14)
	global_store_short v[0:1], v23, off offset:2048
	s_or_b64 exec, exec, s[0:1]
	s_and_saveexec_b64 s[0:1], s[8:9]
	s_cbranch_execz .LBB398_192
.LBB398_214:
	s_waitcnt lgkmcnt(14)
	global_store_short v[0:1], v22, off offset:2560
	s_or_b64 exec, exec, s[0:1]
	s_and_saveexec_b64 s[0:1], s[10:11]
	s_cbranch_execz .LBB398_193
.LBB398_215:
	s_waitcnt lgkmcnt(14)
	global_store_short v[0:1], v21, off offset:3072
	s_or_b64 exec, exec, s[0:1]
	s_and_saveexec_b64 s[0:1], s[12:13]
	s_cbranch_execz .LBB398_194
.LBB398_216:
	s_waitcnt lgkmcnt(14)
	global_store_short v[0:1], v20, off offset:3584
	s_or_b64 exec, exec, s[0:1]
	s_and_saveexec_b64 s[0:1], s[14:15]
	s_cbranch_execz .LBB398_195
.LBB398_217:
	v_add_co_u32_e32 v14, vcc, 0x1000, v0
	s_nop 1
	v_addc_co_u32_e32 v15, vcc, 0, v1, vcc
	s_waitcnt lgkmcnt(14)
	global_store_short v[14:15], v19, off
	s_or_b64 exec, exec, s[0:1]
	s_and_saveexec_b64 s[0:1], s[16:17]
	s_cbranch_execz .LBB398_196
.LBB398_218:
	v_add_co_u32_e32 v14, vcc, 0x1000, v0
	s_nop 1
	v_addc_co_u32_e32 v15, vcc, 0, v1, vcc
	s_waitcnt lgkmcnt(14)
	global_store_short v[14:15], v18, off offset:512
	s_or_b64 exec, exec, s[0:1]
	s_and_saveexec_b64 s[0:1], s[18:19]
	s_cbranch_execz .LBB398_197
.LBB398_219:
	v_add_co_u32_e32 v14, vcc, 0x1000, v0
	s_nop 1
	v_addc_co_u32_e32 v15, vcc, 0, v1, vcc
	s_waitcnt lgkmcnt(13)
	global_store_short v[14:15], v17, off offset:1024
	s_or_b64 exec, exec, s[0:1]
	s_and_saveexec_b64 s[0:1], s[20:21]
	s_cbranch_execz .LBB398_198
.LBB398_220:
	v_add_co_u32_e32 v14, vcc, 0x1000, v0
	s_nop 1
	v_addc_co_u32_e32 v15, vcc, 0, v1, vcc
	s_waitcnt lgkmcnt(12)
	global_store_short v[14:15], v16, off offset:1536
	s_or_b64 exec, exec, s[0:1]
	s_and_saveexec_b64 s[0:1], s[22:23]
	s_cbranch_execz .LBB398_199
.LBB398_221:
	v_add_co_u32_e32 v14, vcc, 0x1000, v0
	s_nop 1
	v_addc_co_u32_e32 v15, vcc, 0, v1, vcc
	s_waitcnt lgkmcnt(11)
	global_store_short v[14:15], v13, off offset:2048
	s_or_b64 exec, exec, s[0:1]
	s_and_saveexec_b64 s[0:1], s[24:25]
	s_cbranch_execz .LBB398_200
.LBB398_222:
	v_add_co_u32_e32 v14, vcc, 0x1000, v0
	s_nop 1
	v_addc_co_u32_e32 v15, vcc, 0, v1, vcc
	s_waitcnt lgkmcnt(10)
	global_store_short v[14:15], v12, off offset:2560
	s_or_b64 exec, exec, s[0:1]
	s_and_saveexec_b64 s[0:1], s[26:27]
	s_cbranch_execz .LBB398_201
.LBB398_223:
	s_waitcnt lgkmcnt(10)
	v_add_co_u32_e32 v12, vcc, 0x1000, v0
	s_nop 1
	v_addc_co_u32_e32 v13, vcc, 0, v1, vcc
	s_waitcnt lgkmcnt(9)
	global_store_short v[12:13], v11, off offset:3072
	s_or_b64 exec, exec, s[0:1]
	s_and_saveexec_b64 s[0:1], s[28:29]
	s_cbranch_execz .LBB398_202
.LBB398_224:
	s_waitcnt lgkmcnt(10)
	v_add_co_u32_e32 v12, vcc, 0x1000, v0
	s_nop 1
	v_addc_co_u32_e32 v13, vcc, 0, v1, vcc
	s_waitcnt lgkmcnt(8)
	global_store_short v[12:13], v10, off offset:3584
	s_or_b64 exec, exec, s[0:1]
	s_and_saveexec_b64 s[0:1], s[30:31]
	s_cbranch_execz .LBB398_203
.LBB398_225:
	s_waitcnt lgkmcnt(8)
	v_add_co_u32_e32 v10, vcc, 0x2000, v0
	s_nop 1
	v_addc_co_u32_e32 v11, vcc, 0, v1, vcc
	s_waitcnt lgkmcnt(7)
	global_store_short v[10:11], v9, off
	s_or_b64 exec, exec, s[0:1]
	s_and_saveexec_b64 s[0:1], s[34:35]
	s_cbranch_execz .LBB398_204
.LBB398_226:
	s_waitcnt lgkmcnt(8)
	v_add_co_u32_e32 v10, vcc, 0x2000, v0
	s_nop 1
	v_addc_co_u32_e32 v11, vcc, 0, v1, vcc
	s_waitcnt lgkmcnt(6)
	global_store_short v[10:11], v8, off offset:512
	s_or_b64 exec, exec, s[0:1]
	s_and_saveexec_b64 s[0:1], s[36:37]
	s_cbranch_execz .LBB398_205
.LBB398_227:
	s_waitcnt lgkmcnt(6)
	v_add_co_u32_e32 v8, vcc, 0x2000, v0
	s_nop 1
	v_addc_co_u32_e32 v9, vcc, 0, v1, vcc
	s_waitcnt lgkmcnt(5)
	global_store_short v[8:9], v7, off offset:1024
	s_or_b64 exec, exec, s[0:1]
	s_and_saveexec_b64 s[0:1], s[38:39]
	s_cbranch_execz .LBB398_206
.LBB398_228:
	s_waitcnt lgkmcnt(6)
	v_add_co_u32_e32 v8, vcc, 0x2000, v0
	s_nop 1
	v_addc_co_u32_e32 v9, vcc, 0, v1, vcc
	s_waitcnt lgkmcnt(4)
	global_store_short v[8:9], v6, off offset:1536
	s_or_b64 exec, exec, s[0:1]
	s_and_saveexec_b64 s[0:1], s[40:41]
	s_cbranch_execz .LBB398_207
.LBB398_229:
	s_waitcnt lgkmcnt(4)
	v_add_co_u32_e32 v6, vcc, 0x2000, v0
	s_nop 1
	v_addc_co_u32_e32 v7, vcc, 0, v1, vcc
	s_waitcnt lgkmcnt(3)
	global_store_short v[6:7], v5, off offset:2048
	s_or_b64 exec, exec, s[0:1]
	s_and_saveexec_b64 s[0:1], s[42:43]
	s_cbranch_execz .LBB398_208
.LBB398_230:
	s_waitcnt lgkmcnt(4)
	v_add_co_u32_e32 v6, vcc, 0x2000, v0
	s_nop 1
	v_addc_co_u32_e32 v7, vcc, 0, v1, vcc
	s_waitcnt lgkmcnt(2)
	global_store_short v[6:7], v4, off offset:2560
	s_or_b64 exec, exec, s[0:1]
	s_and_saveexec_b64 s[0:1], s[44:45]
	s_cbranch_execz .LBB398_209
.LBB398_231:
	s_waitcnt lgkmcnt(2)
	v_add_co_u32_e32 v4, vcc, 0x2000, v0
	s_nop 1
	v_addc_co_u32_e32 v5, vcc, 0, v1, vcc
	s_waitcnt lgkmcnt(1)
	global_store_short v[4:5], v3, off offset:3072
	s_or_b64 exec, exec, s[0:1]
	s_and_saveexec_b64 s[0:1], s[46:47]
	s_cbranch_execz .LBB398_210
.LBB398_232:
	v_add_co_u32_e32 v0, vcc, 0x2000, v0
	s_nop 1
	v_addc_co_u32_e32 v1, vcc, 0, v1, vcc
	s_waitcnt lgkmcnt(0)
	global_store_short v[0:1], v2, off offset:3584
	s_endpgm
	.section	.rodata,"a",@progbits
	.p2align	6, 0x0
	.amdhsa_kernel _ZN7rocprim17ROCPRIM_400000_NS6detail17trampoline_kernelINS0_14default_configENS1_20scan_config_selectorIN3c104HalfEEEZZNS1_9scan_implILNS1_25lookback_scan_determinismE0ELb0ELb0ES3_PKS6_PS6_S6_ZZZN2at6native31launch_logcumsumexp_cuda_kernelERKNSD_10TensorBaseESH_lENKUlvE_clEvENKUlvE3_clEvEUlS6_S6_E_S6_EEDaPvRmT3_T4_T5_mT6_P12ihipStream_tbENKUlT_T0_E_clISt17integral_constantIbLb1EESY_EEDaST_SU_EUlST_E0_NS1_11comp_targetILNS1_3genE5ELNS1_11target_archE942ELNS1_3gpuE9ELNS1_3repE0EEENS1_30default_config_static_selectorELNS0_4arch9wavefront6targetE1EEEvT1_
		.amdhsa_group_segment_fixed_size 12288
		.amdhsa_private_segment_fixed_size 0
		.amdhsa_kernarg_size 32
		.amdhsa_user_sgpr_count 2
		.amdhsa_user_sgpr_dispatch_ptr 0
		.amdhsa_user_sgpr_queue_ptr 0
		.amdhsa_user_sgpr_kernarg_segment_ptr 1
		.amdhsa_user_sgpr_dispatch_id 0
		.amdhsa_user_sgpr_kernarg_preload_length 0
		.amdhsa_user_sgpr_kernarg_preload_offset 0
		.amdhsa_user_sgpr_private_segment_size 0
		.amdhsa_uses_dynamic_stack 0
		.amdhsa_enable_private_segment 0
		.amdhsa_system_sgpr_workgroup_id_x 1
		.amdhsa_system_sgpr_workgroup_id_y 0
		.amdhsa_system_sgpr_workgroup_id_z 0
		.amdhsa_system_sgpr_workgroup_info 0
		.amdhsa_system_vgpr_workitem_id 0
		.amdhsa_next_free_vgpr 54
		.amdhsa_next_free_sgpr 100
		.amdhsa_accum_offset 56
		.amdhsa_reserve_vcc 1
		.amdhsa_float_round_mode_32 0
		.amdhsa_float_round_mode_16_64 0
		.amdhsa_float_denorm_mode_32 3
		.amdhsa_float_denorm_mode_16_64 3
		.amdhsa_dx10_clamp 1
		.amdhsa_ieee_mode 1
		.amdhsa_fp16_overflow 0
		.amdhsa_tg_split 0
		.amdhsa_exception_fp_ieee_invalid_op 0
		.amdhsa_exception_fp_denorm_src 0
		.amdhsa_exception_fp_ieee_div_zero 0
		.amdhsa_exception_fp_ieee_overflow 0
		.amdhsa_exception_fp_ieee_underflow 0
		.amdhsa_exception_fp_ieee_inexact 0
		.amdhsa_exception_int_div_zero 0
	.end_amdhsa_kernel
	.section	.text._ZN7rocprim17ROCPRIM_400000_NS6detail17trampoline_kernelINS0_14default_configENS1_20scan_config_selectorIN3c104HalfEEEZZNS1_9scan_implILNS1_25lookback_scan_determinismE0ELb0ELb0ES3_PKS6_PS6_S6_ZZZN2at6native31launch_logcumsumexp_cuda_kernelERKNSD_10TensorBaseESH_lENKUlvE_clEvENKUlvE3_clEvEUlS6_S6_E_S6_EEDaPvRmT3_T4_T5_mT6_P12ihipStream_tbENKUlT_T0_E_clISt17integral_constantIbLb1EESY_EEDaST_SU_EUlST_E0_NS1_11comp_targetILNS1_3genE5ELNS1_11target_archE942ELNS1_3gpuE9ELNS1_3repE0EEENS1_30default_config_static_selectorELNS0_4arch9wavefront6targetE1EEEvT1_,"axG",@progbits,_ZN7rocprim17ROCPRIM_400000_NS6detail17trampoline_kernelINS0_14default_configENS1_20scan_config_selectorIN3c104HalfEEEZZNS1_9scan_implILNS1_25lookback_scan_determinismE0ELb0ELb0ES3_PKS6_PS6_S6_ZZZN2at6native31launch_logcumsumexp_cuda_kernelERKNSD_10TensorBaseESH_lENKUlvE_clEvENKUlvE3_clEvEUlS6_S6_E_S6_EEDaPvRmT3_T4_T5_mT6_P12ihipStream_tbENKUlT_T0_E_clISt17integral_constantIbLb1EESY_EEDaST_SU_EUlST_E0_NS1_11comp_targetILNS1_3genE5ELNS1_11target_archE942ELNS1_3gpuE9ELNS1_3repE0EEENS1_30default_config_static_selectorELNS0_4arch9wavefront6targetE1EEEvT1_,comdat
.Lfunc_end398:
	.size	_ZN7rocprim17ROCPRIM_400000_NS6detail17trampoline_kernelINS0_14default_configENS1_20scan_config_selectorIN3c104HalfEEEZZNS1_9scan_implILNS1_25lookback_scan_determinismE0ELb0ELb0ES3_PKS6_PS6_S6_ZZZN2at6native31launch_logcumsumexp_cuda_kernelERKNSD_10TensorBaseESH_lENKUlvE_clEvENKUlvE3_clEvEUlS6_S6_E_S6_EEDaPvRmT3_T4_T5_mT6_P12ihipStream_tbENKUlT_T0_E_clISt17integral_constantIbLb1EESY_EEDaST_SU_EUlST_E0_NS1_11comp_targetILNS1_3genE5ELNS1_11target_archE942ELNS1_3gpuE9ELNS1_3repE0EEENS1_30default_config_static_selectorELNS0_4arch9wavefront6targetE1EEEvT1_, .Lfunc_end398-_ZN7rocprim17ROCPRIM_400000_NS6detail17trampoline_kernelINS0_14default_configENS1_20scan_config_selectorIN3c104HalfEEEZZNS1_9scan_implILNS1_25lookback_scan_determinismE0ELb0ELb0ES3_PKS6_PS6_S6_ZZZN2at6native31launch_logcumsumexp_cuda_kernelERKNSD_10TensorBaseESH_lENKUlvE_clEvENKUlvE3_clEvEUlS6_S6_E_S6_EEDaPvRmT3_T4_T5_mT6_P12ihipStream_tbENKUlT_T0_E_clISt17integral_constantIbLb1EESY_EEDaST_SU_EUlST_E0_NS1_11comp_targetILNS1_3genE5ELNS1_11target_archE942ELNS1_3gpuE9ELNS1_3repE0EEENS1_30default_config_static_selectorELNS0_4arch9wavefront6targetE1EEEvT1_
                                        ; -- End function
	.section	.AMDGPU.csdata,"",@progbits
; Kernel info:
; codeLenInByte = 51128
; NumSgprs: 106
; NumVgprs: 54
; NumAgprs: 0
; TotalNumVgprs: 54
; ScratchSize: 0
; MemoryBound: 0
; FloatMode: 240
; IeeeMode: 1
; LDSByteSize: 12288 bytes/workgroup (compile time only)
; SGPRBlocks: 13
; VGPRBlocks: 6
; NumSGPRsForWavesPerEU: 106
; NumVGPRsForWavesPerEU: 54
; AccumOffset: 56
; Occupancy: 5
; WaveLimiterHint : 0
; COMPUTE_PGM_RSRC2:SCRATCH_EN: 0
; COMPUTE_PGM_RSRC2:USER_SGPR: 2
; COMPUTE_PGM_RSRC2:TRAP_HANDLER: 0
; COMPUTE_PGM_RSRC2:TGID_X_EN: 1
; COMPUTE_PGM_RSRC2:TGID_Y_EN: 0
; COMPUTE_PGM_RSRC2:TGID_Z_EN: 0
; COMPUTE_PGM_RSRC2:TIDIG_COMP_CNT: 0
; COMPUTE_PGM_RSRC3_GFX90A:ACCUM_OFFSET: 13
; COMPUTE_PGM_RSRC3_GFX90A:TG_SPLIT: 0
	.section	.text._ZN7rocprim17ROCPRIM_400000_NS6detail17trampoline_kernelINS0_14default_configENS1_20scan_config_selectorIN3c104HalfEEEZZNS1_9scan_implILNS1_25lookback_scan_determinismE0ELb0ELb0ES3_PKS6_PS6_S6_ZZZN2at6native31launch_logcumsumexp_cuda_kernelERKNSD_10TensorBaseESH_lENKUlvE_clEvENKUlvE3_clEvEUlS6_S6_E_S6_EEDaPvRmT3_T4_T5_mT6_P12ihipStream_tbENKUlT_T0_E_clISt17integral_constantIbLb1EESY_EEDaST_SU_EUlST_E0_NS1_11comp_targetILNS1_3genE4ELNS1_11target_archE910ELNS1_3gpuE8ELNS1_3repE0EEENS1_30default_config_static_selectorELNS0_4arch9wavefront6targetE1EEEvT1_,"axG",@progbits,_ZN7rocprim17ROCPRIM_400000_NS6detail17trampoline_kernelINS0_14default_configENS1_20scan_config_selectorIN3c104HalfEEEZZNS1_9scan_implILNS1_25lookback_scan_determinismE0ELb0ELb0ES3_PKS6_PS6_S6_ZZZN2at6native31launch_logcumsumexp_cuda_kernelERKNSD_10TensorBaseESH_lENKUlvE_clEvENKUlvE3_clEvEUlS6_S6_E_S6_EEDaPvRmT3_T4_T5_mT6_P12ihipStream_tbENKUlT_T0_E_clISt17integral_constantIbLb1EESY_EEDaST_SU_EUlST_E0_NS1_11comp_targetILNS1_3genE4ELNS1_11target_archE910ELNS1_3gpuE8ELNS1_3repE0EEENS1_30default_config_static_selectorELNS0_4arch9wavefront6targetE1EEEvT1_,comdat
	.globl	_ZN7rocprim17ROCPRIM_400000_NS6detail17trampoline_kernelINS0_14default_configENS1_20scan_config_selectorIN3c104HalfEEEZZNS1_9scan_implILNS1_25lookback_scan_determinismE0ELb0ELb0ES3_PKS6_PS6_S6_ZZZN2at6native31launch_logcumsumexp_cuda_kernelERKNSD_10TensorBaseESH_lENKUlvE_clEvENKUlvE3_clEvEUlS6_S6_E_S6_EEDaPvRmT3_T4_T5_mT6_P12ihipStream_tbENKUlT_T0_E_clISt17integral_constantIbLb1EESY_EEDaST_SU_EUlST_E0_NS1_11comp_targetILNS1_3genE4ELNS1_11target_archE910ELNS1_3gpuE8ELNS1_3repE0EEENS1_30default_config_static_selectorELNS0_4arch9wavefront6targetE1EEEvT1_ ; -- Begin function _ZN7rocprim17ROCPRIM_400000_NS6detail17trampoline_kernelINS0_14default_configENS1_20scan_config_selectorIN3c104HalfEEEZZNS1_9scan_implILNS1_25lookback_scan_determinismE0ELb0ELb0ES3_PKS6_PS6_S6_ZZZN2at6native31launch_logcumsumexp_cuda_kernelERKNSD_10TensorBaseESH_lENKUlvE_clEvENKUlvE3_clEvEUlS6_S6_E_S6_EEDaPvRmT3_T4_T5_mT6_P12ihipStream_tbENKUlT_T0_E_clISt17integral_constantIbLb1EESY_EEDaST_SU_EUlST_E0_NS1_11comp_targetILNS1_3genE4ELNS1_11target_archE910ELNS1_3gpuE8ELNS1_3repE0EEENS1_30default_config_static_selectorELNS0_4arch9wavefront6targetE1EEEvT1_
	.p2align	8
	.type	_ZN7rocprim17ROCPRIM_400000_NS6detail17trampoline_kernelINS0_14default_configENS1_20scan_config_selectorIN3c104HalfEEEZZNS1_9scan_implILNS1_25lookback_scan_determinismE0ELb0ELb0ES3_PKS6_PS6_S6_ZZZN2at6native31launch_logcumsumexp_cuda_kernelERKNSD_10TensorBaseESH_lENKUlvE_clEvENKUlvE3_clEvEUlS6_S6_E_S6_EEDaPvRmT3_T4_T5_mT6_P12ihipStream_tbENKUlT_T0_E_clISt17integral_constantIbLb1EESY_EEDaST_SU_EUlST_E0_NS1_11comp_targetILNS1_3genE4ELNS1_11target_archE910ELNS1_3gpuE8ELNS1_3repE0EEENS1_30default_config_static_selectorELNS0_4arch9wavefront6targetE1EEEvT1_,@function
_ZN7rocprim17ROCPRIM_400000_NS6detail17trampoline_kernelINS0_14default_configENS1_20scan_config_selectorIN3c104HalfEEEZZNS1_9scan_implILNS1_25lookback_scan_determinismE0ELb0ELb0ES3_PKS6_PS6_S6_ZZZN2at6native31launch_logcumsumexp_cuda_kernelERKNSD_10TensorBaseESH_lENKUlvE_clEvENKUlvE3_clEvEUlS6_S6_E_S6_EEDaPvRmT3_T4_T5_mT6_P12ihipStream_tbENKUlT_T0_E_clISt17integral_constantIbLb1EESY_EEDaST_SU_EUlST_E0_NS1_11comp_targetILNS1_3genE4ELNS1_11target_archE910ELNS1_3gpuE8ELNS1_3repE0EEENS1_30default_config_static_selectorELNS0_4arch9wavefront6targetE1EEEvT1_: ; @_ZN7rocprim17ROCPRIM_400000_NS6detail17trampoline_kernelINS0_14default_configENS1_20scan_config_selectorIN3c104HalfEEEZZNS1_9scan_implILNS1_25lookback_scan_determinismE0ELb0ELb0ES3_PKS6_PS6_S6_ZZZN2at6native31launch_logcumsumexp_cuda_kernelERKNSD_10TensorBaseESH_lENKUlvE_clEvENKUlvE3_clEvEUlS6_S6_E_S6_EEDaPvRmT3_T4_T5_mT6_P12ihipStream_tbENKUlT_T0_E_clISt17integral_constantIbLb1EESY_EEDaST_SU_EUlST_E0_NS1_11comp_targetILNS1_3genE4ELNS1_11target_archE910ELNS1_3gpuE8ELNS1_3repE0EEENS1_30default_config_static_selectorELNS0_4arch9wavefront6targetE1EEEvT1_
; %bb.0:
	.section	.rodata,"a",@progbits
	.p2align	6, 0x0
	.amdhsa_kernel _ZN7rocprim17ROCPRIM_400000_NS6detail17trampoline_kernelINS0_14default_configENS1_20scan_config_selectorIN3c104HalfEEEZZNS1_9scan_implILNS1_25lookback_scan_determinismE0ELb0ELb0ES3_PKS6_PS6_S6_ZZZN2at6native31launch_logcumsumexp_cuda_kernelERKNSD_10TensorBaseESH_lENKUlvE_clEvENKUlvE3_clEvEUlS6_S6_E_S6_EEDaPvRmT3_T4_T5_mT6_P12ihipStream_tbENKUlT_T0_E_clISt17integral_constantIbLb1EESY_EEDaST_SU_EUlST_E0_NS1_11comp_targetILNS1_3genE4ELNS1_11target_archE910ELNS1_3gpuE8ELNS1_3repE0EEENS1_30default_config_static_selectorELNS0_4arch9wavefront6targetE1EEEvT1_
		.amdhsa_group_segment_fixed_size 0
		.amdhsa_private_segment_fixed_size 0
		.amdhsa_kernarg_size 32
		.amdhsa_user_sgpr_count 2
		.amdhsa_user_sgpr_dispatch_ptr 0
		.amdhsa_user_sgpr_queue_ptr 0
		.amdhsa_user_sgpr_kernarg_segment_ptr 1
		.amdhsa_user_sgpr_dispatch_id 0
		.amdhsa_user_sgpr_kernarg_preload_length 0
		.amdhsa_user_sgpr_kernarg_preload_offset 0
		.amdhsa_user_sgpr_private_segment_size 0
		.amdhsa_uses_dynamic_stack 0
		.amdhsa_enable_private_segment 0
		.amdhsa_system_sgpr_workgroup_id_x 1
		.amdhsa_system_sgpr_workgroup_id_y 0
		.amdhsa_system_sgpr_workgroup_id_z 0
		.amdhsa_system_sgpr_workgroup_info 0
		.amdhsa_system_vgpr_workitem_id 0
		.amdhsa_next_free_vgpr 1
		.amdhsa_next_free_sgpr 0
		.amdhsa_accum_offset 4
		.amdhsa_reserve_vcc 0
		.amdhsa_float_round_mode_32 0
		.amdhsa_float_round_mode_16_64 0
		.amdhsa_float_denorm_mode_32 3
		.amdhsa_float_denorm_mode_16_64 3
		.amdhsa_dx10_clamp 1
		.amdhsa_ieee_mode 1
		.amdhsa_fp16_overflow 0
		.amdhsa_tg_split 0
		.amdhsa_exception_fp_ieee_invalid_op 0
		.amdhsa_exception_fp_denorm_src 0
		.amdhsa_exception_fp_ieee_div_zero 0
		.amdhsa_exception_fp_ieee_overflow 0
		.amdhsa_exception_fp_ieee_underflow 0
		.amdhsa_exception_fp_ieee_inexact 0
		.amdhsa_exception_int_div_zero 0
	.end_amdhsa_kernel
	.section	.text._ZN7rocprim17ROCPRIM_400000_NS6detail17trampoline_kernelINS0_14default_configENS1_20scan_config_selectorIN3c104HalfEEEZZNS1_9scan_implILNS1_25lookback_scan_determinismE0ELb0ELb0ES3_PKS6_PS6_S6_ZZZN2at6native31launch_logcumsumexp_cuda_kernelERKNSD_10TensorBaseESH_lENKUlvE_clEvENKUlvE3_clEvEUlS6_S6_E_S6_EEDaPvRmT3_T4_T5_mT6_P12ihipStream_tbENKUlT_T0_E_clISt17integral_constantIbLb1EESY_EEDaST_SU_EUlST_E0_NS1_11comp_targetILNS1_3genE4ELNS1_11target_archE910ELNS1_3gpuE8ELNS1_3repE0EEENS1_30default_config_static_selectorELNS0_4arch9wavefront6targetE1EEEvT1_,"axG",@progbits,_ZN7rocprim17ROCPRIM_400000_NS6detail17trampoline_kernelINS0_14default_configENS1_20scan_config_selectorIN3c104HalfEEEZZNS1_9scan_implILNS1_25lookback_scan_determinismE0ELb0ELb0ES3_PKS6_PS6_S6_ZZZN2at6native31launch_logcumsumexp_cuda_kernelERKNSD_10TensorBaseESH_lENKUlvE_clEvENKUlvE3_clEvEUlS6_S6_E_S6_EEDaPvRmT3_T4_T5_mT6_P12ihipStream_tbENKUlT_T0_E_clISt17integral_constantIbLb1EESY_EEDaST_SU_EUlST_E0_NS1_11comp_targetILNS1_3genE4ELNS1_11target_archE910ELNS1_3gpuE8ELNS1_3repE0EEENS1_30default_config_static_selectorELNS0_4arch9wavefront6targetE1EEEvT1_,comdat
.Lfunc_end399:
	.size	_ZN7rocprim17ROCPRIM_400000_NS6detail17trampoline_kernelINS0_14default_configENS1_20scan_config_selectorIN3c104HalfEEEZZNS1_9scan_implILNS1_25lookback_scan_determinismE0ELb0ELb0ES3_PKS6_PS6_S6_ZZZN2at6native31launch_logcumsumexp_cuda_kernelERKNSD_10TensorBaseESH_lENKUlvE_clEvENKUlvE3_clEvEUlS6_S6_E_S6_EEDaPvRmT3_T4_T5_mT6_P12ihipStream_tbENKUlT_T0_E_clISt17integral_constantIbLb1EESY_EEDaST_SU_EUlST_E0_NS1_11comp_targetILNS1_3genE4ELNS1_11target_archE910ELNS1_3gpuE8ELNS1_3repE0EEENS1_30default_config_static_selectorELNS0_4arch9wavefront6targetE1EEEvT1_, .Lfunc_end399-_ZN7rocprim17ROCPRIM_400000_NS6detail17trampoline_kernelINS0_14default_configENS1_20scan_config_selectorIN3c104HalfEEEZZNS1_9scan_implILNS1_25lookback_scan_determinismE0ELb0ELb0ES3_PKS6_PS6_S6_ZZZN2at6native31launch_logcumsumexp_cuda_kernelERKNSD_10TensorBaseESH_lENKUlvE_clEvENKUlvE3_clEvEUlS6_S6_E_S6_EEDaPvRmT3_T4_T5_mT6_P12ihipStream_tbENKUlT_T0_E_clISt17integral_constantIbLb1EESY_EEDaST_SU_EUlST_E0_NS1_11comp_targetILNS1_3genE4ELNS1_11target_archE910ELNS1_3gpuE8ELNS1_3repE0EEENS1_30default_config_static_selectorELNS0_4arch9wavefront6targetE1EEEvT1_
                                        ; -- End function
	.section	.AMDGPU.csdata,"",@progbits
; Kernel info:
; codeLenInByte = 0
; NumSgprs: 6
; NumVgprs: 0
; NumAgprs: 0
; TotalNumVgprs: 0
; ScratchSize: 0
; MemoryBound: 0
; FloatMode: 240
; IeeeMode: 1
; LDSByteSize: 0 bytes/workgroup (compile time only)
; SGPRBlocks: 0
; VGPRBlocks: 0
; NumSGPRsForWavesPerEU: 6
; NumVGPRsForWavesPerEU: 1
; AccumOffset: 4
; Occupancy: 8
; WaveLimiterHint : 0
; COMPUTE_PGM_RSRC2:SCRATCH_EN: 0
; COMPUTE_PGM_RSRC2:USER_SGPR: 2
; COMPUTE_PGM_RSRC2:TRAP_HANDLER: 0
; COMPUTE_PGM_RSRC2:TGID_X_EN: 1
; COMPUTE_PGM_RSRC2:TGID_Y_EN: 0
; COMPUTE_PGM_RSRC2:TGID_Z_EN: 0
; COMPUTE_PGM_RSRC2:TIDIG_COMP_CNT: 0
; COMPUTE_PGM_RSRC3_GFX90A:ACCUM_OFFSET: 0
; COMPUTE_PGM_RSRC3_GFX90A:TG_SPLIT: 0
	.section	.text._ZN7rocprim17ROCPRIM_400000_NS6detail17trampoline_kernelINS0_14default_configENS1_20scan_config_selectorIN3c104HalfEEEZZNS1_9scan_implILNS1_25lookback_scan_determinismE0ELb0ELb0ES3_PKS6_PS6_S6_ZZZN2at6native31launch_logcumsumexp_cuda_kernelERKNSD_10TensorBaseESH_lENKUlvE_clEvENKUlvE3_clEvEUlS6_S6_E_S6_EEDaPvRmT3_T4_T5_mT6_P12ihipStream_tbENKUlT_T0_E_clISt17integral_constantIbLb1EESY_EEDaST_SU_EUlST_E0_NS1_11comp_targetILNS1_3genE3ELNS1_11target_archE908ELNS1_3gpuE7ELNS1_3repE0EEENS1_30default_config_static_selectorELNS0_4arch9wavefront6targetE1EEEvT1_,"axG",@progbits,_ZN7rocprim17ROCPRIM_400000_NS6detail17trampoline_kernelINS0_14default_configENS1_20scan_config_selectorIN3c104HalfEEEZZNS1_9scan_implILNS1_25lookback_scan_determinismE0ELb0ELb0ES3_PKS6_PS6_S6_ZZZN2at6native31launch_logcumsumexp_cuda_kernelERKNSD_10TensorBaseESH_lENKUlvE_clEvENKUlvE3_clEvEUlS6_S6_E_S6_EEDaPvRmT3_T4_T5_mT6_P12ihipStream_tbENKUlT_T0_E_clISt17integral_constantIbLb1EESY_EEDaST_SU_EUlST_E0_NS1_11comp_targetILNS1_3genE3ELNS1_11target_archE908ELNS1_3gpuE7ELNS1_3repE0EEENS1_30default_config_static_selectorELNS0_4arch9wavefront6targetE1EEEvT1_,comdat
	.globl	_ZN7rocprim17ROCPRIM_400000_NS6detail17trampoline_kernelINS0_14default_configENS1_20scan_config_selectorIN3c104HalfEEEZZNS1_9scan_implILNS1_25lookback_scan_determinismE0ELb0ELb0ES3_PKS6_PS6_S6_ZZZN2at6native31launch_logcumsumexp_cuda_kernelERKNSD_10TensorBaseESH_lENKUlvE_clEvENKUlvE3_clEvEUlS6_S6_E_S6_EEDaPvRmT3_T4_T5_mT6_P12ihipStream_tbENKUlT_T0_E_clISt17integral_constantIbLb1EESY_EEDaST_SU_EUlST_E0_NS1_11comp_targetILNS1_3genE3ELNS1_11target_archE908ELNS1_3gpuE7ELNS1_3repE0EEENS1_30default_config_static_selectorELNS0_4arch9wavefront6targetE1EEEvT1_ ; -- Begin function _ZN7rocprim17ROCPRIM_400000_NS6detail17trampoline_kernelINS0_14default_configENS1_20scan_config_selectorIN3c104HalfEEEZZNS1_9scan_implILNS1_25lookback_scan_determinismE0ELb0ELb0ES3_PKS6_PS6_S6_ZZZN2at6native31launch_logcumsumexp_cuda_kernelERKNSD_10TensorBaseESH_lENKUlvE_clEvENKUlvE3_clEvEUlS6_S6_E_S6_EEDaPvRmT3_T4_T5_mT6_P12ihipStream_tbENKUlT_T0_E_clISt17integral_constantIbLb1EESY_EEDaST_SU_EUlST_E0_NS1_11comp_targetILNS1_3genE3ELNS1_11target_archE908ELNS1_3gpuE7ELNS1_3repE0EEENS1_30default_config_static_selectorELNS0_4arch9wavefront6targetE1EEEvT1_
	.p2align	8
	.type	_ZN7rocprim17ROCPRIM_400000_NS6detail17trampoline_kernelINS0_14default_configENS1_20scan_config_selectorIN3c104HalfEEEZZNS1_9scan_implILNS1_25lookback_scan_determinismE0ELb0ELb0ES3_PKS6_PS6_S6_ZZZN2at6native31launch_logcumsumexp_cuda_kernelERKNSD_10TensorBaseESH_lENKUlvE_clEvENKUlvE3_clEvEUlS6_S6_E_S6_EEDaPvRmT3_T4_T5_mT6_P12ihipStream_tbENKUlT_T0_E_clISt17integral_constantIbLb1EESY_EEDaST_SU_EUlST_E0_NS1_11comp_targetILNS1_3genE3ELNS1_11target_archE908ELNS1_3gpuE7ELNS1_3repE0EEENS1_30default_config_static_selectorELNS0_4arch9wavefront6targetE1EEEvT1_,@function
_ZN7rocprim17ROCPRIM_400000_NS6detail17trampoline_kernelINS0_14default_configENS1_20scan_config_selectorIN3c104HalfEEEZZNS1_9scan_implILNS1_25lookback_scan_determinismE0ELb0ELb0ES3_PKS6_PS6_S6_ZZZN2at6native31launch_logcumsumexp_cuda_kernelERKNSD_10TensorBaseESH_lENKUlvE_clEvENKUlvE3_clEvEUlS6_S6_E_S6_EEDaPvRmT3_T4_T5_mT6_P12ihipStream_tbENKUlT_T0_E_clISt17integral_constantIbLb1EESY_EEDaST_SU_EUlST_E0_NS1_11comp_targetILNS1_3genE3ELNS1_11target_archE908ELNS1_3gpuE7ELNS1_3repE0EEENS1_30default_config_static_selectorELNS0_4arch9wavefront6targetE1EEEvT1_: ; @_ZN7rocprim17ROCPRIM_400000_NS6detail17trampoline_kernelINS0_14default_configENS1_20scan_config_selectorIN3c104HalfEEEZZNS1_9scan_implILNS1_25lookback_scan_determinismE0ELb0ELb0ES3_PKS6_PS6_S6_ZZZN2at6native31launch_logcumsumexp_cuda_kernelERKNSD_10TensorBaseESH_lENKUlvE_clEvENKUlvE3_clEvEUlS6_S6_E_S6_EEDaPvRmT3_T4_T5_mT6_P12ihipStream_tbENKUlT_T0_E_clISt17integral_constantIbLb1EESY_EEDaST_SU_EUlST_E0_NS1_11comp_targetILNS1_3genE3ELNS1_11target_archE908ELNS1_3gpuE7ELNS1_3repE0EEENS1_30default_config_static_selectorELNS0_4arch9wavefront6targetE1EEEvT1_
; %bb.0:
	.section	.rodata,"a",@progbits
	.p2align	6, 0x0
	.amdhsa_kernel _ZN7rocprim17ROCPRIM_400000_NS6detail17trampoline_kernelINS0_14default_configENS1_20scan_config_selectorIN3c104HalfEEEZZNS1_9scan_implILNS1_25lookback_scan_determinismE0ELb0ELb0ES3_PKS6_PS6_S6_ZZZN2at6native31launch_logcumsumexp_cuda_kernelERKNSD_10TensorBaseESH_lENKUlvE_clEvENKUlvE3_clEvEUlS6_S6_E_S6_EEDaPvRmT3_T4_T5_mT6_P12ihipStream_tbENKUlT_T0_E_clISt17integral_constantIbLb1EESY_EEDaST_SU_EUlST_E0_NS1_11comp_targetILNS1_3genE3ELNS1_11target_archE908ELNS1_3gpuE7ELNS1_3repE0EEENS1_30default_config_static_selectorELNS0_4arch9wavefront6targetE1EEEvT1_
		.amdhsa_group_segment_fixed_size 0
		.amdhsa_private_segment_fixed_size 0
		.amdhsa_kernarg_size 32
		.amdhsa_user_sgpr_count 2
		.amdhsa_user_sgpr_dispatch_ptr 0
		.amdhsa_user_sgpr_queue_ptr 0
		.amdhsa_user_sgpr_kernarg_segment_ptr 1
		.amdhsa_user_sgpr_dispatch_id 0
		.amdhsa_user_sgpr_kernarg_preload_length 0
		.amdhsa_user_sgpr_kernarg_preload_offset 0
		.amdhsa_user_sgpr_private_segment_size 0
		.amdhsa_uses_dynamic_stack 0
		.amdhsa_enable_private_segment 0
		.amdhsa_system_sgpr_workgroup_id_x 1
		.amdhsa_system_sgpr_workgroup_id_y 0
		.amdhsa_system_sgpr_workgroup_id_z 0
		.amdhsa_system_sgpr_workgroup_info 0
		.amdhsa_system_vgpr_workitem_id 0
		.amdhsa_next_free_vgpr 1
		.amdhsa_next_free_sgpr 0
		.amdhsa_accum_offset 4
		.amdhsa_reserve_vcc 0
		.amdhsa_float_round_mode_32 0
		.amdhsa_float_round_mode_16_64 0
		.amdhsa_float_denorm_mode_32 3
		.amdhsa_float_denorm_mode_16_64 3
		.amdhsa_dx10_clamp 1
		.amdhsa_ieee_mode 1
		.amdhsa_fp16_overflow 0
		.amdhsa_tg_split 0
		.amdhsa_exception_fp_ieee_invalid_op 0
		.amdhsa_exception_fp_denorm_src 0
		.amdhsa_exception_fp_ieee_div_zero 0
		.amdhsa_exception_fp_ieee_overflow 0
		.amdhsa_exception_fp_ieee_underflow 0
		.amdhsa_exception_fp_ieee_inexact 0
		.amdhsa_exception_int_div_zero 0
	.end_amdhsa_kernel
	.section	.text._ZN7rocprim17ROCPRIM_400000_NS6detail17trampoline_kernelINS0_14default_configENS1_20scan_config_selectorIN3c104HalfEEEZZNS1_9scan_implILNS1_25lookback_scan_determinismE0ELb0ELb0ES3_PKS6_PS6_S6_ZZZN2at6native31launch_logcumsumexp_cuda_kernelERKNSD_10TensorBaseESH_lENKUlvE_clEvENKUlvE3_clEvEUlS6_S6_E_S6_EEDaPvRmT3_T4_T5_mT6_P12ihipStream_tbENKUlT_T0_E_clISt17integral_constantIbLb1EESY_EEDaST_SU_EUlST_E0_NS1_11comp_targetILNS1_3genE3ELNS1_11target_archE908ELNS1_3gpuE7ELNS1_3repE0EEENS1_30default_config_static_selectorELNS0_4arch9wavefront6targetE1EEEvT1_,"axG",@progbits,_ZN7rocprim17ROCPRIM_400000_NS6detail17trampoline_kernelINS0_14default_configENS1_20scan_config_selectorIN3c104HalfEEEZZNS1_9scan_implILNS1_25lookback_scan_determinismE0ELb0ELb0ES3_PKS6_PS6_S6_ZZZN2at6native31launch_logcumsumexp_cuda_kernelERKNSD_10TensorBaseESH_lENKUlvE_clEvENKUlvE3_clEvEUlS6_S6_E_S6_EEDaPvRmT3_T4_T5_mT6_P12ihipStream_tbENKUlT_T0_E_clISt17integral_constantIbLb1EESY_EEDaST_SU_EUlST_E0_NS1_11comp_targetILNS1_3genE3ELNS1_11target_archE908ELNS1_3gpuE7ELNS1_3repE0EEENS1_30default_config_static_selectorELNS0_4arch9wavefront6targetE1EEEvT1_,comdat
.Lfunc_end400:
	.size	_ZN7rocprim17ROCPRIM_400000_NS6detail17trampoline_kernelINS0_14default_configENS1_20scan_config_selectorIN3c104HalfEEEZZNS1_9scan_implILNS1_25lookback_scan_determinismE0ELb0ELb0ES3_PKS6_PS6_S6_ZZZN2at6native31launch_logcumsumexp_cuda_kernelERKNSD_10TensorBaseESH_lENKUlvE_clEvENKUlvE3_clEvEUlS6_S6_E_S6_EEDaPvRmT3_T4_T5_mT6_P12ihipStream_tbENKUlT_T0_E_clISt17integral_constantIbLb1EESY_EEDaST_SU_EUlST_E0_NS1_11comp_targetILNS1_3genE3ELNS1_11target_archE908ELNS1_3gpuE7ELNS1_3repE0EEENS1_30default_config_static_selectorELNS0_4arch9wavefront6targetE1EEEvT1_, .Lfunc_end400-_ZN7rocprim17ROCPRIM_400000_NS6detail17trampoline_kernelINS0_14default_configENS1_20scan_config_selectorIN3c104HalfEEEZZNS1_9scan_implILNS1_25lookback_scan_determinismE0ELb0ELb0ES3_PKS6_PS6_S6_ZZZN2at6native31launch_logcumsumexp_cuda_kernelERKNSD_10TensorBaseESH_lENKUlvE_clEvENKUlvE3_clEvEUlS6_S6_E_S6_EEDaPvRmT3_T4_T5_mT6_P12ihipStream_tbENKUlT_T0_E_clISt17integral_constantIbLb1EESY_EEDaST_SU_EUlST_E0_NS1_11comp_targetILNS1_3genE3ELNS1_11target_archE908ELNS1_3gpuE7ELNS1_3repE0EEENS1_30default_config_static_selectorELNS0_4arch9wavefront6targetE1EEEvT1_
                                        ; -- End function
	.section	.AMDGPU.csdata,"",@progbits
; Kernel info:
; codeLenInByte = 0
; NumSgprs: 6
; NumVgprs: 0
; NumAgprs: 0
; TotalNumVgprs: 0
; ScratchSize: 0
; MemoryBound: 0
; FloatMode: 240
; IeeeMode: 1
; LDSByteSize: 0 bytes/workgroup (compile time only)
; SGPRBlocks: 0
; VGPRBlocks: 0
; NumSGPRsForWavesPerEU: 6
; NumVGPRsForWavesPerEU: 1
; AccumOffset: 4
; Occupancy: 8
; WaveLimiterHint : 0
; COMPUTE_PGM_RSRC2:SCRATCH_EN: 0
; COMPUTE_PGM_RSRC2:USER_SGPR: 2
; COMPUTE_PGM_RSRC2:TRAP_HANDLER: 0
; COMPUTE_PGM_RSRC2:TGID_X_EN: 1
; COMPUTE_PGM_RSRC2:TGID_Y_EN: 0
; COMPUTE_PGM_RSRC2:TGID_Z_EN: 0
; COMPUTE_PGM_RSRC2:TIDIG_COMP_CNT: 0
; COMPUTE_PGM_RSRC3_GFX90A:ACCUM_OFFSET: 0
; COMPUTE_PGM_RSRC3_GFX90A:TG_SPLIT: 0
	.section	.text._ZN7rocprim17ROCPRIM_400000_NS6detail17trampoline_kernelINS0_14default_configENS1_20scan_config_selectorIN3c104HalfEEEZZNS1_9scan_implILNS1_25lookback_scan_determinismE0ELb0ELb0ES3_PKS6_PS6_S6_ZZZN2at6native31launch_logcumsumexp_cuda_kernelERKNSD_10TensorBaseESH_lENKUlvE_clEvENKUlvE3_clEvEUlS6_S6_E_S6_EEDaPvRmT3_T4_T5_mT6_P12ihipStream_tbENKUlT_T0_E_clISt17integral_constantIbLb1EESY_EEDaST_SU_EUlST_E0_NS1_11comp_targetILNS1_3genE2ELNS1_11target_archE906ELNS1_3gpuE6ELNS1_3repE0EEENS1_30default_config_static_selectorELNS0_4arch9wavefront6targetE1EEEvT1_,"axG",@progbits,_ZN7rocprim17ROCPRIM_400000_NS6detail17trampoline_kernelINS0_14default_configENS1_20scan_config_selectorIN3c104HalfEEEZZNS1_9scan_implILNS1_25lookback_scan_determinismE0ELb0ELb0ES3_PKS6_PS6_S6_ZZZN2at6native31launch_logcumsumexp_cuda_kernelERKNSD_10TensorBaseESH_lENKUlvE_clEvENKUlvE3_clEvEUlS6_S6_E_S6_EEDaPvRmT3_T4_T5_mT6_P12ihipStream_tbENKUlT_T0_E_clISt17integral_constantIbLb1EESY_EEDaST_SU_EUlST_E0_NS1_11comp_targetILNS1_3genE2ELNS1_11target_archE906ELNS1_3gpuE6ELNS1_3repE0EEENS1_30default_config_static_selectorELNS0_4arch9wavefront6targetE1EEEvT1_,comdat
	.globl	_ZN7rocprim17ROCPRIM_400000_NS6detail17trampoline_kernelINS0_14default_configENS1_20scan_config_selectorIN3c104HalfEEEZZNS1_9scan_implILNS1_25lookback_scan_determinismE0ELb0ELb0ES3_PKS6_PS6_S6_ZZZN2at6native31launch_logcumsumexp_cuda_kernelERKNSD_10TensorBaseESH_lENKUlvE_clEvENKUlvE3_clEvEUlS6_S6_E_S6_EEDaPvRmT3_T4_T5_mT6_P12ihipStream_tbENKUlT_T0_E_clISt17integral_constantIbLb1EESY_EEDaST_SU_EUlST_E0_NS1_11comp_targetILNS1_3genE2ELNS1_11target_archE906ELNS1_3gpuE6ELNS1_3repE0EEENS1_30default_config_static_selectorELNS0_4arch9wavefront6targetE1EEEvT1_ ; -- Begin function _ZN7rocprim17ROCPRIM_400000_NS6detail17trampoline_kernelINS0_14default_configENS1_20scan_config_selectorIN3c104HalfEEEZZNS1_9scan_implILNS1_25lookback_scan_determinismE0ELb0ELb0ES3_PKS6_PS6_S6_ZZZN2at6native31launch_logcumsumexp_cuda_kernelERKNSD_10TensorBaseESH_lENKUlvE_clEvENKUlvE3_clEvEUlS6_S6_E_S6_EEDaPvRmT3_T4_T5_mT6_P12ihipStream_tbENKUlT_T0_E_clISt17integral_constantIbLb1EESY_EEDaST_SU_EUlST_E0_NS1_11comp_targetILNS1_3genE2ELNS1_11target_archE906ELNS1_3gpuE6ELNS1_3repE0EEENS1_30default_config_static_selectorELNS0_4arch9wavefront6targetE1EEEvT1_
	.p2align	8
	.type	_ZN7rocprim17ROCPRIM_400000_NS6detail17trampoline_kernelINS0_14default_configENS1_20scan_config_selectorIN3c104HalfEEEZZNS1_9scan_implILNS1_25lookback_scan_determinismE0ELb0ELb0ES3_PKS6_PS6_S6_ZZZN2at6native31launch_logcumsumexp_cuda_kernelERKNSD_10TensorBaseESH_lENKUlvE_clEvENKUlvE3_clEvEUlS6_S6_E_S6_EEDaPvRmT3_T4_T5_mT6_P12ihipStream_tbENKUlT_T0_E_clISt17integral_constantIbLb1EESY_EEDaST_SU_EUlST_E0_NS1_11comp_targetILNS1_3genE2ELNS1_11target_archE906ELNS1_3gpuE6ELNS1_3repE0EEENS1_30default_config_static_selectorELNS0_4arch9wavefront6targetE1EEEvT1_,@function
_ZN7rocprim17ROCPRIM_400000_NS6detail17trampoline_kernelINS0_14default_configENS1_20scan_config_selectorIN3c104HalfEEEZZNS1_9scan_implILNS1_25lookback_scan_determinismE0ELb0ELb0ES3_PKS6_PS6_S6_ZZZN2at6native31launch_logcumsumexp_cuda_kernelERKNSD_10TensorBaseESH_lENKUlvE_clEvENKUlvE3_clEvEUlS6_S6_E_S6_EEDaPvRmT3_T4_T5_mT6_P12ihipStream_tbENKUlT_T0_E_clISt17integral_constantIbLb1EESY_EEDaST_SU_EUlST_E0_NS1_11comp_targetILNS1_3genE2ELNS1_11target_archE906ELNS1_3gpuE6ELNS1_3repE0EEENS1_30default_config_static_selectorELNS0_4arch9wavefront6targetE1EEEvT1_: ; @_ZN7rocprim17ROCPRIM_400000_NS6detail17trampoline_kernelINS0_14default_configENS1_20scan_config_selectorIN3c104HalfEEEZZNS1_9scan_implILNS1_25lookback_scan_determinismE0ELb0ELb0ES3_PKS6_PS6_S6_ZZZN2at6native31launch_logcumsumexp_cuda_kernelERKNSD_10TensorBaseESH_lENKUlvE_clEvENKUlvE3_clEvEUlS6_S6_E_S6_EEDaPvRmT3_T4_T5_mT6_P12ihipStream_tbENKUlT_T0_E_clISt17integral_constantIbLb1EESY_EEDaST_SU_EUlST_E0_NS1_11comp_targetILNS1_3genE2ELNS1_11target_archE906ELNS1_3gpuE6ELNS1_3repE0EEENS1_30default_config_static_selectorELNS0_4arch9wavefront6targetE1EEEvT1_
; %bb.0:
	.section	.rodata,"a",@progbits
	.p2align	6, 0x0
	.amdhsa_kernel _ZN7rocprim17ROCPRIM_400000_NS6detail17trampoline_kernelINS0_14default_configENS1_20scan_config_selectorIN3c104HalfEEEZZNS1_9scan_implILNS1_25lookback_scan_determinismE0ELb0ELb0ES3_PKS6_PS6_S6_ZZZN2at6native31launch_logcumsumexp_cuda_kernelERKNSD_10TensorBaseESH_lENKUlvE_clEvENKUlvE3_clEvEUlS6_S6_E_S6_EEDaPvRmT3_T4_T5_mT6_P12ihipStream_tbENKUlT_T0_E_clISt17integral_constantIbLb1EESY_EEDaST_SU_EUlST_E0_NS1_11comp_targetILNS1_3genE2ELNS1_11target_archE906ELNS1_3gpuE6ELNS1_3repE0EEENS1_30default_config_static_selectorELNS0_4arch9wavefront6targetE1EEEvT1_
		.amdhsa_group_segment_fixed_size 0
		.amdhsa_private_segment_fixed_size 0
		.amdhsa_kernarg_size 32
		.amdhsa_user_sgpr_count 2
		.amdhsa_user_sgpr_dispatch_ptr 0
		.amdhsa_user_sgpr_queue_ptr 0
		.amdhsa_user_sgpr_kernarg_segment_ptr 1
		.amdhsa_user_sgpr_dispatch_id 0
		.amdhsa_user_sgpr_kernarg_preload_length 0
		.amdhsa_user_sgpr_kernarg_preload_offset 0
		.amdhsa_user_sgpr_private_segment_size 0
		.amdhsa_uses_dynamic_stack 0
		.amdhsa_enable_private_segment 0
		.amdhsa_system_sgpr_workgroup_id_x 1
		.amdhsa_system_sgpr_workgroup_id_y 0
		.amdhsa_system_sgpr_workgroup_id_z 0
		.amdhsa_system_sgpr_workgroup_info 0
		.amdhsa_system_vgpr_workitem_id 0
		.amdhsa_next_free_vgpr 1
		.amdhsa_next_free_sgpr 0
		.amdhsa_accum_offset 4
		.amdhsa_reserve_vcc 0
		.amdhsa_float_round_mode_32 0
		.amdhsa_float_round_mode_16_64 0
		.amdhsa_float_denorm_mode_32 3
		.amdhsa_float_denorm_mode_16_64 3
		.amdhsa_dx10_clamp 1
		.amdhsa_ieee_mode 1
		.amdhsa_fp16_overflow 0
		.amdhsa_tg_split 0
		.amdhsa_exception_fp_ieee_invalid_op 0
		.amdhsa_exception_fp_denorm_src 0
		.amdhsa_exception_fp_ieee_div_zero 0
		.amdhsa_exception_fp_ieee_overflow 0
		.amdhsa_exception_fp_ieee_underflow 0
		.amdhsa_exception_fp_ieee_inexact 0
		.amdhsa_exception_int_div_zero 0
	.end_amdhsa_kernel
	.section	.text._ZN7rocprim17ROCPRIM_400000_NS6detail17trampoline_kernelINS0_14default_configENS1_20scan_config_selectorIN3c104HalfEEEZZNS1_9scan_implILNS1_25lookback_scan_determinismE0ELb0ELb0ES3_PKS6_PS6_S6_ZZZN2at6native31launch_logcumsumexp_cuda_kernelERKNSD_10TensorBaseESH_lENKUlvE_clEvENKUlvE3_clEvEUlS6_S6_E_S6_EEDaPvRmT3_T4_T5_mT6_P12ihipStream_tbENKUlT_T0_E_clISt17integral_constantIbLb1EESY_EEDaST_SU_EUlST_E0_NS1_11comp_targetILNS1_3genE2ELNS1_11target_archE906ELNS1_3gpuE6ELNS1_3repE0EEENS1_30default_config_static_selectorELNS0_4arch9wavefront6targetE1EEEvT1_,"axG",@progbits,_ZN7rocprim17ROCPRIM_400000_NS6detail17trampoline_kernelINS0_14default_configENS1_20scan_config_selectorIN3c104HalfEEEZZNS1_9scan_implILNS1_25lookback_scan_determinismE0ELb0ELb0ES3_PKS6_PS6_S6_ZZZN2at6native31launch_logcumsumexp_cuda_kernelERKNSD_10TensorBaseESH_lENKUlvE_clEvENKUlvE3_clEvEUlS6_S6_E_S6_EEDaPvRmT3_T4_T5_mT6_P12ihipStream_tbENKUlT_T0_E_clISt17integral_constantIbLb1EESY_EEDaST_SU_EUlST_E0_NS1_11comp_targetILNS1_3genE2ELNS1_11target_archE906ELNS1_3gpuE6ELNS1_3repE0EEENS1_30default_config_static_selectorELNS0_4arch9wavefront6targetE1EEEvT1_,comdat
.Lfunc_end401:
	.size	_ZN7rocprim17ROCPRIM_400000_NS6detail17trampoline_kernelINS0_14default_configENS1_20scan_config_selectorIN3c104HalfEEEZZNS1_9scan_implILNS1_25lookback_scan_determinismE0ELb0ELb0ES3_PKS6_PS6_S6_ZZZN2at6native31launch_logcumsumexp_cuda_kernelERKNSD_10TensorBaseESH_lENKUlvE_clEvENKUlvE3_clEvEUlS6_S6_E_S6_EEDaPvRmT3_T4_T5_mT6_P12ihipStream_tbENKUlT_T0_E_clISt17integral_constantIbLb1EESY_EEDaST_SU_EUlST_E0_NS1_11comp_targetILNS1_3genE2ELNS1_11target_archE906ELNS1_3gpuE6ELNS1_3repE0EEENS1_30default_config_static_selectorELNS0_4arch9wavefront6targetE1EEEvT1_, .Lfunc_end401-_ZN7rocprim17ROCPRIM_400000_NS6detail17trampoline_kernelINS0_14default_configENS1_20scan_config_selectorIN3c104HalfEEEZZNS1_9scan_implILNS1_25lookback_scan_determinismE0ELb0ELb0ES3_PKS6_PS6_S6_ZZZN2at6native31launch_logcumsumexp_cuda_kernelERKNSD_10TensorBaseESH_lENKUlvE_clEvENKUlvE3_clEvEUlS6_S6_E_S6_EEDaPvRmT3_T4_T5_mT6_P12ihipStream_tbENKUlT_T0_E_clISt17integral_constantIbLb1EESY_EEDaST_SU_EUlST_E0_NS1_11comp_targetILNS1_3genE2ELNS1_11target_archE906ELNS1_3gpuE6ELNS1_3repE0EEENS1_30default_config_static_selectorELNS0_4arch9wavefront6targetE1EEEvT1_
                                        ; -- End function
	.section	.AMDGPU.csdata,"",@progbits
; Kernel info:
; codeLenInByte = 0
; NumSgprs: 6
; NumVgprs: 0
; NumAgprs: 0
; TotalNumVgprs: 0
; ScratchSize: 0
; MemoryBound: 0
; FloatMode: 240
; IeeeMode: 1
; LDSByteSize: 0 bytes/workgroup (compile time only)
; SGPRBlocks: 0
; VGPRBlocks: 0
; NumSGPRsForWavesPerEU: 6
; NumVGPRsForWavesPerEU: 1
; AccumOffset: 4
; Occupancy: 8
; WaveLimiterHint : 0
; COMPUTE_PGM_RSRC2:SCRATCH_EN: 0
; COMPUTE_PGM_RSRC2:USER_SGPR: 2
; COMPUTE_PGM_RSRC2:TRAP_HANDLER: 0
; COMPUTE_PGM_RSRC2:TGID_X_EN: 1
; COMPUTE_PGM_RSRC2:TGID_Y_EN: 0
; COMPUTE_PGM_RSRC2:TGID_Z_EN: 0
; COMPUTE_PGM_RSRC2:TIDIG_COMP_CNT: 0
; COMPUTE_PGM_RSRC3_GFX90A:ACCUM_OFFSET: 0
; COMPUTE_PGM_RSRC3_GFX90A:TG_SPLIT: 0
	.section	.text._ZN7rocprim17ROCPRIM_400000_NS6detail17trampoline_kernelINS0_14default_configENS1_20scan_config_selectorIN3c104HalfEEEZZNS1_9scan_implILNS1_25lookback_scan_determinismE0ELb0ELb0ES3_PKS6_PS6_S6_ZZZN2at6native31launch_logcumsumexp_cuda_kernelERKNSD_10TensorBaseESH_lENKUlvE_clEvENKUlvE3_clEvEUlS6_S6_E_S6_EEDaPvRmT3_T4_T5_mT6_P12ihipStream_tbENKUlT_T0_E_clISt17integral_constantIbLb1EESY_EEDaST_SU_EUlST_E0_NS1_11comp_targetILNS1_3genE10ELNS1_11target_archE1201ELNS1_3gpuE5ELNS1_3repE0EEENS1_30default_config_static_selectorELNS0_4arch9wavefront6targetE1EEEvT1_,"axG",@progbits,_ZN7rocprim17ROCPRIM_400000_NS6detail17trampoline_kernelINS0_14default_configENS1_20scan_config_selectorIN3c104HalfEEEZZNS1_9scan_implILNS1_25lookback_scan_determinismE0ELb0ELb0ES3_PKS6_PS6_S6_ZZZN2at6native31launch_logcumsumexp_cuda_kernelERKNSD_10TensorBaseESH_lENKUlvE_clEvENKUlvE3_clEvEUlS6_S6_E_S6_EEDaPvRmT3_T4_T5_mT6_P12ihipStream_tbENKUlT_T0_E_clISt17integral_constantIbLb1EESY_EEDaST_SU_EUlST_E0_NS1_11comp_targetILNS1_3genE10ELNS1_11target_archE1201ELNS1_3gpuE5ELNS1_3repE0EEENS1_30default_config_static_selectorELNS0_4arch9wavefront6targetE1EEEvT1_,comdat
	.globl	_ZN7rocprim17ROCPRIM_400000_NS6detail17trampoline_kernelINS0_14default_configENS1_20scan_config_selectorIN3c104HalfEEEZZNS1_9scan_implILNS1_25lookback_scan_determinismE0ELb0ELb0ES3_PKS6_PS6_S6_ZZZN2at6native31launch_logcumsumexp_cuda_kernelERKNSD_10TensorBaseESH_lENKUlvE_clEvENKUlvE3_clEvEUlS6_S6_E_S6_EEDaPvRmT3_T4_T5_mT6_P12ihipStream_tbENKUlT_T0_E_clISt17integral_constantIbLb1EESY_EEDaST_SU_EUlST_E0_NS1_11comp_targetILNS1_3genE10ELNS1_11target_archE1201ELNS1_3gpuE5ELNS1_3repE0EEENS1_30default_config_static_selectorELNS0_4arch9wavefront6targetE1EEEvT1_ ; -- Begin function _ZN7rocprim17ROCPRIM_400000_NS6detail17trampoline_kernelINS0_14default_configENS1_20scan_config_selectorIN3c104HalfEEEZZNS1_9scan_implILNS1_25lookback_scan_determinismE0ELb0ELb0ES3_PKS6_PS6_S6_ZZZN2at6native31launch_logcumsumexp_cuda_kernelERKNSD_10TensorBaseESH_lENKUlvE_clEvENKUlvE3_clEvEUlS6_S6_E_S6_EEDaPvRmT3_T4_T5_mT6_P12ihipStream_tbENKUlT_T0_E_clISt17integral_constantIbLb1EESY_EEDaST_SU_EUlST_E0_NS1_11comp_targetILNS1_3genE10ELNS1_11target_archE1201ELNS1_3gpuE5ELNS1_3repE0EEENS1_30default_config_static_selectorELNS0_4arch9wavefront6targetE1EEEvT1_
	.p2align	8
	.type	_ZN7rocprim17ROCPRIM_400000_NS6detail17trampoline_kernelINS0_14default_configENS1_20scan_config_selectorIN3c104HalfEEEZZNS1_9scan_implILNS1_25lookback_scan_determinismE0ELb0ELb0ES3_PKS6_PS6_S6_ZZZN2at6native31launch_logcumsumexp_cuda_kernelERKNSD_10TensorBaseESH_lENKUlvE_clEvENKUlvE3_clEvEUlS6_S6_E_S6_EEDaPvRmT3_T4_T5_mT6_P12ihipStream_tbENKUlT_T0_E_clISt17integral_constantIbLb1EESY_EEDaST_SU_EUlST_E0_NS1_11comp_targetILNS1_3genE10ELNS1_11target_archE1201ELNS1_3gpuE5ELNS1_3repE0EEENS1_30default_config_static_selectorELNS0_4arch9wavefront6targetE1EEEvT1_,@function
_ZN7rocprim17ROCPRIM_400000_NS6detail17trampoline_kernelINS0_14default_configENS1_20scan_config_selectorIN3c104HalfEEEZZNS1_9scan_implILNS1_25lookback_scan_determinismE0ELb0ELb0ES3_PKS6_PS6_S6_ZZZN2at6native31launch_logcumsumexp_cuda_kernelERKNSD_10TensorBaseESH_lENKUlvE_clEvENKUlvE3_clEvEUlS6_S6_E_S6_EEDaPvRmT3_T4_T5_mT6_P12ihipStream_tbENKUlT_T0_E_clISt17integral_constantIbLb1EESY_EEDaST_SU_EUlST_E0_NS1_11comp_targetILNS1_3genE10ELNS1_11target_archE1201ELNS1_3gpuE5ELNS1_3repE0EEENS1_30default_config_static_selectorELNS0_4arch9wavefront6targetE1EEEvT1_: ; @_ZN7rocprim17ROCPRIM_400000_NS6detail17trampoline_kernelINS0_14default_configENS1_20scan_config_selectorIN3c104HalfEEEZZNS1_9scan_implILNS1_25lookback_scan_determinismE0ELb0ELb0ES3_PKS6_PS6_S6_ZZZN2at6native31launch_logcumsumexp_cuda_kernelERKNSD_10TensorBaseESH_lENKUlvE_clEvENKUlvE3_clEvEUlS6_S6_E_S6_EEDaPvRmT3_T4_T5_mT6_P12ihipStream_tbENKUlT_T0_E_clISt17integral_constantIbLb1EESY_EEDaST_SU_EUlST_E0_NS1_11comp_targetILNS1_3genE10ELNS1_11target_archE1201ELNS1_3gpuE5ELNS1_3repE0EEENS1_30default_config_static_selectorELNS0_4arch9wavefront6targetE1EEEvT1_
; %bb.0:
	.section	.rodata,"a",@progbits
	.p2align	6, 0x0
	.amdhsa_kernel _ZN7rocprim17ROCPRIM_400000_NS6detail17trampoline_kernelINS0_14default_configENS1_20scan_config_selectorIN3c104HalfEEEZZNS1_9scan_implILNS1_25lookback_scan_determinismE0ELb0ELb0ES3_PKS6_PS6_S6_ZZZN2at6native31launch_logcumsumexp_cuda_kernelERKNSD_10TensorBaseESH_lENKUlvE_clEvENKUlvE3_clEvEUlS6_S6_E_S6_EEDaPvRmT3_T4_T5_mT6_P12ihipStream_tbENKUlT_T0_E_clISt17integral_constantIbLb1EESY_EEDaST_SU_EUlST_E0_NS1_11comp_targetILNS1_3genE10ELNS1_11target_archE1201ELNS1_3gpuE5ELNS1_3repE0EEENS1_30default_config_static_selectorELNS0_4arch9wavefront6targetE1EEEvT1_
		.amdhsa_group_segment_fixed_size 0
		.amdhsa_private_segment_fixed_size 0
		.amdhsa_kernarg_size 32
		.amdhsa_user_sgpr_count 2
		.amdhsa_user_sgpr_dispatch_ptr 0
		.amdhsa_user_sgpr_queue_ptr 0
		.amdhsa_user_sgpr_kernarg_segment_ptr 1
		.amdhsa_user_sgpr_dispatch_id 0
		.amdhsa_user_sgpr_kernarg_preload_length 0
		.amdhsa_user_sgpr_kernarg_preload_offset 0
		.amdhsa_user_sgpr_private_segment_size 0
		.amdhsa_uses_dynamic_stack 0
		.amdhsa_enable_private_segment 0
		.amdhsa_system_sgpr_workgroup_id_x 1
		.amdhsa_system_sgpr_workgroup_id_y 0
		.amdhsa_system_sgpr_workgroup_id_z 0
		.amdhsa_system_sgpr_workgroup_info 0
		.amdhsa_system_vgpr_workitem_id 0
		.amdhsa_next_free_vgpr 1
		.amdhsa_next_free_sgpr 0
		.amdhsa_accum_offset 4
		.amdhsa_reserve_vcc 0
		.amdhsa_float_round_mode_32 0
		.amdhsa_float_round_mode_16_64 0
		.amdhsa_float_denorm_mode_32 3
		.amdhsa_float_denorm_mode_16_64 3
		.amdhsa_dx10_clamp 1
		.amdhsa_ieee_mode 1
		.amdhsa_fp16_overflow 0
		.amdhsa_tg_split 0
		.amdhsa_exception_fp_ieee_invalid_op 0
		.amdhsa_exception_fp_denorm_src 0
		.amdhsa_exception_fp_ieee_div_zero 0
		.amdhsa_exception_fp_ieee_overflow 0
		.amdhsa_exception_fp_ieee_underflow 0
		.amdhsa_exception_fp_ieee_inexact 0
		.amdhsa_exception_int_div_zero 0
	.end_amdhsa_kernel
	.section	.text._ZN7rocprim17ROCPRIM_400000_NS6detail17trampoline_kernelINS0_14default_configENS1_20scan_config_selectorIN3c104HalfEEEZZNS1_9scan_implILNS1_25lookback_scan_determinismE0ELb0ELb0ES3_PKS6_PS6_S6_ZZZN2at6native31launch_logcumsumexp_cuda_kernelERKNSD_10TensorBaseESH_lENKUlvE_clEvENKUlvE3_clEvEUlS6_S6_E_S6_EEDaPvRmT3_T4_T5_mT6_P12ihipStream_tbENKUlT_T0_E_clISt17integral_constantIbLb1EESY_EEDaST_SU_EUlST_E0_NS1_11comp_targetILNS1_3genE10ELNS1_11target_archE1201ELNS1_3gpuE5ELNS1_3repE0EEENS1_30default_config_static_selectorELNS0_4arch9wavefront6targetE1EEEvT1_,"axG",@progbits,_ZN7rocprim17ROCPRIM_400000_NS6detail17trampoline_kernelINS0_14default_configENS1_20scan_config_selectorIN3c104HalfEEEZZNS1_9scan_implILNS1_25lookback_scan_determinismE0ELb0ELb0ES3_PKS6_PS6_S6_ZZZN2at6native31launch_logcumsumexp_cuda_kernelERKNSD_10TensorBaseESH_lENKUlvE_clEvENKUlvE3_clEvEUlS6_S6_E_S6_EEDaPvRmT3_T4_T5_mT6_P12ihipStream_tbENKUlT_T0_E_clISt17integral_constantIbLb1EESY_EEDaST_SU_EUlST_E0_NS1_11comp_targetILNS1_3genE10ELNS1_11target_archE1201ELNS1_3gpuE5ELNS1_3repE0EEENS1_30default_config_static_selectorELNS0_4arch9wavefront6targetE1EEEvT1_,comdat
.Lfunc_end402:
	.size	_ZN7rocprim17ROCPRIM_400000_NS6detail17trampoline_kernelINS0_14default_configENS1_20scan_config_selectorIN3c104HalfEEEZZNS1_9scan_implILNS1_25lookback_scan_determinismE0ELb0ELb0ES3_PKS6_PS6_S6_ZZZN2at6native31launch_logcumsumexp_cuda_kernelERKNSD_10TensorBaseESH_lENKUlvE_clEvENKUlvE3_clEvEUlS6_S6_E_S6_EEDaPvRmT3_T4_T5_mT6_P12ihipStream_tbENKUlT_T0_E_clISt17integral_constantIbLb1EESY_EEDaST_SU_EUlST_E0_NS1_11comp_targetILNS1_3genE10ELNS1_11target_archE1201ELNS1_3gpuE5ELNS1_3repE0EEENS1_30default_config_static_selectorELNS0_4arch9wavefront6targetE1EEEvT1_, .Lfunc_end402-_ZN7rocprim17ROCPRIM_400000_NS6detail17trampoline_kernelINS0_14default_configENS1_20scan_config_selectorIN3c104HalfEEEZZNS1_9scan_implILNS1_25lookback_scan_determinismE0ELb0ELb0ES3_PKS6_PS6_S6_ZZZN2at6native31launch_logcumsumexp_cuda_kernelERKNSD_10TensorBaseESH_lENKUlvE_clEvENKUlvE3_clEvEUlS6_S6_E_S6_EEDaPvRmT3_T4_T5_mT6_P12ihipStream_tbENKUlT_T0_E_clISt17integral_constantIbLb1EESY_EEDaST_SU_EUlST_E0_NS1_11comp_targetILNS1_3genE10ELNS1_11target_archE1201ELNS1_3gpuE5ELNS1_3repE0EEENS1_30default_config_static_selectorELNS0_4arch9wavefront6targetE1EEEvT1_
                                        ; -- End function
	.section	.AMDGPU.csdata,"",@progbits
; Kernel info:
; codeLenInByte = 0
; NumSgprs: 6
; NumVgprs: 0
; NumAgprs: 0
; TotalNumVgprs: 0
; ScratchSize: 0
; MemoryBound: 0
; FloatMode: 240
; IeeeMode: 1
; LDSByteSize: 0 bytes/workgroup (compile time only)
; SGPRBlocks: 0
; VGPRBlocks: 0
; NumSGPRsForWavesPerEU: 6
; NumVGPRsForWavesPerEU: 1
; AccumOffset: 4
; Occupancy: 8
; WaveLimiterHint : 0
; COMPUTE_PGM_RSRC2:SCRATCH_EN: 0
; COMPUTE_PGM_RSRC2:USER_SGPR: 2
; COMPUTE_PGM_RSRC2:TRAP_HANDLER: 0
; COMPUTE_PGM_RSRC2:TGID_X_EN: 1
; COMPUTE_PGM_RSRC2:TGID_Y_EN: 0
; COMPUTE_PGM_RSRC2:TGID_Z_EN: 0
; COMPUTE_PGM_RSRC2:TIDIG_COMP_CNT: 0
; COMPUTE_PGM_RSRC3_GFX90A:ACCUM_OFFSET: 0
; COMPUTE_PGM_RSRC3_GFX90A:TG_SPLIT: 0
	.section	.text._ZN7rocprim17ROCPRIM_400000_NS6detail17trampoline_kernelINS0_14default_configENS1_20scan_config_selectorIN3c104HalfEEEZZNS1_9scan_implILNS1_25lookback_scan_determinismE0ELb0ELb0ES3_PKS6_PS6_S6_ZZZN2at6native31launch_logcumsumexp_cuda_kernelERKNSD_10TensorBaseESH_lENKUlvE_clEvENKUlvE3_clEvEUlS6_S6_E_S6_EEDaPvRmT3_T4_T5_mT6_P12ihipStream_tbENKUlT_T0_E_clISt17integral_constantIbLb1EESY_EEDaST_SU_EUlST_E0_NS1_11comp_targetILNS1_3genE10ELNS1_11target_archE1200ELNS1_3gpuE4ELNS1_3repE0EEENS1_30default_config_static_selectorELNS0_4arch9wavefront6targetE1EEEvT1_,"axG",@progbits,_ZN7rocprim17ROCPRIM_400000_NS6detail17trampoline_kernelINS0_14default_configENS1_20scan_config_selectorIN3c104HalfEEEZZNS1_9scan_implILNS1_25lookback_scan_determinismE0ELb0ELb0ES3_PKS6_PS6_S6_ZZZN2at6native31launch_logcumsumexp_cuda_kernelERKNSD_10TensorBaseESH_lENKUlvE_clEvENKUlvE3_clEvEUlS6_S6_E_S6_EEDaPvRmT3_T4_T5_mT6_P12ihipStream_tbENKUlT_T0_E_clISt17integral_constantIbLb1EESY_EEDaST_SU_EUlST_E0_NS1_11comp_targetILNS1_3genE10ELNS1_11target_archE1200ELNS1_3gpuE4ELNS1_3repE0EEENS1_30default_config_static_selectorELNS0_4arch9wavefront6targetE1EEEvT1_,comdat
	.globl	_ZN7rocprim17ROCPRIM_400000_NS6detail17trampoline_kernelINS0_14default_configENS1_20scan_config_selectorIN3c104HalfEEEZZNS1_9scan_implILNS1_25lookback_scan_determinismE0ELb0ELb0ES3_PKS6_PS6_S6_ZZZN2at6native31launch_logcumsumexp_cuda_kernelERKNSD_10TensorBaseESH_lENKUlvE_clEvENKUlvE3_clEvEUlS6_S6_E_S6_EEDaPvRmT3_T4_T5_mT6_P12ihipStream_tbENKUlT_T0_E_clISt17integral_constantIbLb1EESY_EEDaST_SU_EUlST_E0_NS1_11comp_targetILNS1_3genE10ELNS1_11target_archE1200ELNS1_3gpuE4ELNS1_3repE0EEENS1_30default_config_static_selectorELNS0_4arch9wavefront6targetE1EEEvT1_ ; -- Begin function _ZN7rocprim17ROCPRIM_400000_NS6detail17trampoline_kernelINS0_14default_configENS1_20scan_config_selectorIN3c104HalfEEEZZNS1_9scan_implILNS1_25lookback_scan_determinismE0ELb0ELb0ES3_PKS6_PS6_S6_ZZZN2at6native31launch_logcumsumexp_cuda_kernelERKNSD_10TensorBaseESH_lENKUlvE_clEvENKUlvE3_clEvEUlS6_S6_E_S6_EEDaPvRmT3_T4_T5_mT6_P12ihipStream_tbENKUlT_T0_E_clISt17integral_constantIbLb1EESY_EEDaST_SU_EUlST_E0_NS1_11comp_targetILNS1_3genE10ELNS1_11target_archE1200ELNS1_3gpuE4ELNS1_3repE0EEENS1_30default_config_static_selectorELNS0_4arch9wavefront6targetE1EEEvT1_
	.p2align	8
	.type	_ZN7rocprim17ROCPRIM_400000_NS6detail17trampoline_kernelINS0_14default_configENS1_20scan_config_selectorIN3c104HalfEEEZZNS1_9scan_implILNS1_25lookback_scan_determinismE0ELb0ELb0ES3_PKS6_PS6_S6_ZZZN2at6native31launch_logcumsumexp_cuda_kernelERKNSD_10TensorBaseESH_lENKUlvE_clEvENKUlvE3_clEvEUlS6_S6_E_S6_EEDaPvRmT3_T4_T5_mT6_P12ihipStream_tbENKUlT_T0_E_clISt17integral_constantIbLb1EESY_EEDaST_SU_EUlST_E0_NS1_11comp_targetILNS1_3genE10ELNS1_11target_archE1200ELNS1_3gpuE4ELNS1_3repE0EEENS1_30default_config_static_selectorELNS0_4arch9wavefront6targetE1EEEvT1_,@function
_ZN7rocprim17ROCPRIM_400000_NS6detail17trampoline_kernelINS0_14default_configENS1_20scan_config_selectorIN3c104HalfEEEZZNS1_9scan_implILNS1_25lookback_scan_determinismE0ELb0ELb0ES3_PKS6_PS6_S6_ZZZN2at6native31launch_logcumsumexp_cuda_kernelERKNSD_10TensorBaseESH_lENKUlvE_clEvENKUlvE3_clEvEUlS6_S6_E_S6_EEDaPvRmT3_T4_T5_mT6_P12ihipStream_tbENKUlT_T0_E_clISt17integral_constantIbLb1EESY_EEDaST_SU_EUlST_E0_NS1_11comp_targetILNS1_3genE10ELNS1_11target_archE1200ELNS1_3gpuE4ELNS1_3repE0EEENS1_30default_config_static_selectorELNS0_4arch9wavefront6targetE1EEEvT1_: ; @_ZN7rocprim17ROCPRIM_400000_NS6detail17trampoline_kernelINS0_14default_configENS1_20scan_config_selectorIN3c104HalfEEEZZNS1_9scan_implILNS1_25lookback_scan_determinismE0ELb0ELb0ES3_PKS6_PS6_S6_ZZZN2at6native31launch_logcumsumexp_cuda_kernelERKNSD_10TensorBaseESH_lENKUlvE_clEvENKUlvE3_clEvEUlS6_S6_E_S6_EEDaPvRmT3_T4_T5_mT6_P12ihipStream_tbENKUlT_T0_E_clISt17integral_constantIbLb1EESY_EEDaST_SU_EUlST_E0_NS1_11comp_targetILNS1_3genE10ELNS1_11target_archE1200ELNS1_3gpuE4ELNS1_3repE0EEENS1_30default_config_static_selectorELNS0_4arch9wavefront6targetE1EEEvT1_
; %bb.0:
	.section	.rodata,"a",@progbits
	.p2align	6, 0x0
	.amdhsa_kernel _ZN7rocprim17ROCPRIM_400000_NS6detail17trampoline_kernelINS0_14default_configENS1_20scan_config_selectorIN3c104HalfEEEZZNS1_9scan_implILNS1_25lookback_scan_determinismE0ELb0ELb0ES3_PKS6_PS6_S6_ZZZN2at6native31launch_logcumsumexp_cuda_kernelERKNSD_10TensorBaseESH_lENKUlvE_clEvENKUlvE3_clEvEUlS6_S6_E_S6_EEDaPvRmT3_T4_T5_mT6_P12ihipStream_tbENKUlT_T0_E_clISt17integral_constantIbLb1EESY_EEDaST_SU_EUlST_E0_NS1_11comp_targetILNS1_3genE10ELNS1_11target_archE1200ELNS1_3gpuE4ELNS1_3repE0EEENS1_30default_config_static_selectorELNS0_4arch9wavefront6targetE1EEEvT1_
		.amdhsa_group_segment_fixed_size 0
		.amdhsa_private_segment_fixed_size 0
		.amdhsa_kernarg_size 32
		.amdhsa_user_sgpr_count 2
		.amdhsa_user_sgpr_dispatch_ptr 0
		.amdhsa_user_sgpr_queue_ptr 0
		.amdhsa_user_sgpr_kernarg_segment_ptr 1
		.amdhsa_user_sgpr_dispatch_id 0
		.amdhsa_user_sgpr_kernarg_preload_length 0
		.amdhsa_user_sgpr_kernarg_preload_offset 0
		.amdhsa_user_sgpr_private_segment_size 0
		.amdhsa_uses_dynamic_stack 0
		.amdhsa_enable_private_segment 0
		.amdhsa_system_sgpr_workgroup_id_x 1
		.amdhsa_system_sgpr_workgroup_id_y 0
		.amdhsa_system_sgpr_workgroup_id_z 0
		.amdhsa_system_sgpr_workgroup_info 0
		.amdhsa_system_vgpr_workitem_id 0
		.amdhsa_next_free_vgpr 1
		.amdhsa_next_free_sgpr 0
		.amdhsa_accum_offset 4
		.amdhsa_reserve_vcc 0
		.amdhsa_float_round_mode_32 0
		.amdhsa_float_round_mode_16_64 0
		.amdhsa_float_denorm_mode_32 3
		.amdhsa_float_denorm_mode_16_64 3
		.amdhsa_dx10_clamp 1
		.amdhsa_ieee_mode 1
		.amdhsa_fp16_overflow 0
		.amdhsa_tg_split 0
		.amdhsa_exception_fp_ieee_invalid_op 0
		.amdhsa_exception_fp_denorm_src 0
		.amdhsa_exception_fp_ieee_div_zero 0
		.amdhsa_exception_fp_ieee_overflow 0
		.amdhsa_exception_fp_ieee_underflow 0
		.amdhsa_exception_fp_ieee_inexact 0
		.amdhsa_exception_int_div_zero 0
	.end_amdhsa_kernel
	.section	.text._ZN7rocprim17ROCPRIM_400000_NS6detail17trampoline_kernelINS0_14default_configENS1_20scan_config_selectorIN3c104HalfEEEZZNS1_9scan_implILNS1_25lookback_scan_determinismE0ELb0ELb0ES3_PKS6_PS6_S6_ZZZN2at6native31launch_logcumsumexp_cuda_kernelERKNSD_10TensorBaseESH_lENKUlvE_clEvENKUlvE3_clEvEUlS6_S6_E_S6_EEDaPvRmT3_T4_T5_mT6_P12ihipStream_tbENKUlT_T0_E_clISt17integral_constantIbLb1EESY_EEDaST_SU_EUlST_E0_NS1_11comp_targetILNS1_3genE10ELNS1_11target_archE1200ELNS1_3gpuE4ELNS1_3repE0EEENS1_30default_config_static_selectorELNS0_4arch9wavefront6targetE1EEEvT1_,"axG",@progbits,_ZN7rocprim17ROCPRIM_400000_NS6detail17trampoline_kernelINS0_14default_configENS1_20scan_config_selectorIN3c104HalfEEEZZNS1_9scan_implILNS1_25lookback_scan_determinismE0ELb0ELb0ES3_PKS6_PS6_S6_ZZZN2at6native31launch_logcumsumexp_cuda_kernelERKNSD_10TensorBaseESH_lENKUlvE_clEvENKUlvE3_clEvEUlS6_S6_E_S6_EEDaPvRmT3_T4_T5_mT6_P12ihipStream_tbENKUlT_T0_E_clISt17integral_constantIbLb1EESY_EEDaST_SU_EUlST_E0_NS1_11comp_targetILNS1_3genE10ELNS1_11target_archE1200ELNS1_3gpuE4ELNS1_3repE0EEENS1_30default_config_static_selectorELNS0_4arch9wavefront6targetE1EEEvT1_,comdat
.Lfunc_end403:
	.size	_ZN7rocprim17ROCPRIM_400000_NS6detail17trampoline_kernelINS0_14default_configENS1_20scan_config_selectorIN3c104HalfEEEZZNS1_9scan_implILNS1_25lookback_scan_determinismE0ELb0ELb0ES3_PKS6_PS6_S6_ZZZN2at6native31launch_logcumsumexp_cuda_kernelERKNSD_10TensorBaseESH_lENKUlvE_clEvENKUlvE3_clEvEUlS6_S6_E_S6_EEDaPvRmT3_T4_T5_mT6_P12ihipStream_tbENKUlT_T0_E_clISt17integral_constantIbLb1EESY_EEDaST_SU_EUlST_E0_NS1_11comp_targetILNS1_3genE10ELNS1_11target_archE1200ELNS1_3gpuE4ELNS1_3repE0EEENS1_30default_config_static_selectorELNS0_4arch9wavefront6targetE1EEEvT1_, .Lfunc_end403-_ZN7rocprim17ROCPRIM_400000_NS6detail17trampoline_kernelINS0_14default_configENS1_20scan_config_selectorIN3c104HalfEEEZZNS1_9scan_implILNS1_25lookback_scan_determinismE0ELb0ELb0ES3_PKS6_PS6_S6_ZZZN2at6native31launch_logcumsumexp_cuda_kernelERKNSD_10TensorBaseESH_lENKUlvE_clEvENKUlvE3_clEvEUlS6_S6_E_S6_EEDaPvRmT3_T4_T5_mT6_P12ihipStream_tbENKUlT_T0_E_clISt17integral_constantIbLb1EESY_EEDaST_SU_EUlST_E0_NS1_11comp_targetILNS1_3genE10ELNS1_11target_archE1200ELNS1_3gpuE4ELNS1_3repE0EEENS1_30default_config_static_selectorELNS0_4arch9wavefront6targetE1EEEvT1_
                                        ; -- End function
	.section	.AMDGPU.csdata,"",@progbits
; Kernel info:
; codeLenInByte = 0
; NumSgprs: 6
; NumVgprs: 0
; NumAgprs: 0
; TotalNumVgprs: 0
; ScratchSize: 0
; MemoryBound: 0
; FloatMode: 240
; IeeeMode: 1
; LDSByteSize: 0 bytes/workgroup (compile time only)
; SGPRBlocks: 0
; VGPRBlocks: 0
; NumSGPRsForWavesPerEU: 6
; NumVGPRsForWavesPerEU: 1
; AccumOffset: 4
; Occupancy: 8
; WaveLimiterHint : 0
; COMPUTE_PGM_RSRC2:SCRATCH_EN: 0
; COMPUTE_PGM_RSRC2:USER_SGPR: 2
; COMPUTE_PGM_RSRC2:TRAP_HANDLER: 0
; COMPUTE_PGM_RSRC2:TGID_X_EN: 1
; COMPUTE_PGM_RSRC2:TGID_Y_EN: 0
; COMPUTE_PGM_RSRC2:TGID_Z_EN: 0
; COMPUTE_PGM_RSRC2:TIDIG_COMP_CNT: 0
; COMPUTE_PGM_RSRC3_GFX90A:ACCUM_OFFSET: 0
; COMPUTE_PGM_RSRC3_GFX90A:TG_SPLIT: 0
	.section	.text._ZN7rocprim17ROCPRIM_400000_NS6detail17trampoline_kernelINS0_14default_configENS1_20scan_config_selectorIN3c104HalfEEEZZNS1_9scan_implILNS1_25lookback_scan_determinismE0ELb0ELb0ES3_PKS6_PS6_S6_ZZZN2at6native31launch_logcumsumexp_cuda_kernelERKNSD_10TensorBaseESH_lENKUlvE_clEvENKUlvE3_clEvEUlS6_S6_E_S6_EEDaPvRmT3_T4_T5_mT6_P12ihipStream_tbENKUlT_T0_E_clISt17integral_constantIbLb1EESY_EEDaST_SU_EUlST_E0_NS1_11comp_targetILNS1_3genE9ELNS1_11target_archE1100ELNS1_3gpuE3ELNS1_3repE0EEENS1_30default_config_static_selectorELNS0_4arch9wavefront6targetE1EEEvT1_,"axG",@progbits,_ZN7rocprim17ROCPRIM_400000_NS6detail17trampoline_kernelINS0_14default_configENS1_20scan_config_selectorIN3c104HalfEEEZZNS1_9scan_implILNS1_25lookback_scan_determinismE0ELb0ELb0ES3_PKS6_PS6_S6_ZZZN2at6native31launch_logcumsumexp_cuda_kernelERKNSD_10TensorBaseESH_lENKUlvE_clEvENKUlvE3_clEvEUlS6_S6_E_S6_EEDaPvRmT3_T4_T5_mT6_P12ihipStream_tbENKUlT_T0_E_clISt17integral_constantIbLb1EESY_EEDaST_SU_EUlST_E0_NS1_11comp_targetILNS1_3genE9ELNS1_11target_archE1100ELNS1_3gpuE3ELNS1_3repE0EEENS1_30default_config_static_selectorELNS0_4arch9wavefront6targetE1EEEvT1_,comdat
	.globl	_ZN7rocprim17ROCPRIM_400000_NS6detail17trampoline_kernelINS0_14default_configENS1_20scan_config_selectorIN3c104HalfEEEZZNS1_9scan_implILNS1_25lookback_scan_determinismE0ELb0ELb0ES3_PKS6_PS6_S6_ZZZN2at6native31launch_logcumsumexp_cuda_kernelERKNSD_10TensorBaseESH_lENKUlvE_clEvENKUlvE3_clEvEUlS6_S6_E_S6_EEDaPvRmT3_T4_T5_mT6_P12ihipStream_tbENKUlT_T0_E_clISt17integral_constantIbLb1EESY_EEDaST_SU_EUlST_E0_NS1_11comp_targetILNS1_3genE9ELNS1_11target_archE1100ELNS1_3gpuE3ELNS1_3repE0EEENS1_30default_config_static_selectorELNS0_4arch9wavefront6targetE1EEEvT1_ ; -- Begin function _ZN7rocprim17ROCPRIM_400000_NS6detail17trampoline_kernelINS0_14default_configENS1_20scan_config_selectorIN3c104HalfEEEZZNS1_9scan_implILNS1_25lookback_scan_determinismE0ELb0ELb0ES3_PKS6_PS6_S6_ZZZN2at6native31launch_logcumsumexp_cuda_kernelERKNSD_10TensorBaseESH_lENKUlvE_clEvENKUlvE3_clEvEUlS6_S6_E_S6_EEDaPvRmT3_T4_T5_mT6_P12ihipStream_tbENKUlT_T0_E_clISt17integral_constantIbLb1EESY_EEDaST_SU_EUlST_E0_NS1_11comp_targetILNS1_3genE9ELNS1_11target_archE1100ELNS1_3gpuE3ELNS1_3repE0EEENS1_30default_config_static_selectorELNS0_4arch9wavefront6targetE1EEEvT1_
	.p2align	8
	.type	_ZN7rocprim17ROCPRIM_400000_NS6detail17trampoline_kernelINS0_14default_configENS1_20scan_config_selectorIN3c104HalfEEEZZNS1_9scan_implILNS1_25lookback_scan_determinismE0ELb0ELb0ES3_PKS6_PS6_S6_ZZZN2at6native31launch_logcumsumexp_cuda_kernelERKNSD_10TensorBaseESH_lENKUlvE_clEvENKUlvE3_clEvEUlS6_S6_E_S6_EEDaPvRmT3_T4_T5_mT6_P12ihipStream_tbENKUlT_T0_E_clISt17integral_constantIbLb1EESY_EEDaST_SU_EUlST_E0_NS1_11comp_targetILNS1_3genE9ELNS1_11target_archE1100ELNS1_3gpuE3ELNS1_3repE0EEENS1_30default_config_static_selectorELNS0_4arch9wavefront6targetE1EEEvT1_,@function
_ZN7rocprim17ROCPRIM_400000_NS6detail17trampoline_kernelINS0_14default_configENS1_20scan_config_selectorIN3c104HalfEEEZZNS1_9scan_implILNS1_25lookback_scan_determinismE0ELb0ELb0ES3_PKS6_PS6_S6_ZZZN2at6native31launch_logcumsumexp_cuda_kernelERKNSD_10TensorBaseESH_lENKUlvE_clEvENKUlvE3_clEvEUlS6_S6_E_S6_EEDaPvRmT3_T4_T5_mT6_P12ihipStream_tbENKUlT_T0_E_clISt17integral_constantIbLb1EESY_EEDaST_SU_EUlST_E0_NS1_11comp_targetILNS1_3genE9ELNS1_11target_archE1100ELNS1_3gpuE3ELNS1_3repE0EEENS1_30default_config_static_selectorELNS0_4arch9wavefront6targetE1EEEvT1_: ; @_ZN7rocprim17ROCPRIM_400000_NS6detail17trampoline_kernelINS0_14default_configENS1_20scan_config_selectorIN3c104HalfEEEZZNS1_9scan_implILNS1_25lookback_scan_determinismE0ELb0ELb0ES3_PKS6_PS6_S6_ZZZN2at6native31launch_logcumsumexp_cuda_kernelERKNSD_10TensorBaseESH_lENKUlvE_clEvENKUlvE3_clEvEUlS6_S6_E_S6_EEDaPvRmT3_T4_T5_mT6_P12ihipStream_tbENKUlT_T0_E_clISt17integral_constantIbLb1EESY_EEDaST_SU_EUlST_E0_NS1_11comp_targetILNS1_3genE9ELNS1_11target_archE1100ELNS1_3gpuE3ELNS1_3repE0EEENS1_30default_config_static_selectorELNS0_4arch9wavefront6targetE1EEEvT1_
; %bb.0:
	.section	.rodata,"a",@progbits
	.p2align	6, 0x0
	.amdhsa_kernel _ZN7rocprim17ROCPRIM_400000_NS6detail17trampoline_kernelINS0_14default_configENS1_20scan_config_selectorIN3c104HalfEEEZZNS1_9scan_implILNS1_25lookback_scan_determinismE0ELb0ELb0ES3_PKS6_PS6_S6_ZZZN2at6native31launch_logcumsumexp_cuda_kernelERKNSD_10TensorBaseESH_lENKUlvE_clEvENKUlvE3_clEvEUlS6_S6_E_S6_EEDaPvRmT3_T4_T5_mT6_P12ihipStream_tbENKUlT_T0_E_clISt17integral_constantIbLb1EESY_EEDaST_SU_EUlST_E0_NS1_11comp_targetILNS1_3genE9ELNS1_11target_archE1100ELNS1_3gpuE3ELNS1_3repE0EEENS1_30default_config_static_selectorELNS0_4arch9wavefront6targetE1EEEvT1_
		.amdhsa_group_segment_fixed_size 0
		.amdhsa_private_segment_fixed_size 0
		.amdhsa_kernarg_size 32
		.amdhsa_user_sgpr_count 2
		.amdhsa_user_sgpr_dispatch_ptr 0
		.amdhsa_user_sgpr_queue_ptr 0
		.amdhsa_user_sgpr_kernarg_segment_ptr 1
		.amdhsa_user_sgpr_dispatch_id 0
		.amdhsa_user_sgpr_kernarg_preload_length 0
		.amdhsa_user_sgpr_kernarg_preload_offset 0
		.amdhsa_user_sgpr_private_segment_size 0
		.amdhsa_uses_dynamic_stack 0
		.amdhsa_enable_private_segment 0
		.amdhsa_system_sgpr_workgroup_id_x 1
		.amdhsa_system_sgpr_workgroup_id_y 0
		.amdhsa_system_sgpr_workgroup_id_z 0
		.amdhsa_system_sgpr_workgroup_info 0
		.amdhsa_system_vgpr_workitem_id 0
		.amdhsa_next_free_vgpr 1
		.amdhsa_next_free_sgpr 0
		.amdhsa_accum_offset 4
		.amdhsa_reserve_vcc 0
		.amdhsa_float_round_mode_32 0
		.amdhsa_float_round_mode_16_64 0
		.amdhsa_float_denorm_mode_32 3
		.amdhsa_float_denorm_mode_16_64 3
		.amdhsa_dx10_clamp 1
		.amdhsa_ieee_mode 1
		.amdhsa_fp16_overflow 0
		.amdhsa_tg_split 0
		.amdhsa_exception_fp_ieee_invalid_op 0
		.amdhsa_exception_fp_denorm_src 0
		.amdhsa_exception_fp_ieee_div_zero 0
		.amdhsa_exception_fp_ieee_overflow 0
		.amdhsa_exception_fp_ieee_underflow 0
		.amdhsa_exception_fp_ieee_inexact 0
		.amdhsa_exception_int_div_zero 0
	.end_amdhsa_kernel
	.section	.text._ZN7rocprim17ROCPRIM_400000_NS6detail17trampoline_kernelINS0_14default_configENS1_20scan_config_selectorIN3c104HalfEEEZZNS1_9scan_implILNS1_25lookback_scan_determinismE0ELb0ELb0ES3_PKS6_PS6_S6_ZZZN2at6native31launch_logcumsumexp_cuda_kernelERKNSD_10TensorBaseESH_lENKUlvE_clEvENKUlvE3_clEvEUlS6_S6_E_S6_EEDaPvRmT3_T4_T5_mT6_P12ihipStream_tbENKUlT_T0_E_clISt17integral_constantIbLb1EESY_EEDaST_SU_EUlST_E0_NS1_11comp_targetILNS1_3genE9ELNS1_11target_archE1100ELNS1_3gpuE3ELNS1_3repE0EEENS1_30default_config_static_selectorELNS0_4arch9wavefront6targetE1EEEvT1_,"axG",@progbits,_ZN7rocprim17ROCPRIM_400000_NS6detail17trampoline_kernelINS0_14default_configENS1_20scan_config_selectorIN3c104HalfEEEZZNS1_9scan_implILNS1_25lookback_scan_determinismE0ELb0ELb0ES3_PKS6_PS6_S6_ZZZN2at6native31launch_logcumsumexp_cuda_kernelERKNSD_10TensorBaseESH_lENKUlvE_clEvENKUlvE3_clEvEUlS6_S6_E_S6_EEDaPvRmT3_T4_T5_mT6_P12ihipStream_tbENKUlT_T0_E_clISt17integral_constantIbLb1EESY_EEDaST_SU_EUlST_E0_NS1_11comp_targetILNS1_3genE9ELNS1_11target_archE1100ELNS1_3gpuE3ELNS1_3repE0EEENS1_30default_config_static_selectorELNS0_4arch9wavefront6targetE1EEEvT1_,comdat
.Lfunc_end404:
	.size	_ZN7rocprim17ROCPRIM_400000_NS6detail17trampoline_kernelINS0_14default_configENS1_20scan_config_selectorIN3c104HalfEEEZZNS1_9scan_implILNS1_25lookback_scan_determinismE0ELb0ELb0ES3_PKS6_PS6_S6_ZZZN2at6native31launch_logcumsumexp_cuda_kernelERKNSD_10TensorBaseESH_lENKUlvE_clEvENKUlvE3_clEvEUlS6_S6_E_S6_EEDaPvRmT3_T4_T5_mT6_P12ihipStream_tbENKUlT_T0_E_clISt17integral_constantIbLb1EESY_EEDaST_SU_EUlST_E0_NS1_11comp_targetILNS1_3genE9ELNS1_11target_archE1100ELNS1_3gpuE3ELNS1_3repE0EEENS1_30default_config_static_selectorELNS0_4arch9wavefront6targetE1EEEvT1_, .Lfunc_end404-_ZN7rocprim17ROCPRIM_400000_NS6detail17trampoline_kernelINS0_14default_configENS1_20scan_config_selectorIN3c104HalfEEEZZNS1_9scan_implILNS1_25lookback_scan_determinismE0ELb0ELb0ES3_PKS6_PS6_S6_ZZZN2at6native31launch_logcumsumexp_cuda_kernelERKNSD_10TensorBaseESH_lENKUlvE_clEvENKUlvE3_clEvEUlS6_S6_E_S6_EEDaPvRmT3_T4_T5_mT6_P12ihipStream_tbENKUlT_T0_E_clISt17integral_constantIbLb1EESY_EEDaST_SU_EUlST_E0_NS1_11comp_targetILNS1_3genE9ELNS1_11target_archE1100ELNS1_3gpuE3ELNS1_3repE0EEENS1_30default_config_static_selectorELNS0_4arch9wavefront6targetE1EEEvT1_
                                        ; -- End function
	.section	.AMDGPU.csdata,"",@progbits
; Kernel info:
; codeLenInByte = 0
; NumSgprs: 6
; NumVgprs: 0
; NumAgprs: 0
; TotalNumVgprs: 0
; ScratchSize: 0
; MemoryBound: 0
; FloatMode: 240
; IeeeMode: 1
; LDSByteSize: 0 bytes/workgroup (compile time only)
; SGPRBlocks: 0
; VGPRBlocks: 0
; NumSGPRsForWavesPerEU: 6
; NumVGPRsForWavesPerEU: 1
; AccumOffset: 4
; Occupancy: 8
; WaveLimiterHint : 0
; COMPUTE_PGM_RSRC2:SCRATCH_EN: 0
; COMPUTE_PGM_RSRC2:USER_SGPR: 2
; COMPUTE_PGM_RSRC2:TRAP_HANDLER: 0
; COMPUTE_PGM_RSRC2:TGID_X_EN: 1
; COMPUTE_PGM_RSRC2:TGID_Y_EN: 0
; COMPUTE_PGM_RSRC2:TGID_Z_EN: 0
; COMPUTE_PGM_RSRC2:TIDIG_COMP_CNT: 0
; COMPUTE_PGM_RSRC3_GFX90A:ACCUM_OFFSET: 0
; COMPUTE_PGM_RSRC3_GFX90A:TG_SPLIT: 0
	.section	.text._ZN7rocprim17ROCPRIM_400000_NS6detail17trampoline_kernelINS0_14default_configENS1_20scan_config_selectorIN3c104HalfEEEZZNS1_9scan_implILNS1_25lookback_scan_determinismE0ELb0ELb0ES3_PKS6_PS6_S6_ZZZN2at6native31launch_logcumsumexp_cuda_kernelERKNSD_10TensorBaseESH_lENKUlvE_clEvENKUlvE3_clEvEUlS6_S6_E_S6_EEDaPvRmT3_T4_T5_mT6_P12ihipStream_tbENKUlT_T0_E_clISt17integral_constantIbLb1EESY_EEDaST_SU_EUlST_E0_NS1_11comp_targetILNS1_3genE8ELNS1_11target_archE1030ELNS1_3gpuE2ELNS1_3repE0EEENS1_30default_config_static_selectorELNS0_4arch9wavefront6targetE1EEEvT1_,"axG",@progbits,_ZN7rocprim17ROCPRIM_400000_NS6detail17trampoline_kernelINS0_14default_configENS1_20scan_config_selectorIN3c104HalfEEEZZNS1_9scan_implILNS1_25lookback_scan_determinismE0ELb0ELb0ES3_PKS6_PS6_S6_ZZZN2at6native31launch_logcumsumexp_cuda_kernelERKNSD_10TensorBaseESH_lENKUlvE_clEvENKUlvE3_clEvEUlS6_S6_E_S6_EEDaPvRmT3_T4_T5_mT6_P12ihipStream_tbENKUlT_T0_E_clISt17integral_constantIbLb1EESY_EEDaST_SU_EUlST_E0_NS1_11comp_targetILNS1_3genE8ELNS1_11target_archE1030ELNS1_3gpuE2ELNS1_3repE0EEENS1_30default_config_static_selectorELNS0_4arch9wavefront6targetE1EEEvT1_,comdat
	.globl	_ZN7rocprim17ROCPRIM_400000_NS6detail17trampoline_kernelINS0_14default_configENS1_20scan_config_selectorIN3c104HalfEEEZZNS1_9scan_implILNS1_25lookback_scan_determinismE0ELb0ELb0ES3_PKS6_PS6_S6_ZZZN2at6native31launch_logcumsumexp_cuda_kernelERKNSD_10TensorBaseESH_lENKUlvE_clEvENKUlvE3_clEvEUlS6_S6_E_S6_EEDaPvRmT3_T4_T5_mT6_P12ihipStream_tbENKUlT_T0_E_clISt17integral_constantIbLb1EESY_EEDaST_SU_EUlST_E0_NS1_11comp_targetILNS1_3genE8ELNS1_11target_archE1030ELNS1_3gpuE2ELNS1_3repE0EEENS1_30default_config_static_selectorELNS0_4arch9wavefront6targetE1EEEvT1_ ; -- Begin function _ZN7rocprim17ROCPRIM_400000_NS6detail17trampoline_kernelINS0_14default_configENS1_20scan_config_selectorIN3c104HalfEEEZZNS1_9scan_implILNS1_25lookback_scan_determinismE0ELb0ELb0ES3_PKS6_PS6_S6_ZZZN2at6native31launch_logcumsumexp_cuda_kernelERKNSD_10TensorBaseESH_lENKUlvE_clEvENKUlvE3_clEvEUlS6_S6_E_S6_EEDaPvRmT3_T4_T5_mT6_P12ihipStream_tbENKUlT_T0_E_clISt17integral_constantIbLb1EESY_EEDaST_SU_EUlST_E0_NS1_11comp_targetILNS1_3genE8ELNS1_11target_archE1030ELNS1_3gpuE2ELNS1_3repE0EEENS1_30default_config_static_selectorELNS0_4arch9wavefront6targetE1EEEvT1_
	.p2align	8
	.type	_ZN7rocprim17ROCPRIM_400000_NS6detail17trampoline_kernelINS0_14default_configENS1_20scan_config_selectorIN3c104HalfEEEZZNS1_9scan_implILNS1_25lookback_scan_determinismE0ELb0ELb0ES3_PKS6_PS6_S6_ZZZN2at6native31launch_logcumsumexp_cuda_kernelERKNSD_10TensorBaseESH_lENKUlvE_clEvENKUlvE3_clEvEUlS6_S6_E_S6_EEDaPvRmT3_T4_T5_mT6_P12ihipStream_tbENKUlT_T0_E_clISt17integral_constantIbLb1EESY_EEDaST_SU_EUlST_E0_NS1_11comp_targetILNS1_3genE8ELNS1_11target_archE1030ELNS1_3gpuE2ELNS1_3repE0EEENS1_30default_config_static_selectorELNS0_4arch9wavefront6targetE1EEEvT1_,@function
_ZN7rocprim17ROCPRIM_400000_NS6detail17trampoline_kernelINS0_14default_configENS1_20scan_config_selectorIN3c104HalfEEEZZNS1_9scan_implILNS1_25lookback_scan_determinismE0ELb0ELb0ES3_PKS6_PS6_S6_ZZZN2at6native31launch_logcumsumexp_cuda_kernelERKNSD_10TensorBaseESH_lENKUlvE_clEvENKUlvE3_clEvEUlS6_S6_E_S6_EEDaPvRmT3_T4_T5_mT6_P12ihipStream_tbENKUlT_T0_E_clISt17integral_constantIbLb1EESY_EEDaST_SU_EUlST_E0_NS1_11comp_targetILNS1_3genE8ELNS1_11target_archE1030ELNS1_3gpuE2ELNS1_3repE0EEENS1_30default_config_static_selectorELNS0_4arch9wavefront6targetE1EEEvT1_: ; @_ZN7rocprim17ROCPRIM_400000_NS6detail17trampoline_kernelINS0_14default_configENS1_20scan_config_selectorIN3c104HalfEEEZZNS1_9scan_implILNS1_25lookback_scan_determinismE0ELb0ELb0ES3_PKS6_PS6_S6_ZZZN2at6native31launch_logcumsumexp_cuda_kernelERKNSD_10TensorBaseESH_lENKUlvE_clEvENKUlvE3_clEvEUlS6_S6_E_S6_EEDaPvRmT3_T4_T5_mT6_P12ihipStream_tbENKUlT_T0_E_clISt17integral_constantIbLb1EESY_EEDaST_SU_EUlST_E0_NS1_11comp_targetILNS1_3genE8ELNS1_11target_archE1030ELNS1_3gpuE2ELNS1_3repE0EEENS1_30default_config_static_selectorELNS0_4arch9wavefront6targetE1EEEvT1_
; %bb.0:
	.section	.rodata,"a",@progbits
	.p2align	6, 0x0
	.amdhsa_kernel _ZN7rocprim17ROCPRIM_400000_NS6detail17trampoline_kernelINS0_14default_configENS1_20scan_config_selectorIN3c104HalfEEEZZNS1_9scan_implILNS1_25lookback_scan_determinismE0ELb0ELb0ES3_PKS6_PS6_S6_ZZZN2at6native31launch_logcumsumexp_cuda_kernelERKNSD_10TensorBaseESH_lENKUlvE_clEvENKUlvE3_clEvEUlS6_S6_E_S6_EEDaPvRmT3_T4_T5_mT6_P12ihipStream_tbENKUlT_T0_E_clISt17integral_constantIbLb1EESY_EEDaST_SU_EUlST_E0_NS1_11comp_targetILNS1_3genE8ELNS1_11target_archE1030ELNS1_3gpuE2ELNS1_3repE0EEENS1_30default_config_static_selectorELNS0_4arch9wavefront6targetE1EEEvT1_
		.amdhsa_group_segment_fixed_size 0
		.amdhsa_private_segment_fixed_size 0
		.amdhsa_kernarg_size 32
		.amdhsa_user_sgpr_count 2
		.amdhsa_user_sgpr_dispatch_ptr 0
		.amdhsa_user_sgpr_queue_ptr 0
		.amdhsa_user_sgpr_kernarg_segment_ptr 1
		.amdhsa_user_sgpr_dispatch_id 0
		.amdhsa_user_sgpr_kernarg_preload_length 0
		.amdhsa_user_sgpr_kernarg_preload_offset 0
		.amdhsa_user_sgpr_private_segment_size 0
		.amdhsa_uses_dynamic_stack 0
		.amdhsa_enable_private_segment 0
		.amdhsa_system_sgpr_workgroup_id_x 1
		.amdhsa_system_sgpr_workgroup_id_y 0
		.amdhsa_system_sgpr_workgroup_id_z 0
		.amdhsa_system_sgpr_workgroup_info 0
		.amdhsa_system_vgpr_workitem_id 0
		.amdhsa_next_free_vgpr 1
		.amdhsa_next_free_sgpr 0
		.amdhsa_accum_offset 4
		.amdhsa_reserve_vcc 0
		.amdhsa_float_round_mode_32 0
		.amdhsa_float_round_mode_16_64 0
		.amdhsa_float_denorm_mode_32 3
		.amdhsa_float_denorm_mode_16_64 3
		.amdhsa_dx10_clamp 1
		.amdhsa_ieee_mode 1
		.amdhsa_fp16_overflow 0
		.amdhsa_tg_split 0
		.amdhsa_exception_fp_ieee_invalid_op 0
		.amdhsa_exception_fp_denorm_src 0
		.amdhsa_exception_fp_ieee_div_zero 0
		.amdhsa_exception_fp_ieee_overflow 0
		.amdhsa_exception_fp_ieee_underflow 0
		.amdhsa_exception_fp_ieee_inexact 0
		.amdhsa_exception_int_div_zero 0
	.end_amdhsa_kernel
	.section	.text._ZN7rocprim17ROCPRIM_400000_NS6detail17trampoline_kernelINS0_14default_configENS1_20scan_config_selectorIN3c104HalfEEEZZNS1_9scan_implILNS1_25lookback_scan_determinismE0ELb0ELb0ES3_PKS6_PS6_S6_ZZZN2at6native31launch_logcumsumexp_cuda_kernelERKNSD_10TensorBaseESH_lENKUlvE_clEvENKUlvE3_clEvEUlS6_S6_E_S6_EEDaPvRmT3_T4_T5_mT6_P12ihipStream_tbENKUlT_T0_E_clISt17integral_constantIbLb1EESY_EEDaST_SU_EUlST_E0_NS1_11comp_targetILNS1_3genE8ELNS1_11target_archE1030ELNS1_3gpuE2ELNS1_3repE0EEENS1_30default_config_static_selectorELNS0_4arch9wavefront6targetE1EEEvT1_,"axG",@progbits,_ZN7rocprim17ROCPRIM_400000_NS6detail17trampoline_kernelINS0_14default_configENS1_20scan_config_selectorIN3c104HalfEEEZZNS1_9scan_implILNS1_25lookback_scan_determinismE0ELb0ELb0ES3_PKS6_PS6_S6_ZZZN2at6native31launch_logcumsumexp_cuda_kernelERKNSD_10TensorBaseESH_lENKUlvE_clEvENKUlvE3_clEvEUlS6_S6_E_S6_EEDaPvRmT3_T4_T5_mT6_P12ihipStream_tbENKUlT_T0_E_clISt17integral_constantIbLb1EESY_EEDaST_SU_EUlST_E0_NS1_11comp_targetILNS1_3genE8ELNS1_11target_archE1030ELNS1_3gpuE2ELNS1_3repE0EEENS1_30default_config_static_selectorELNS0_4arch9wavefront6targetE1EEEvT1_,comdat
.Lfunc_end405:
	.size	_ZN7rocprim17ROCPRIM_400000_NS6detail17trampoline_kernelINS0_14default_configENS1_20scan_config_selectorIN3c104HalfEEEZZNS1_9scan_implILNS1_25lookback_scan_determinismE0ELb0ELb0ES3_PKS6_PS6_S6_ZZZN2at6native31launch_logcumsumexp_cuda_kernelERKNSD_10TensorBaseESH_lENKUlvE_clEvENKUlvE3_clEvEUlS6_S6_E_S6_EEDaPvRmT3_T4_T5_mT6_P12ihipStream_tbENKUlT_T0_E_clISt17integral_constantIbLb1EESY_EEDaST_SU_EUlST_E0_NS1_11comp_targetILNS1_3genE8ELNS1_11target_archE1030ELNS1_3gpuE2ELNS1_3repE0EEENS1_30default_config_static_selectorELNS0_4arch9wavefront6targetE1EEEvT1_, .Lfunc_end405-_ZN7rocprim17ROCPRIM_400000_NS6detail17trampoline_kernelINS0_14default_configENS1_20scan_config_selectorIN3c104HalfEEEZZNS1_9scan_implILNS1_25lookback_scan_determinismE0ELb0ELb0ES3_PKS6_PS6_S6_ZZZN2at6native31launch_logcumsumexp_cuda_kernelERKNSD_10TensorBaseESH_lENKUlvE_clEvENKUlvE3_clEvEUlS6_S6_E_S6_EEDaPvRmT3_T4_T5_mT6_P12ihipStream_tbENKUlT_T0_E_clISt17integral_constantIbLb1EESY_EEDaST_SU_EUlST_E0_NS1_11comp_targetILNS1_3genE8ELNS1_11target_archE1030ELNS1_3gpuE2ELNS1_3repE0EEENS1_30default_config_static_selectorELNS0_4arch9wavefront6targetE1EEEvT1_
                                        ; -- End function
	.section	.AMDGPU.csdata,"",@progbits
; Kernel info:
; codeLenInByte = 0
; NumSgprs: 6
; NumVgprs: 0
; NumAgprs: 0
; TotalNumVgprs: 0
; ScratchSize: 0
; MemoryBound: 0
; FloatMode: 240
; IeeeMode: 1
; LDSByteSize: 0 bytes/workgroup (compile time only)
; SGPRBlocks: 0
; VGPRBlocks: 0
; NumSGPRsForWavesPerEU: 6
; NumVGPRsForWavesPerEU: 1
; AccumOffset: 4
; Occupancy: 8
; WaveLimiterHint : 0
; COMPUTE_PGM_RSRC2:SCRATCH_EN: 0
; COMPUTE_PGM_RSRC2:USER_SGPR: 2
; COMPUTE_PGM_RSRC2:TRAP_HANDLER: 0
; COMPUTE_PGM_RSRC2:TGID_X_EN: 1
; COMPUTE_PGM_RSRC2:TGID_Y_EN: 0
; COMPUTE_PGM_RSRC2:TGID_Z_EN: 0
; COMPUTE_PGM_RSRC2:TIDIG_COMP_CNT: 0
; COMPUTE_PGM_RSRC3_GFX90A:ACCUM_OFFSET: 0
; COMPUTE_PGM_RSRC3_GFX90A:TG_SPLIT: 0
	.section	.text._ZN7rocprim17ROCPRIM_400000_NS6detail31init_lookback_scan_state_kernelINS1_19lookback_scan_stateIN3c104HalfELb1ELb1EEENS1_16block_id_wrapperIjLb0EEEEEvT_jT0_jPNS9_10value_typeE,"axG",@progbits,_ZN7rocprim17ROCPRIM_400000_NS6detail31init_lookback_scan_state_kernelINS1_19lookback_scan_stateIN3c104HalfELb1ELb1EEENS1_16block_id_wrapperIjLb0EEEEEvT_jT0_jPNS9_10value_typeE,comdat
	.protected	_ZN7rocprim17ROCPRIM_400000_NS6detail31init_lookback_scan_state_kernelINS1_19lookback_scan_stateIN3c104HalfELb1ELb1EEENS1_16block_id_wrapperIjLb0EEEEEvT_jT0_jPNS9_10value_typeE ; -- Begin function _ZN7rocprim17ROCPRIM_400000_NS6detail31init_lookback_scan_state_kernelINS1_19lookback_scan_stateIN3c104HalfELb1ELb1EEENS1_16block_id_wrapperIjLb0EEEEEvT_jT0_jPNS9_10value_typeE
	.globl	_ZN7rocprim17ROCPRIM_400000_NS6detail31init_lookback_scan_state_kernelINS1_19lookback_scan_stateIN3c104HalfELb1ELb1EEENS1_16block_id_wrapperIjLb0EEEEEvT_jT0_jPNS9_10value_typeE
	.p2align	8
	.type	_ZN7rocprim17ROCPRIM_400000_NS6detail31init_lookback_scan_state_kernelINS1_19lookback_scan_stateIN3c104HalfELb1ELb1EEENS1_16block_id_wrapperIjLb0EEEEEvT_jT0_jPNS9_10value_typeE,@function
_ZN7rocprim17ROCPRIM_400000_NS6detail31init_lookback_scan_state_kernelINS1_19lookback_scan_stateIN3c104HalfELb1ELb1EEENS1_16block_id_wrapperIjLb0EEEEEvT_jT0_jPNS9_10value_typeE: ; @_ZN7rocprim17ROCPRIM_400000_NS6detail31init_lookback_scan_state_kernelINS1_19lookback_scan_stateIN3c104HalfELb1ELb1EEENS1_16block_id_wrapperIjLb0EEEEEvT_jT0_jPNS9_10value_typeE
; %bb.0:
	s_load_dword s3, s[0:1], 0x2c
	s_load_dwordx2 s[6:7], s[0:1], 0x18
	s_load_dwordx2 s[4:5], s[0:1], 0x0
	s_load_dword s8, s[0:1], 0x8
	s_waitcnt lgkmcnt(0)
	s_and_b32 s3, s3, 0xffff
	s_mul_i32 s2, s2, s3
	s_cmp_eq_u64 s[6:7], 0
	v_add_u32_e32 v0, s2, v0
	s_cbranch_scc1 .LBB406_9
; %bb.1:
	s_load_dword s2, s[0:1], 0x10
	s_mov_b32 s3, 0
	s_waitcnt lgkmcnt(0)
	s_cmp_lt_u32 s2, s8
	s_cselect_b32 s0, s2, 0
	v_cmp_eq_u32_e32 vcc, s0, v0
	s_and_saveexec_b64 s[0:1], vcc
	s_cbranch_execz .LBB406_8
; %bb.2:
	s_add_i32 s2, s2, 64
	s_lshl_b64 s[2:3], s[2:3], 2
	s_add_u32 s2, s4, s2
	s_addc_u32 s3, s5, s3
	v_mov_b32_e32 v1, 0
	global_load_dword v2, v1, s[2:3] sc1
	s_waitcnt vmcnt(0)
	v_and_b32_e32 v3, 0xff0000, v2
	v_cmp_ne_u32_e32 vcc, 0, v3
	s_cbranch_vccnz .LBB406_7
; %bb.3:
	s_mov_b32 s9, 1
.LBB406_4:                              ; =>This Loop Header: Depth=1
                                        ;     Child Loop BB406_5 Depth 2
	s_max_u32 s10, s9, 1
.LBB406_5:                              ;   Parent Loop BB406_4 Depth=1
                                        ; =>  This Inner Loop Header: Depth=2
	s_add_i32 s10, s10, -1
	s_cmp_eq_u32 s10, 0
	s_sleep 1
	s_cbranch_scc0 .LBB406_5
; %bb.6:                                ;   in Loop: Header=BB406_4 Depth=1
	global_load_dword v2, v1, s[2:3] sc1
	s_cmp_lt_u32 s9, 32
	s_cselect_b64 s[10:11], -1, 0
	s_cmp_lg_u64 s[10:11], 0
	s_addc_u32 s9, s9, 0
	s_waitcnt vmcnt(0)
	v_and_b32_e32 v3, 0xff0000, v2
	v_cmp_ne_u32_e32 vcc, 0, v3
	s_cbranch_vccz .LBB406_4
.LBB406_7:
	v_mov_b32_e32 v1, 0
	global_store_short v1, v2, s[6:7]
.LBB406_8:
	s_or_b64 exec, exec, s[0:1]
.LBB406_9:
	v_cmp_gt_u32_e32 vcc, s8, v0
	s_and_saveexec_b64 s[0:1], vcc
	s_cbranch_execnz .LBB406_12
; %bb.10:
	s_or_b64 exec, exec, s[0:1]
	v_cmp_gt_u32_e32 vcc, 64, v0
	s_and_saveexec_b64 s[0:1], vcc
	s_cbranch_execnz .LBB406_13
.LBB406_11:
	s_endpgm
.LBB406_12:
	v_add_u32_e32 v2, 64, v0
	v_mov_b32_e32 v3, 0
	v_lshl_add_u64 v[4:5], v[2:3], 2, s[4:5]
	global_store_dword v[4:5], v3, off
	s_or_b64 exec, exec, s[0:1]
	v_cmp_gt_u32_e32 vcc, 64, v0
	s_and_saveexec_b64 s[0:1], vcc
	s_cbranch_execz .LBB406_11
.LBB406_13:
	v_mov_b32_e32 v1, 0
	v_lshl_add_u64 v[0:1], v[0:1], 2, s[4:5]
	v_mov_b32_e32 v2, 0xff0000
	global_store_dword v[0:1], v2, off
	s_endpgm
	.section	.rodata,"a",@progbits
	.p2align	6, 0x0
	.amdhsa_kernel _ZN7rocprim17ROCPRIM_400000_NS6detail31init_lookback_scan_state_kernelINS1_19lookback_scan_stateIN3c104HalfELb1ELb1EEENS1_16block_id_wrapperIjLb0EEEEEvT_jT0_jPNS9_10value_typeE
		.amdhsa_group_segment_fixed_size 0
		.amdhsa_private_segment_fixed_size 0
		.amdhsa_kernarg_size 288
		.amdhsa_user_sgpr_count 2
		.amdhsa_user_sgpr_dispatch_ptr 0
		.amdhsa_user_sgpr_queue_ptr 0
		.amdhsa_user_sgpr_kernarg_segment_ptr 1
		.amdhsa_user_sgpr_dispatch_id 0
		.amdhsa_user_sgpr_kernarg_preload_length 0
		.amdhsa_user_sgpr_kernarg_preload_offset 0
		.amdhsa_user_sgpr_private_segment_size 0
		.amdhsa_uses_dynamic_stack 0
		.amdhsa_enable_private_segment 0
		.amdhsa_system_sgpr_workgroup_id_x 1
		.amdhsa_system_sgpr_workgroup_id_y 0
		.amdhsa_system_sgpr_workgroup_id_z 0
		.amdhsa_system_sgpr_workgroup_info 0
		.amdhsa_system_vgpr_workitem_id 0
		.amdhsa_next_free_vgpr 6
		.amdhsa_next_free_sgpr 12
		.amdhsa_accum_offset 8
		.amdhsa_reserve_vcc 1
		.amdhsa_float_round_mode_32 0
		.amdhsa_float_round_mode_16_64 0
		.amdhsa_float_denorm_mode_32 3
		.amdhsa_float_denorm_mode_16_64 3
		.amdhsa_dx10_clamp 1
		.amdhsa_ieee_mode 1
		.amdhsa_fp16_overflow 0
		.amdhsa_tg_split 0
		.amdhsa_exception_fp_ieee_invalid_op 0
		.amdhsa_exception_fp_denorm_src 0
		.amdhsa_exception_fp_ieee_div_zero 0
		.amdhsa_exception_fp_ieee_overflow 0
		.amdhsa_exception_fp_ieee_underflow 0
		.amdhsa_exception_fp_ieee_inexact 0
		.amdhsa_exception_int_div_zero 0
	.end_amdhsa_kernel
	.section	.text._ZN7rocprim17ROCPRIM_400000_NS6detail31init_lookback_scan_state_kernelINS1_19lookback_scan_stateIN3c104HalfELb1ELb1EEENS1_16block_id_wrapperIjLb0EEEEEvT_jT0_jPNS9_10value_typeE,"axG",@progbits,_ZN7rocprim17ROCPRIM_400000_NS6detail31init_lookback_scan_state_kernelINS1_19lookback_scan_stateIN3c104HalfELb1ELb1EEENS1_16block_id_wrapperIjLb0EEEEEvT_jT0_jPNS9_10value_typeE,comdat
.Lfunc_end406:
	.size	_ZN7rocprim17ROCPRIM_400000_NS6detail31init_lookback_scan_state_kernelINS1_19lookback_scan_stateIN3c104HalfELb1ELb1EEENS1_16block_id_wrapperIjLb0EEEEEvT_jT0_jPNS9_10value_typeE, .Lfunc_end406-_ZN7rocprim17ROCPRIM_400000_NS6detail31init_lookback_scan_state_kernelINS1_19lookback_scan_stateIN3c104HalfELb1ELb1EEENS1_16block_id_wrapperIjLb0EEEEEvT_jT0_jPNS9_10value_typeE
                                        ; -- End function
	.section	.AMDGPU.csdata,"",@progbits
; Kernel info:
; codeLenInByte = 332
; NumSgprs: 18
; NumVgprs: 6
; NumAgprs: 0
; TotalNumVgprs: 6
; ScratchSize: 0
; MemoryBound: 0
; FloatMode: 240
; IeeeMode: 1
; LDSByteSize: 0 bytes/workgroup (compile time only)
; SGPRBlocks: 2
; VGPRBlocks: 0
; NumSGPRsForWavesPerEU: 18
; NumVGPRsForWavesPerEU: 6
; AccumOffset: 8
; Occupancy: 8
; WaveLimiterHint : 0
; COMPUTE_PGM_RSRC2:SCRATCH_EN: 0
; COMPUTE_PGM_RSRC2:USER_SGPR: 2
; COMPUTE_PGM_RSRC2:TRAP_HANDLER: 0
; COMPUTE_PGM_RSRC2:TGID_X_EN: 1
; COMPUTE_PGM_RSRC2:TGID_Y_EN: 0
; COMPUTE_PGM_RSRC2:TGID_Z_EN: 0
; COMPUTE_PGM_RSRC2:TIDIG_COMP_CNT: 0
; COMPUTE_PGM_RSRC3_GFX90A:ACCUM_OFFSET: 1
; COMPUTE_PGM_RSRC3_GFX90A:TG_SPLIT: 0
	.section	.text._ZN7rocprim17ROCPRIM_400000_NS6detail17trampoline_kernelINS0_14default_configENS1_20scan_config_selectorIN3c104HalfEEEZZNS1_9scan_implILNS1_25lookback_scan_determinismE0ELb0ELb0ES3_PKS6_PS6_S6_ZZZN2at6native31launch_logcumsumexp_cuda_kernelERKNSD_10TensorBaseESH_lENKUlvE_clEvENKUlvE3_clEvEUlS6_S6_E_S6_EEDaPvRmT3_T4_T5_mT6_P12ihipStream_tbENKUlT_T0_E_clISt17integral_constantIbLb1EESX_IbLb0EEEEDaST_SU_EUlST_E_NS1_11comp_targetILNS1_3genE0ELNS1_11target_archE4294967295ELNS1_3gpuE0ELNS1_3repE0EEENS1_30default_config_static_selectorELNS0_4arch9wavefront6targetE1EEEvT1_,"axG",@progbits,_ZN7rocprim17ROCPRIM_400000_NS6detail17trampoline_kernelINS0_14default_configENS1_20scan_config_selectorIN3c104HalfEEEZZNS1_9scan_implILNS1_25lookback_scan_determinismE0ELb0ELb0ES3_PKS6_PS6_S6_ZZZN2at6native31launch_logcumsumexp_cuda_kernelERKNSD_10TensorBaseESH_lENKUlvE_clEvENKUlvE3_clEvEUlS6_S6_E_S6_EEDaPvRmT3_T4_T5_mT6_P12ihipStream_tbENKUlT_T0_E_clISt17integral_constantIbLb1EESX_IbLb0EEEEDaST_SU_EUlST_E_NS1_11comp_targetILNS1_3genE0ELNS1_11target_archE4294967295ELNS1_3gpuE0ELNS1_3repE0EEENS1_30default_config_static_selectorELNS0_4arch9wavefront6targetE1EEEvT1_,comdat
	.globl	_ZN7rocprim17ROCPRIM_400000_NS6detail17trampoline_kernelINS0_14default_configENS1_20scan_config_selectorIN3c104HalfEEEZZNS1_9scan_implILNS1_25lookback_scan_determinismE0ELb0ELb0ES3_PKS6_PS6_S6_ZZZN2at6native31launch_logcumsumexp_cuda_kernelERKNSD_10TensorBaseESH_lENKUlvE_clEvENKUlvE3_clEvEUlS6_S6_E_S6_EEDaPvRmT3_T4_T5_mT6_P12ihipStream_tbENKUlT_T0_E_clISt17integral_constantIbLb1EESX_IbLb0EEEEDaST_SU_EUlST_E_NS1_11comp_targetILNS1_3genE0ELNS1_11target_archE4294967295ELNS1_3gpuE0ELNS1_3repE0EEENS1_30default_config_static_selectorELNS0_4arch9wavefront6targetE1EEEvT1_ ; -- Begin function _ZN7rocprim17ROCPRIM_400000_NS6detail17trampoline_kernelINS0_14default_configENS1_20scan_config_selectorIN3c104HalfEEEZZNS1_9scan_implILNS1_25lookback_scan_determinismE0ELb0ELb0ES3_PKS6_PS6_S6_ZZZN2at6native31launch_logcumsumexp_cuda_kernelERKNSD_10TensorBaseESH_lENKUlvE_clEvENKUlvE3_clEvEUlS6_S6_E_S6_EEDaPvRmT3_T4_T5_mT6_P12ihipStream_tbENKUlT_T0_E_clISt17integral_constantIbLb1EESX_IbLb0EEEEDaST_SU_EUlST_E_NS1_11comp_targetILNS1_3genE0ELNS1_11target_archE4294967295ELNS1_3gpuE0ELNS1_3repE0EEENS1_30default_config_static_selectorELNS0_4arch9wavefront6targetE1EEEvT1_
	.p2align	8
	.type	_ZN7rocprim17ROCPRIM_400000_NS6detail17trampoline_kernelINS0_14default_configENS1_20scan_config_selectorIN3c104HalfEEEZZNS1_9scan_implILNS1_25lookback_scan_determinismE0ELb0ELb0ES3_PKS6_PS6_S6_ZZZN2at6native31launch_logcumsumexp_cuda_kernelERKNSD_10TensorBaseESH_lENKUlvE_clEvENKUlvE3_clEvEUlS6_S6_E_S6_EEDaPvRmT3_T4_T5_mT6_P12ihipStream_tbENKUlT_T0_E_clISt17integral_constantIbLb1EESX_IbLb0EEEEDaST_SU_EUlST_E_NS1_11comp_targetILNS1_3genE0ELNS1_11target_archE4294967295ELNS1_3gpuE0ELNS1_3repE0EEENS1_30default_config_static_selectorELNS0_4arch9wavefront6targetE1EEEvT1_,@function
_ZN7rocprim17ROCPRIM_400000_NS6detail17trampoline_kernelINS0_14default_configENS1_20scan_config_selectorIN3c104HalfEEEZZNS1_9scan_implILNS1_25lookback_scan_determinismE0ELb0ELb0ES3_PKS6_PS6_S6_ZZZN2at6native31launch_logcumsumexp_cuda_kernelERKNSD_10TensorBaseESH_lENKUlvE_clEvENKUlvE3_clEvEUlS6_S6_E_S6_EEDaPvRmT3_T4_T5_mT6_P12ihipStream_tbENKUlT_T0_E_clISt17integral_constantIbLb1EESX_IbLb0EEEEDaST_SU_EUlST_E_NS1_11comp_targetILNS1_3genE0ELNS1_11target_archE4294967295ELNS1_3gpuE0ELNS1_3repE0EEENS1_30default_config_static_selectorELNS0_4arch9wavefront6targetE1EEEvT1_: ; @_ZN7rocprim17ROCPRIM_400000_NS6detail17trampoline_kernelINS0_14default_configENS1_20scan_config_selectorIN3c104HalfEEEZZNS1_9scan_implILNS1_25lookback_scan_determinismE0ELb0ELb0ES3_PKS6_PS6_S6_ZZZN2at6native31launch_logcumsumexp_cuda_kernelERKNSD_10TensorBaseESH_lENKUlvE_clEvENKUlvE3_clEvEUlS6_S6_E_S6_EEDaPvRmT3_T4_T5_mT6_P12ihipStream_tbENKUlT_T0_E_clISt17integral_constantIbLb1EESX_IbLb0EEEEDaST_SU_EUlST_E_NS1_11comp_targetILNS1_3genE0ELNS1_11target_archE4294967295ELNS1_3gpuE0ELNS1_3repE0EEENS1_30default_config_static_selectorELNS0_4arch9wavefront6targetE1EEEvT1_
; %bb.0:
	.section	.rodata,"a",@progbits
	.p2align	6, 0x0
	.amdhsa_kernel _ZN7rocprim17ROCPRIM_400000_NS6detail17trampoline_kernelINS0_14default_configENS1_20scan_config_selectorIN3c104HalfEEEZZNS1_9scan_implILNS1_25lookback_scan_determinismE0ELb0ELb0ES3_PKS6_PS6_S6_ZZZN2at6native31launch_logcumsumexp_cuda_kernelERKNSD_10TensorBaseESH_lENKUlvE_clEvENKUlvE3_clEvEUlS6_S6_E_S6_EEDaPvRmT3_T4_T5_mT6_P12ihipStream_tbENKUlT_T0_E_clISt17integral_constantIbLb1EESX_IbLb0EEEEDaST_SU_EUlST_E_NS1_11comp_targetILNS1_3genE0ELNS1_11target_archE4294967295ELNS1_3gpuE0ELNS1_3repE0EEENS1_30default_config_static_selectorELNS0_4arch9wavefront6targetE1EEEvT1_
		.amdhsa_group_segment_fixed_size 0
		.amdhsa_private_segment_fixed_size 0
		.amdhsa_kernarg_size 96
		.amdhsa_user_sgpr_count 2
		.amdhsa_user_sgpr_dispatch_ptr 0
		.amdhsa_user_sgpr_queue_ptr 0
		.amdhsa_user_sgpr_kernarg_segment_ptr 1
		.amdhsa_user_sgpr_dispatch_id 0
		.amdhsa_user_sgpr_kernarg_preload_length 0
		.amdhsa_user_sgpr_kernarg_preload_offset 0
		.amdhsa_user_sgpr_private_segment_size 0
		.amdhsa_uses_dynamic_stack 0
		.amdhsa_enable_private_segment 0
		.amdhsa_system_sgpr_workgroup_id_x 1
		.amdhsa_system_sgpr_workgroup_id_y 0
		.amdhsa_system_sgpr_workgroup_id_z 0
		.amdhsa_system_sgpr_workgroup_info 0
		.amdhsa_system_vgpr_workitem_id 0
		.amdhsa_next_free_vgpr 1
		.amdhsa_next_free_sgpr 0
		.amdhsa_accum_offset 4
		.amdhsa_reserve_vcc 0
		.amdhsa_float_round_mode_32 0
		.amdhsa_float_round_mode_16_64 0
		.amdhsa_float_denorm_mode_32 3
		.amdhsa_float_denorm_mode_16_64 3
		.amdhsa_dx10_clamp 1
		.amdhsa_ieee_mode 1
		.amdhsa_fp16_overflow 0
		.amdhsa_tg_split 0
		.amdhsa_exception_fp_ieee_invalid_op 0
		.amdhsa_exception_fp_denorm_src 0
		.amdhsa_exception_fp_ieee_div_zero 0
		.amdhsa_exception_fp_ieee_overflow 0
		.amdhsa_exception_fp_ieee_underflow 0
		.amdhsa_exception_fp_ieee_inexact 0
		.amdhsa_exception_int_div_zero 0
	.end_amdhsa_kernel
	.section	.text._ZN7rocprim17ROCPRIM_400000_NS6detail17trampoline_kernelINS0_14default_configENS1_20scan_config_selectorIN3c104HalfEEEZZNS1_9scan_implILNS1_25lookback_scan_determinismE0ELb0ELb0ES3_PKS6_PS6_S6_ZZZN2at6native31launch_logcumsumexp_cuda_kernelERKNSD_10TensorBaseESH_lENKUlvE_clEvENKUlvE3_clEvEUlS6_S6_E_S6_EEDaPvRmT3_T4_T5_mT6_P12ihipStream_tbENKUlT_T0_E_clISt17integral_constantIbLb1EESX_IbLb0EEEEDaST_SU_EUlST_E_NS1_11comp_targetILNS1_3genE0ELNS1_11target_archE4294967295ELNS1_3gpuE0ELNS1_3repE0EEENS1_30default_config_static_selectorELNS0_4arch9wavefront6targetE1EEEvT1_,"axG",@progbits,_ZN7rocprim17ROCPRIM_400000_NS6detail17trampoline_kernelINS0_14default_configENS1_20scan_config_selectorIN3c104HalfEEEZZNS1_9scan_implILNS1_25lookback_scan_determinismE0ELb0ELb0ES3_PKS6_PS6_S6_ZZZN2at6native31launch_logcumsumexp_cuda_kernelERKNSD_10TensorBaseESH_lENKUlvE_clEvENKUlvE3_clEvEUlS6_S6_E_S6_EEDaPvRmT3_T4_T5_mT6_P12ihipStream_tbENKUlT_T0_E_clISt17integral_constantIbLb1EESX_IbLb0EEEEDaST_SU_EUlST_E_NS1_11comp_targetILNS1_3genE0ELNS1_11target_archE4294967295ELNS1_3gpuE0ELNS1_3repE0EEENS1_30default_config_static_selectorELNS0_4arch9wavefront6targetE1EEEvT1_,comdat
.Lfunc_end407:
	.size	_ZN7rocprim17ROCPRIM_400000_NS6detail17trampoline_kernelINS0_14default_configENS1_20scan_config_selectorIN3c104HalfEEEZZNS1_9scan_implILNS1_25lookback_scan_determinismE0ELb0ELb0ES3_PKS6_PS6_S6_ZZZN2at6native31launch_logcumsumexp_cuda_kernelERKNSD_10TensorBaseESH_lENKUlvE_clEvENKUlvE3_clEvEUlS6_S6_E_S6_EEDaPvRmT3_T4_T5_mT6_P12ihipStream_tbENKUlT_T0_E_clISt17integral_constantIbLb1EESX_IbLb0EEEEDaST_SU_EUlST_E_NS1_11comp_targetILNS1_3genE0ELNS1_11target_archE4294967295ELNS1_3gpuE0ELNS1_3repE0EEENS1_30default_config_static_selectorELNS0_4arch9wavefront6targetE1EEEvT1_, .Lfunc_end407-_ZN7rocprim17ROCPRIM_400000_NS6detail17trampoline_kernelINS0_14default_configENS1_20scan_config_selectorIN3c104HalfEEEZZNS1_9scan_implILNS1_25lookback_scan_determinismE0ELb0ELb0ES3_PKS6_PS6_S6_ZZZN2at6native31launch_logcumsumexp_cuda_kernelERKNSD_10TensorBaseESH_lENKUlvE_clEvENKUlvE3_clEvEUlS6_S6_E_S6_EEDaPvRmT3_T4_T5_mT6_P12ihipStream_tbENKUlT_T0_E_clISt17integral_constantIbLb1EESX_IbLb0EEEEDaST_SU_EUlST_E_NS1_11comp_targetILNS1_3genE0ELNS1_11target_archE4294967295ELNS1_3gpuE0ELNS1_3repE0EEENS1_30default_config_static_selectorELNS0_4arch9wavefront6targetE1EEEvT1_
                                        ; -- End function
	.section	.AMDGPU.csdata,"",@progbits
; Kernel info:
; codeLenInByte = 0
; NumSgprs: 6
; NumVgprs: 0
; NumAgprs: 0
; TotalNumVgprs: 0
; ScratchSize: 0
; MemoryBound: 0
; FloatMode: 240
; IeeeMode: 1
; LDSByteSize: 0 bytes/workgroup (compile time only)
; SGPRBlocks: 0
; VGPRBlocks: 0
; NumSGPRsForWavesPerEU: 6
; NumVGPRsForWavesPerEU: 1
; AccumOffset: 4
; Occupancy: 8
; WaveLimiterHint : 0
; COMPUTE_PGM_RSRC2:SCRATCH_EN: 0
; COMPUTE_PGM_RSRC2:USER_SGPR: 2
; COMPUTE_PGM_RSRC2:TRAP_HANDLER: 0
; COMPUTE_PGM_RSRC2:TGID_X_EN: 1
; COMPUTE_PGM_RSRC2:TGID_Y_EN: 0
; COMPUTE_PGM_RSRC2:TGID_Z_EN: 0
; COMPUTE_PGM_RSRC2:TIDIG_COMP_CNT: 0
; COMPUTE_PGM_RSRC3_GFX90A:ACCUM_OFFSET: 0
; COMPUTE_PGM_RSRC3_GFX90A:TG_SPLIT: 0
	.text
	.p2align	2                               ; -- Begin function _ZZZN7rocprim17ROCPRIM_400000_NS6detail9scan_implILNS1_25lookback_scan_determinismE0ELb0ELb0ENS0_14default_configEPKN3c104HalfEPS6_S6_ZZZN2at6native31launch_logcumsumexp_cuda_kernelERKNSA_10TensorBaseESE_lENKUlvE_clEvENKUlvE3_clEvEUlS6_S6_E_S6_EEDaPvRmT3_T4_T5_mT6_P12ihipStream_tbENKUlT_T0_E_clISt17integral_constantIbLb1EESU_IbLb0EEEEDaSQ_SR_ENKUlSQ_E_clINS1_13target_configIS4_NS1_20scan_config_selectorIS6_EENS1_11comp_targetILNS1_3genE5ELNS1_11target_archE942ELNS1_3gpuE9ELNS1_3repE0EEELNS0_4arch9wavefront6targetE1EEEEEDaSQ_
	.type	_ZZZN7rocprim17ROCPRIM_400000_NS6detail9scan_implILNS1_25lookback_scan_determinismE0ELb0ELb0ENS0_14default_configEPKN3c104HalfEPS6_S6_ZZZN2at6native31launch_logcumsumexp_cuda_kernelERKNSA_10TensorBaseESE_lENKUlvE_clEvENKUlvE3_clEvEUlS6_S6_E_S6_EEDaPvRmT3_T4_T5_mT6_P12ihipStream_tbENKUlT_T0_E_clISt17integral_constantIbLb1EESU_IbLb0EEEEDaSQ_SR_ENKUlSQ_E_clINS1_13target_configIS4_NS1_20scan_config_selectorIS6_EENS1_11comp_targetILNS1_3genE5ELNS1_11target_archE942ELNS1_3gpuE9ELNS1_3repE0EEELNS0_4arch9wavefront6targetE1EEEEEDaSQ_,@function
_ZZZN7rocprim17ROCPRIM_400000_NS6detail9scan_implILNS1_25lookback_scan_determinismE0ELb0ELb0ENS0_14default_configEPKN3c104HalfEPS6_S6_ZZZN2at6native31launch_logcumsumexp_cuda_kernelERKNSA_10TensorBaseESE_lENKUlvE_clEvENKUlvE3_clEvEUlS6_S6_E_S6_EEDaPvRmT3_T4_T5_mT6_P12ihipStream_tbENKUlT_T0_E_clISt17integral_constantIbLb1EESU_IbLb0EEEEDaSQ_SR_ENKUlSQ_E_clINS1_13target_configIS4_NS1_20scan_config_selectorIS6_EENS1_11comp_targetILNS1_3genE5ELNS1_11target_archE942ELNS1_3gpuE9ELNS1_3repE0EEELNS0_4arch9wavefront6targetE1EEEEEDaSQ_: ; @_ZZZN7rocprim17ROCPRIM_400000_NS6detail9scan_implILNS1_25lookback_scan_determinismE0ELb0ELb0ENS0_14default_configEPKN3c104HalfEPS6_S6_ZZZN2at6native31launch_logcumsumexp_cuda_kernelERKNSA_10TensorBaseESE_lENKUlvE_clEvENKUlvE3_clEvEUlS6_S6_E_S6_EEDaPvRmT3_T4_T5_mT6_P12ihipStream_tbENKUlT_T0_E_clISt17integral_constantIbLb1EESU_IbLb0EEEEDaSQ_SR_ENKUlSQ_E_clINS1_13target_configIS4_NS1_20scan_config_selectorIS6_EENS1_11comp_targetILNS1_3genE5ELNS1_11target_archE942ELNS1_3gpuE9ELNS1_3repE0EEELNS0_4arch9wavefront6targetE1EEEEEDaSQ_
; %bb.0:
	s_waitcnt vmcnt(0) expcnt(0) lgkmcnt(0)
	s_or_saveexec_b64 s[0:1], -1
	scratch_store_dword off, v40, s32       ; 4-byte Folded Spill
	s_mov_b64 exec, s[0:1]
	v_writelane_b32 v40, s30, 0
	s_nop 1
	v_writelane_b32 v40, s31, 1
	flat_load_dwordx4 v[10:13], v[0:1]
	flat_load_dwordx3 v[28:30], v[0:1] offset:40
	flat_load_dwordx4 v[14:17], v[0:1] offset:16
	flat_load_dwordx4 v[2:5], v[0:1] offset:56
	;; [unrolled: 1-line block ×3, first 2 shown]
	s_movk_i32 s0, 0x1800
	s_mov_b32 s59, 0
	v_and_b32_e32 v0, 0x3ff, v31
	s_mul_i32 s58, s12, 0x1800
	s_waitcnt vmcnt(0) lgkmcnt(0)
	v_lshl_add_u64 v[10:11], v[12:13], 1, v[10:11]
	v_add_u32_e32 v1, -1, v30
	v_mul_lo_u32 v20, v1, s0
	v_sub_co_u32_e32 v30, vcc, v16, v20
	v_cmp_ne_u32_e64 s[0:1], s12, v1
	v_lshl_add_u64 v[18:19], s[58:59], 1, v[10:11]
	v_subbrev_co_u32_e32 v31, vcc, 0, v17, vcc
	v_lshlrev_b32_e32 v10, 1, v0
	s_and_saveexec_b64 s[2:3], s[0:1]
	s_xor_b64 s[2:3], exec, s[2:3]
	s_cbranch_execz .LBB408_2
; %bb.1:
	v_mov_b32_e32 v11, 0
	v_lshl_add_u64 v[16:17], v[18:19], 0, v[10:11]
	v_add_co_u32_e32 v18, vcc, 0x1000, v16
	flat_load_ushort v1, v[16:17]
	flat_load_ushort v11, v[16:17] offset:512
	flat_load_ushort v20, v[16:17] offset:1024
	flat_load_ushort v21, v[16:17] offset:1536
	flat_load_ushort v22, v[16:17] offset:2048
	flat_load_ushort v23, v[16:17] offset:2560
	flat_load_ushort v24, v[16:17] offset:3072
	flat_load_ushort v25, v[16:17] offset:3584
	v_addc_co_u32_e32 v19, vcc, 0, v17, vcc
	v_add_co_u32_e32 v16, vcc, 0x2000, v16
	flat_load_ushort v26, v[18:19]
	flat_load_ushort v27, v[18:19] offset:512
	flat_load_ushort v32, v[18:19] offset:1024
	;; [unrolled: 1-line block ×7, first 2 shown]
	v_addc_co_u32_e32 v17, vcc, 0, v17, vcc
	flat_load_ushort v18, v[16:17]
	flat_load_ushort v19, v[16:17] offset:512
	flat_load_ushort v38, v[16:17] offset:1024
	;; [unrolled: 1-line block ×7, first 2 shown]
	s_waitcnt vmcnt(0) lgkmcnt(0)
	ds_write_b16 v10, v1
	ds_write_b16 v10, v11 offset:512
	ds_write_b16 v10, v20 offset:1024
	;; [unrolled: 1-line block ×23, first 2 shown]
	s_waitcnt lgkmcnt(0)
	s_barrier
                                        ; implicit-def: $vgpr18_vgpr19
.LBB408_2:
	s_andn2_saveexec_b64 s[2:3], s[2:3]
	s_cbranch_execz .LBB408_52
; %bb.3:
	flat_load_ushort v1, v[18:19]
	v_cmp_lt_u32_e32 vcc, v0, v30
	s_waitcnt vmcnt(0) lgkmcnt(0)
	v_mov_b32_e32 v16, v1
	s_and_saveexec_b64 s[4:5], vcc
	s_cbranch_execz .LBB408_5
; %bb.4:
	v_mov_b32_e32 v11, 0
	v_lshl_add_u64 v[16:17], v[18:19], 0, v[10:11]
	flat_load_ushort v16, v[16:17]
.LBB408_5:
	s_or_b64 exec, exec, s[4:5]
	v_add_u32_e32 v11, 0x100, v0
	v_cmp_lt_u32_e32 vcc, v11, v30
	v_mov_b32_e32 v17, v1
	s_and_saveexec_b64 s[4:5], vcc
	s_cbranch_execz .LBB408_7
; %bb.6:
	v_mov_b32_e32 v11, 0
	v_lshl_add_u64 v[20:21], v[18:19], 0, v[10:11]
	flat_load_ushort v17, v[20:21] offset:512
.LBB408_7:
	s_or_b64 exec, exec, s[4:5]
	v_add_u32_e32 v11, 0x200, v0
	v_cmp_lt_u32_e32 vcc, v11, v30
	v_mov_b32_e32 v20, v1
	s_and_saveexec_b64 s[4:5], vcc
	s_cbranch_execz .LBB408_9
; %bb.8:
	v_mov_b32_e32 v11, 0
	v_lshl_add_u64 v[20:21], v[18:19], 0, v[10:11]
	flat_load_ushort v20, v[20:21] offset:1024
.LBB408_9:
	;; [unrolled: 11-line block ×3, first 2 shown]
	s_or_b64 exec, exec, s[4:5]
	v_or_b32_e32 v11, 0x400, v0
	v_cmp_lt_u32_e32 vcc, v11, v30
	v_mov_b32_e32 v22, v1
	s_and_saveexec_b64 s[4:5], vcc
	s_cbranch_execz .LBB408_13
; %bb.12:
	v_mov_b32_e32 v11, 0
	v_lshl_add_u64 v[22:23], v[18:19], 0, v[10:11]
	flat_load_ushort v22, v[22:23] offset:2048
.LBB408_13:
	s_or_b64 exec, exec, s[4:5]
	v_add_u32_e32 v11, 0x500, v0
	v_cmp_lt_u32_e32 vcc, v11, v30
	v_mov_b32_e32 v23, v1
	s_and_saveexec_b64 s[4:5], vcc
	s_cbranch_execz .LBB408_15
; %bb.14:
	v_mov_b32_e32 v11, 0
	v_lshl_add_u64 v[24:25], v[18:19], 0, v[10:11]
	flat_load_ushort v23, v[24:25] offset:2560
.LBB408_15:
	s_or_b64 exec, exec, s[4:5]
	v_add_u32_e32 v11, 0x600, v0
	;; [unrolled: 11-line block ×3, first 2 shown]
	v_cmp_lt_u32_e32 vcc, v11, v30
	v_mov_b32_e32 v11, v1
	s_and_saveexec_b64 s[4:5], vcc
	s_cbranch_execz .LBB408_19
; %bb.18:
	v_mov_b32_e32 v11, 0
	v_lshl_add_u64 v[26:27], v[18:19], 0, v[10:11]
	flat_load_ushort v11, v[26:27] offset:3584
.LBB408_19:
	s_or_b64 exec, exec, s[4:5]
	v_or_b32_e32 v26, 0x800, v0
	v_cmp_lt_u32_e32 vcc, v26, v30
	v_mov_b32_e32 v25, v1
	s_and_saveexec_b64 s[4:5], vcc
	s_cbranch_execz .LBB408_21
; %bb.20:
	v_lshlrev_b32_e32 v26, 1, v26
	v_mov_b32_e32 v27, 0
	v_lshl_add_u64 v[26:27], v[18:19], 0, v[26:27]
	flat_load_ushort v25, v[26:27]
.LBB408_21:
	s_or_b64 exec, exec, s[4:5]
	v_add_u32_e32 v27, 0x900, v0
	v_cmp_lt_u32_e32 vcc, v27, v30
	v_mov_b32_e32 v26, v1
	s_and_saveexec_b64 s[4:5], vcc
	s_cbranch_execz .LBB408_23
; %bb.22:
	v_lshlrev_b32_e32 v26, 1, v27
	v_mov_b32_e32 v27, 0
	v_lshl_add_u64 v[26:27], v[18:19], 0, v[26:27]
	flat_load_ushort v26, v[26:27]
.LBB408_23:
	s_or_b64 exec, exec, s[4:5]
	v_add_u32_e32 v32, 0xa00, v0
	v_cmp_lt_u32_e32 vcc, v32, v30
	v_mov_b32_e32 v27, v1
	s_and_saveexec_b64 s[4:5], vcc
	s_cbranch_execz .LBB408_25
; %bb.24:
	v_lshlrev_b32_e32 v32, 1, v32
	v_mov_b32_e32 v33, 0
	v_lshl_add_u64 v[32:33], v[18:19], 0, v[32:33]
	flat_load_ushort v27, v[32:33]
.LBB408_25:
	s_or_b64 exec, exec, s[4:5]
	v_add_u32_e32 v33, 0xb00, v0
	v_cmp_lt_u32_e32 vcc, v33, v30
	v_mov_b32_e32 v32, v1
	s_and_saveexec_b64 s[4:5], vcc
	s_cbranch_execz .LBB408_27
; %bb.26:
	v_lshlrev_b32_e32 v32, 1, v33
	v_mov_b32_e32 v33, 0
	v_lshl_add_u64 v[32:33], v[18:19], 0, v[32:33]
	flat_load_ushort v32, v[32:33]
.LBB408_27:
	s_or_b64 exec, exec, s[4:5]
	v_or_b32_e32 v34, 0xc00, v0
	v_cmp_lt_u32_e32 vcc, v34, v30
	v_mov_b32_e32 v33, v1
	s_and_saveexec_b64 s[4:5], vcc
	s_cbranch_execz .LBB408_29
; %bb.28:
	v_lshlrev_b32_e32 v34, 1, v34
	v_mov_b32_e32 v35, 0
	v_lshl_add_u64 v[34:35], v[18:19], 0, v[34:35]
	flat_load_ushort v33, v[34:35]
.LBB408_29:
	s_or_b64 exec, exec, s[4:5]
	v_add_u32_e32 v35, 0xd00, v0
	v_cmp_lt_u32_e32 vcc, v35, v30
	v_mov_b32_e32 v34, v1
	s_and_saveexec_b64 s[4:5], vcc
	s_cbranch_execz .LBB408_31
; %bb.30:
	v_lshlrev_b32_e32 v34, 1, v35
	v_mov_b32_e32 v35, 0
	v_lshl_add_u64 v[34:35], v[18:19], 0, v[34:35]
	flat_load_ushort v34, v[34:35]
.LBB408_31:
	s_or_b64 exec, exec, s[4:5]
	v_add_u32_e32 v36, 0xe00, v0
	v_cmp_lt_u32_e32 vcc, v36, v30
	v_mov_b32_e32 v35, v1
	s_and_saveexec_b64 s[4:5], vcc
	s_cbranch_execz .LBB408_33
; %bb.32:
	v_lshlrev_b32_e32 v36, 1, v36
	v_mov_b32_e32 v37, 0
	v_lshl_add_u64 v[36:37], v[18:19], 0, v[36:37]
	flat_load_ushort v35, v[36:37]
.LBB408_33:
	s_or_b64 exec, exec, s[4:5]
	v_add_u32_e32 v37, 0xf00, v0
	v_cmp_lt_u32_e32 vcc, v37, v30
	v_mov_b32_e32 v36, v1
	s_and_saveexec_b64 s[4:5], vcc
	s_cbranch_execz .LBB408_35
; %bb.34:
	v_lshlrev_b32_e32 v36, 1, v37
	v_mov_b32_e32 v37, 0
	v_lshl_add_u64 v[36:37], v[18:19], 0, v[36:37]
	flat_load_ushort v36, v[36:37]
.LBB408_35:
	;; [unrolled: 48-line block ×3, first 2 shown]
	s_or_b64 exec, exec, s[4:5]
	v_or_b32_e32 v50, 0x1400, v0
	v_cmp_lt_u32_e32 vcc, v50, v30
	v_mov_b32_e32 v49, v1
	s_and_saveexec_b64 s[4:5], vcc
	s_cbranch_execz .LBB408_45
; %bb.44:
	v_lshlrev_b32_e32 v50, 1, v50
	v_mov_b32_e32 v51, 0
	v_lshl_add_u64 v[50:51], v[18:19], 0, v[50:51]
	flat_load_ushort v49, v[50:51]
.LBB408_45:
	s_or_b64 exec, exec, s[4:5]
	v_add_u32_e32 v51, 0x1500, v0
	v_cmp_lt_u32_e32 vcc, v51, v30
	v_mov_b32_e32 v50, v1
	s_and_saveexec_b64 s[4:5], vcc
	s_cbranch_execz .LBB408_47
; %bb.46:
	v_lshlrev_b32_e32 v50, 1, v51
	v_mov_b32_e32 v51, 0
	v_lshl_add_u64 v[50:51], v[18:19], 0, v[50:51]
	flat_load_ushort v50, v[50:51]
.LBB408_47:
	s_or_b64 exec, exec, s[4:5]
	v_add_u32_e32 v52, 0x1600, v0
	;; [unrolled: 12-line block ×3, first 2 shown]
	v_cmp_lt_u32_e32 vcc, v52, v30
	s_and_saveexec_b64 s[4:5], vcc
	s_cbranch_execz .LBB408_51
; %bb.50:
	v_lshlrev_b32_e32 v52, 1, v52
	v_mov_b32_e32 v53, 0
	v_lshl_add_u64 v[18:19], v[18:19], 0, v[52:53]
	flat_load_ushort v1, v[18:19]
.LBB408_51:
	s_or_b64 exec, exec, s[4:5]
	s_waitcnt vmcnt(0) lgkmcnt(0)
	ds_write_b16 v10, v16
	ds_write_b16 v10, v17 offset:512
	ds_write_b16 v10, v20 offset:1024
	;; [unrolled: 1-line block ×23, first 2 shown]
	s_waitcnt lgkmcnt(0)
	s_barrier
.LBB408_52:
	s_or_b64 exec, exec, s[2:3]
	v_mul_u32_u24_e32 v48, 24, v0
	v_lshlrev_b32_e32 v1, 1, v48
	ds_read_b128 v[24:27], v1
	ds_read_b128 v[20:23], v1 offset:16
	ds_read_b128 v[16:19], v1 offset:32
	s_cmp_lg_u32 s12, 0
	s_waitcnt lgkmcnt(0)
	v_cvt_f32_f16_sdwa v11, v24 dst_sel:DWORD dst_unused:UNUSED_PAD src0_sel:WORD_1
	v_cmp_u_f16_sdwa s[2:3], v24, v24 src0_sel:WORD_1 src1_sel:WORD_1
	s_barrier
	s_cbranch_scc0 .LBB408_267
; %bb.53:
	v_cvt_f32_f16_e32 v87, v24
	v_cmp_u_f16_e64 s[50:51], v24, v24
	s_movk_i32 s6, 0x1f8
	v_min_f32_e32 v32, v87, v11
	v_max_f32_e32 v33, v87, v11
	v_cndmask_b32_e64 v32, v32, v87, s[50:51]
	v_cndmask_b32_e64 v33, v33, v87, s[50:51]
	;; [unrolled: 1-line block ×4, first 2 shown]
	v_cmp_neq_f32_e32 vcc, v36, v35
	v_cmp_class_f32_e64 s[4:5], v36, s6
	s_or_b64 s[8:9], vcc, s[4:5]
	v_mov_b32_e32 v34, v87
	v_mov_b32_e32 v33, v24
	;; [unrolled: 1-line block ×3, first 2 shown]
	s_and_saveexec_b64 s[4:5], s[8:9]
	s_cbranch_execz .LBB408_55
; %bb.54:
	v_sub_f32_e32 v32, v36, v35
	s_mov_b32 s7, 0x3fb8aa3b
	v_mul_f32_e32 v33, 0x3fb8aa3b, v32
	v_fma_f32 v34, v32, s7, -v33
	v_rndne_f32_e32 v36, v33
	v_fmamk_f32 v34, v32, 0x32a5705f, v34
	v_sub_f32_e32 v33, v33, v36
	v_add_f32_e32 v33, v33, v34
	v_exp_f32_e32 v33, v33
	v_cvt_i32_f32_e32 v34, v36
	s_mov_b32 s7, 0xc2ce8ed0
	v_cmp_ngt_f32_e32 vcc, s7, v32
	s_mov_b32 s7, 0x42b17218
	v_ldexp_f32 v33, v33, v34
	v_cndmask_b32_e32 v33, 0, v33, vcc
	v_mov_b32_e32 v34, 0x7f800000
	v_cmp_nlt_f32_e32 vcc, s7, v32
	s_mov_b32 s7, 0x3f2aaaab
	s_mov_b32 s8, 0x7f800000
	v_cndmask_b32_e32 v49, v34, v33, vcc
	v_add_f32_e32 v34, 1.0, v49
	v_add_f32_e32 v32, -1.0, v34
	v_sub_f32_e32 v33, v32, v34
	v_add_f32_e32 v33, 1.0, v33
	v_sub_f32_e32 v32, v49, v32
	v_add_f32_e32 v36, v32, v33
	v_frexp_mant_f32_e32 v37, v34
	v_cvt_f64_f32_e32 v[32:33], v34
	v_frexp_exp_i32_f64_e32 v32, v[32:33]
	v_cmp_gt_f32_e32 vcc, s7, v37
	s_mov_b32 s7, 0x3f317218
	s_nop 0
	v_subbrev_co_u32_e32 v52, vcc, 0, v32, vcc
	v_sub_u32_e32 v32, 0, v52
	v_ldexp_f32 v33, v34, v32
	v_add_f32_e32 v34, -1.0, v33
	v_add_f32_e32 v37, 1.0, v33
	v_ldexp_f32 v32, v36, v32
	v_add_f32_e32 v36, 1.0, v34
	v_add_f32_e32 v38, -1.0, v37
	v_sub_f32_e32 v36, v33, v36
	v_sub_f32_e32 v33, v33, v38
	v_add_f32_e32 v36, v32, v36
	v_add_f32_e32 v32, v32, v33
	;; [unrolled: 1-line block ×3, first 2 shown]
	v_rcp_f32_e32 v55, v53
	v_sub_f32_e32 v33, v37, v53
	v_add_f32_e32 v54, v32, v33
	v_add_f32_e32 v33, v34, v36
	v_sub_f32_e32 v32, v34, v33
	v_mul_f32_e32 v64, v33, v55
	v_add_f32_e32 v34, v36, v32
	v_mul_f32_e32 v36, v53, v64
	v_fma_f32 v38, v64, v53, -v36
	v_fmac_f32_e32 v38, v64, v54
	v_add_f32_e32 v32, v36, v38
	v_sub_f32_e32 v37, v33, v32
	v_pk_add_f32 v[50:51], v[32:33], v[36:37] neg_lo:[0,1] neg_hi:[0,1]
	v_mov_b32_e32 v39, v32
	v_pk_add_f32 v[32:33], v[50:51], v[38:39] neg_lo:[0,1] neg_hi:[0,1]
	v_cmp_eq_f32_e32 vcc, s8, v49
	v_add_f32_e32 v33, v34, v33
	v_add_f32_e32 v32, v32, v33
	;; [unrolled: 1-line block ×3, first 2 shown]
	v_mul_f32_e32 v34, v55, v33
	v_mul_f32_e32 v36, v53, v34
	v_fma_f32 v38, v34, v53, -v36
	v_fmac_f32_e32 v38, v34, v54
	v_sub_f32_e32 v37, v37, v33
	v_add_f32_e32 v53, v32, v37
	v_add_f32_e32 v32, v36, v38
	v_sub_f32_e32 v37, v33, v32
	v_pk_add_f32 v[50:51], v[32:33], v[36:37] neg_lo:[0,1] neg_hi:[0,1]
	v_mov_b32_e32 v39, v32
	v_pk_add_f32 v[32:33], v[50:51], v[38:39] neg_lo:[0,1] neg_hi:[0,1]
	v_cvt_f32_i32_e32 v36, v52
	v_add_f32_e32 v33, v53, v33
	v_add_f32_e32 v32, v32, v33
	;; [unrolled: 1-line block ×4, first 2 shown]
	v_sub_f32_e32 v33, v37, v64
	v_mul_f32_e32 v32, v55, v32
	v_sub_f32_e32 v33, v34, v33
	v_add_f32_e32 v32, v33, v32
	v_add_f32_e32 v34, v37, v32
	v_mul_f32_e32 v38, v34, v34
	v_mov_b32_e32 v33, 0x3ecc95a3
	v_sub_f32_e32 v37, v34, v37
	v_fmac_f32_e32 v33, 0x3e9b6dac, v38
	v_sub_f32_e32 v32, v32, v37
	v_fmaak_f32 v33, v38, v33, 0x3f2aaada
	v_ldexp_f32 v50, v32, 1
	v_mul_f32_e32 v37, v34, v38
	v_mov_b32_e32 v32, 0x3f317218
	v_pk_mul_f32 v[32:33], v[36:37], v[32:33]
	v_ldexp_f32 v39, v34, 1
	v_fma_f32 v34, v36, s7, -v32
	v_fmamk_f32 v38, v36, 0xb102e308, v34
	v_pk_add_f32 v[36:37], v[32:33], v[38:39]
	s_mov_b32 s7, 0x33800000
	v_sub_f32_e32 v34, v37, v39
	v_sub_f32_e32 v34, v33, v34
	v_add_f32_e32 v51, v50, v34
	v_mov_b32_e32 v50, v32
	v_pk_add_f32 v[32:33], v[36:37], v[32:33] neg_lo:[0,1] neg_hi:[0,1]
	v_pk_add_f32 v[52:53], v[36:37], v[50:51]
	v_mov_b32_e32 v39, v36
	v_mov_b32_e32 v33, v53
	v_pk_add_f32 v[54:55], v[38:39], v[32:33] neg_lo:[0,1] neg_hi:[0,1]
	v_pk_add_f32 v[32:33], v[38:39], v[32:33]
	v_cmp_lt_f32_e64 s[8:9], |v49|, s7
	v_mov_b32_e32 v34, v33
	v_pk_add_f32 v[38:39], v[34:35], v[36:37] neg_lo:[0,1] neg_hi:[0,1]
	v_mov_b32_e32 v32, v53
	v_mov_b32_e32 v39, v38
	v_pk_add_f32 v[64:65], v[52:53], v[38:39] neg_lo:[0,1] neg_hi:[0,1]
	v_mov_b32_e32 v52, v37
	v_mov_b32_e32 v53, v38
	;; [unrolled: 1-line block ×3, first 2 shown]
	v_pk_add_f32 v[32:33], v[32:33], v[52:53] neg_lo:[0,1] neg_hi:[0,1]
	v_mov_b32_e32 v38, v51
	v_mov_b32_e32 v39, v36
	v_pk_add_f32 v[32:33], v[38:39], v[32:33] neg_lo:[0,1] neg_hi:[0,1]
	v_mov_b32_e32 v64, v54
	v_pk_add_f32 v[36:37], v[64:65], v[32:33]
	s_or_b64 vcc, vcc, s[8:9]
	v_mov_b32_e32 v38, v37
	v_pk_add_f32 v[38:39], v[36:37], v[38:39]
	s_nop 0
	v_pk_add_f32 v[50:51], v[34:35], v[38:39]
	v_mov_b32_e32 v33, v38
	v_mov_b32_e32 v37, v50
	v_pk_add_f32 v[52:53], v[36:37], v[54:55] neg_lo:[0,1] neg_hi:[0,1]
	s_nop 0
	v_sub_f32_e32 v34, v36, v52
	v_pk_add_f32 v[32:33], v[32:33], v[52:53] neg_lo:[0,1] neg_hi:[0,1]
	v_sub_f32_e32 v34, v54, v34
	v_add_f32_e32 v32, v32, v34
	v_add_f32_e32 v32, v32, v33
	;; [unrolled: 1-line block ×3, first 2 shown]
	v_cndmask_b32_e32 v32, v32, v49, vcc
	v_add_f32_e32 v32, v35, v32
	v_cvt_f16_f32_e32 v33, v32
	v_cvt_f32_f16_e32 v34, v33
	v_mov_b32_e32 v32, v33
.LBB408_55:
	s_or_b64 exec, exec, s[4:5]
	v_cvt_f32_f16_e32 v49, v25
	v_max_f32_e32 v35, v34, v34
	v_cmp_u_f16_e32 vcc, v33, v33
	v_cmp_u_f16_e64 s[4:5], v25, v25
	v_min_f32_e32 v36, v35, v49
	v_max_f32_e32 v35, v35, v49
	v_cndmask_b32_e32 v36, v36, v34, vcc
	v_cndmask_b32_e32 v35, v35, v34, vcc
	v_cndmask_b32_e64 v36, v36, v49, s[4:5]
	v_cndmask_b32_e64 v35, v35, v49, s[4:5]
	v_cmp_neq_f32_e32 vcc, v36, v35
	v_cmp_class_f32_e64 s[6:7], v36, s6
	s_or_b64 s[8:9], vcc, s[6:7]
	s_and_saveexec_b64 s[6:7], s[8:9]
	s_cbranch_execz .LBB408_57
; %bb.56:
	v_sub_f32_e32 v32, v36, v35
	s_mov_b32 s8, 0x3fb8aa3b
	v_mul_f32_e32 v33, 0x3fb8aa3b, v32
	v_fma_f32 v34, v32, s8, -v33
	v_rndne_f32_e32 v36, v33
	v_fmamk_f32 v34, v32, 0x32a5705f, v34
	v_sub_f32_e32 v33, v33, v36
	v_add_f32_e32 v33, v33, v34
	v_exp_f32_e32 v33, v33
	v_cvt_i32_f32_e32 v34, v36
	s_mov_b32 s8, 0xc2ce8ed0
	v_cmp_ngt_f32_e32 vcc, s8, v32
	s_mov_b32 s8, 0x42b17218
	v_ldexp_f32 v33, v33, v34
	v_cndmask_b32_e32 v33, 0, v33, vcc
	v_mov_b32_e32 v34, 0x7f800000
	v_cmp_nlt_f32_e32 vcc, s8, v32
	s_mov_b32 s8, 0x3f2aaaab
	s_mov_b32 s9, 0x7f800000
	v_cndmask_b32_e32 v66, v34, v33, vcc
	v_add_f32_e32 v34, 1.0, v66
	v_add_f32_e32 v32, -1.0, v34
	v_sub_f32_e32 v33, v32, v34
	v_add_f32_e32 v33, 1.0, v33
	v_sub_f32_e32 v32, v66, v32
	v_add_f32_e32 v36, v32, v33
	v_frexp_mant_f32_e32 v37, v34
	v_cvt_f64_f32_e32 v[32:33], v34
	v_frexp_exp_i32_f64_e32 v32, v[32:33]
	v_cmp_gt_f32_e32 vcc, s8, v37
	s_mov_b32 s8, 0x3f317218
	s_nop 0
	v_subbrev_co_u32_e32 v52, vcc, 0, v32, vcc
	v_sub_u32_e32 v32, 0, v52
	v_ldexp_f32 v33, v34, v32
	v_add_f32_e32 v34, -1.0, v33
	v_add_f32_e32 v37, 1.0, v33
	v_ldexp_f32 v32, v36, v32
	v_add_f32_e32 v36, 1.0, v34
	v_add_f32_e32 v38, -1.0, v37
	v_sub_f32_e32 v36, v33, v36
	v_sub_f32_e32 v33, v33, v38
	v_add_f32_e32 v36, v32, v36
	v_add_f32_e32 v32, v32, v33
	;; [unrolled: 1-line block ×3, first 2 shown]
	v_rcp_f32_e32 v55, v53
	v_sub_f32_e32 v33, v37, v53
	v_add_f32_e32 v54, v32, v33
	v_add_f32_e32 v33, v34, v36
	v_sub_f32_e32 v32, v34, v33
	v_mul_f32_e32 v64, v33, v55
	v_add_f32_e32 v34, v36, v32
	v_mul_f32_e32 v36, v53, v64
	v_fma_f32 v38, v64, v53, -v36
	v_fmac_f32_e32 v38, v64, v54
	v_add_f32_e32 v32, v36, v38
	v_sub_f32_e32 v37, v33, v32
	v_pk_add_f32 v[50:51], v[32:33], v[36:37] neg_lo:[0,1] neg_hi:[0,1]
	v_mov_b32_e32 v39, v32
	v_pk_add_f32 v[32:33], v[50:51], v[38:39] neg_lo:[0,1] neg_hi:[0,1]
	v_cmp_eq_f32_e32 vcc, s9, v66
	v_add_f32_e32 v33, v34, v33
	v_add_f32_e32 v32, v32, v33
	;; [unrolled: 1-line block ×3, first 2 shown]
	v_mul_f32_e32 v34, v55, v33
	v_mul_f32_e32 v36, v53, v34
	v_fma_f32 v38, v34, v53, -v36
	v_fmac_f32_e32 v38, v34, v54
	v_sub_f32_e32 v37, v37, v33
	v_add_f32_e32 v53, v32, v37
	v_add_f32_e32 v32, v36, v38
	v_sub_f32_e32 v37, v33, v32
	v_pk_add_f32 v[50:51], v[32:33], v[36:37] neg_lo:[0,1] neg_hi:[0,1]
	v_mov_b32_e32 v39, v32
	v_pk_add_f32 v[32:33], v[50:51], v[38:39] neg_lo:[0,1] neg_hi:[0,1]
	v_cvt_f32_i32_e32 v36, v52
	v_add_f32_e32 v33, v53, v33
	v_add_f32_e32 v32, v32, v33
	;; [unrolled: 1-line block ×4, first 2 shown]
	v_sub_f32_e32 v33, v37, v64
	v_mul_f32_e32 v32, v55, v32
	v_sub_f32_e32 v33, v34, v33
	v_add_f32_e32 v32, v33, v32
	v_add_f32_e32 v34, v37, v32
	v_mul_f32_e32 v38, v34, v34
	v_mov_b32_e32 v33, 0x3ecc95a3
	v_sub_f32_e32 v37, v34, v37
	v_fmac_f32_e32 v33, 0x3e9b6dac, v38
	v_sub_f32_e32 v32, v32, v37
	v_fmaak_f32 v33, v38, v33, 0x3f2aaada
	v_ldexp_f32 v50, v32, 1
	v_mul_f32_e32 v37, v34, v38
	v_mov_b32_e32 v32, 0x3f317218
	v_pk_mul_f32 v[32:33], v[36:37], v[32:33]
	v_ldexp_f32 v39, v34, 1
	v_fma_f32 v34, v36, s8, -v32
	v_fmamk_f32 v38, v36, 0xb102e308, v34
	v_pk_add_f32 v[36:37], v[32:33], v[38:39]
	s_mov_b32 s8, 0x33800000
	v_sub_f32_e32 v34, v37, v39
	v_sub_f32_e32 v34, v33, v34
	v_add_f32_e32 v51, v50, v34
	v_mov_b32_e32 v50, v32
	v_pk_add_f32 v[32:33], v[36:37], v[32:33] neg_lo:[0,1] neg_hi:[0,1]
	v_pk_add_f32 v[52:53], v[36:37], v[50:51]
	v_mov_b32_e32 v39, v36
	v_mov_b32_e32 v33, v53
	v_pk_add_f32 v[54:55], v[38:39], v[32:33] neg_lo:[0,1] neg_hi:[0,1]
	v_pk_add_f32 v[32:33], v[38:39], v[32:33]
	v_cmp_lt_f32_e64 s[8:9], |v66|, s8
	v_mov_b32_e32 v34, v33
	v_pk_add_f32 v[38:39], v[34:35], v[36:37] neg_lo:[0,1] neg_hi:[0,1]
	v_mov_b32_e32 v32, v53
	v_mov_b32_e32 v39, v38
	v_pk_add_f32 v[64:65], v[52:53], v[38:39] neg_lo:[0,1] neg_hi:[0,1]
	v_mov_b32_e32 v52, v37
	v_mov_b32_e32 v53, v38
	v_mov_b32_e32 v55, v33
	v_pk_add_f32 v[32:33], v[32:33], v[52:53] neg_lo:[0,1] neg_hi:[0,1]
	v_mov_b32_e32 v38, v51
	v_mov_b32_e32 v39, v36
	v_pk_add_f32 v[32:33], v[38:39], v[32:33] neg_lo:[0,1] neg_hi:[0,1]
	v_mov_b32_e32 v64, v54
	v_pk_add_f32 v[36:37], v[64:65], v[32:33]
	s_or_b64 vcc, vcc, s[8:9]
	v_mov_b32_e32 v38, v37
	v_pk_add_f32 v[38:39], v[36:37], v[38:39]
	s_nop 0
	v_pk_add_f32 v[50:51], v[34:35], v[38:39]
	v_mov_b32_e32 v33, v38
	v_mov_b32_e32 v37, v50
	v_pk_add_f32 v[52:53], v[36:37], v[54:55] neg_lo:[0,1] neg_hi:[0,1]
	s_nop 0
	v_sub_f32_e32 v34, v36, v52
	v_pk_add_f32 v[32:33], v[32:33], v[52:53] neg_lo:[0,1] neg_hi:[0,1]
	v_sub_f32_e32 v34, v54, v34
	v_add_f32_e32 v32, v32, v34
	v_add_f32_e32 v32, v32, v33
	;; [unrolled: 1-line block ×3, first 2 shown]
	v_cndmask_b32_e32 v32, v32, v66, vcc
	v_add_f32_e32 v32, v35, v32
	v_cvt_f16_f32_e32 v33, v32
	v_cvt_f32_f16_e32 v34, v33
	v_mov_b32_e32 v32, v33
.LBB408_57:
	s_or_b64 exec, exec, s[6:7]
	v_cvt_f32_f16_sdwa v50, v25 dst_sel:DWORD dst_unused:UNUSED_PAD src0_sel:WORD_1
	v_max_f32_e32 v35, v34, v34
	v_cmp_u_f16_e32 vcc, v33, v33
	v_cmp_u_f16_sdwa s[6:7], v25, v25 src0_sel:WORD_1 src1_sel:WORD_1
	v_min_f32_e32 v36, v35, v50
	v_max_f32_e32 v35, v35, v50
	v_cndmask_b32_e32 v36, v36, v34, vcc
	v_cndmask_b32_e32 v35, v35, v34, vcc
	v_cndmask_b32_e64 v36, v36, v50, s[6:7]
	v_cndmask_b32_e64 v35, v35, v50, s[6:7]
	s_movk_i32 s10, 0x1f8
	v_cmp_neq_f32_e32 vcc, v36, v35
	v_cmp_class_f32_e64 s[8:9], v36, s10
	s_or_b64 s[14:15], vcc, s[8:9]
	s_and_saveexec_b64 s[8:9], s[14:15]
	s_cbranch_execz .LBB408_59
; %bb.58:
	v_sub_f32_e32 v32, v36, v35
	s_mov_b32 s11, 0x3fb8aa3b
	v_mul_f32_e32 v33, 0x3fb8aa3b, v32
	v_fma_f32 v34, v32, s11, -v33
	v_rndne_f32_e32 v36, v33
	v_fmamk_f32 v34, v32, 0x32a5705f, v34
	v_sub_f32_e32 v33, v33, v36
	v_add_f32_e32 v33, v33, v34
	v_exp_f32_e32 v33, v33
	v_cvt_i32_f32_e32 v34, v36
	s_mov_b32 s11, 0xc2ce8ed0
	v_cmp_ngt_f32_e32 vcc, s11, v32
	s_mov_b32 s11, 0x42b17218
	v_ldexp_f32 v33, v33, v34
	v_cndmask_b32_e32 v33, 0, v33, vcc
	v_mov_b32_e32 v34, 0x7f800000
	v_cmp_nlt_f32_e32 vcc, s11, v32
	s_mov_b32 s11, 0x3f2aaaab
	s_mov_b32 s13, 0x7f800000
	v_cndmask_b32_e32 v51, v34, v33, vcc
	v_add_f32_e32 v34, 1.0, v51
	v_add_f32_e32 v32, -1.0, v34
	v_sub_f32_e32 v33, v32, v34
	v_add_f32_e32 v33, 1.0, v33
	v_sub_f32_e32 v32, v51, v32
	v_add_f32_e32 v36, v32, v33
	v_frexp_mant_f32_e32 v37, v34
	v_cvt_f64_f32_e32 v[32:33], v34
	v_frexp_exp_i32_f64_e32 v32, v[32:33]
	v_cmp_gt_f32_e32 vcc, s11, v37
	s_mov_b32 s11, 0x3f317218
	s_nop 0
	v_subbrev_co_u32_e32 v54, vcc, 0, v32, vcc
	v_sub_u32_e32 v32, 0, v54
	v_ldexp_f32 v33, v34, v32
	v_add_f32_e32 v34, -1.0, v33
	v_add_f32_e32 v37, 1.0, v33
	v_ldexp_f32 v32, v36, v32
	v_add_f32_e32 v36, 1.0, v34
	v_add_f32_e32 v38, -1.0, v37
	v_sub_f32_e32 v36, v33, v36
	v_sub_f32_e32 v33, v33, v38
	v_add_f32_e32 v36, v32, v36
	v_add_f32_e32 v32, v32, v33
	;; [unrolled: 1-line block ×3, first 2 shown]
	v_rcp_f32_e32 v65, v55
	v_sub_f32_e32 v33, v37, v55
	v_add_f32_e32 v64, v32, v33
	v_add_f32_e32 v33, v34, v36
	v_sub_f32_e32 v32, v34, v33
	v_mul_f32_e32 v66, v33, v65
	v_add_f32_e32 v34, v36, v32
	v_mul_f32_e32 v36, v55, v66
	v_fma_f32 v38, v66, v55, -v36
	v_fmac_f32_e32 v38, v66, v64
	v_add_f32_e32 v32, v36, v38
	v_sub_f32_e32 v37, v33, v32
	v_pk_add_f32 v[52:53], v[32:33], v[36:37] neg_lo:[0,1] neg_hi:[0,1]
	v_mov_b32_e32 v39, v32
	v_pk_add_f32 v[32:33], v[52:53], v[38:39] neg_lo:[0,1] neg_hi:[0,1]
	v_cmp_eq_f32_e32 vcc, s13, v51
	v_add_f32_e32 v33, v34, v33
	v_add_f32_e32 v32, v32, v33
	;; [unrolled: 1-line block ×3, first 2 shown]
	v_mul_f32_e32 v34, v65, v33
	v_mul_f32_e32 v36, v55, v34
	v_fma_f32 v38, v34, v55, -v36
	v_fmac_f32_e32 v38, v34, v64
	v_sub_f32_e32 v37, v37, v33
	v_add_f32_e32 v55, v32, v37
	v_add_f32_e32 v32, v36, v38
	v_sub_f32_e32 v37, v33, v32
	v_pk_add_f32 v[52:53], v[32:33], v[36:37] neg_lo:[0,1] neg_hi:[0,1]
	v_mov_b32_e32 v39, v32
	v_pk_add_f32 v[32:33], v[52:53], v[38:39] neg_lo:[0,1] neg_hi:[0,1]
	v_cvt_f32_i32_e32 v36, v54
	v_add_f32_e32 v33, v55, v33
	v_add_f32_e32 v32, v32, v33
	;; [unrolled: 1-line block ×4, first 2 shown]
	v_sub_f32_e32 v33, v37, v66
	v_mul_f32_e32 v32, v65, v32
	v_sub_f32_e32 v33, v34, v33
	v_add_f32_e32 v32, v33, v32
	v_add_f32_e32 v34, v37, v32
	v_mul_f32_e32 v38, v34, v34
	v_mov_b32_e32 v33, 0x3ecc95a3
	v_sub_f32_e32 v37, v34, v37
	v_fmac_f32_e32 v33, 0x3e9b6dac, v38
	v_sub_f32_e32 v32, v32, v37
	v_fmaak_f32 v33, v38, v33, 0x3f2aaada
	v_ldexp_f32 v52, v32, 1
	v_mul_f32_e32 v37, v34, v38
	v_mov_b32_e32 v32, 0x3f317218
	v_pk_mul_f32 v[32:33], v[36:37], v[32:33]
	v_ldexp_f32 v39, v34, 1
	v_fma_f32 v34, v36, s11, -v32
	v_fmamk_f32 v38, v36, 0xb102e308, v34
	v_pk_add_f32 v[36:37], v[32:33], v[38:39]
	s_mov_b32 s11, 0x33800000
	v_sub_f32_e32 v34, v37, v39
	v_sub_f32_e32 v34, v33, v34
	v_add_f32_e32 v53, v52, v34
	v_mov_b32_e32 v52, v32
	v_pk_add_f32 v[32:33], v[36:37], v[32:33] neg_lo:[0,1] neg_hi:[0,1]
	v_pk_add_f32 v[54:55], v[36:37], v[52:53]
	v_mov_b32_e32 v39, v36
	v_mov_b32_e32 v33, v55
	v_pk_add_f32 v[64:65], v[38:39], v[32:33] neg_lo:[0,1] neg_hi:[0,1]
	v_pk_add_f32 v[32:33], v[38:39], v[32:33]
	v_cmp_lt_f32_e64 s[14:15], |v51|, s11
	v_mov_b32_e32 v34, v33
	v_pk_add_f32 v[38:39], v[34:35], v[36:37] neg_lo:[0,1] neg_hi:[0,1]
	v_mov_b32_e32 v32, v55
	v_mov_b32_e32 v39, v38
	v_pk_add_f32 v[66:67], v[54:55], v[38:39] neg_lo:[0,1] neg_hi:[0,1]
	v_mov_b32_e32 v54, v37
	v_mov_b32_e32 v55, v38
	;; [unrolled: 1-line block ×3, first 2 shown]
	v_pk_add_f32 v[32:33], v[32:33], v[54:55] neg_lo:[0,1] neg_hi:[0,1]
	v_mov_b32_e32 v38, v53
	v_mov_b32_e32 v39, v36
	v_pk_add_f32 v[32:33], v[38:39], v[32:33] neg_lo:[0,1] neg_hi:[0,1]
	v_mov_b32_e32 v66, v64
	v_pk_add_f32 v[36:37], v[66:67], v[32:33]
	s_or_b64 vcc, vcc, s[14:15]
	v_mov_b32_e32 v38, v37
	v_pk_add_f32 v[38:39], v[36:37], v[38:39]
	s_nop 0
	v_pk_add_f32 v[52:53], v[34:35], v[38:39]
	v_mov_b32_e32 v33, v38
	v_mov_b32_e32 v37, v52
	v_pk_add_f32 v[54:55], v[36:37], v[64:65] neg_lo:[0,1] neg_hi:[0,1]
	s_nop 0
	v_sub_f32_e32 v34, v36, v54
	v_pk_add_f32 v[32:33], v[32:33], v[54:55] neg_lo:[0,1] neg_hi:[0,1]
	v_sub_f32_e32 v34, v64, v34
	v_add_f32_e32 v32, v32, v34
	v_add_f32_e32 v32, v32, v33
	;; [unrolled: 1-line block ×3, first 2 shown]
	v_cndmask_b32_e32 v32, v32, v51, vcc
	v_add_f32_e32 v32, v35, v32
	v_cvt_f16_f32_e32 v33, v32
	v_cvt_f32_f16_e32 v34, v33
	v_mov_b32_e32 v32, v33
.LBB408_59:
	s_or_b64 exec, exec, s[8:9]
	v_cvt_f32_f16_e32 v51, v26
	v_max_f32_e32 v35, v34, v34
	v_cmp_u_f16_e32 vcc, v33, v33
	v_cmp_u_f16_e64 s[8:9], v26, v26
	v_min_f32_e32 v36, v35, v51
	v_max_f32_e32 v35, v35, v51
	v_cndmask_b32_e32 v36, v36, v34, vcc
	v_cndmask_b32_e32 v35, v35, v34, vcc
	v_cndmask_b32_e64 v36, v36, v51, s[8:9]
	v_cndmask_b32_e64 v35, v35, v51, s[8:9]
	v_cmp_neq_f32_e32 vcc, v36, v35
	v_cmp_class_f32_e64 s[10:11], v36, s10
	s_or_b64 s[14:15], vcc, s[10:11]
	s_and_saveexec_b64 s[10:11], s[14:15]
	s_cbranch_execz .LBB408_61
; %bb.60:
	v_sub_f32_e32 v32, v36, v35
	s_mov_b32 s13, 0x3fb8aa3b
	v_mul_f32_e32 v33, 0x3fb8aa3b, v32
	v_fma_f32 v34, v32, s13, -v33
	v_rndne_f32_e32 v36, v33
	v_fmamk_f32 v34, v32, 0x32a5705f, v34
	v_sub_f32_e32 v33, v33, v36
	v_add_f32_e32 v33, v33, v34
	v_exp_f32_e32 v33, v33
	v_cvt_i32_f32_e32 v34, v36
	s_mov_b32 s13, 0xc2ce8ed0
	v_cmp_ngt_f32_e32 vcc, s13, v32
	s_mov_b32 s13, 0x42b17218
	v_ldexp_f32 v33, v33, v34
	v_cndmask_b32_e32 v33, 0, v33, vcc
	v_mov_b32_e32 v34, 0x7f800000
	v_cmp_nlt_f32_e32 vcc, s13, v32
	s_mov_b32 s13, 0x3f2aaaab
	s_mov_b32 s14, 0x7f800000
	v_cndmask_b32_e32 v68, v34, v33, vcc
	v_add_f32_e32 v34, 1.0, v68
	v_add_f32_e32 v32, -1.0, v34
	v_sub_f32_e32 v33, v32, v34
	v_add_f32_e32 v33, 1.0, v33
	v_sub_f32_e32 v32, v68, v32
	v_add_f32_e32 v36, v32, v33
	v_frexp_mant_f32_e32 v37, v34
	v_cvt_f64_f32_e32 v[32:33], v34
	v_frexp_exp_i32_f64_e32 v32, v[32:33]
	v_cmp_gt_f32_e32 vcc, s13, v37
	s_mov_b32 s13, 0x3f317218
	s_nop 0
	v_subbrev_co_u32_e32 v54, vcc, 0, v32, vcc
	v_sub_u32_e32 v32, 0, v54
	v_ldexp_f32 v33, v34, v32
	v_add_f32_e32 v34, -1.0, v33
	v_add_f32_e32 v37, 1.0, v33
	v_ldexp_f32 v32, v36, v32
	v_add_f32_e32 v36, 1.0, v34
	v_add_f32_e32 v38, -1.0, v37
	v_sub_f32_e32 v36, v33, v36
	v_sub_f32_e32 v33, v33, v38
	v_add_f32_e32 v36, v32, v36
	v_add_f32_e32 v32, v32, v33
	;; [unrolled: 1-line block ×3, first 2 shown]
	v_rcp_f32_e32 v65, v55
	v_sub_f32_e32 v33, v37, v55
	v_add_f32_e32 v64, v32, v33
	v_add_f32_e32 v33, v34, v36
	v_sub_f32_e32 v32, v34, v33
	v_mul_f32_e32 v66, v33, v65
	v_add_f32_e32 v34, v36, v32
	v_mul_f32_e32 v36, v55, v66
	v_fma_f32 v38, v66, v55, -v36
	v_fmac_f32_e32 v38, v66, v64
	v_add_f32_e32 v32, v36, v38
	v_sub_f32_e32 v37, v33, v32
	v_pk_add_f32 v[52:53], v[32:33], v[36:37] neg_lo:[0,1] neg_hi:[0,1]
	v_mov_b32_e32 v39, v32
	v_pk_add_f32 v[32:33], v[52:53], v[38:39] neg_lo:[0,1] neg_hi:[0,1]
	v_cmp_eq_f32_e32 vcc, s14, v68
	v_add_f32_e32 v33, v34, v33
	v_add_f32_e32 v32, v32, v33
	;; [unrolled: 1-line block ×3, first 2 shown]
	v_mul_f32_e32 v34, v65, v33
	v_mul_f32_e32 v36, v55, v34
	v_fma_f32 v38, v34, v55, -v36
	v_fmac_f32_e32 v38, v34, v64
	v_sub_f32_e32 v37, v37, v33
	v_add_f32_e32 v55, v32, v37
	v_add_f32_e32 v32, v36, v38
	v_sub_f32_e32 v37, v33, v32
	v_pk_add_f32 v[52:53], v[32:33], v[36:37] neg_lo:[0,1] neg_hi:[0,1]
	v_mov_b32_e32 v39, v32
	v_pk_add_f32 v[32:33], v[52:53], v[38:39] neg_lo:[0,1] neg_hi:[0,1]
	v_cvt_f32_i32_e32 v36, v54
	v_add_f32_e32 v33, v55, v33
	v_add_f32_e32 v32, v32, v33
	;; [unrolled: 1-line block ×4, first 2 shown]
	v_sub_f32_e32 v33, v37, v66
	v_mul_f32_e32 v32, v65, v32
	v_sub_f32_e32 v33, v34, v33
	v_add_f32_e32 v32, v33, v32
	v_add_f32_e32 v34, v37, v32
	v_mul_f32_e32 v38, v34, v34
	v_mov_b32_e32 v33, 0x3ecc95a3
	v_sub_f32_e32 v37, v34, v37
	v_fmac_f32_e32 v33, 0x3e9b6dac, v38
	v_sub_f32_e32 v32, v32, v37
	v_fmaak_f32 v33, v38, v33, 0x3f2aaada
	v_ldexp_f32 v52, v32, 1
	v_mul_f32_e32 v37, v34, v38
	v_mov_b32_e32 v32, 0x3f317218
	v_pk_mul_f32 v[32:33], v[36:37], v[32:33]
	v_ldexp_f32 v39, v34, 1
	v_fma_f32 v34, v36, s13, -v32
	v_fmamk_f32 v38, v36, 0xb102e308, v34
	v_pk_add_f32 v[36:37], v[32:33], v[38:39]
	s_mov_b32 s13, 0x33800000
	v_sub_f32_e32 v34, v37, v39
	v_sub_f32_e32 v34, v33, v34
	v_add_f32_e32 v53, v52, v34
	v_mov_b32_e32 v52, v32
	v_pk_add_f32 v[32:33], v[36:37], v[32:33] neg_lo:[0,1] neg_hi:[0,1]
	v_pk_add_f32 v[54:55], v[36:37], v[52:53]
	v_mov_b32_e32 v39, v36
	v_mov_b32_e32 v33, v55
	v_pk_add_f32 v[64:65], v[38:39], v[32:33] neg_lo:[0,1] neg_hi:[0,1]
	v_pk_add_f32 v[32:33], v[38:39], v[32:33]
	v_cmp_lt_f32_e64 s[14:15], |v68|, s13
	v_mov_b32_e32 v34, v33
	v_pk_add_f32 v[38:39], v[34:35], v[36:37] neg_lo:[0,1] neg_hi:[0,1]
	v_mov_b32_e32 v32, v55
	v_mov_b32_e32 v39, v38
	v_pk_add_f32 v[66:67], v[54:55], v[38:39] neg_lo:[0,1] neg_hi:[0,1]
	v_mov_b32_e32 v54, v37
	v_mov_b32_e32 v55, v38
	;; [unrolled: 1-line block ×3, first 2 shown]
	v_pk_add_f32 v[32:33], v[32:33], v[54:55] neg_lo:[0,1] neg_hi:[0,1]
	v_mov_b32_e32 v38, v53
	v_mov_b32_e32 v39, v36
	v_pk_add_f32 v[32:33], v[38:39], v[32:33] neg_lo:[0,1] neg_hi:[0,1]
	v_mov_b32_e32 v66, v64
	v_pk_add_f32 v[36:37], v[66:67], v[32:33]
	s_or_b64 vcc, vcc, s[14:15]
	v_mov_b32_e32 v38, v37
	v_pk_add_f32 v[38:39], v[36:37], v[38:39]
	s_nop 0
	v_pk_add_f32 v[52:53], v[34:35], v[38:39]
	v_mov_b32_e32 v33, v38
	v_mov_b32_e32 v37, v52
	v_pk_add_f32 v[54:55], v[36:37], v[64:65] neg_lo:[0,1] neg_hi:[0,1]
	s_nop 0
	v_sub_f32_e32 v34, v36, v54
	v_pk_add_f32 v[32:33], v[32:33], v[54:55] neg_lo:[0,1] neg_hi:[0,1]
	v_sub_f32_e32 v34, v64, v34
	v_add_f32_e32 v32, v32, v34
	v_add_f32_e32 v32, v32, v33
	;; [unrolled: 1-line block ×3, first 2 shown]
	v_cndmask_b32_e32 v32, v32, v68, vcc
	v_add_f32_e32 v32, v35, v32
	v_cvt_f16_f32_e32 v33, v32
	v_cvt_f32_f16_e32 v34, v33
	v_mov_b32_e32 v32, v33
.LBB408_61:
	s_or_b64 exec, exec, s[10:11]
	v_cvt_f32_f16_sdwa v52, v26 dst_sel:DWORD dst_unused:UNUSED_PAD src0_sel:WORD_1
	v_max_f32_e32 v35, v34, v34
	v_cmp_u_f16_e32 vcc, v33, v33
	v_cmp_u_f16_sdwa s[10:11], v26, v26 src0_sel:WORD_1 src1_sel:WORD_1
	v_min_f32_e32 v36, v35, v52
	v_max_f32_e32 v35, v35, v52
	v_cndmask_b32_e32 v36, v36, v34, vcc
	v_cndmask_b32_e32 v35, v35, v34, vcc
	v_cndmask_b32_e64 v36, v36, v52, s[10:11]
	v_cndmask_b32_e64 v35, v35, v52, s[10:11]
	s_movk_i32 s13, 0x1f8
	v_cmp_neq_f32_e32 vcc, v36, v35
	v_cmp_class_f32_e64 s[14:15], v36, s13
	s_or_b64 s[16:17], vcc, s[14:15]
	s_and_saveexec_b64 s[14:15], s[16:17]
	s_cbranch_execz .LBB408_63
; %bb.62:
	v_sub_f32_e32 v32, v36, v35
	s_mov_b32 s16, 0x3fb8aa3b
	v_mul_f32_e32 v33, 0x3fb8aa3b, v32
	v_fma_f32 v34, v32, s16, -v33
	v_rndne_f32_e32 v36, v33
	v_fmamk_f32 v34, v32, 0x32a5705f, v34
	v_sub_f32_e32 v33, v33, v36
	v_add_f32_e32 v33, v33, v34
	v_exp_f32_e32 v33, v33
	v_cvt_i32_f32_e32 v34, v36
	s_mov_b32 s16, 0xc2ce8ed0
	v_cmp_ngt_f32_e32 vcc, s16, v32
	s_mov_b32 s16, 0x42b17218
	v_ldexp_f32 v33, v33, v34
	v_cndmask_b32_e32 v33, 0, v33, vcc
	v_mov_b32_e32 v34, 0x7f800000
	v_cmp_nlt_f32_e32 vcc, s16, v32
	s_mov_b32 s16, 0x3f2aaaab
	s_mov_b32 s17, 0x7f800000
	v_cndmask_b32_e32 v53, v34, v33, vcc
	v_add_f32_e32 v34, 1.0, v53
	v_add_f32_e32 v32, -1.0, v34
	v_sub_f32_e32 v33, v32, v34
	v_add_f32_e32 v33, 1.0, v33
	v_sub_f32_e32 v32, v53, v32
	v_add_f32_e32 v36, v32, v33
	v_frexp_mant_f32_e32 v37, v34
	v_cvt_f64_f32_e32 v[32:33], v34
	v_frexp_exp_i32_f64_e32 v32, v[32:33]
	v_cmp_gt_f32_e32 vcc, s16, v37
	s_mov_b32 s16, 0x3f317218
	s_nop 0
	v_subbrev_co_u32_e32 v64, vcc, 0, v32, vcc
	v_sub_u32_e32 v32, 0, v64
	v_ldexp_f32 v33, v34, v32
	v_add_f32_e32 v34, -1.0, v33
	v_add_f32_e32 v37, 1.0, v33
	v_ldexp_f32 v32, v36, v32
	v_add_f32_e32 v36, 1.0, v34
	v_add_f32_e32 v38, -1.0, v37
	v_sub_f32_e32 v36, v33, v36
	v_sub_f32_e32 v33, v33, v38
	v_add_f32_e32 v36, v32, v36
	v_add_f32_e32 v32, v32, v33
	;; [unrolled: 1-line block ×3, first 2 shown]
	v_rcp_f32_e32 v67, v65
	v_sub_f32_e32 v33, v37, v65
	v_add_f32_e32 v66, v32, v33
	v_add_f32_e32 v33, v34, v36
	v_sub_f32_e32 v32, v34, v33
	v_mul_f32_e32 v68, v33, v67
	v_add_f32_e32 v34, v36, v32
	v_mul_f32_e32 v36, v65, v68
	v_fma_f32 v38, v68, v65, -v36
	v_fmac_f32_e32 v38, v68, v66
	v_add_f32_e32 v32, v36, v38
	v_sub_f32_e32 v37, v33, v32
	v_pk_add_f32 v[54:55], v[32:33], v[36:37] neg_lo:[0,1] neg_hi:[0,1]
	v_mov_b32_e32 v39, v32
	v_pk_add_f32 v[32:33], v[54:55], v[38:39] neg_lo:[0,1] neg_hi:[0,1]
	v_cmp_eq_f32_e32 vcc, s17, v53
	v_add_f32_e32 v33, v34, v33
	v_add_f32_e32 v32, v32, v33
	;; [unrolled: 1-line block ×3, first 2 shown]
	v_mul_f32_e32 v34, v67, v33
	v_mul_f32_e32 v36, v65, v34
	v_fma_f32 v38, v34, v65, -v36
	v_fmac_f32_e32 v38, v34, v66
	v_sub_f32_e32 v37, v37, v33
	v_add_f32_e32 v65, v32, v37
	v_add_f32_e32 v32, v36, v38
	v_sub_f32_e32 v37, v33, v32
	v_pk_add_f32 v[54:55], v[32:33], v[36:37] neg_lo:[0,1] neg_hi:[0,1]
	v_mov_b32_e32 v39, v32
	v_pk_add_f32 v[32:33], v[54:55], v[38:39] neg_lo:[0,1] neg_hi:[0,1]
	v_cvt_f32_i32_e32 v36, v64
	v_add_f32_e32 v33, v65, v33
	v_add_f32_e32 v32, v32, v33
	;; [unrolled: 1-line block ×4, first 2 shown]
	v_sub_f32_e32 v33, v37, v68
	v_mul_f32_e32 v32, v67, v32
	v_sub_f32_e32 v33, v34, v33
	v_add_f32_e32 v32, v33, v32
	v_add_f32_e32 v34, v37, v32
	v_mul_f32_e32 v38, v34, v34
	v_mov_b32_e32 v33, 0x3ecc95a3
	v_sub_f32_e32 v37, v34, v37
	v_fmac_f32_e32 v33, 0x3e9b6dac, v38
	v_sub_f32_e32 v32, v32, v37
	v_fmaak_f32 v33, v38, v33, 0x3f2aaada
	v_ldexp_f32 v54, v32, 1
	v_mul_f32_e32 v37, v34, v38
	v_mov_b32_e32 v32, 0x3f317218
	v_pk_mul_f32 v[32:33], v[36:37], v[32:33]
	v_ldexp_f32 v39, v34, 1
	v_fma_f32 v34, v36, s16, -v32
	v_fmamk_f32 v38, v36, 0xb102e308, v34
	v_pk_add_f32 v[36:37], v[32:33], v[38:39]
	s_mov_b32 s16, 0x33800000
	v_sub_f32_e32 v34, v37, v39
	v_sub_f32_e32 v34, v33, v34
	v_add_f32_e32 v55, v54, v34
	v_mov_b32_e32 v54, v32
	v_pk_add_f32 v[32:33], v[36:37], v[32:33] neg_lo:[0,1] neg_hi:[0,1]
	v_pk_add_f32 v[64:65], v[36:37], v[54:55]
	v_mov_b32_e32 v39, v36
	v_mov_b32_e32 v33, v65
	v_pk_add_f32 v[66:67], v[38:39], v[32:33] neg_lo:[0,1] neg_hi:[0,1]
	v_pk_add_f32 v[32:33], v[38:39], v[32:33]
	v_cmp_lt_f32_e64 s[16:17], |v53|, s16
	v_mov_b32_e32 v34, v33
	v_pk_add_f32 v[38:39], v[34:35], v[36:37] neg_lo:[0,1] neg_hi:[0,1]
	v_mov_b32_e32 v32, v65
	v_mov_b32_e32 v39, v38
	v_pk_add_f32 v[68:69], v[64:65], v[38:39] neg_lo:[0,1] neg_hi:[0,1]
	v_mov_b32_e32 v64, v37
	v_mov_b32_e32 v65, v38
	;; [unrolled: 1-line block ×3, first 2 shown]
	v_pk_add_f32 v[32:33], v[32:33], v[64:65] neg_lo:[0,1] neg_hi:[0,1]
	v_mov_b32_e32 v38, v55
	v_mov_b32_e32 v39, v36
	v_pk_add_f32 v[32:33], v[38:39], v[32:33] neg_lo:[0,1] neg_hi:[0,1]
	v_mov_b32_e32 v68, v66
	v_pk_add_f32 v[36:37], v[68:69], v[32:33]
	s_or_b64 vcc, vcc, s[16:17]
	v_mov_b32_e32 v38, v37
	v_pk_add_f32 v[38:39], v[36:37], v[38:39]
	s_nop 0
	v_pk_add_f32 v[54:55], v[34:35], v[38:39]
	v_mov_b32_e32 v33, v38
	v_mov_b32_e32 v37, v54
	v_pk_add_f32 v[64:65], v[36:37], v[66:67] neg_lo:[0,1] neg_hi:[0,1]
	s_nop 0
	v_sub_f32_e32 v34, v36, v64
	v_pk_add_f32 v[32:33], v[32:33], v[64:65] neg_lo:[0,1] neg_hi:[0,1]
	v_sub_f32_e32 v34, v66, v34
	v_add_f32_e32 v32, v32, v34
	v_add_f32_e32 v32, v32, v33
	;; [unrolled: 1-line block ×3, first 2 shown]
	v_cndmask_b32_e32 v32, v32, v53, vcc
	v_add_f32_e32 v32, v35, v32
	v_cvt_f16_f32_e32 v33, v32
	v_cvt_f32_f16_e32 v34, v33
	v_mov_b32_e32 v32, v33
.LBB408_63:
	s_or_b64 exec, exec, s[14:15]
	v_cvt_f32_f16_e32 v53, v27
	v_max_f32_e32 v35, v34, v34
	v_cmp_u_f16_e32 vcc, v33, v33
	v_cmp_u_f16_e64 s[54:55], v27, v27
	v_min_f32_e32 v36, v35, v53
	v_max_f32_e32 v35, v35, v53
	v_cndmask_b32_e32 v36, v36, v34, vcc
	v_cndmask_b32_e32 v35, v35, v34, vcc
	v_cndmask_b32_e64 v36, v36, v53, s[54:55]
	v_cndmask_b32_e64 v35, v35, v53, s[54:55]
	v_cmp_neq_f32_e32 vcc, v36, v35
	v_cmp_class_f32_e64 s[14:15], v36, s13
	s_or_b64 s[16:17], vcc, s[14:15]
	s_and_saveexec_b64 s[14:15], s[16:17]
	s_cbranch_execz .LBB408_65
; %bb.64:
	v_sub_f32_e32 v32, v36, v35
	s_mov_b32 s13, 0x3fb8aa3b
	v_mul_f32_e32 v33, 0x3fb8aa3b, v32
	v_fma_f32 v34, v32, s13, -v33
	v_rndne_f32_e32 v36, v33
	v_fmamk_f32 v34, v32, 0x32a5705f, v34
	v_sub_f32_e32 v33, v33, v36
	v_add_f32_e32 v33, v33, v34
	v_exp_f32_e32 v33, v33
	v_cvt_i32_f32_e32 v34, v36
	s_mov_b32 s13, 0xc2ce8ed0
	v_cmp_ngt_f32_e32 vcc, s13, v32
	s_mov_b32 s13, 0x42b17218
	v_ldexp_f32 v33, v33, v34
	v_cndmask_b32_e32 v33, 0, v33, vcc
	v_mov_b32_e32 v34, 0x7f800000
	v_cmp_nlt_f32_e32 vcc, s13, v32
	s_mov_b32 s13, 0x3f2aaaab
	s_mov_b32 s16, 0x7f800000
	v_cndmask_b32_e32 v70, v34, v33, vcc
	v_add_f32_e32 v34, 1.0, v70
	v_add_f32_e32 v32, -1.0, v34
	v_sub_f32_e32 v33, v32, v34
	v_add_f32_e32 v33, 1.0, v33
	v_sub_f32_e32 v32, v70, v32
	v_add_f32_e32 v36, v32, v33
	v_frexp_mant_f32_e32 v37, v34
	v_cvt_f64_f32_e32 v[32:33], v34
	v_frexp_exp_i32_f64_e32 v32, v[32:33]
	v_cmp_gt_f32_e32 vcc, s13, v37
	s_mov_b32 s13, 0x3f317218
	s_nop 0
	v_subbrev_co_u32_e32 v64, vcc, 0, v32, vcc
	v_sub_u32_e32 v32, 0, v64
	v_ldexp_f32 v33, v34, v32
	v_add_f32_e32 v34, -1.0, v33
	v_add_f32_e32 v37, 1.0, v33
	v_ldexp_f32 v32, v36, v32
	v_add_f32_e32 v36, 1.0, v34
	v_add_f32_e32 v38, -1.0, v37
	v_sub_f32_e32 v36, v33, v36
	v_sub_f32_e32 v33, v33, v38
	v_add_f32_e32 v36, v32, v36
	v_add_f32_e32 v32, v32, v33
	;; [unrolled: 1-line block ×3, first 2 shown]
	v_rcp_f32_e32 v67, v65
	v_sub_f32_e32 v33, v37, v65
	v_add_f32_e32 v66, v32, v33
	v_add_f32_e32 v33, v34, v36
	v_sub_f32_e32 v32, v34, v33
	v_mul_f32_e32 v68, v33, v67
	v_add_f32_e32 v34, v36, v32
	v_mul_f32_e32 v36, v65, v68
	v_fma_f32 v38, v68, v65, -v36
	v_fmac_f32_e32 v38, v68, v66
	v_add_f32_e32 v32, v36, v38
	v_sub_f32_e32 v37, v33, v32
	v_pk_add_f32 v[54:55], v[32:33], v[36:37] neg_lo:[0,1] neg_hi:[0,1]
	v_mov_b32_e32 v39, v32
	v_pk_add_f32 v[32:33], v[54:55], v[38:39] neg_lo:[0,1] neg_hi:[0,1]
	v_cmp_eq_f32_e32 vcc, s16, v70
	v_add_f32_e32 v33, v34, v33
	v_add_f32_e32 v32, v32, v33
	;; [unrolled: 1-line block ×3, first 2 shown]
	v_mul_f32_e32 v34, v67, v33
	v_mul_f32_e32 v36, v65, v34
	v_fma_f32 v38, v34, v65, -v36
	v_fmac_f32_e32 v38, v34, v66
	v_sub_f32_e32 v37, v37, v33
	v_add_f32_e32 v65, v32, v37
	v_add_f32_e32 v32, v36, v38
	v_sub_f32_e32 v37, v33, v32
	v_pk_add_f32 v[54:55], v[32:33], v[36:37] neg_lo:[0,1] neg_hi:[0,1]
	v_mov_b32_e32 v39, v32
	v_pk_add_f32 v[32:33], v[54:55], v[38:39] neg_lo:[0,1] neg_hi:[0,1]
	v_cvt_f32_i32_e32 v36, v64
	v_add_f32_e32 v33, v65, v33
	v_add_f32_e32 v32, v32, v33
	;; [unrolled: 1-line block ×4, first 2 shown]
	v_sub_f32_e32 v33, v37, v68
	v_mul_f32_e32 v32, v67, v32
	v_sub_f32_e32 v33, v34, v33
	v_add_f32_e32 v32, v33, v32
	v_add_f32_e32 v34, v37, v32
	v_mul_f32_e32 v38, v34, v34
	v_mov_b32_e32 v33, 0x3ecc95a3
	v_sub_f32_e32 v37, v34, v37
	v_fmac_f32_e32 v33, 0x3e9b6dac, v38
	v_sub_f32_e32 v32, v32, v37
	v_fmaak_f32 v33, v38, v33, 0x3f2aaada
	v_ldexp_f32 v54, v32, 1
	v_mul_f32_e32 v37, v34, v38
	v_mov_b32_e32 v32, 0x3f317218
	v_pk_mul_f32 v[32:33], v[36:37], v[32:33]
	v_ldexp_f32 v39, v34, 1
	v_fma_f32 v34, v36, s13, -v32
	v_fmamk_f32 v38, v36, 0xb102e308, v34
	v_pk_add_f32 v[36:37], v[32:33], v[38:39]
	s_mov_b32 s13, 0x33800000
	v_sub_f32_e32 v34, v37, v39
	v_sub_f32_e32 v34, v33, v34
	v_add_f32_e32 v55, v54, v34
	v_mov_b32_e32 v54, v32
	v_pk_add_f32 v[32:33], v[36:37], v[32:33] neg_lo:[0,1] neg_hi:[0,1]
	v_pk_add_f32 v[64:65], v[36:37], v[54:55]
	v_mov_b32_e32 v39, v36
	v_mov_b32_e32 v33, v65
	v_pk_add_f32 v[66:67], v[38:39], v[32:33] neg_lo:[0,1] neg_hi:[0,1]
	v_pk_add_f32 v[32:33], v[38:39], v[32:33]
	v_cmp_lt_f32_e64 s[16:17], |v70|, s13
	v_mov_b32_e32 v34, v33
	v_pk_add_f32 v[38:39], v[34:35], v[36:37] neg_lo:[0,1] neg_hi:[0,1]
	v_mov_b32_e32 v32, v65
	v_mov_b32_e32 v39, v38
	v_pk_add_f32 v[68:69], v[64:65], v[38:39] neg_lo:[0,1] neg_hi:[0,1]
	v_mov_b32_e32 v64, v37
	v_mov_b32_e32 v65, v38
	;; [unrolled: 1-line block ×3, first 2 shown]
	v_pk_add_f32 v[32:33], v[32:33], v[64:65] neg_lo:[0,1] neg_hi:[0,1]
	v_mov_b32_e32 v38, v55
	v_mov_b32_e32 v39, v36
	v_pk_add_f32 v[32:33], v[38:39], v[32:33] neg_lo:[0,1] neg_hi:[0,1]
	v_mov_b32_e32 v68, v66
	v_pk_add_f32 v[36:37], v[68:69], v[32:33]
	s_or_b64 vcc, vcc, s[16:17]
	v_mov_b32_e32 v38, v37
	v_pk_add_f32 v[38:39], v[36:37], v[38:39]
	s_nop 0
	v_pk_add_f32 v[54:55], v[34:35], v[38:39]
	v_mov_b32_e32 v33, v38
	v_mov_b32_e32 v37, v54
	v_pk_add_f32 v[64:65], v[36:37], v[66:67] neg_lo:[0,1] neg_hi:[0,1]
	s_nop 0
	v_sub_f32_e32 v34, v36, v64
	v_pk_add_f32 v[32:33], v[32:33], v[64:65] neg_lo:[0,1] neg_hi:[0,1]
	v_sub_f32_e32 v34, v66, v34
	v_add_f32_e32 v32, v32, v34
	v_add_f32_e32 v32, v32, v33
	;; [unrolled: 1-line block ×3, first 2 shown]
	v_cndmask_b32_e32 v32, v32, v70, vcc
	v_add_f32_e32 v32, v35, v32
	v_cvt_f16_f32_e32 v33, v32
	v_cvt_f32_f16_e32 v34, v33
	v_mov_b32_e32 v32, v33
.LBB408_65:
	s_or_b64 exec, exec, s[14:15]
	v_cvt_f32_f16_sdwa v54, v27 dst_sel:DWORD dst_unused:UNUSED_PAD src0_sel:WORD_1
	v_max_f32_e32 v35, v34, v34
	v_cmp_u_f16_e32 vcc, v33, v33
	v_cmp_u_f16_sdwa s[14:15], v27, v27 src0_sel:WORD_1 src1_sel:WORD_1
	v_min_f32_e32 v36, v35, v54
	v_max_f32_e32 v35, v35, v54
	v_cndmask_b32_e32 v36, v36, v34, vcc
	v_cndmask_b32_e32 v35, v35, v34, vcc
	v_cndmask_b32_e64 v36, v36, v54, s[14:15]
	v_cndmask_b32_e64 v35, v35, v54, s[14:15]
	s_movk_i32 s13, 0x1f8
	v_cmp_neq_f32_e32 vcc, v36, v35
	v_cmp_class_f32_e64 s[16:17], v36, s13
	s_or_b64 s[18:19], vcc, s[16:17]
	s_and_saveexec_b64 s[16:17], s[18:19]
	s_cbranch_execz .LBB408_67
; %bb.66:
	v_sub_f32_e32 v32, v36, v35
	s_mov_b32 s18, 0x3fb8aa3b
	v_mul_f32_e32 v33, 0x3fb8aa3b, v32
	v_fma_f32 v34, v32, s18, -v33
	v_rndne_f32_e32 v36, v33
	v_fmamk_f32 v34, v32, 0x32a5705f, v34
	v_sub_f32_e32 v33, v33, v36
	v_add_f32_e32 v33, v33, v34
	v_exp_f32_e32 v33, v33
	v_cvt_i32_f32_e32 v34, v36
	s_mov_b32 s18, 0xc2ce8ed0
	v_cmp_ngt_f32_e32 vcc, s18, v32
	s_mov_b32 s18, 0x42b17218
	v_ldexp_f32 v33, v33, v34
	v_cndmask_b32_e32 v33, 0, v33, vcc
	v_mov_b32_e32 v34, 0x7f800000
	v_cmp_nlt_f32_e32 vcc, s18, v32
	s_mov_b32 s18, 0x3f2aaaab
	s_mov_b32 s19, 0x7f800000
	v_cndmask_b32_e32 v55, v34, v33, vcc
	v_add_f32_e32 v34, 1.0, v55
	v_add_f32_e32 v32, -1.0, v34
	v_sub_f32_e32 v33, v32, v34
	v_add_f32_e32 v33, 1.0, v33
	v_sub_f32_e32 v32, v55, v32
	v_add_f32_e32 v36, v32, v33
	v_frexp_mant_f32_e32 v37, v34
	v_cvt_f64_f32_e32 v[32:33], v34
	v_frexp_exp_i32_f64_e32 v32, v[32:33]
	v_cmp_gt_f32_e32 vcc, s18, v37
	s_mov_b32 s18, 0x3f317218
	s_nop 0
	v_subbrev_co_u32_e32 v66, vcc, 0, v32, vcc
	v_sub_u32_e32 v32, 0, v66
	v_ldexp_f32 v33, v34, v32
	v_add_f32_e32 v34, -1.0, v33
	v_add_f32_e32 v37, 1.0, v33
	v_ldexp_f32 v32, v36, v32
	v_add_f32_e32 v36, 1.0, v34
	v_add_f32_e32 v38, -1.0, v37
	v_sub_f32_e32 v36, v33, v36
	v_sub_f32_e32 v33, v33, v38
	v_add_f32_e32 v36, v32, v36
	v_add_f32_e32 v32, v32, v33
	;; [unrolled: 1-line block ×3, first 2 shown]
	v_rcp_f32_e32 v69, v67
	v_sub_f32_e32 v33, v37, v67
	v_add_f32_e32 v68, v32, v33
	v_add_f32_e32 v33, v34, v36
	v_sub_f32_e32 v32, v34, v33
	v_mul_f32_e32 v70, v33, v69
	v_add_f32_e32 v34, v36, v32
	v_mul_f32_e32 v36, v67, v70
	v_fma_f32 v38, v70, v67, -v36
	v_fmac_f32_e32 v38, v70, v68
	v_add_f32_e32 v32, v36, v38
	v_sub_f32_e32 v37, v33, v32
	v_pk_add_f32 v[64:65], v[32:33], v[36:37] neg_lo:[0,1] neg_hi:[0,1]
	v_mov_b32_e32 v39, v32
	v_pk_add_f32 v[32:33], v[64:65], v[38:39] neg_lo:[0,1] neg_hi:[0,1]
	v_cmp_eq_f32_e32 vcc, s19, v55
	v_add_f32_e32 v33, v34, v33
	v_add_f32_e32 v32, v32, v33
	;; [unrolled: 1-line block ×3, first 2 shown]
	v_mul_f32_e32 v34, v69, v33
	v_mul_f32_e32 v36, v67, v34
	v_fma_f32 v38, v34, v67, -v36
	v_fmac_f32_e32 v38, v34, v68
	v_sub_f32_e32 v37, v37, v33
	v_add_f32_e32 v67, v32, v37
	v_add_f32_e32 v32, v36, v38
	v_sub_f32_e32 v37, v33, v32
	v_pk_add_f32 v[64:65], v[32:33], v[36:37] neg_lo:[0,1] neg_hi:[0,1]
	v_mov_b32_e32 v39, v32
	v_pk_add_f32 v[32:33], v[64:65], v[38:39] neg_lo:[0,1] neg_hi:[0,1]
	v_cvt_f32_i32_e32 v36, v66
	v_add_f32_e32 v33, v67, v33
	v_add_f32_e32 v32, v32, v33
	;; [unrolled: 1-line block ×4, first 2 shown]
	v_sub_f32_e32 v33, v37, v70
	v_mul_f32_e32 v32, v69, v32
	v_sub_f32_e32 v33, v34, v33
	v_add_f32_e32 v32, v33, v32
	v_add_f32_e32 v34, v37, v32
	v_mul_f32_e32 v38, v34, v34
	v_mov_b32_e32 v33, 0x3ecc95a3
	v_sub_f32_e32 v37, v34, v37
	v_fmac_f32_e32 v33, 0x3e9b6dac, v38
	v_sub_f32_e32 v32, v32, v37
	v_fmaak_f32 v33, v38, v33, 0x3f2aaada
	v_ldexp_f32 v64, v32, 1
	v_mul_f32_e32 v37, v34, v38
	v_mov_b32_e32 v32, 0x3f317218
	v_pk_mul_f32 v[32:33], v[36:37], v[32:33]
	v_ldexp_f32 v39, v34, 1
	v_fma_f32 v34, v36, s18, -v32
	v_fmamk_f32 v38, v36, 0xb102e308, v34
	v_pk_add_f32 v[36:37], v[32:33], v[38:39]
	s_mov_b32 s18, 0x33800000
	v_sub_f32_e32 v34, v37, v39
	v_sub_f32_e32 v34, v33, v34
	v_add_f32_e32 v65, v64, v34
	v_mov_b32_e32 v64, v32
	v_pk_add_f32 v[32:33], v[36:37], v[32:33] neg_lo:[0,1] neg_hi:[0,1]
	v_pk_add_f32 v[66:67], v[36:37], v[64:65]
	v_mov_b32_e32 v39, v36
	v_mov_b32_e32 v33, v67
	v_pk_add_f32 v[68:69], v[38:39], v[32:33] neg_lo:[0,1] neg_hi:[0,1]
	v_pk_add_f32 v[32:33], v[38:39], v[32:33]
	v_cmp_lt_f32_e64 s[18:19], |v55|, s18
	v_mov_b32_e32 v34, v33
	v_pk_add_f32 v[38:39], v[34:35], v[36:37] neg_lo:[0,1] neg_hi:[0,1]
	v_mov_b32_e32 v32, v67
	v_mov_b32_e32 v39, v38
	v_pk_add_f32 v[70:71], v[66:67], v[38:39] neg_lo:[0,1] neg_hi:[0,1]
	v_mov_b32_e32 v66, v37
	v_mov_b32_e32 v67, v38
	;; [unrolled: 1-line block ×3, first 2 shown]
	v_pk_add_f32 v[32:33], v[32:33], v[66:67] neg_lo:[0,1] neg_hi:[0,1]
	v_mov_b32_e32 v38, v65
	v_mov_b32_e32 v39, v36
	v_pk_add_f32 v[32:33], v[38:39], v[32:33] neg_lo:[0,1] neg_hi:[0,1]
	v_mov_b32_e32 v70, v68
	v_pk_add_f32 v[36:37], v[70:71], v[32:33]
	s_or_b64 vcc, vcc, s[18:19]
	v_mov_b32_e32 v38, v37
	v_pk_add_f32 v[38:39], v[36:37], v[38:39]
	s_nop 0
	v_pk_add_f32 v[64:65], v[34:35], v[38:39]
	v_mov_b32_e32 v33, v38
	v_mov_b32_e32 v37, v64
	v_pk_add_f32 v[66:67], v[36:37], v[68:69] neg_lo:[0,1] neg_hi:[0,1]
	s_nop 0
	v_sub_f32_e32 v34, v36, v66
	v_pk_add_f32 v[32:33], v[32:33], v[66:67] neg_lo:[0,1] neg_hi:[0,1]
	v_sub_f32_e32 v34, v68, v34
	v_add_f32_e32 v32, v32, v34
	v_add_f32_e32 v32, v32, v33
	;; [unrolled: 1-line block ×3, first 2 shown]
	v_cndmask_b32_e32 v32, v32, v55, vcc
	v_add_f32_e32 v32, v35, v32
	v_cvt_f16_f32_e32 v33, v32
	v_cvt_f32_f16_e32 v34, v33
	v_mov_b32_e32 v32, v33
.LBB408_67:
	s_or_b64 exec, exec, s[16:17]
	v_cvt_f32_f16_e32 v55, v20
	v_max_f32_e32 v35, v34, v34
	v_cmp_u_f16_e32 vcc, v33, v33
	v_cmp_u_f16_e64 s[16:17], v20, v20
	v_min_f32_e32 v36, v35, v55
	v_max_f32_e32 v35, v35, v55
	v_cndmask_b32_e32 v36, v36, v34, vcc
	v_cndmask_b32_e32 v35, v35, v34, vcc
	v_cndmask_b32_e64 v36, v36, v55, s[16:17]
	v_cndmask_b32_e64 v35, v35, v55, s[16:17]
	v_cmp_neq_f32_e32 vcc, v36, v35
	v_cmp_class_f32_e64 s[18:19], v36, s13
	s_or_b64 s[20:21], vcc, s[18:19]
	s_and_saveexec_b64 s[18:19], s[20:21]
	s_cbranch_execz .LBB408_69
; %bb.68:
	v_sub_f32_e32 v32, v36, v35
	s_mov_b32 s13, 0x3fb8aa3b
	v_mul_f32_e32 v33, 0x3fb8aa3b, v32
	v_fma_f32 v34, v32, s13, -v33
	v_rndne_f32_e32 v36, v33
	v_fmamk_f32 v34, v32, 0x32a5705f, v34
	v_sub_f32_e32 v33, v33, v36
	v_add_f32_e32 v33, v33, v34
	v_exp_f32_e32 v33, v33
	v_cvt_i32_f32_e32 v34, v36
	s_mov_b32 s13, 0xc2ce8ed0
	v_cmp_ngt_f32_e32 vcc, s13, v32
	s_mov_b32 s13, 0x42b17218
	v_ldexp_f32 v33, v33, v34
	v_cndmask_b32_e32 v33, 0, v33, vcc
	v_mov_b32_e32 v34, 0x7f800000
	v_cmp_nlt_f32_e32 vcc, s13, v32
	s_mov_b32 s13, 0x3f2aaaab
	s_mov_b32 s20, 0x7f800000
	v_cndmask_b32_e32 v80, v34, v33, vcc
	v_add_f32_e32 v34, 1.0, v80
	v_add_f32_e32 v32, -1.0, v34
	v_sub_f32_e32 v33, v32, v34
	v_add_f32_e32 v33, 1.0, v33
	v_sub_f32_e32 v32, v80, v32
	v_add_f32_e32 v36, v32, v33
	v_frexp_mant_f32_e32 v37, v34
	v_cvt_f64_f32_e32 v[32:33], v34
	v_frexp_exp_i32_f64_e32 v32, v[32:33]
	v_cmp_gt_f32_e32 vcc, s13, v37
	s_mov_b32 s13, 0x3f317218
	s_nop 0
	v_subbrev_co_u32_e32 v66, vcc, 0, v32, vcc
	v_sub_u32_e32 v32, 0, v66
	v_ldexp_f32 v33, v34, v32
	v_add_f32_e32 v34, -1.0, v33
	v_add_f32_e32 v37, 1.0, v33
	v_ldexp_f32 v32, v36, v32
	v_add_f32_e32 v36, 1.0, v34
	v_add_f32_e32 v38, -1.0, v37
	v_sub_f32_e32 v36, v33, v36
	v_sub_f32_e32 v33, v33, v38
	v_add_f32_e32 v36, v32, v36
	v_add_f32_e32 v32, v32, v33
	;; [unrolled: 1-line block ×3, first 2 shown]
	v_rcp_f32_e32 v69, v67
	v_sub_f32_e32 v33, v37, v67
	v_add_f32_e32 v68, v32, v33
	v_add_f32_e32 v33, v34, v36
	v_sub_f32_e32 v32, v34, v33
	v_mul_f32_e32 v70, v33, v69
	v_add_f32_e32 v34, v36, v32
	v_mul_f32_e32 v36, v67, v70
	v_fma_f32 v38, v70, v67, -v36
	v_fmac_f32_e32 v38, v70, v68
	v_add_f32_e32 v32, v36, v38
	v_sub_f32_e32 v37, v33, v32
	v_pk_add_f32 v[64:65], v[32:33], v[36:37] neg_lo:[0,1] neg_hi:[0,1]
	v_mov_b32_e32 v39, v32
	v_pk_add_f32 v[32:33], v[64:65], v[38:39] neg_lo:[0,1] neg_hi:[0,1]
	v_cmp_eq_f32_e32 vcc, s20, v80
	v_add_f32_e32 v33, v34, v33
	v_add_f32_e32 v32, v32, v33
	;; [unrolled: 1-line block ×3, first 2 shown]
	v_mul_f32_e32 v34, v69, v33
	v_mul_f32_e32 v36, v67, v34
	v_fma_f32 v38, v34, v67, -v36
	v_fmac_f32_e32 v38, v34, v68
	v_sub_f32_e32 v37, v37, v33
	v_add_f32_e32 v67, v32, v37
	v_add_f32_e32 v32, v36, v38
	v_sub_f32_e32 v37, v33, v32
	v_pk_add_f32 v[64:65], v[32:33], v[36:37] neg_lo:[0,1] neg_hi:[0,1]
	v_mov_b32_e32 v39, v32
	v_pk_add_f32 v[32:33], v[64:65], v[38:39] neg_lo:[0,1] neg_hi:[0,1]
	v_cvt_f32_i32_e32 v36, v66
	v_add_f32_e32 v33, v67, v33
	v_add_f32_e32 v32, v32, v33
	v_add_f32_e32 v32, v37, v32
	v_add_f32_e32 v37, v70, v34
	v_sub_f32_e32 v33, v37, v70
	v_mul_f32_e32 v32, v69, v32
	v_sub_f32_e32 v33, v34, v33
	v_add_f32_e32 v32, v33, v32
	v_add_f32_e32 v34, v37, v32
	v_mul_f32_e32 v38, v34, v34
	v_mov_b32_e32 v33, 0x3ecc95a3
	v_sub_f32_e32 v37, v34, v37
	v_fmac_f32_e32 v33, 0x3e9b6dac, v38
	v_sub_f32_e32 v32, v32, v37
	v_fmaak_f32 v33, v38, v33, 0x3f2aaada
	v_ldexp_f32 v64, v32, 1
	v_mul_f32_e32 v37, v34, v38
	v_mov_b32_e32 v32, 0x3f317218
	v_pk_mul_f32 v[32:33], v[36:37], v[32:33]
	v_ldexp_f32 v39, v34, 1
	v_fma_f32 v34, v36, s13, -v32
	v_fmamk_f32 v38, v36, 0xb102e308, v34
	v_pk_add_f32 v[36:37], v[32:33], v[38:39]
	s_mov_b32 s13, 0x33800000
	v_sub_f32_e32 v34, v37, v39
	v_sub_f32_e32 v34, v33, v34
	v_add_f32_e32 v65, v64, v34
	v_mov_b32_e32 v64, v32
	v_pk_add_f32 v[32:33], v[36:37], v[32:33] neg_lo:[0,1] neg_hi:[0,1]
	v_pk_add_f32 v[66:67], v[36:37], v[64:65]
	v_mov_b32_e32 v39, v36
	v_mov_b32_e32 v33, v67
	v_pk_add_f32 v[68:69], v[38:39], v[32:33] neg_lo:[0,1] neg_hi:[0,1]
	v_pk_add_f32 v[32:33], v[38:39], v[32:33]
	v_cmp_lt_f32_e64 s[20:21], |v80|, s13
	v_mov_b32_e32 v34, v33
	v_pk_add_f32 v[38:39], v[34:35], v[36:37] neg_lo:[0,1] neg_hi:[0,1]
	v_mov_b32_e32 v32, v67
	v_mov_b32_e32 v39, v38
	v_pk_add_f32 v[70:71], v[66:67], v[38:39] neg_lo:[0,1] neg_hi:[0,1]
	v_mov_b32_e32 v66, v37
	v_mov_b32_e32 v67, v38
	;; [unrolled: 1-line block ×3, first 2 shown]
	v_pk_add_f32 v[32:33], v[32:33], v[66:67] neg_lo:[0,1] neg_hi:[0,1]
	v_mov_b32_e32 v38, v65
	v_mov_b32_e32 v39, v36
	v_pk_add_f32 v[32:33], v[38:39], v[32:33] neg_lo:[0,1] neg_hi:[0,1]
	v_mov_b32_e32 v70, v68
	v_pk_add_f32 v[36:37], v[70:71], v[32:33]
	s_or_b64 vcc, vcc, s[20:21]
	v_mov_b32_e32 v38, v37
	v_pk_add_f32 v[38:39], v[36:37], v[38:39]
	s_nop 0
	v_pk_add_f32 v[64:65], v[34:35], v[38:39]
	v_mov_b32_e32 v33, v38
	v_mov_b32_e32 v37, v64
	v_pk_add_f32 v[66:67], v[36:37], v[68:69] neg_lo:[0,1] neg_hi:[0,1]
	s_nop 0
	v_sub_f32_e32 v34, v36, v66
	v_pk_add_f32 v[32:33], v[32:33], v[66:67] neg_lo:[0,1] neg_hi:[0,1]
	v_sub_f32_e32 v34, v68, v34
	v_add_f32_e32 v32, v32, v34
	v_add_f32_e32 v32, v32, v33
	;; [unrolled: 1-line block ×3, first 2 shown]
	v_cndmask_b32_e32 v32, v32, v80, vcc
	v_add_f32_e32 v32, v35, v32
	v_cvt_f16_f32_e32 v33, v32
	v_cvt_f32_f16_e32 v34, v33
	v_mov_b32_e32 v32, v33
.LBB408_69:
	s_or_b64 exec, exec, s[18:19]
	v_cvt_f32_f16_sdwa v64, v20 dst_sel:DWORD dst_unused:UNUSED_PAD src0_sel:WORD_1
	v_max_f32_e32 v35, v34, v34
	v_cmp_u_f16_e32 vcc, v33, v33
	v_cmp_u_f16_sdwa s[18:19], v20, v20 src0_sel:WORD_1 src1_sel:WORD_1
	v_min_f32_e32 v36, v35, v64
	v_max_f32_e32 v35, v35, v64
	v_cndmask_b32_e32 v36, v36, v34, vcc
	v_cndmask_b32_e32 v35, v35, v34, vcc
	v_cndmask_b32_e64 v36, v36, v64, s[18:19]
	v_cndmask_b32_e64 v35, v35, v64, s[18:19]
	s_movk_i32 s13, 0x1f8
	v_cmp_neq_f32_e32 vcc, v36, v35
	v_cmp_class_f32_e64 s[20:21], v36, s13
	s_or_b64 s[22:23], vcc, s[20:21]
	s_and_saveexec_b64 s[20:21], s[22:23]
	s_cbranch_execz .LBB408_71
; %bb.70:
	v_sub_f32_e32 v32, v36, v35
	s_mov_b32 s22, 0x3fb8aa3b
	v_mul_f32_e32 v33, 0x3fb8aa3b, v32
	v_fma_f32 v34, v32, s22, -v33
	v_rndne_f32_e32 v36, v33
	v_fmamk_f32 v34, v32, 0x32a5705f, v34
	v_sub_f32_e32 v33, v33, v36
	v_add_f32_e32 v33, v33, v34
	v_exp_f32_e32 v33, v33
	v_cvt_i32_f32_e32 v34, v36
	s_mov_b32 s22, 0xc2ce8ed0
	v_cmp_ngt_f32_e32 vcc, s22, v32
	s_mov_b32 s22, 0x42b17218
	v_ldexp_f32 v33, v33, v34
	v_cndmask_b32_e32 v33, 0, v33, vcc
	v_mov_b32_e32 v34, 0x7f800000
	v_cmp_nlt_f32_e32 vcc, s22, v32
	s_mov_b32 s22, 0x3f2aaaab
	s_mov_b32 s23, 0x7f800000
	v_cndmask_b32_e32 v65, v34, v33, vcc
	v_add_f32_e32 v34, 1.0, v65
	v_add_f32_e32 v32, -1.0, v34
	v_sub_f32_e32 v33, v32, v34
	v_add_f32_e32 v33, 1.0, v33
	v_sub_f32_e32 v32, v65, v32
	v_add_f32_e32 v36, v32, v33
	v_frexp_mant_f32_e32 v37, v34
	v_cvt_f64_f32_e32 v[32:33], v34
	v_frexp_exp_i32_f64_e32 v32, v[32:33]
	v_cmp_gt_f32_e32 vcc, s22, v37
	s_mov_b32 s22, 0x3f317218
	s_nop 0
	v_subbrev_co_u32_e32 v68, vcc, 0, v32, vcc
	v_sub_u32_e32 v32, 0, v68
	v_ldexp_f32 v33, v34, v32
	v_add_f32_e32 v34, -1.0, v33
	v_add_f32_e32 v37, 1.0, v33
	v_ldexp_f32 v32, v36, v32
	v_add_f32_e32 v36, 1.0, v34
	v_add_f32_e32 v38, -1.0, v37
	v_sub_f32_e32 v36, v33, v36
	v_sub_f32_e32 v33, v33, v38
	v_add_f32_e32 v36, v32, v36
	v_add_f32_e32 v32, v32, v33
	;; [unrolled: 1-line block ×3, first 2 shown]
	v_rcp_f32_e32 v71, v69
	v_sub_f32_e32 v33, v37, v69
	v_add_f32_e32 v70, v32, v33
	v_add_f32_e32 v33, v34, v36
	v_sub_f32_e32 v32, v34, v33
	v_mul_f32_e32 v80, v33, v71
	v_add_f32_e32 v34, v36, v32
	v_mul_f32_e32 v36, v69, v80
	v_fma_f32 v38, v80, v69, -v36
	v_fmac_f32_e32 v38, v80, v70
	v_add_f32_e32 v32, v36, v38
	v_sub_f32_e32 v37, v33, v32
	v_pk_add_f32 v[66:67], v[32:33], v[36:37] neg_lo:[0,1] neg_hi:[0,1]
	v_mov_b32_e32 v39, v32
	v_pk_add_f32 v[32:33], v[66:67], v[38:39] neg_lo:[0,1] neg_hi:[0,1]
	v_cmp_eq_f32_e32 vcc, s23, v65
	v_add_f32_e32 v33, v34, v33
	v_add_f32_e32 v32, v32, v33
	;; [unrolled: 1-line block ×3, first 2 shown]
	v_mul_f32_e32 v34, v71, v33
	v_mul_f32_e32 v36, v69, v34
	v_fma_f32 v38, v34, v69, -v36
	v_fmac_f32_e32 v38, v34, v70
	v_sub_f32_e32 v37, v37, v33
	v_add_f32_e32 v69, v32, v37
	v_add_f32_e32 v32, v36, v38
	v_sub_f32_e32 v37, v33, v32
	v_pk_add_f32 v[66:67], v[32:33], v[36:37] neg_lo:[0,1] neg_hi:[0,1]
	v_mov_b32_e32 v39, v32
	v_pk_add_f32 v[32:33], v[66:67], v[38:39] neg_lo:[0,1] neg_hi:[0,1]
	v_cvt_f32_i32_e32 v36, v68
	v_add_f32_e32 v33, v69, v33
	v_add_f32_e32 v32, v32, v33
	;; [unrolled: 1-line block ×4, first 2 shown]
	v_sub_f32_e32 v33, v37, v80
	v_mul_f32_e32 v32, v71, v32
	v_sub_f32_e32 v33, v34, v33
	v_add_f32_e32 v32, v33, v32
	v_add_f32_e32 v34, v37, v32
	v_mul_f32_e32 v38, v34, v34
	v_mov_b32_e32 v33, 0x3ecc95a3
	v_sub_f32_e32 v37, v34, v37
	v_fmac_f32_e32 v33, 0x3e9b6dac, v38
	v_sub_f32_e32 v32, v32, v37
	v_fmaak_f32 v33, v38, v33, 0x3f2aaada
	v_ldexp_f32 v66, v32, 1
	v_mul_f32_e32 v37, v34, v38
	v_mov_b32_e32 v32, 0x3f317218
	v_pk_mul_f32 v[32:33], v[36:37], v[32:33]
	v_ldexp_f32 v39, v34, 1
	v_fma_f32 v34, v36, s22, -v32
	v_fmamk_f32 v38, v36, 0xb102e308, v34
	v_pk_add_f32 v[36:37], v[32:33], v[38:39]
	s_mov_b32 s22, 0x33800000
	v_sub_f32_e32 v34, v37, v39
	v_sub_f32_e32 v34, v33, v34
	v_add_f32_e32 v67, v66, v34
	v_mov_b32_e32 v66, v32
	v_pk_add_f32 v[32:33], v[36:37], v[32:33] neg_lo:[0,1] neg_hi:[0,1]
	v_pk_add_f32 v[68:69], v[36:37], v[66:67]
	v_mov_b32_e32 v39, v36
	v_mov_b32_e32 v33, v69
	v_pk_add_f32 v[70:71], v[38:39], v[32:33] neg_lo:[0,1] neg_hi:[0,1]
	v_pk_add_f32 v[32:33], v[38:39], v[32:33]
	v_cmp_lt_f32_e64 s[22:23], |v65|, s22
	v_mov_b32_e32 v34, v33
	v_pk_add_f32 v[38:39], v[34:35], v[36:37] neg_lo:[0,1] neg_hi:[0,1]
	v_mov_b32_e32 v32, v69
	v_mov_b32_e32 v39, v38
	v_pk_add_f32 v[80:81], v[68:69], v[38:39] neg_lo:[0,1] neg_hi:[0,1]
	v_mov_b32_e32 v68, v37
	v_mov_b32_e32 v69, v38
	v_mov_b32_e32 v71, v33
	v_pk_add_f32 v[32:33], v[32:33], v[68:69] neg_lo:[0,1] neg_hi:[0,1]
	v_mov_b32_e32 v38, v67
	v_mov_b32_e32 v39, v36
	v_pk_add_f32 v[32:33], v[38:39], v[32:33] neg_lo:[0,1] neg_hi:[0,1]
	v_mov_b32_e32 v80, v70
	v_pk_add_f32 v[36:37], v[80:81], v[32:33]
	s_or_b64 vcc, vcc, s[22:23]
	v_mov_b32_e32 v38, v37
	v_pk_add_f32 v[38:39], v[36:37], v[38:39]
	s_nop 0
	v_pk_add_f32 v[66:67], v[34:35], v[38:39]
	v_mov_b32_e32 v33, v38
	v_mov_b32_e32 v37, v66
	v_pk_add_f32 v[68:69], v[36:37], v[70:71] neg_lo:[0,1] neg_hi:[0,1]
	s_nop 0
	v_sub_f32_e32 v34, v36, v68
	v_pk_add_f32 v[32:33], v[32:33], v[68:69] neg_lo:[0,1] neg_hi:[0,1]
	v_sub_f32_e32 v34, v70, v34
	v_add_f32_e32 v32, v32, v34
	v_add_f32_e32 v32, v32, v33
	;; [unrolled: 1-line block ×3, first 2 shown]
	v_cndmask_b32_e32 v32, v32, v65, vcc
	v_add_f32_e32 v32, v35, v32
	v_cvt_f16_f32_e32 v33, v32
	v_cvt_f32_f16_e32 v34, v33
	v_mov_b32_e32 v32, v33
.LBB408_71:
	s_or_b64 exec, exec, s[20:21]
	v_cvt_f32_f16_e32 v65, v21
	v_max_f32_e32 v35, v34, v34
	v_cmp_u_f16_e32 vcc, v33, v33
	v_cmp_u_f16_e64 s[20:21], v21, v21
	v_min_f32_e32 v36, v35, v65
	v_max_f32_e32 v35, v35, v65
	v_cndmask_b32_e32 v36, v36, v34, vcc
	v_cndmask_b32_e32 v35, v35, v34, vcc
	v_cndmask_b32_e64 v36, v36, v65, s[20:21]
	v_cndmask_b32_e64 v35, v35, v65, s[20:21]
	v_cmp_neq_f32_e32 vcc, v36, v35
	v_cmp_class_f32_e64 s[22:23], v36, s13
	s_or_b64 s[24:25], vcc, s[22:23]
	s_and_saveexec_b64 s[22:23], s[24:25]
	s_cbranch_execz .LBB408_73
; %bb.72:
	v_sub_f32_e32 v32, v36, v35
	s_mov_b32 s13, 0x3fb8aa3b
	v_mul_f32_e32 v33, 0x3fb8aa3b, v32
	v_fma_f32 v34, v32, s13, -v33
	v_rndne_f32_e32 v36, v33
	v_fmamk_f32 v34, v32, 0x32a5705f, v34
	v_sub_f32_e32 v33, v33, v36
	v_add_f32_e32 v33, v33, v34
	v_exp_f32_e32 v33, v33
	v_cvt_i32_f32_e32 v34, v36
	s_mov_b32 s13, 0xc2ce8ed0
	v_cmp_ngt_f32_e32 vcc, s13, v32
	s_mov_b32 s13, 0x42b17218
	v_ldexp_f32 v33, v33, v34
	v_cndmask_b32_e32 v33, 0, v33, vcc
	v_mov_b32_e32 v34, 0x7f800000
	v_cmp_nlt_f32_e32 vcc, s13, v32
	s_mov_b32 s13, 0x3f2aaaab
	s_mov_b32 s24, 0x7f800000
	v_cndmask_b32_e32 v82, v34, v33, vcc
	v_add_f32_e32 v34, 1.0, v82
	v_add_f32_e32 v32, -1.0, v34
	v_sub_f32_e32 v33, v32, v34
	v_add_f32_e32 v33, 1.0, v33
	v_sub_f32_e32 v32, v82, v32
	v_add_f32_e32 v36, v32, v33
	v_frexp_mant_f32_e32 v37, v34
	v_cvt_f64_f32_e32 v[32:33], v34
	v_frexp_exp_i32_f64_e32 v32, v[32:33]
	v_cmp_gt_f32_e32 vcc, s13, v37
	s_mov_b32 s13, 0x3f317218
	s_nop 0
	v_subbrev_co_u32_e32 v68, vcc, 0, v32, vcc
	v_sub_u32_e32 v32, 0, v68
	v_ldexp_f32 v33, v34, v32
	v_add_f32_e32 v34, -1.0, v33
	v_add_f32_e32 v37, 1.0, v33
	v_ldexp_f32 v32, v36, v32
	v_add_f32_e32 v36, 1.0, v34
	v_add_f32_e32 v38, -1.0, v37
	v_sub_f32_e32 v36, v33, v36
	v_sub_f32_e32 v33, v33, v38
	v_add_f32_e32 v36, v32, v36
	v_add_f32_e32 v32, v32, v33
	;; [unrolled: 1-line block ×3, first 2 shown]
	v_rcp_f32_e32 v71, v69
	v_sub_f32_e32 v33, v37, v69
	v_add_f32_e32 v70, v32, v33
	v_add_f32_e32 v33, v34, v36
	v_sub_f32_e32 v32, v34, v33
	v_mul_f32_e32 v80, v33, v71
	v_add_f32_e32 v34, v36, v32
	v_mul_f32_e32 v36, v69, v80
	v_fma_f32 v38, v80, v69, -v36
	v_fmac_f32_e32 v38, v80, v70
	v_add_f32_e32 v32, v36, v38
	v_sub_f32_e32 v37, v33, v32
	v_pk_add_f32 v[66:67], v[32:33], v[36:37] neg_lo:[0,1] neg_hi:[0,1]
	v_mov_b32_e32 v39, v32
	v_pk_add_f32 v[32:33], v[66:67], v[38:39] neg_lo:[0,1] neg_hi:[0,1]
	v_cmp_eq_f32_e32 vcc, s24, v82
	v_add_f32_e32 v33, v34, v33
	v_add_f32_e32 v32, v32, v33
	;; [unrolled: 1-line block ×3, first 2 shown]
	v_mul_f32_e32 v34, v71, v33
	v_mul_f32_e32 v36, v69, v34
	v_fma_f32 v38, v34, v69, -v36
	v_fmac_f32_e32 v38, v34, v70
	v_sub_f32_e32 v37, v37, v33
	v_add_f32_e32 v69, v32, v37
	v_add_f32_e32 v32, v36, v38
	v_sub_f32_e32 v37, v33, v32
	v_pk_add_f32 v[66:67], v[32:33], v[36:37] neg_lo:[0,1] neg_hi:[0,1]
	v_mov_b32_e32 v39, v32
	v_pk_add_f32 v[32:33], v[66:67], v[38:39] neg_lo:[0,1] neg_hi:[0,1]
	v_cvt_f32_i32_e32 v36, v68
	v_add_f32_e32 v33, v69, v33
	v_add_f32_e32 v32, v32, v33
	;; [unrolled: 1-line block ×4, first 2 shown]
	v_sub_f32_e32 v33, v37, v80
	v_mul_f32_e32 v32, v71, v32
	v_sub_f32_e32 v33, v34, v33
	v_add_f32_e32 v32, v33, v32
	v_add_f32_e32 v34, v37, v32
	v_mul_f32_e32 v38, v34, v34
	v_mov_b32_e32 v33, 0x3ecc95a3
	v_sub_f32_e32 v37, v34, v37
	v_fmac_f32_e32 v33, 0x3e9b6dac, v38
	v_sub_f32_e32 v32, v32, v37
	v_fmaak_f32 v33, v38, v33, 0x3f2aaada
	v_ldexp_f32 v66, v32, 1
	v_mul_f32_e32 v37, v34, v38
	v_mov_b32_e32 v32, 0x3f317218
	v_pk_mul_f32 v[32:33], v[36:37], v[32:33]
	v_ldexp_f32 v39, v34, 1
	v_fma_f32 v34, v36, s13, -v32
	v_fmamk_f32 v38, v36, 0xb102e308, v34
	v_pk_add_f32 v[36:37], v[32:33], v[38:39]
	s_mov_b32 s13, 0x33800000
	v_sub_f32_e32 v34, v37, v39
	v_sub_f32_e32 v34, v33, v34
	v_add_f32_e32 v67, v66, v34
	v_mov_b32_e32 v66, v32
	v_pk_add_f32 v[32:33], v[36:37], v[32:33] neg_lo:[0,1] neg_hi:[0,1]
	v_pk_add_f32 v[68:69], v[36:37], v[66:67]
	v_mov_b32_e32 v39, v36
	v_mov_b32_e32 v33, v69
	v_pk_add_f32 v[70:71], v[38:39], v[32:33] neg_lo:[0,1] neg_hi:[0,1]
	v_pk_add_f32 v[32:33], v[38:39], v[32:33]
	v_cmp_lt_f32_e64 s[24:25], |v82|, s13
	v_mov_b32_e32 v34, v33
	v_pk_add_f32 v[38:39], v[34:35], v[36:37] neg_lo:[0,1] neg_hi:[0,1]
	v_mov_b32_e32 v32, v69
	v_mov_b32_e32 v39, v38
	v_pk_add_f32 v[80:81], v[68:69], v[38:39] neg_lo:[0,1] neg_hi:[0,1]
	v_mov_b32_e32 v68, v37
	v_mov_b32_e32 v69, v38
	;; [unrolled: 1-line block ×3, first 2 shown]
	v_pk_add_f32 v[32:33], v[32:33], v[68:69] neg_lo:[0,1] neg_hi:[0,1]
	v_mov_b32_e32 v38, v67
	v_mov_b32_e32 v39, v36
	v_pk_add_f32 v[32:33], v[38:39], v[32:33] neg_lo:[0,1] neg_hi:[0,1]
	v_mov_b32_e32 v80, v70
	v_pk_add_f32 v[36:37], v[80:81], v[32:33]
	s_or_b64 vcc, vcc, s[24:25]
	v_mov_b32_e32 v38, v37
	v_pk_add_f32 v[38:39], v[36:37], v[38:39]
	s_nop 0
	v_pk_add_f32 v[66:67], v[34:35], v[38:39]
	v_mov_b32_e32 v33, v38
	v_mov_b32_e32 v37, v66
	v_pk_add_f32 v[68:69], v[36:37], v[70:71] neg_lo:[0,1] neg_hi:[0,1]
	s_nop 0
	v_sub_f32_e32 v34, v36, v68
	v_pk_add_f32 v[32:33], v[32:33], v[68:69] neg_lo:[0,1] neg_hi:[0,1]
	v_sub_f32_e32 v34, v70, v34
	v_add_f32_e32 v32, v32, v34
	v_add_f32_e32 v32, v32, v33
	;; [unrolled: 1-line block ×3, first 2 shown]
	v_cndmask_b32_e32 v32, v32, v82, vcc
	v_add_f32_e32 v32, v35, v32
	v_cvt_f16_f32_e32 v33, v32
	v_cvt_f32_f16_e32 v34, v33
	v_mov_b32_e32 v32, v33
.LBB408_73:
	s_or_b64 exec, exec, s[22:23]
	v_cvt_f32_f16_sdwa v66, v21 dst_sel:DWORD dst_unused:UNUSED_PAD src0_sel:WORD_1
	v_max_f32_e32 v35, v34, v34
	v_cmp_u_f16_e32 vcc, v33, v33
	v_cmp_u_f16_sdwa s[22:23], v21, v21 src0_sel:WORD_1 src1_sel:WORD_1
	v_min_f32_e32 v36, v35, v66
	v_max_f32_e32 v35, v35, v66
	v_cndmask_b32_e32 v36, v36, v34, vcc
	v_cndmask_b32_e32 v35, v35, v34, vcc
	v_cndmask_b32_e64 v36, v36, v66, s[22:23]
	v_cndmask_b32_e64 v35, v35, v66, s[22:23]
	s_movk_i32 s13, 0x1f8
	v_cmp_neq_f32_e32 vcc, v36, v35
	v_cmp_class_f32_e64 s[24:25], v36, s13
	s_or_b64 s[26:27], vcc, s[24:25]
	s_and_saveexec_b64 s[24:25], s[26:27]
	s_cbranch_execz .LBB408_75
; %bb.74:
	v_sub_f32_e32 v32, v36, v35
	s_mov_b32 s26, 0x3fb8aa3b
	v_mul_f32_e32 v33, 0x3fb8aa3b, v32
	v_fma_f32 v34, v32, s26, -v33
	v_rndne_f32_e32 v36, v33
	v_fmamk_f32 v34, v32, 0x32a5705f, v34
	v_sub_f32_e32 v33, v33, v36
	v_add_f32_e32 v33, v33, v34
	v_exp_f32_e32 v33, v33
	v_cvt_i32_f32_e32 v34, v36
	s_mov_b32 s26, 0xc2ce8ed0
	v_cmp_ngt_f32_e32 vcc, s26, v32
	s_mov_b32 s26, 0x42b17218
	v_ldexp_f32 v33, v33, v34
	v_cndmask_b32_e32 v33, 0, v33, vcc
	v_mov_b32_e32 v34, 0x7f800000
	v_cmp_nlt_f32_e32 vcc, s26, v32
	s_mov_b32 s26, 0x3f2aaaab
	s_mov_b32 s27, 0x7f800000
	v_cndmask_b32_e32 v67, v34, v33, vcc
	v_add_f32_e32 v34, 1.0, v67
	v_add_f32_e32 v32, -1.0, v34
	v_sub_f32_e32 v33, v32, v34
	v_add_f32_e32 v33, 1.0, v33
	v_sub_f32_e32 v32, v67, v32
	v_add_f32_e32 v36, v32, v33
	v_frexp_mant_f32_e32 v37, v34
	v_cvt_f64_f32_e32 v[32:33], v34
	v_frexp_exp_i32_f64_e32 v32, v[32:33]
	v_cmp_gt_f32_e32 vcc, s26, v37
	s_mov_b32 s26, 0x3f317218
	s_nop 0
	v_subbrev_co_u32_e32 v70, vcc, 0, v32, vcc
	v_sub_u32_e32 v32, 0, v70
	v_ldexp_f32 v33, v34, v32
	v_add_f32_e32 v34, -1.0, v33
	v_add_f32_e32 v37, 1.0, v33
	v_ldexp_f32 v32, v36, v32
	v_add_f32_e32 v36, 1.0, v34
	v_add_f32_e32 v38, -1.0, v37
	v_sub_f32_e32 v36, v33, v36
	v_sub_f32_e32 v33, v33, v38
	v_add_f32_e32 v36, v32, v36
	v_add_f32_e32 v32, v32, v33
	;; [unrolled: 1-line block ×3, first 2 shown]
	v_rcp_f32_e32 v81, v71
	v_sub_f32_e32 v33, v37, v71
	v_add_f32_e32 v80, v32, v33
	v_add_f32_e32 v33, v34, v36
	v_sub_f32_e32 v32, v34, v33
	v_mul_f32_e32 v82, v33, v81
	v_add_f32_e32 v34, v36, v32
	v_mul_f32_e32 v36, v71, v82
	v_fma_f32 v38, v82, v71, -v36
	v_fmac_f32_e32 v38, v82, v80
	v_add_f32_e32 v32, v36, v38
	v_sub_f32_e32 v37, v33, v32
	v_pk_add_f32 v[68:69], v[32:33], v[36:37] neg_lo:[0,1] neg_hi:[0,1]
	v_mov_b32_e32 v39, v32
	v_pk_add_f32 v[32:33], v[68:69], v[38:39] neg_lo:[0,1] neg_hi:[0,1]
	v_cmp_eq_f32_e32 vcc, s27, v67
	v_add_f32_e32 v33, v34, v33
	v_add_f32_e32 v32, v32, v33
	;; [unrolled: 1-line block ×3, first 2 shown]
	v_mul_f32_e32 v34, v81, v33
	v_mul_f32_e32 v36, v71, v34
	v_fma_f32 v38, v34, v71, -v36
	v_fmac_f32_e32 v38, v34, v80
	v_sub_f32_e32 v37, v37, v33
	v_add_f32_e32 v71, v32, v37
	v_add_f32_e32 v32, v36, v38
	v_sub_f32_e32 v37, v33, v32
	v_pk_add_f32 v[68:69], v[32:33], v[36:37] neg_lo:[0,1] neg_hi:[0,1]
	v_mov_b32_e32 v39, v32
	v_pk_add_f32 v[32:33], v[68:69], v[38:39] neg_lo:[0,1] neg_hi:[0,1]
	v_cvt_f32_i32_e32 v36, v70
	v_add_f32_e32 v33, v71, v33
	v_add_f32_e32 v32, v32, v33
	;; [unrolled: 1-line block ×4, first 2 shown]
	v_sub_f32_e32 v33, v37, v82
	v_mul_f32_e32 v32, v81, v32
	v_sub_f32_e32 v33, v34, v33
	v_add_f32_e32 v32, v33, v32
	v_add_f32_e32 v34, v37, v32
	v_mul_f32_e32 v38, v34, v34
	v_mov_b32_e32 v33, 0x3ecc95a3
	v_sub_f32_e32 v37, v34, v37
	v_fmac_f32_e32 v33, 0x3e9b6dac, v38
	v_sub_f32_e32 v32, v32, v37
	v_fmaak_f32 v33, v38, v33, 0x3f2aaada
	v_ldexp_f32 v68, v32, 1
	v_mul_f32_e32 v37, v34, v38
	v_mov_b32_e32 v32, 0x3f317218
	v_pk_mul_f32 v[32:33], v[36:37], v[32:33]
	v_ldexp_f32 v39, v34, 1
	v_fma_f32 v34, v36, s26, -v32
	v_fmamk_f32 v38, v36, 0xb102e308, v34
	v_pk_add_f32 v[36:37], v[32:33], v[38:39]
	s_mov_b32 s26, 0x33800000
	v_sub_f32_e32 v34, v37, v39
	v_sub_f32_e32 v34, v33, v34
	v_add_f32_e32 v69, v68, v34
	v_mov_b32_e32 v68, v32
	v_pk_add_f32 v[32:33], v[36:37], v[32:33] neg_lo:[0,1] neg_hi:[0,1]
	v_pk_add_f32 v[70:71], v[36:37], v[68:69]
	v_mov_b32_e32 v39, v36
	v_mov_b32_e32 v33, v71
	v_pk_add_f32 v[80:81], v[38:39], v[32:33] neg_lo:[0,1] neg_hi:[0,1]
	v_pk_add_f32 v[32:33], v[38:39], v[32:33]
	v_cmp_lt_f32_e64 s[26:27], |v67|, s26
	v_mov_b32_e32 v34, v33
	v_pk_add_f32 v[38:39], v[34:35], v[36:37] neg_lo:[0,1] neg_hi:[0,1]
	v_mov_b32_e32 v32, v71
	v_mov_b32_e32 v39, v38
	v_pk_add_f32 v[82:83], v[70:71], v[38:39] neg_lo:[0,1] neg_hi:[0,1]
	v_mov_b32_e32 v70, v37
	v_mov_b32_e32 v71, v38
	;; [unrolled: 1-line block ×3, first 2 shown]
	v_pk_add_f32 v[32:33], v[32:33], v[70:71] neg_lo:[0,1] neg_hi:[0,1]
	v_mov_b32_e32 v38, v69
	v_mov_b32_e32 v39, v36
	v_pk_add_f32 v[32:33], v[38:39], v[32:33] neg_lo:[0,1] neg_hi:[0,1]
	v_mov_b32_e32 v82, v80
	v_pk_add_f32 v[36:37], v[82:83], v[32:33]
	s_or_b64 vcc, vcc, s[26:27]
	v_mov_b32_e32 v38, v37
	v_pk_add_f32 v[38:39], v[36:37], v[38:39]
	s_nop 0
	v_pk_add_f32 v[68:69], v[34:35], v[38:39]
	v_mov_b32_e32 v33, v38
	v_mov_b32_e32 v37, v68
	v_pk_add_f32 v[70:71], v[36:37], v[80:81] neg_lo:[0,1] neg_hi:[0,1]
	s_nop 0
	v_sub_f32_e32 v34, v36, v70
	v_pk_add_f32 v[32:33], v[32:33], v[70:71] neg_lo:[0,1] neg_hi:[0,1]
	v_sub_f32_e32 v34, v80, v34
	v_add_f32_e32 v32, v32, v34
	v_add_f32_e32 v32, v32, v33
	;; [unrolled: 1-line block ×3, first 2 shown]
	v_cndmask_b32_e32 v32, v32, v67, vcc
	v_add_f32_e32 v32, v35, v32
	v_cvt_f16_f32_e32 v33, v32
	v_cvt_f32_f16_e32 v34, v33
	v_mov_b32_e32 v32, v33
.LBB408_75:
	s_or_b64 exec, exec, s[24:25]
	v_cvt_f32_f16_e32 v67, v22
	v_max_f32_e32 v35, v34, v34
	v_cmp_u_f16_e32 vcc, v33, v33
	v_cmp_u_f16_e64 s[24:25], v22, v22
	v_min_f32_e32 v36, v35, v67
	v_max_f32_e32 v35, v35, v67
	v_cndmask_b32_e32 v36, v36, v34, vcc
	v_cndmask_b32_e32 v35, v35, v34, vcc
	v_cndmask_b32_e64 v36, v36, v67, s[24:25]
	v_cndmask_b32_e64 v35, v35, v67, s[24:25]
	v_cmp_neq_f32_e32 vcc, v36, v35
	v_cmp_class_f32_e64 s[26:27], v36, s13
	s_or_b64 s[28:29], vcc, s[26:27]
	s_and_saveexec_b64 s[26:27], s[28:29]
	s_cbranch_execz .LBB408_77
; %bb.76:
	v_sub_f32_e32 v32, v36, v35
	s_mov_b32 s13, 0x3fb8aa3b
	v_mul_f32_e32 v33, 0x3fb8aa3b, v32
	v_fma_f32 v34, v32, s13, -v33
	v_rndne_f32_e32 v36, v33
	v_fmamk_f32 v34, v32, 0x32a5705f, v34
	v_sub_f32_e32 v33, v33, v36
	v_add_f32_e32 v33, v33, v34
	v_exp_f32_e32 v33, v33
	v_cvt_i32_f32_e32 v34, v36
	s_mov_b32 s13, 0xc2ce8ed0
	v_cmp_ngt_f32_e32 vcc, s13, v32
	s_mov_b32 s13, 0x42b17218
	v_ldexp_f32 v33, v33, v34
	v_cndmask_b32_e32 v33, 0, v33, vcc
	v_mov_b32_e32 v34, 0x7f800000
	v_cmp_nlt_f32_e32 vcc, s13, v32
	s_mov_b32 s13, 0x3f2aaaab
	s_mov_b32 s28, 0x7f800000
	v_cndmask_b32_e32 v84, v34, v33, vcc
	v_add_f32_e32 v34, 1.0, v84
	v_add_f32_e32 v32, -1.0, v34
	v_sub_f32_e32 v33, v32, v34
	v_add_f32_e32 v33, 1.0, v33
	v_sub_f32_e32 v32, v84, v32
	v_add_f32_e32 v36, v32, v33
	v_frexp_mant_f32_e32 v37, v34
	v_cvt_f64_f32_e32 v[32:33], v34
	v_frexp_exp_i32_f64_e32 v32, v[32:33]
	v_cmp_gt_f32_e32 vcc, s13, v37
	s_mov_b32 s13, 0x3f317218
	s_nop 0
	v_subbrev_co_u32_e32 v70, vcc, 0, v32, vcc
	v_sub_u32_e32 v32, 0, v70
	v_ldexp_f32 v33, v34, v32
	v_add_f32_e32 v34, -1.0, v33
	v_add_f32_e32 v37, 1.0, v33
	v_ldexp_f32 v32, v36, v32
	v_add_f32_e32 v36, 1.0, v34
	v_add_f32_e32 v38, -1.0, v37
	v_sub_f32_e32 v36, v33, v36
	v_sub_f32_e32 v33, v33, v38
	v_add_f32_e32 v36, v32, v36
	v_add_f32_e32 v32, v32, v33
	;; [unrolled: 1-line block ×3, first 2 shown]
	v_rcp_f32_e32 v81, v71
	v_sub_f32_e32 v33, v37, v71
	v_add_f32_e32 v80, v32, v33
	v_add_f32_e32 v33, v34, v36
	v_sub_f32_e32 v32, v34, v33
	v_mul_f32_e32 v82, v33, v81
	v_add_f32_e32 v34, v36, v32
	v_mul_f32_e32 v36, v71, v82
	v_fma_f32 v38, v82, v71, -v36
	v_fmac_f32_e32 v38, v82, v80
	v_add_f32_e32 v32, v36, v38
	v_sub_f32_e32 v37, v33, v32
	v_pk_add_f32 v[68:69], v[32:33], v[36:37] neg_lo:[0,1] neg_hi:[0,1]
	v_mov_b32_e32 v39, v32
	v_pk_add_f32 v[32:33], v[68:69], v[38:39] neg_lo:[0,1] neg_hi:[0,1]
	v_cmp_eq_f32_e32 vcc, s28, v84
	v_add_f32_e32 v33, v34, v33
	v_add_f32_e32 v32, v32, v33
	;; [unrolled: 1-line block ×3, first 2 shown]
	v_mul_f32_e32 v34, v81, v33
	v_mul_f32_e32 v36, v71, v34
	v_fma_f32 v38, v34, v71, -v36
	v_fmac_f32_e32 v38, v34, v80
	v_sub_f32_e32 v37, v37, v33
	v_add_f32_e32 v71, v32, v37
	v_add_f32_e32 v32, v36, v38
	v_sub_f32_e32 v37, v33, v32
	v_pk_add_f32 v[68:69], v[32:33], v[36:37] neg_lo:[0,1] neg_hi:[0,1]
	v_mov_b32_e32 v39, v32
	v_pk_add_f32 v[32:33], v[68:69], v[38:39] neg_lo:[0,1] neg_hi:[0,1]
	v_cvt_f32_i32_e32 v36, v70
	v_add_f32_e32 v33, v71, v33
	v_add_f32_e32 v32, v32, v33
	;; [unrolled: 1-line block ×4, first 2 shown]
	v_sub_f32_e32 v33, v37, v82
	v_mul_f32_e32 v32, v81, v32
	v_sub_f32_e32 v33, v34, v33
	v_add_f32_e32 v32, v33, v32
	v_add_f32_e32 v34, v37, v32
	v_mul_f32_e32 v38, v34, v34
	v_mov_b32_e32 v33, 0x3ecc95a3
	v_sub_f32_e32 v37, v34, v37
	v_fmac_f32_e32 v33, 0x3e9b6dac, v38
	v_sub_f32_e32 v32, v32, v37
	v_fmaak_f32 v33, v38, v33, 0x3f2aaada
	v_ldexp_f32 v68, v32, 1
	v_mul_f32_e32 v37, v34, v38
	v_mov_b32_e32 v32, 0x3f317218
	v_pk_mul_f32 v[32:33], v[36:37], v[32:33]
	v_ldexp_f32 v39, v34, 1
	v_fma_f32 v34, v36, s13, -v32
	v_fmamk_f32 v38, v36, 0xb102e308, v34
	v_pk_add_f32 v[36:37], v[32:33], v[38:39]
	s_mov_b32 s13, 0x33800000
	v_sub_f32_e32 v34, v37, v39
	v_sub_f32_e32 v34, v33, v34
	v_add_f32_e32 v69, v68, v34
	v_mov_b32_e32 v68, v32
	v_pk_add_f32 v[32:33], v[36:37], v[32:33] neg_lo:[0,1] neg_hi:[0,1]
	v_pk_add_f32 v[70:71], v[36:37], v[68:69]
	v_mov_b32_e32 v39, v36
	v_mov_b32_e32 v33, v71
	v_pk_add_f32 v[80:81], v[38:39], v[32:33] neg_lo:[0,1] neg_hi:[0,1]
	v_pk_add_f32 v[32:33], v[38:39], v[32:33]
	v_cmp_lt_f32_e64 s[28:29], |v84|, s13
	v_mov_b32_e32 v34, v33
	v_pk_add_f32 v[38:39], v[34:35], v[36:37] neg_lo:[0,1] neg_hi:[0,1]
	v_mov_b32_e32 v32, v71
	v_mov_b32_e32 v39, v38
	v_pk_add_f32 v[82:83], v[70:71], v[38:39] neg_lo:[0,1] neg_hi:[0,1]
	v_mov_b32_e32 v70, v37
	v_mov_b32_e32 v71, v38
	;; [unrolled: 1-line block ×3, first 2 shown]
	v_pk_add_f32 v[32:33], v[32:33], v[70:71] neg_lo:[0,1] neg_hi:[0,1]
	v_mov_b32_e32 v38, v69
	v_mov_b32_e32 v39, v36
	v_pk_add_f32 v[32:33], v[38:39], v[32:33] neg_lo:[0,1] neg_hi:[0,1]
	v_mov_b32_e32 v82, v80
	v_pk_add_f32 v[36:37], v[82:83], v[32:33]
	s_or_b64 vcc, vcc, s[28:29]
	v_mov_b32_e32 v38, v37
	v_pk_add_f32 v[38:39], v[36:37], v[38:39]
	s_nop 0
	v_pk_add_f32 v[68:69], v[34:35], v[38:39]
	v_mov_b32_e32 v33, v38
	v_mov_b32_e32 v37, v68
	v_pk_add_f32 v[70:71], v[36:37], v[80:81] neg_lo:[0,1] neg_hi:[0,1]
	s_nop 0
	v_sub_f32_e32 v34, v36, v70
	v_pk_add_f32 v[32:33], v[32:33], v[70:71] neg_lo:[0,1] neg_hi:[0,1]
	v_sub_f32_e32 v34, v80, v34
	v_add_f32_e32 v32, v32, v34
	v_add_f32_e32 v32, v32, v33
	;; [unrolled: 1-line block ×3, first 2 shown]
	v_cndmask_b32_e32 v32, v32, v84, vcc
	v_add_f32_e32 v32, v35, v32
	v_cvt_f16_f32_e32 v33, v32
	v_cvt_f32_f16_e32 v34, v33
	v_mov_b32_e32 v32, v33
.LBB408_77:
	s_or_b64 exec, exec, s[26:27]
	v_cvt_f32_f16_sdwa v68, v22 dst_sel:DWORD dst_unused:UNUSED_PAD src0_sel:WORD_1
	v_max_f32_e32 v35, v34, v34
	v_cmp_u_f16_e32 vcc, v33, v33
	v_cmp_u_f16_sdwa s[26:27], v22, v22 src0_sel:WORD_1 src1_sel:WORD_1
	v_min_f32_e32 v36, v35, v68
	v_max_f32_e32 v35, v35, v68
	v_cndmask_b32_e32 v36, v36, v34, vcc
	v_cndmask_b32_e32 v35, v35, v34, vcc
	v_cndmask_b32_e64 v36, v36, v68, s[26:27]
	v_cndmask_b32_e64 v35, v35, v68, s[26:27]
	s_movk_i32 s13, 0x1f8
	v_cmp_neq_f32_e32 vcc, v36, v35
	v_cmp_class_f32_e64 s[28:29], v36, s13
	s_or_b64 vcc, vcc, s[28:29]
	s_and_saveexec_b64 s[28:29], vcc
	s_cbranch_execz .LBB408_79
; %bb.78:
	v_sub_f32_e32 v32, v36, v35
	s_mov_b32 s30, 0x3fb8aa3b
	v_mul_f32_e32 v33, 0x3fb8aa3b, v32
	v_fma_f32 v34, v32, s30, -v33
	v_rndne_f32_e32 v36, v33
	v_fmamk_f32 v34, v32, 0x32a5705f, v34
	v_sub_f32_e32 v33, v33, v36
	v_add_f32_e32 v33, v33, v34
	v_exp_f32_e32 v33, v33
	v_cvt_i32_f32_e32 v34, v36
	s_mov_b32 s30, 0xc2ce8ed0
	v_cmp_ngt_f32_e32 vcc, s30, v32
	s_mov_b32 s30, 0x42b17218
	v_ldexp_f32 v33, v33, v34
	v_cndmask_b32_e32 v33, 0, v33, vcc
	v_mov_b32_e32 v34, 0x7f800000
	v_cmp_nlt_f32_e32 vcc, s30, v32
	s_mov_b32 s30, 0x3f2aaaab
	s_mov_b32 s31, 0x7f800000
	v_cndmask_b32_e32 v69, v34, v33, vcc
	v_add_f32_e32 v34, 1.0, v69
	v_add_f32_e32 v32, -1.0, v34
	v_sub_f32_e32 v33, v32, v34
	v_add_f32_e32 v33, 1.0, v33
	v_sub_f32_e32 v32, v69, v32
	v_add_f32_e32 v36, v32, v33
	v_frexp_mant_f32_e32 v37, v34
	v_cvt_f64_f32_e32 v[32:33], v34
	v_frexp_exp_i32_f64_e32 v32, v[32:33]
	v_cmp_gt_f32_e32 vcc, s30, v37
	s_mov_b32 s30, 0x3f317218
	s_nop 0
	v_subbrev_co_u32_e32 v80, vcc, 0, v32, vcc
	v_sub_u32_e32 v32, 0, v80
	v_ldexp_f32 v33, v34, v32
	v_add_f32_e32 v34, -1.0, v33
	v_add_f32_e32 v37, 1.0, v33
	v_ldexp_f32 v32, v36, v32
	v_add_f32_e32 v36, 1.0, v34
	v_add_f32_e32 v38, -1.0, v37
	v_sub_f32_e32 v36, v33, v36
	v_sub_f32_e32 v33, v33, v38
	v_add_f32_e32 v36, v32, v36
	v_add_f32_e32 v32, v32, v33
	;; [unrolled: 1-line block ×3, first 2 shown]
	v_rcp_f32_e32 v83, v81
	v_sub_f32_e32 v33, v37, v81
	v_add_f32_e32 v82, v32, v33
	v_add_f32_e32 v33, v34, v36
	v_sub_f32_e32 v32, v34, v33
	v_mul_f32_e32 v84, v33, v83
	v_add_f32_e32 v34, v36, v32
	v_mul_f32_e32 v36, v81, v84
	v_fma_f32 v38, v84, v81, -v36
	v_fmac_f32_e32 v38, v84, v82
	v_add_f32_e32 v32, v36, v38
	v_sub_f32_e32 v37, v33, v32
	v_pk_add_f32 v[70:71], v[32:33], v[36:37] neg_lo:[0,1] neg_hi:[0,1]
	v_mov_b32_e32 v39, v32
	v_pk_add_f32 v[32:33], v[70:71], v[38:39] neg_lo:[0,1] neg_hi:[0,1]
	v_cmp_eq_f32_e32 vcc, s31, v69
	v_add_f32_e32 v33, v34, v33
	v_add_f32_e32 v32, v32, v33
	;; [unrolled: 1-line block ×3, first 2 shown]
	v_mul_f32_e32 v34, v83, v33
	v_mul_f32_e32 v36, v81, v34
	v_fma_f32 v38, v34, v81, -v36
	v_fmac_f32_e32 v38, v34, v82
	v_sub_f32_e32 v37, v37, v33
	v_add_f32_e32 v81, v32, v37
	v_add_f32_e32 v32, v36, v38
	v_sub_f32_e32 v37, v33, v32
	v_pk_add_f32 v[70:71], v[32:33], v[36:37] neg_lo:[0,1] neg_hi:[0,1]
	v_mov_b32_e32 v39, v32
	v_pk_add_f32 v[32:33], v[70:71], v[38:39] neg_lo:[0,1] neg_hi:[0,1]
	v_cvt_f32_i32_e32 v36, v80
	v_add_f32_e32 v33, v81, v33
	v_add_f32_e32 v32, v32, v33
	;; [unrolled: 1-line block ×4, first 2 shown]
	v_sub_f32_e32 v33, v37, v84
	v_mul_f32_e32 v32, v83, v32
	v_sub_f32_e32 v33, v34, v33
	v_add_f32_e32 v32, v33, v32
	v_add_f32_e32 v34, v37, v32
	v_mul_f32_e32 v38, v34, v34
	v_mov_b32_e32 v33, 0x3ecc95a3
	v_sub_f32_e32 v37, v34, v37
	v_fmac_f32_e32 v33, 0x3e9b6dac, v38
	v_sub_f32_e32 v32, v32, v37
	v_fmaak_f32 v33, v38, v33, 0x3f2aaada
	v_ldexp_f32 v70, v32, 1
	v_mul_f32_e32 v37, v34, v38
	v_mov_b32_e32 v32, 0x3f317218
	v_pk_mul_f32 v[32:33], v[36:37], v[32:33]
	v_ldexp_f32 v39, v34, 1
	v_fma_f32 v34, v36, s30, -v32
	v_fmamk_f32 v38, v36, 0xb102e308, v34
	v_pk_add_f32 v[36:37], v[32:33], v[38:39]
	s_mov_b32 s30, 0x33800000
	v_sub_f32_e32 v34, v37, v39
	v_sub_f32_e32 v34, v33, v34
	v_add_f32_e32 v71, v70, v34
	v_mov_b32_e32 v70, v32
	v_pk_add_f32 v[32:33], v[36:37], v[32:33] neg_lo:[0,1] neg_hi:[0,1]
	v_pk_add_f32 v[80:81], v[36:37], v[70:71]
	v_mov_b32_e32 v39, v36
	v_mov_b32_e32 v33, v81
	v_pk_add_f32 v[82:83], v[38:39], v[32:33] neg_lo:[0,1] neg_hi:[0,1]
	v_pk_add_f32 v[32:33], v[38:39], v[32:33]
	v_cmp_lt_f32_e64 s[30:31], |v69|, s30
	v_mov_b32_e32 v34, v33
	v_pk_add_f32 v[38:39], v[34:35], v[36:37] neg_lo:[0,1] neg_hi:[0,1]
	v_mov_b32_e32 v32, v81
	v_mov_b32_e32 v39, v38
	v_pk_add_f32 v[84:85], v[80:81], v[38:39] neg_lo:[0,1] neg_hi:[0,1]
	v_mov_b32_e32 v80, v37
	v_mov_b32_e32 v81, v38
	;; [unrolled: 1-line block ×3, first 2 shown]
	v_pk_add_f32 v[32:33], v[32:33], v[80:81] neg_lo:[0,1] neg_hi:[0,1]
	v_mov_b32_e32 v38, v71
	v_mov_b32_e32 v39, v36
	v_pk_add_f32 v[32:33], v[38:39], v[32:33] neg_lo:[0,1] neg_hi:[0,1]
	v_mov_b32_e32 v84, v82
	v_pk_add_f32 v[36:37], v[84:85], v[32:33]
	s_or_b64 vcc, vcc, s[30:31]
	v_mov_b32_e32 v38, v37
	v_pk_add_f32 v[38:39], v[36:37], v[38:39]
	s_nop 0
	v_pk_add_f32 v[70:71], v[34:35], v[38:39]
	v_mov_b32_e32 v33, v38
	v_mov_b32_e32 v37, v70
	v_pk_add_f32 v[80:81], v[36:37], v[82:83] neg_lo:[0,1] neg_hi:[0,1]
	s_nop 0
	v_sub_f32_e32 v34, v36, v80
	v_pk_add_f32 v[32:33], v[32:33], v[80:81] neg_lo:[0,1] neg_hi:[0,1]
	v_sub_f32_e32 v34, v82, v34
	v_add_f32_e32 v32, v32, v34
	v_add_f32_e32 v32, v32, v33
	;; [unrolled: 1-line block ×3, first 2 shown]
	v_cndmask_b32_e32 v32, v32, v69, vcc
	v_add_f32_e32 v32, v35, v32
	v_cvt_f16_f32_e32 v33, v32
	v_cvt_f32_f16_e32 v34, v33
	v_mov_b32_e32 v32, v33
.LBB408_79:
	s_or_b64 exec, exec, s[28:29]
	v_cvt_f32_f16_e32 v69, v23
	v_max_f32_e32 v35, v34, v34
	v_cmp_u_f16_e32 vcc, v33, v33
	v_cmp_u_f16_e64 s[28:29], v23, v23
	v_min_f32_e32 v36, v35, v69
	v_max_f32_e32 v35, v35, v69
	v_cndmask_b32_e32 v36, v36, v34, vcc
	v_cndmask_b32_e32 v35, v35, v34, vcc
	v_cndmask_b32_e64 v36, v36, v69, s[28:29]
	v_cndmask_b32_e64 v35, v35, v69, s[28:29]
	v_cmp_neq_f32_e32 vcc, v36, v35
	v_cmp_class_f32_e64 s[30:31], v36, s13
	s_or_b64 vcc, vcc, s[30:31]
	s_and_saveexec_b64 s[30:31], vcc
	s_cbranch_execz .LBB408_81
; %bb.80:
	v_sub_f32_e32 v32, v36, v35
	s_mov_b32 s13, 0x3fb8aa3b
	v_mul_f32_e32 v33, 0x3fb8aa3b, v32
	v_fma_f32 v34, v32, s13, -v33
	v_rndne_f32_e32 v36, v33
	v_fmamk_f32 v34, v32, 0x32a5705f, v34
	v_sub_f32_e32 v33, v33, v36
	v_add_f32_e32 v33, v33, v34
	v_exp_f32_e32 v33, v33
	v_cvt_i32_f32_e32 v34, v36
	s_mov_b32 s13, 0xc2ce8ed0
	v_cmp_ngt_f32_e32 vcc, s13, v32
	s_mov_b32 s13, 0x42b17218
	v_ldexp_f32 v33, v33, v34
	v_cndmask_b32_e32 v33, 0, v33, vcc
	v_mov_b32_e32 v34, 0x7f800000
	v_cmp_nlt_f32_e32 vcc, s13, v32
	s_mov_b32 s13, 0x3f2aaaab
	s_mov_b32 s34, 0x7f800000
	v_cndmask_b32_e32 v86, v34, v33, vcc
	v_add_f32_e32 v34, 1.0, v86
	v_add_f32_e32 v32, -1.0, v34
	v_sub_f32_e32 v33, v32, v34
	v_add_f32_e32 v33, 1.0, v33
	v_sub_f32_e32 v32, v86, v32
	v_add_f32_e32 v36, v32, v33
	v_frexp_mant_f32_e32 v37, v34
	v_cvt_f64_f32_e32 v[32:33], v34
	v_frexp_exp_i32_f64_e32 v32, v[32:33]
	v_cmp_gt_f32_e32 vcc, s13, v37
	s_mov_b32 s13, 0x3f317218
	s_nop 0
	v_subbrev_co_u32_e32 v80, vcc, 0, v32, vcc
	v_sub_u32_e32 v32, 0, v80
	v_ldexp_f32 v33, v34, v32
	v_add_f32_e32 v34, -1.0, v33
	v_add_f32_e32 v37, 1.0, v33
	v_ldexp_f32 v32, v36, v32
	v_add_f32_e32 v36, 1.0, v34
	v_add_f32_e32 v38, -1.0, v37
	v_sub_f32_e32 v36, v33, v36
	v_sub_f32_e32 v33, v33, v38
	v_add_f32_e32 v36, v32, v36
	v_add_f32_e32 v32, v32, v33
	;; [unrolled: 1-line block ×3, first 2 shown]
	v_rcp_f32_e32 v83, v81
	v_sub_f32_e32 v33, v37, v81
	v_add_f32_e32 v82, v32, v33
	v_add_f32_e32 v33, v34, v36
	v_sub_f32_e32 v32, v34, v33
	v_mul_f32_e32 v84, v33, v83
	v_add_f32_e32 v34, v36, v32
	v_mul_f32_e32 v36, v81, v84
	v_fma_f32 v38, v84, v81, -v36
	v_fmac_f32_e32 v38, v84, v82
	v_add_f32_e32 v32, v36, v38
	v_sub_f32_e32 v37, v33, v32
	v_pk_add_f32 v[70:71], v[32:33], v[36:37] neg_lo:[0,1] neg_hi:[0,1]
	v_mov_b32_e32 v39, v32
	v_pk_add_f32 v[32:33], v[70:71], v[38:39] neg_lo:[0,1] neg_hi:[0,1]
	v_cmp_eq_f32_e32 vcc, s34, v86
	v_add_f32_e32 v33, v34, v33
	v_add_f32_e32 v32, v32, v33
	;; [unrolled: 1-line block ×3, first 2 shown]
	v_mul_f32_e32 v34, v83, v33
	v_mul_f32_e32 v36, v81, v34
	v_fma_f32 v38, v34, v81, -v36
	v_fmac_f32_e32 v38, v34, v82
	v_sub_f32_e32 v37, v37, v33
	v_add_f32_e32 v81, v32, v37
	v_add_f32_e32 v32, v36, v38
	v_sub_f32_e32 v37, v33, v32
	v_pk_add_f32 v[70:71], v[32:33], v[36:37] neg_lo:[0,1] neg_hi:[0,1]
	v_mov_b32_e32 v39, v32
	v_pk_add_f32 v[32:33], v[70:71], v[38:39] neg_lo:[0,1] neg_hi:[0,1]
	v_cvt_f32_i32_e32 v36, v80
	v_add_f32_e32 v33, v81, v33
	v_add_f32_e32 v32, v32, v33
	;; [unrolled: 1-line block ×4, first 2 shown]
	v_sub_f32_e32 v33, v37, v84
	v_mul_f32_e32 v32, v83, v32
	v_sub_f32_e32 v33, v34, v33
	v_add_f32_e32 v32, v33, v32
	v_add_f32_e32 v34, v37, v32
	v_mul_f32_e32 v38, v34, v34
	v_mov_b32_e32 v33, 0x3ecc95a3
	v_sub_f32_e32 v37, v34, v37
	v_fmac_f32_e32 v33, 0x3e9b6dac, v38
	v_sub_f32_e32 v32, v32, v37
	v_fmaak_f32 v33, v38, v33, 0x3f2aaada
	v_ldexp_f32 v70, v32, 1
	v_mul_f32_e32 v37, v34, v38
	v_mov_b32_e32 v32, 0x3f317218
	v_pk_mul_f32 v[32:33], v[36:37], v[32:33]
	v_ldexp_f32 v39, v34, 1
	v_fma_f32 v34, v36, s13, -v32
	v_fmamk_f32 v38, v36, 0xb102e308, v34
	v_pk_add_f32 v[36:37], v[32:33], v[38:39]
	s_mov_b32 s13, 0x33800000
	v_sub_f32_e32 v34, v37, v39
	v_sub_f32_e32 v34, v33, v34
	v_add_f32_e32 v71, v70, v34
	v_mov_b32_e32 v70, v32
	v_pk_add_f32 v[32:33], v[36:37], v[32:33] neg_lo:[0,1] neg_hi:[0,1]
	v_pk_add_f32 v[80:81], v[36:37], v[70:71]
	v_mov_b32_e32 v39, v36
	v_mov_b32_e32 v33, v81
	v_pk_add_f32 v[82:83], v[38:39], v[32:33] neg_lo:[0,1] neg_hi:[0,1]
	v_pk_add_f32 v[32:33], v[38:39], v[32:33]
	v_cmp_lt_f32_e64 s[34:35], |v86|, s13
	v_mov_b32_e32 v34, v33
	v_pk_add_f32 v[38:39], v[34:35], v[36:37] neg_lo:[0,1] neg_hi:[0,1]
	v_mov_b32_e32 v32, v81
	v_mov_b32_e32 v39, v38
	v_pk_add_f32 v[84:85], v[80:81], v[38:39] neg_lo:[0,1] neg_hi:[0,1]
	v_mov_b32_e32 v80, v37
	v_mov_b32_e32 v81, v38
	;; [unrolled: 1-line block ×3, first 2 shown]
	v_pk_add_f32 v[32:33], v[32:33], v[80:81] neg_lo:[0,1] neg_hi:[0,1]
	v_mov_b32_e32 v38, v71
	v_mov_b32_e32 v39, v36
	v_pk_add_f32 v[32:33], v[38:39], v[32:33] neg_lo:[0,1] neg_hi:[0,1]
	v_mov_b32_e32 v84, v82
	v_pk_add_f32 v[36:37], v[84:85], v[32:33]
	s_or_b64 vcc, vcc, s[34:35]
	v_mov_b32_e32 v38, v37
	v_pk_add_f32 v[38:39], v[36:37], v[38:39]
	s_nop 0
	v_pk_add_f32 v[70:71], v[34:35], v[38:39]
	v_mov_b32_e32 v33, v38
	v_mov_b32_e32 v37, v70
	v_pk_add_f32 v[80:81], v[36:37], v[82:83] neg_lo:[0,1] neg_hi:[0,1]
	s_nop 0
	v_sub_f32_e32 v34, v36, v80
	v_pk_add_f32 v[32:33], v[32:33], v[80:81] neg_lo:[0,1] neg_hi:[0,1]
	v_sub_f32_e32 v34, v82, v34
	v_add_f32_e32 v32, v32, v34
	v_add_f32_e32 v32, v32, v33
	;; [unrolled: 1-line block ×3, first 2 shown]
	v_cndmask_b32_e32 v32, v32, v86, vcc
	v_add_f32_e32 v32, v35, v32
	v_cvt_f16_f32_e32 v33, v32
	v_cvt_f32_f16_e32 v34, v33
	v_mov_b32_e32 v32, v33
.LBB408_81:
	s_or_b64 exec, exec, s[30:31]
	v_cvt_f32_f16_sdwa v70, v23 dst_sel:DWORD dst_unused:UNUSED_PAD src0_sel:WORD_1
	v_max_f32_e32 v35, v34, v34
	v_cmp_u_f16_e32 vcc, v33, v33
	v_cmp_u_f16_sdwa s[30:31], v23, v23 src0_sel:WORD_1 src1_sel:WORD_1
	v_min_f32_e32 v36, v35, v70
	v_max_f32_e32 v35, v35, v70
	v_cndmask_b32_e32 v36, v36, v34, vcc
	v_cndmask_b32_e32 v35, v35, v34, vcc
	v_cndmask_b32_e64 v36, v36, v70, s[30:31]
	v_cndmask_b32_e64 v35, v35, v70, s[30:31]
	s_movk_i32 s13, 0x1f8
	v_cmp_neq_f32_e32 vcc, v36, v35
	v_cmp_class_f32_e64 s[34:35], v36, s13
	s_or_b64 vcc, vcc, s[34:35]
	s_and_saveexec_b64 s[34:35], vcc
	s_cbranch_execz .LBB408_83
; %bb.82:
	v_sub_f32_e32 v32, v36, v35
	s_mov_b32 s36, 0x3fb8aa3b
	v_mul_f32_e32 v33, 0x3fb8aa3b, v32
	v_fma_f32 v34, v32, s36, -v33
	v_rndne_f32_e32 v36, v33
	v_fmamk_f32 v34, v32, 0x32a5705f, v34
	v_sub_f32_e32 v33, v33, v36
	v_add_f32_e32 v33, v33, v34
	v_exp_f32_e32 v33, v33
	v_cvt_i32_f32_e32 v34, v36
	s_mov_b32 s36, 0xc2ce8ed0
	v_cmp_ngt_f32_e32 vcc, s36, v32
	s_mov_b32 s36, 0x42b17218
	v_ldexp_f32 v33, v33, v34
	v_cndmask_b32_e32 v33, 0, v33, vcc
	v_mov_b32_e32 v34, 0x7f800000
	v_cmp_nlt_f32_e32 vcc, s36, v32
	s_mov_b32 s36, 0x3f2aaaab
	s_mov_b32 s37, 0x7f800000
	v_cndmask_b32_e32 v71, v34, v33, vcc
	v_add_f32_e32 v34, 1.0, v71
	v_add_f32_e32 v32, -1.0, v34
	v_sub_f32_e32 v33, v32, v34
	v_add_f32_e32 v33, 1.0, v33
	v_sub_f32_e32 v32, v71, v32
	v_add_f32_e32 v36, v32, v33
	v_frexp_mant_f32_e32 v37, v34
	v_cvt_f64_f32_e32 v[32:33], v34
	v_frexp_exp_i32_f64_e32 v32, v[32:33]
	v_cmp_gt_f32_e32 vcc, s36, v37
	s_mov_b32 s36, 0x3f317218
	s_nop 0
	v_subbrev_co_u32_e32 v82, vcc, 0, v32, vcc
	v_sub_u32_e32 v32, 0, v82
	v_ldexp_f32 v33, v34, v32
	v_add_f32_e32 v34, -1.0, v33
	v_add_f32_e32 v37, 1.0, v33
	v_ldexp_f32 v32, v36, v32
	v_add_f32_e32 v36, 1.0, v34
	v_add_f32_e32 v38, -1.0, v37
	v_sub_f32_e32 v36, v33, v36
	v_sub_f32_e32 v33, v33, v38
	v_add_f32_e32 v36, v32, v36
	v_add_f32_e32 v32, v32, v33
	;; [unrolled: 1-line block ×3, first 2 shown]
	v_rcp_f32_e32 v85, v83
	v_sub_f32_e32 v33, v37, v83
	v_add_f32_e32 v84, v32, v33
	v_add_f32_e32 v33, v34, v36
	v_sub_f32_e32 v32, v34, v33
	v_mul_f32_e32 v86, v33, v85
	v_add_f32_e32 v34, v36, v32
	v_mul_f32_e32 v36, v83, v86
	v_fma_f32 v38, v86, v83, -v36
	v_fmac_f32_e32 v38, v86, v84
	v_add_f32_e32 v32, v36, v38
	v_sub_f32_e32 v37, v33, v32
	v_pk_add_f32 v[80:81], v[32:33], v[36:37] neg_lo:[0,1] neg_hi:[0,1]
	v_mov_b32_e32 v39, v32
	v_pk_add_f32 v[32:33], v[80:81], v[38:39] neg_lo:[0,1] neg_hi:[0,1]
	v_cmp_eq_f32_e32 vcc, s37, v71
	v_add_f32_e32 v33, v34, v33
	v_add_f32_e32 v32, v32, v33
	;; [unrolled: 1-line block ×3, first 2 shown]
	v_mul_f32_e32 v34, v85, v33
	v_mul_f32_e32 v36, v83, v34
	v_fma_f32 v38, v34, v83, -v36
	v_fmac_f32_e32 v38, v34, v84
	v_sub_f32_e32 v37, v37, v33
	v_add_f32_e32 v83, v32, v37
	v_add_f32_e32 v32, v36, v38
	v_sub_f32_e32 v37, v33, v32
	v_pk_add_f32 v[80:81], v[32:33], v[36:37] neg_lo:[0,1] neg_hi:[0,1]
	v_mov_b32_e32 v39, v32
	v_pk_add_f32 v[32:33], v[80:81], v[38:39] neg_lo:[0,1] neg_hi:[0,1]
	v_cvt_f32_i32_e32 v36, v82
	v_add_f32_e32 v33, v83, v33
	v_add_f32_e32 v32, v32, v33
	;; [unrolled: 1-line block ×4, first 2 shown]
	v_sub_f32_e32 v33, v37, v86
	v_mul_f32_e32 v32, v85, v32
	v_sub_f32_e32 v33, v34, v33
	v_add_f32_e32 v32, v33, v32
	v_add_f32_e32 v34, v37, v32
	v_mul_f32_e32 v38, v34, v34
	v_mov_b32_e32 v33, 0x3ecc95a3
	v_sub_f32_e32 v37, v34, v37
	v_fmac_f32_e32 v33, 0x3e9b6dac, v38
	v_sub_f32_e32 v32, v32, v37
	v_fmaak_f32 v33, v38, v33, 0x3f2aaada
	v_ldexp_f32 v80, v32, 1
	v_mul_f32_e32 v37, v34, v38
	v_mov_b32_e32 v32, 0x3f317218
	v_pk_mul_f32 v[32:33], v[36:37], v[32:33]
	v_ldexp_f32 v39, v34, 1
	v_fma_f32 v34, v36, s36, -v32
	v_fmamk_f32 v38, v36, 0xb102e308, v34
	v_pk_add_f32 v[36:37], v[32:33], v[38:39]
	s_mov_b32 s36, 0x33800000
	v_sub_f32_e32 v34, v37, v39
	v_sub_f32_e32 v34, v33, v34
	v_add_f32_e32 v81, v80, v34
	v_mov_b32_e32 v80, v32
	v_pk_add_f32 v[32:33], v[36:37], v[32:33] neg_lo:[0,1] neg_hi:[0,1]
	v_pk_add_f32 v[82:83], v[36:37], v[80:81]
	v_mov_b32_e32 v39, v36
	v_mov_b32_e32 v33, v83
	v_pk_add_f32 v[84:85], v[38:39], v[32:33] neg_lo:[0,1] neg_hi:[0,1]
	v_pk_add_f32 v[32:33], v[38:39], v[32:33]
	v_cmp_lt_f32_e64 s[36:37], |v71|, s36
	v_mov_b32_e32 v34, v33
	v_pk_add_f32 v[38:39], v[34:35], v[36:37] neg_lo:[0,1] neg_hi:[0,1]
	v_mov_b32_e32 v32, v83
	v_mov_b32_e32 v39, v38
	v_pk_add_f32 v[96:97], v[82:83], v[38:39] neg_lo:[0,1] neg_hi:[0,1]
	v_mov_b32_e32 v82, v37
	v_mov_b32_e32 v83, v38
	;; [unrolled: 1-line block ×3, first 2 shown]
	v_pk_add_f32 v[32:33], v[32:33], v[82:83] neg_lo:[0,1] neg_hi:[0,1]
	v_mov_b32_e32 v38, v81
	v_mov_b32_e32 v39, v36
	v_pk_add_f32 v[32:33], v[38:39], v[32:33] neg_lo:[0,1] neg_hi:[0,1]
	v_mov_b32_e32 v96, v84
	v_pk_add_f32 v[36:37], v[96:97], v[32:33]
	s_or_b64 vcc, vcc, s[36:37]
	v_mov_b32_e32 v38, v37
	v_pk_add_f32 v[38:39], v[36:37], v[38:39]
	s_nop 0
	v_pk_add_f32 v[80:81], v[34:35], v[38:39]
	v_mov_b32_e32 v33, v38
	v_mov_b32_e32 v37, v80
	v_pk_add_f32 v[82:83], v[36:37], v[84:85] neg_lo:[0,1] neg_hi:[0,1]
	s_nop 0
	v_sub_f32_e32 v34, v36, v82
	v_pk_add_f32 v[32:33], v[32:33], v[82:83] neg_lo:[0,1] neg_hi:[0,1]
	v_sub_f32_e32 v34, v84, v34
	v_add_f32_e32 v32, v32, v34
	v_add_f32_e32 v32, v32, v33
	;; [unrolled: 1-line block ×3, first 2 shown]
	v_cndmask_b32_e32 v32, v32, v71, vcc
	v_add_f32_e32 v32, v35, v32
	v_cvt_f16_f32_e32 v33, v32
	v_cvt_f32_f16_e32 v34, v33
	v_mov_b32_e32 v32, v33
.LBB408_83:
	s_or_b64 exec, exec, s[34:35]
	v_cvt_f32_f16_e32 v71, v16
	v_max_f32_e32 v35, v34, v34
	v_cmp_u_f16_e32 vcc, v33, v33
	v_cmp_u_f16_e64 s[34:35], v16, v16
	v_min_f32_e32 v36, v35, v71
	v_max_f32_e32 v35, v35, v71
	v_cndmask_b32_e32 v36, v36, v34, vcc
	v_cndmask_b32_e32 v35, v35, v34, vcc
	v_cndmask_b32_e64 v36, v36, v71, s[34:35]
	v_cndmask_b32_e64 v35, v35, v71, s[34:35]
	v_cmp_neq_f32_e32 vcc, v36, v35
	v_cmp_class_f32_e64 s[36:37], v36, s13
	s_or_b64 vcc, vcc, s[36:37]
	s_and_saveexec_b64 s[36:37], vcc
	s_cbranch_execz .LBB408_85
; %bb.84:
	v_sub_f32_e32 v32, v36, v35
	s_mov_b32 s13, 0x3fb8aa3b
	v_mul_f32_e32 v33, 0x3fb8aa3b, v32
	v_fma_f32 v34, v32, s13, -v33
	v_rndne_f32_e32 v36, v33
	v_fmamk_f32 v34, v32, 0x32a5705f, v34
	v_sub_f32_e32 v33, v33, v36
	v_add_f32_e32 v33, v33, v34
	v_exp_f32_e32 v33, v33
	v_cvt_i32_f32_e32 v34, v36
	s_mov_b32 s13, 0xc2ce8ed0
	v_cmp_ngt_f32_e32 vcc, s13, v32
	s_mov_b32 s13, 0x42b17218
	v_ldexp_f32 v33, v33, v34
	v_cndmask_b32_e32 v33, 0, v33, vcc
	v_mov_b32_e32 v34, 0x7f800000
	v_cmp_nlt_f32_e32 vcc, s13, v32
	s_mov_b32 s13, 0x3f2aaaab
	s_mov_b32 s38, 0x7f800000
	v_cndmask_b32_e32 v86, v34, v33, vcc
	v_add_f32_e32 v34, 1.0, v86
	v_add_f32_e32 v32, -1.0, v34
	v_sub_f32_e32 v33, v32, v34
	v_add_f32_e32 v33, 1.0, v33
	v_sub_f32_e32 v32, v86, v32
	v_add_f32_e32 v36, v32, v33
	v_frexp_mant_f32_e32 v37, v34
	v_cvt_f64_f32_e32 v[32:33], v34
	v_frexp_exp_i32_f64_e32 v32, v[32:33]
	v_cmp_gt_f32_e32 vcc, s13, v37
	s_mov_b32 s13, 0x3f317218
	s_nop 0
	v_subbrev_co_u32_e32 v82, vcc, 0, v32, vcc
	v_sub_u32_e32 v32, 0, v82
	v_ldexp_f32 v33, v34, v32
	v_add_f32_e32 v34, -1.0, v33
	v_add_f32_e32 v37, 1.0, v33
	v_ldexp_f32 v32, v36, v32
	v_add_f32_e32 v36, 1.0, v34
	v_add_f32_e32 v38, -1.0, v37
	v_sub_f32_e32 v36, v33, v36
	v_sub_f32_e32 v33, v33, v38
	v_add_f32_e32 v36, v32, v36
	v_add_f32_e32 v32, v32, v33
	;; [unrolled: 1-line block ×3, first 2 shown]
	v_rcp_f32_e32 v85, v83
	v_sub_f32_e32 v33, v37, v83
	v_add_f32_e32 v84, v32, v33
	v_add_f32_e32 v33, v34, v36
	v_sub_f32_e32 v32, v34, v33
	v_mul_f32_e32 v96, v33, v85
	v_add_f32_e32 v34, v36, v32
	v_mul_f32_e32 v36, v83, v96
	v_fma_f32 v38, v96, v83, -v36
	v_fmac_f32_e32 v38, v96, v84
	v_add_f32_e32 v32, v36, v38
	v_sub_f32_e32 v37, v33, v32
	v_pk_add_f32 v[80:81], v[32:33], v[36:37] neg_lo:[0,1] neg_hi:[0,1]
	v_mov_b32_e32 v39, v32
	v_pk_add_f32 v[32:33], v[80:81], v[38:39] neg_lo:[0,1] neg_hi:[0,1]
	v_cmp_eq_f32_e32 vcc, s38, v86
	v_add_f32_e32 v33, v34, v33
	v_add_f32_e32 v32, v32, v33
	;; [unrolled: 1-line block ×3, first 2 shown]
	v_mul_f32_e32 v34, v85, v33
	v_mul_f32_e32 v36, v83, v34
	v_fma_f32 v38, v34, v83, -v36
	v_fmac_f32_e32 v38, v34, v84
	v_sub_f32_e32 v37, v37, v33
	v_add_f32_e32 v83, v32, v37
	v_add_f32_e32 v32, v36, v38
	v_sub_f32_e32 v37, v33, v32
	v_pk_add_f32 v[80:81], v[32:33], v[36:37] neg_lo:[0,1] neg_hi:[0,1]
	v_mov_b32_e32 v39, v32
	v_pk_add_f32 v[32:33], v[80:81], v[38:39] neg_lo:[0,1] neg_hi:[0,1]
	v_cvt_f32_i32_e32 v36, v82
	v_add_f32_e32 v33, v83, v33
	v_add_f32_e32 v32, v32, v33
	;; [unrolled: 1-line block ×4, first 2 shown]
	v_sub_f32_e32 v33, v37, v96
	v_mul_f32_e32 v32, v85, v32
	v_sub_f32_e32 v33, v34, v33
	v_add_f32_e32 v32, v33, v32
	v_add_f32_e32 v34, v37, v32
	v_mul_f32_e32 v38, v34, v34
	v_mov_b32_e32 v33, 0x3ecc95a3
	v_sub_f32_e32 v37, v34, v37
	v_fmac_f32_e32 v33, 0x3e9b6dac, v38
	v_sub_f32_e32 v32, v32, v37
	v_fmaak_f32 v33, v38, v33, 0x3f2aaada
	v_ldexp_f32 v80, v32, 1
	v_mul_f32_e32 v37, v34, v38
	v_mov_b32_e32 v32, 0x3f317218
	v_pk_mul_f32 v[32:33], v[36:37], v[32:33]
	v_ldexp_f32 v39, v34, 1
	v_fma_f32 v34, v36, s13, -v32
	v_fmamk_f32 v38, v36, 0xb102e308, v34
	v_pk_add_f32 v[36:37], v[32:33], v[38:39]
	s_mov_b32 s13, 0x33800000
	v_sub_f32_e32 v34, v37, v39
	v_sub_f32_e32 v34, v33, v34
	v_add_f32_e32 v81, v80, v34
	v_mov_b32_e32 v80, v32
	v_pk_add_f32 v[32:33], v[36:37], v[32:33] neg_lo:[0,1] neg_hi:[0,1]
	v_pk_add_f32 v[82:83], v[36:37], v[80:81]
	v_mov_b32_e32 v39, v36
	v_mov_b32_e32 v33, v83
	v_pk_add_f32 v[84:85], v[38:39], v[32:33] neg_lo:[0,1] neg_hi:[0,1]
	v_pk_add_f32 v[32:33], v[38:39], v[32:33]
	v_cmp_lt_f32_e64 s[38:39], |v86|, s13
	v_mov_b32_e32 v34, v33
	v_pk_add_f32 v[38:39], v[34:35], v[36:37] neg_lo:[0,1] neg_hi:[0,1]
	v_mov_b32_e32 v32, v83
	v_mov_b32_e32 v39, v38
	v_pk_add_f32 v[96:97], v[82:83], v[38:39] neg_lo:[0,1] neg_hi:[0,1]
	v_mov_b32_e32 v82, v37
	v_mov_b32_e32 v83, v38
	;; [unrolled: 1-line block ×3, first 2 shown]
	v_pk_add_f32 v[32:33], v[32:33], v[82:83] neg_lo:[0,1] neg_hi:[0,1]
	v_mov_b32_e32 v38, v81
	v_mov_b32_e32 v39, v36
	v_pk_add_f32 v[32:33], v[38:39], v[32:33] neg_lo:[0,1] neg_hi:[0,1]
	v_mov_b32_e32 v96, v84
	v_pk_add_f32 v[36:37], v[96:97], v[32:33]
	s_or_b64 vcc, vcc, s[38:39]
	v_mov_b32_e32 v38, v37
	v_pk_add_f32 v[38:39], v[36:37], v[38:39]
	s_nop 0
	v_pk_add_f32 v[80:81], v[34:35], v[38:39]
	v_mov_b32_e32 v33, v38
	v_mov_b32_e32 v37, v80
	v_pk_add_f32 v[82:83], v[36:37], v[84:85] neg_lo:[0,1] neg_hi:[0,1]
	s_nop 0
	v_sub_f32_e32 v34, v36, v82
	v_pk_add_f32 v[32:33], v[32:33], v[82:83] neg_lo:[0,1] neg_hi:[0,1]
	v_sub_f32_e32 v34, v84, v34
	v_add_f32_e32 v32, v32, v34
	v_add_f32_e32 v32, v32, v33
	;; [unrolled: 1-line block ×3, first 2 shown]
	v_cndmask_b32_e32 v32, v32, v86, vcc
	v_add_f32_e32 v32, v35, v32
	v_cvt_f16_f32_e32 v33, v32
	v_cvt_f32_f16_e32 v34, v33
	v_mov_b32_e32 v32, v33
.LBB408_85:
	s_or_b64 exec, exec, s[36:37]
	v_cvt_f32_f16_sdwa v80, v16 dst_sel:DWORD dst_unused:UNUSED_PAD src0_sel:WORD_1
	v_max_f32_e32 v35, v34, v34
	v_cmp_u_f16_e32 vcc, v33, v33
	v_cmp_u_f16_sdwa s[36:37], v16, v16 src0_sel:WORD_1 src1_sel:WORD_1
	v_min_f32_e32 v36, v35, v80
	v_max_f32_e32 v35, v35, v80
	v_cndmask_b32_e32 v36, v36, v34, vcc
	v_cndmask_b32_e32 v35, v35, v34, vcc
	v_cndmask_b32_e64 v36, v36, v80, s[36:37]
	v_cndmask_b32_e64 v35, v35, v80, s[36:37]
	s_movk_i32 s13, 0x1f8
	v_cmp_neq_f32_e32 vcc, v36, v35
	v_cmp_class_f32_e64 s[38:39], v36, s13
	s_or_b64 vcc, vcc, s[38:39]
	s_and_saveexec_b64 s[38:39], vcc
	s_cbranch_execz .LBB408_87
; %bb.86:
	v_sub_f32_e32 v32, v36, v35
	s_mov_b32 s40, 0x3fb8aa3b
	v_mul_f32_e32 v33, 0x3fb8aa3b, v32
	v_fma_f32 v34, v32, s40, -v33
	v_rndne_f32_e32 v36, v33
	v_fmamk_f32 v34, v32, 0x32a5705f, v34
	v_sub_f32_e32 v33, v33, v36
	v_add_f32_e32 v33, v33, v34
	v_exp_f32_e32 v33, v33
	v_cvt_i32_f32_e32 v34, v36
	s_mov_b32 s40, 0xc2ce8ed0
	v_cmp_ngt_f32_e32 vcc, s40, v32
	s_mov_b32 s40, 0x42b17218
	v_ldexp_f32 v33, v33, v34
	v_cndmask_b32_e32 v33, 0, v33, vcc
	v_mov_b32_e32 v34, 0x7f800000
	v_cmp_nlt_f32_e32 vcc, s40, v32
	s_mov_b32 s40, 0x3f2aaaab
	s_mov_b32 s41, 0x7f800000
	v_cndmask_b32_e32 v81, v34, v33, vcc
	v_add_f32_e32 v34, 1.0, v81
	v_add_f32_e32 v32, -1.0, v34
	v_sub_f32_e32 v33, v32, v34
	v_add_f32_e32 v33, 1.0, v33
	v_sub_f32_e32 v32, v81, v32
	v_add_f32_e32 v36, v32, v33
	v_frexp_mant_f32_e32 v37, v34
	v_cvt_f64_f32_e32 v[32:33], v34
	v_frexp_exp_i32_f64_e32 v32, v[32:33]
	v_cmp_gt_f32_e32 vcc, s40, v37
	s_mov_b32 s40, 0x3f317218
	s_nop 0
	v_subbrev_co_u32_e32 v84, vcc, 0, v32, vcc
	v_sub_u32_e32 v32, 0, v84
	v_ldexp_f32 v33, v34, v32
	v_add_f32_e32 v34, -1.0, v33
	v_add_f32_e32 v37, 1.0, v33
	v_ldexp_f32 v32, v36, v32
	v_add_f32_e32 v36, 1.0, v34
	v_add_f32_e32 v38, -1.0, v37
	v_sub_f32_e32 v36, v33, v36
	v_sub_f32_e32 v33, v33, v38
	v_add_f32_e32 v36, v32, v36
	v_add_f32_e32 v32, v32, v33
	;; [unrolled: 1-line block ×3, first 2 shown]
	v_rcp_f32_e32 v96, v85
	v_sub_f32_e32 v33, v37, v85
	v_add_f32_e32 v86, v32, v33
	v_add_f32_e32 v33, v34, v36
	v_sub_f32_e32 v32, v34, v33
	v_mul_f32_e32 v97, v33, v96
	v_add_f32_e32 v34, v36, v32
	v_mul_f32_e32 v36, v85, v97
	v_fma_f32 v38, v97, v85, -v36
	v_fmac_f32_e32 v38, v97, v86
	v_add_f32_e32 v32, v36, v38
	v_sub_f32_e32 v37, v33, v32
	v_pk_add_f32 v[82:83], v[32:33], v[36:37] neg_lo:[0,1] neg_hi:[0,1]
	v_mov_b32_e32 v39, v32
	v_pk_add_f32 v[32:33], v[82:83], v[38:39] neg_lo:[0,1] neg_hi:[0,1]
	v_cmp_eq_f32_e32 vcc, s41, v81
	v_add_f32_e32 v33, v34, v33
	v_add_f32_e32 v32, v32, v33
	;; [unrolled: 1-line block ×3, first 2 shown]
	v_mul_f32_e32 v34, v96, v33
	v_mul_f32_e32 v36, v85, v34
	v_fma_f32 v38, v34, v85, -v36
	v_fmac_f32_e32 v38, v34, v86
	v_sub_f32_e32 v37, v37, v33
	v_add_f32_e32 v85, v32, v37
	v_add_f32_e32 v32, v36, v38
	v_sub_f32_e32 v37, v33, v32
	v_pk_add_f32 v[82:83], v[32:33], v[36:37] neg_lo:[0,1] neg_hi:[0,1]
	v_mov_b32_e32 v39, v32
	v_pk_add_f32 v[32:33], v[82:83], v[38:39] neg_lo:[0,1] neg_hi:[0,1]
	v_cvt_f32_i32_e32 v36, v84
	v_add_f32_e32 v33, v85, v33
	v_add_f32_e32 v32, v32, v33
	;; [unrolled: 1-line block ×4, first 2 shown]
	v_sub_f32_e32 v33, v37, v97
	v_mul_f32_e32 v32, v96, v32
	v_sub_f32_e32 v33, v34, v33
	v_add_f32_e32 v32, v33, v32
	v_add_f32_e32 v34, v37, v32
	v_mul_f32_e32 v38, v34, v34
	v_mov_b32_e32 v33, 0x3ecc95a3
	v_sub_f32_e32 v37, v34, v37
	v_fmac_f32_e32 v33, 0x3e9b6dac, v38
	v_sub_f32_e32 v32, v32, v37
	v_fmaak_f32 v33, v38, v33, 0x3f2aaada
	v_ldexp_f32 v82, v32, 1
	v_mul_f32_e32 v37, v34, v38
	v_mov_b32_e32 v32, 0x3f317218
	v_pk_mul_f32 v[32:33], v[36:37], v[32:33]
	v_ldexp_f32 v39, v34, 1
	v_fma_f32 v34, v36, s40, -v32
	v_fmamk_f32 v38, v36, 0xb102e308, v34
	v_pk_add_f32 v[36:37], v[32:33], v[38:39]
	s_mov_b32 s40, 0x33800000
	v_sub_f32_e32 v34, v37, v39
	v_sub_f32_e32 v34, v33, v34
	v_add_f32_e32 v83, v82, v34
	v_mov_b32_e32 v82, v32
	v_pk_add_f32 v[32:33], v[36:37], v[32:33] neg_lo:[0,1] neg_hi:[0,1]
	v_pk_add_f32 v[84:85], v[36:37], v[82:83]
	v_mov_b32_e32 v39, v36
	v_mov_b32_e32 v33, v85
	v_pk_add_f32 v[96:97], v[38:39], v[32:33] neg_lo:[0,1] neg_hi:[0,1]
	v_pk_add_f32 v[32:33], v[38:39], v[32:33]
	v_cmp_lt_f32_e64 s[40:41], |v81|, s40
	v_mov_b32_e32 v34, v33
	v_pk_add_f32 v[38:39], v[34:35], v[36:37] neg_lo:[0,1] neg_hi:[0,1]
	v_mov_b32_e32 v32, v85
	v_mov_b32_e32 v39, v38
	v_pk_add_f32 v[98:99], v[84:85], v[38:39] neg_lo:[0,1] neg_hi:[0,1]
	v_mov_b32_e32 v84, v37
	v_mov_b32_e32 v85, v38
	;; [unrolled: 1-line block ×3, first 2 shown]
	v_pk_add_f32 v[32:33], v[32:33], v[84:85] neg_lo:[0,1] neg_hi:[0,1]
	v_mov_b32_e32 v38, v83
	v_mov_b32_e32 v39, v36
	v_pk_add_f32 v[32:33], v[38:39], v[32:33] neg_lo:[0,1] neg_hi:[0,1]
	v_mov_b32_e32 v98, v96
	v_pk_add_f32 v[36:37], v[98:99], v[32:33]
	s_or_b64 vcc, vcc, s[40:41]
	v_mov_b32_e32 v38, v37
	v_pk_add_f32 v[38:39], v[36:37], v[38:39]
	s_nop 0
	v_pk_add_f32 v[82:83], v[34:35], v[38:39]
	v_mov_b32_e32 v33, v38
	v_mov_b32_e32 v37, v82
	v_pk_add_f32 v[84:85], v[36:37], v[96:97] neg_lo:[0,1] neg_hi:[0,1]
	s_nop 0
	v_sub_f32_e32 v34, v36, v84
	v_pk_add_f32 v[32:33], v[32:33], v[84:85] neg_lo:[0,1] neg_hi:[0,1]
	v_sub_f32_e32 v34, v96, v34
	v_add_f32_e32 v32, v32, v34
	v_add_f32_e32 v32, v32, v33
	;; [unrolled: 1-line block ×3, first 2 shown]
	v_cndmask_b32_e32 v32, v32, v81, vcc
	v_add_f32_e32 v32, v35, v32
	v_cvt_f16_f32_e32 v33, v32
	v_cvt_f32_f16_e32 v34, v33
	v_mov_b32_e32 v32, v33
.LBB408_87:
	s_or_b64 exec, exec, s[38:39]
	v_cvt_f32_f16_e32 v81, v17
	v_max_f32_e32 v35, v34, v34
	v_cmp_u_f16_e32 vcc, v33, v33
	v_cmp_u_f16_e64 s[38:39], v17, v17
	v_min_f32_e32 v36, v35, v81
	v_max_f32_e32 v35, v35, v81
	v_cndmask_b32_e32 v36, v36, v34, vcc
	v_cndmask_b32_e32 v35, v35, v34, vcc
	v_cndmask_b32_e64 v36, v36, v81, s[38:39]
	v_cndmask_b32_e64 v35, v35, v81, s[38:39]
	v_cmp_neq_f32_e32 vcc, v36, v35
	v_cmp_class_f32_e64 s[40:41], v36, s13
	s_or_b64 vcc, vcc, s[40:41]
	s_and_saveexec_b64 s[40:41], vcc
	s_cbranch_execz .LBB408_89
; %bb.88:
	v_sub_f32_e32 v32, v36, v35
	s_mov_b32 s13, 0x3fb8aa3b
	v_mul_f32_e32 v33, 0x3fb8aa3b, v32
	v_fma_f32 v34, v32, s13, -v33
	v_rndne_f32_e32 v36, v33
	v_fmamk_f32 v34, v32, 0x32a5705f, v34
	v_sub_f32_e32 v33, v33, v36
	v_add_f32_e32 v33, v33, v34
	v_exp_f32_e32 v33, v33
	v_cvt_i32_f32_e32 v34, v36
	s_mov_b32 s13, 0xc2ce8ed0
	v_cmp_ngt_f32_e32 vcc, s13, v32
	s_mov_b32 s13, 0x42b17218
	v_ldexp_f32 v33, v33, v34
	v_cndmask_b32_e32 v33, 0, v33, vcc
	v_mov_b32_e32 v34, 0x7f800000
	v_cmp_nlt_f32_e32 vcc, s13, v32
	s_mov_b32 s13, 0x3f2aaaab
	s_mov_b32 s42, 0x7f800000
	v_cndmask_b32_e32 v86, v34, v33, vcc
	v_add_f32_e32 v34, 1.0, v86
	v_add_f32_e32 v32, -1.0, v34
	v_sub_f32_e32 v33, v32, v34
	v_add_f32_e32 v33, 1.0, v33
	v_sub_f32_e32 v32, v86, v32
	v_add_f32_e32 v36, v32, v33
	v_frexp_mant_f32_e32 v37, v34
	v_cvt_f64_f32_e32 v[32:33], v34
	v_frexp_exp_i32_f64_e32 v32, v[32:33]
	v_cmp_gt_f32_e32 vcc, s13, v37
	s_mov_b32 s13, 0x3f317218
	s_nop 0
	v_subbrev_co_u32_e32 v84, vcc, 0, v32, vcc
	v_sub_u32_e32 v32, 0, v84
	v_ldexp_f32 v33, v34, v32
	v_add_f32_e32 v34, -1.0, v33
	v_add_f32_e32 v37, 1.0, v33
	v_ldexp_f32 v32, v36, v32
	v_add_f32_e32 v36, 1.0, v34
	v_add_f32_e32 v38, -1.0, v37
	v_sub_f32_e32 v36, v33, v36
	v_sub_f32_e32 v33, v33, v38
	v_add_f32_e32 v36, v32, v36
	v_add_f32_e32 v32, v32, v33
	;; [unrolled: 1-line block ×3, first 2 shown]
	v_rcp_f32_e32 v97, v85
	v_sub_f32_e32 v33, v37, v85
	v_add_f32_e32 v96, v32, v33
	v_add_f32_e32 v33, v34, v36
	v_sub_f32_e32 v32, v34, v33
	v_mul_f32_e32 v98, v33, v97
	v_add_f32_e32 v34, v36, v32
	v_mul_f32_e32 v36, v85, v98
	v_fma_f32 v38, v98, v85, -v36
	v_fmac_f32_e32 v38, v98, v96
	v_add_f32_e32 v32, v36, v38
	v_sub_f32_e32 v37, v33, v32
	v_pk_add_f32 v[82:83], v[32:33], v[36:37] neg_lo:[0,1] neg_hi:[0,1]
	v_mov_b32_e32 v39, v32
	v_pk_add_f32 v[32:33], v[82:83], v[38:39] neg_lo:[0,1] neg_hi:[0,1]
	v_cmp_eq_f32_e32 vcc, s42, v86
	v_add_f32_e32 v33, v34, v33
	v_add_f32_e32 v32, v32, v33
	;; [unrolled: 1-line block ×3, first 2 shown]
	v_mul_f32_e32 v34, v97, v33
	v_mul_f32_e32 v36, v85, v34
	v_fma_f32 v38, v34, v85, -v36
	v_fmac_f32_e32 v38, v34, v96
	v_sub_f32_e32 v37, v37, v33
	v_add_f32_e32 v85, v32, v37
	v_add_f32_e32 v32, v36, v38
	v_sub_f32_e32 v37, v33, v32
	v_pk_add_f32 v[82:83], v[32:33], v[36:37] neg_lo:[0,1] neg_hi:[0,1]
	v_mov_b32_e32 v39, v32
	v_pk_add_f32 v[32:33], v[82:83], v[38:39] neg_lo:[0,1] neg_hi:[0,1]
	v_cvt_f32_i32_e32 v36, v84
	v_add_f32_e32 v33, v85, v33
	v_add_f32_e32 v32, v32, v33
	;; [unrolled: 1-line block ×4, first 2 shown]
	v_sub_f32_e32 v33, v37, v98
	v_mul_f32_e32 v32, v97, v32
	v_sub_f32_e32 v33, v34, v33
	v_add_f32_e32 v32, v33, v32
	v_add_f32_e32 v34, v37, v32
	v_mul_f32_e32 v38, v34, v34
	v_mov_b32_e32 v33, 0x3ecc95a3
	v_sub_f32_e32 v37, v34, v37
	v_fmac_f32_e32 v33, 0x3e9b6dac, v38
	v_sub_f32_e32 v32, v32, v37
	v_fmaak_f32 v33, v38, v33, 0x3f2aaada
	v_ldexp_f32 v82, v32, 1
	v_mul_f32_e32 v37, v34, v38
	v_mov_b32_e32 v32, 0x3f317218
	v_pk_mul_f32 v[32:33], v[36:37], v[32:33]
	v_ldexp_f32 v39, v34, 1
	v_fma_f32 v34, v36, s13, -v32
	v_fmamk_f32 v38, v36, 0xb102e308, v34
	v_pk_add_f32 v[36:37], v[32:33], v[38:39]
	s_mov_b32 s13, 0x33800000
	v_sub_f32_e32 v34, v37, v39
	v_sub_f32_e32 v34, v33, v34
	v_add_f32_e32 v83, v82, v34
	v_mov_b32_e32 v82, v32
	v_pk_add_f32 v[32:33], v[36:37], v[32:33] neg_lo:[0,1] neg_hi:[0,1]
	v_pk_add_f32 v[84:85], v[36:37], v[82:83]
	v_mov_b32_e32 v39, v36
	v_mov_b32_e32 v33, v85
	v_pk_add_f32 v[96:97], v[38:39], v[32:33] neg_lo:[0,1] neg_hi:[0,1]
	v_pk_add_f32 v[32:33], v[38:39], v[32:33]
	v_cmp_lt_f32_e64 s[42:43], |v86|, s13
	v_mov_b32_e32 v34, v33
	v_pk_add_f32 v[38:39], v[34:35], v[36:37] neg_lo:[0,1] neg_hi:[0,1]
	v_mov_b32_e32 v32, v85
	v_mov_b32_e32 v39, v38
	v_pk_add_f32 v[98:99], v[84:85], v[38:39] neg_lo:[0,1] neg_hi:[0,1]
	v_mov_b32_e32 v84, v37
	v_mov_b32_e32 v85, v38
	;; [unrolled: 1-line block ×3, first 2 shown]
	v_pk_add_f32 v[32:33], v[32:33], v[84:85] neg_lo:[0,1] neg_hi:[0,1]
	v_mov_b32_e32 v38, v83
	v_mov_b32_e32 v39, v36
	v_pk_add_f32 v[32:33], v[38:39], v[32:33] neg_lo:[0,1] neg_hi:[0,1]
	v_mov_b32_e32 v98, v96
	v_pk_add_f32 v[36:37], v[98:99], v[32:33]
	s_or_b64 vcc, vcc, s[42:43]
	v_mov_b32_e32 v38, v37
	v_pk_add_f32 v[38:39], v[36:37], v[38:39]
	s_nop 0
	v_pk_add_f32 v[82:83], v[34:35], v[38:39]
	v_mov_b32_e32 v33, v38
	v_mov_b32_e32 v37, v82
	v_pk_add_f32 v[84:85], v[36:37], v[96:97] neg_lo:[0,1] neg_hi:[0,1]
	s_nop 0
	v_sub_f32_e32 v34, v36, v84
	v_pk_add_f32 v[32:33], v[32:33], v[84:85] neg_lo:[0,1] neg_hi:[0,1]
	v_sub_f32_e32 v34, v96, v34
	v_add_f32_e32 v32, v32, v34
	v_add_f32_e32 v32, v32, v33
	;; [unrolled: 1-line block ×3, first 2 shown]
	v_cndmask_b32_e32 v32, v32, v86, vcc
	v_add_f32_e32 v32, v35, v32
	v_cvt_f16_f32_e32 v33, v32
	v_cvt_f32_f16_e32 v34, v33
	v_mov_b32_e32 v32, v33
.LBB408_89:
	s_or_b64 exec, exec, s[40:41]
	v_cvt_f32_f16_sdwa v82, v17 dst_sel:DWORD dst_unused:UNUSED_PAD src0_sel:WORD_1
	v_max_f32_e32 v35, v34, v34
	v_cmp_u_f16_e32 vcc, v33, v33
	v_cmp_u_f16_sdwa s[40:41], v17, v17 src0_sel:WORD_1 src1_sel:WORD_1
	v_min_f32_e32 v36, v35, v82
	v_max_f32_e32 v35, v35, v82
	v_cndmask_b32_e32 v36, v36, v34, vcc
	v_cndmask_b32_e32 v35, v35, v34, vcc
	v_cndmask_b32_e64 v36, v36, v82, s[40:41]
	v_cndmask_b32_e64 v35, v35, v82, s[40:41]
	s_movk_i32 s13, 0x1f8
	v_cmp_neq_f32_e32 vcc, v36, v35
	v_cmp_class_f32_e64 s[42:43], v36, s13
	s_or_b64 vcc, vcc, s[42:43]
	s_and_saveexec_b64 s[42:43], vcc
	s_cbranch_execz .LBB408_91
; %bb.90:
	v_sub_f32_e32 v32, v36, v35
	s_mov_b32 s44, 0x3fb8aa3b
	v_mul_f32_e32 v33, 0x3fb8aa3b, v32
	v_fma_f32 v34, v32, s44, -v33
	v_rndne_f32_e32 v36, v33
	v_fmamk_f32 v34, v32, 0x32a5705f, v34
	v_sub_f32_e32 v33, v33, v36
	v_add_f32_e32 v33, v33, v34
	v_exp_f32_e32 v33, v33
	v_cvt_i32_f32_e32 v34, v36
	s_mov_b32 s44, 0xc2ce8ed0
	v_cmp_ngt_f32_e32 vcc, s44, v32
	s_mov_b32 s44, 0x42b17218
	v_ldexp_f32 v33, v33, v34
	v_cndmask_b32_e32 v33, 0, v33, vcc
	v_mov_b32_e32 v34, 0x7f800000
	v_cmp_nlt_f32_e32 vcc, s44, v32
	s_mov_b32 s44, 0x3f2aaaab
	s_mov_b32 s45, 0x7f800000
	v_cndmask_b32_e32 v83, v34, v33, vcc
	v_add_f32_e32 v34, 1.0, v83
	v_add_f32_e32 v32, -1.0, v34
	v_sub_f32_e32 v33, v32, v34
	v_add_f32_e32 v33, 1.0, v33
	v_sub_f32_e32 v32, v83, v32
	v_add_f32_e32 v36, v32, v33
	v_frexp_mant_f32_e32 v37, v34
	v_cvt_f64_f32_e32 v[32:33], v34
	v_frexp_exp_i32_f64_e32 v32, v[32:33]
	v_cmp_gt_f32_e32 vcc, s44, v37
	s_mov_b32 s44, 0x3f317218
	s_nop 0
	v_subbrev_co_u32_e32 v86, vcc, 0, v32, vcc
	v_sub_u32_e32 v32, 0, v86
	v_ldexp_f32 v33, v34, v32
	v_add_f32_e32 v34, -1.0, v33
	v_add_f32_e32 v37, 1.0, v33
	v_ldexp_f32 v32, v36, v32
	v_add_f32_e32 v36, 1.0, v34
	v_add_f32_e32 v38, -1.0, v37
	v_sub_f32_e32 v36, v33, v36
	v_sub_f32_e32 v33, v33, v38
	v_add_f32_e32 v36, v32, v36
	v_add_f32_e32 v32, v32, v33
	;; [unrolled: 1-line block ×3, first 2 shown]
	v_rcp_f32_e32 v98, v96
	v_sub_f32_e32 v33, v37, v96
	v_add_f32_e32 v97, v32, v33
	v_add_f32_e32 v33, v34, v36
	v_sub_f32_e32 v32, v34, v33
	v_mul_f32_e32 v99, v33, v98
	v_add_f32_e32 v34, v36, v32
	v_mul_f32_e32 v36, v96, v99
	v_fma_f32 v38, v99, v96, -v36
	v_fmac_f32_e32 v38, v99, v97
	v_add_f32_e32 v32, v36, v38
	v_sub_f32_e32 v37, v33, v32
	v_pk_add_f32 v[84:85], v[32:33], v[36:37] neg_lo:[0,1] neg_hi:[0,1]
	v_mov_b32_e32 v39, v32
	v_pk_add_f32 v[32:33], v[84:85], v[38:39] neg_lo:[0,1] neg_hi:[0,1]
	v_cmp_eq_f32_e32 vcc, s45, v83
	v_add_f32_e32 v33, v34, v33
	v_add_f32_e32 v32, v32, v33
	;; [unrolled: 1-line block ×3, first 2 shown]
	v_mul_f32_e32 v34, v98, v33
	v_mul_f32_e32 v36, v96, v34
	v_fma_f32 v38, v34, v96, -v36
	v_fmac_f32_e32 v38, v34, v97
	v_sub_f32_e32 v37, v37, v33
	v_add_f32_e32 v96, v32, v37
	v_add_f32_e32 v32, v36, v38
	v_sub_f32_e32 v37, v33, v32
	v_pk_add_f32 v[84:85], v[32:33], v[36:37] neg_lo:[0,1] neg_hi:[0,1]
	v_mov_b32_e32 v39, v32
	v_pk_add_f32 v[32:33], v[84:85], v[38:39] neg_lo:[0,1] neg_hi:[0,1]
	v_cvt_f32_i32_e32 v36, v86
	v_add_f32_e32 v33, v96, v33
	v_add_f32_e32 v32, v32, v33
	;; [unrolled: 1-line block ×4, first 2 shown]
	v_sub_f32_e32 v33, v37, v99
	v_mul_f32_e32 v32, v98, v32
	v_sub_f32_e32 v33, v34, v33
	v_add_f32_e32 v32, v33, v32
	v_add_f32_e32 v34, v37, v32
	v_mul_f32_e32 v38, v34, v34
	v_mov_b32_e32 v33, 0x3ecc95a3
	v_sub_f32_e32 v37, v34, v37
	v_fmac_f32_e32 v33, 0x3e9b6dac, v38
	v_sub_f32_e32 v32, v32, v37
	v_fmaak_f32 v33, v38, v33, 0x3f2aaada
	v_ldexp_f32 v84, v32, 1
	v_mul_f32_e32 v37, v34, v38
	v_mov_b32_e32 v32, 0x3f317218
	v_pk_mul_f32 v[32:33], v[36:37], v[32:33]
	v_ldexp_f32 v39, v34, 1
	v_fma_f32 v34, v36, s44, -v32
	v_fmamk_f32 v38, v36, 0xb102e308, v34
	v_pk_add_f32 v[36:37], v[32:33], v[38:39]
	s_mov_b32 s44, 0x33800000
	v_sub_f32_e32 v34, v37, v39
	v_sub_f32_e32 v34, v33, v34
	v_add_f32_e32 v85, v84, v34
	v_mov_b32_e32 v84, v32
	v_pk_add_f32 v[32:33], v[36:37], v[32:33] neg_lo:[0,1] neg_hi:[0,1]
	v_pk_add_f32 v[96:97], v[36:37], v[84:85]
	v_mov_b32_e32 v39, v36
	v_mov_b32_e32 v33, v97
	v_pk_add_f32 v[98:99], v[38:39], v[32:33] neg_lo:[0,1] neg_hi:[0,1]
	v_pk_add_f32 v[32:33], v[38:39], v[32:33]
	v_cmp_lt_f32_e64 s[44:45], |v83|, s44
	v_mov_b32_e32 v34, v33
	v_pk_add_f32 v[38:39], v[34:35], v[36:37] neg_lo:[0,1] neg_hi:[0,1]
	v_mov_b32_e32 v32, v97
	v_mov_b32_e32 v39, v38
	v_pk_add_f32 v[100:101], v[96:97], v[38:39] neg_lo:[0,1] neg_hi:[0,1]
	v_mov_b32_e32 v96, v37
	v_mov_b32_e32 v97, v38
	;; [unrolled: 1-line block ×3, first 2 shown]
	v_pk_add_f32 v[32:33], v[32:33], v[96:97] neg_lo:[0,1] neg_hi:[0,1]
	v_mov_b32_e32 v38, v85
	v_mov_b32_e32 v39, v36
	v_pk_add_f32 v[32:33], v[38:39], v[32:33] neg_lo:[0,1] neg_hi:[0,1]
	v_mov_b32_e32 v100, v98
	v_pk_add_f32 v[36:37], v[100:101], v[32:33]
	s_or_b64 vcc, vcc, s[44:45]
	v_mov_b32_e32 v38, v37
	v_pk_add_f32 v[38:39], v[36:37], v[38:39]
	s_nop 0
	v_pk_add_f32 v[84:85], v[34:35], v[38:39]
	v_mov_b32_e32 v33, v38
	v_mov_b32_e32 v37, v84
	v_pk_add_f32 v[96:97], v[36:37], v[98:99] neg_lo:[0,1] neg_hi:[0,1]
	s_nop 0
	v_sub_f32_e32 v34, v36, v96
	v_pk_add_f32 v[32:33], v[32:33], v[96:97] neg_lo:[0,1] neg_hi:[0,1]
	v_sub_f32_e32 v34, v98, v34
	v_add_f32_e32 v32, v32, v34
	v_add_f32_e32 v32, v32, v33
	;; [unrolled: 1-line block ×3, first 2 shown]
	v_cndmask_b32_e32 v32, v32, v83, vcc
	v_add_f32_e32 v32, v35, v32
	v_cvt_f16_f32_e32 v33, v32
	v_cvt_f32_f16_e32 v34, v33
	v_mov_b32_e32 v32, v33
.LBB408_91:
	s_or_b64 exec, exec, s[42:43]
	v_cvt_f32_f16_e32 v83, v18
	v_max_f32_e32 v35, v34, v34
	v_cmp_u_f16_e32 vcc, v33, v33
	v_cmp_u_f16_e64 s[42:43], v18, v18
	v_min_f32_e32 v36, v35, v83
	v_max_f32_e32 v35, v35, v83
	v_cndmask_b32_e32 v36, v36, v34, vcc
	v_cndmask_b32_e32 v35, v35, v34, vcc
	v_cndmask_b32_e64 v36, v36, v83, s[42:43]
	v_cndmask_b32_e64 v35, v35, v83, s[42:43]
	v_cmp_neq_f32_e32 vcc, v36, v35
	v_cmp_class_f32_e64 s[44:45], v36, s13
	s_or_b64 vcc, vcc, s[44:45]
	s_and_saveexec_b64 s[44:45], vcc
	s_cbranch_execz .LBB408_93
; %bb.92:
	v_sub_f32_e32 v32, v36, v35
	s_mov_b32 s13, 0x3fb8aa3b
	v_mul_f32_e32 v33, 0x3fb8aa3b, v32
	v_fma_f32 v34, v32, s13, -v33
	v_rndne_f32_e32 v36, v33
	v_fmamk_f32 v34, v32, 0x32a5705f, v34
	v_sub_f32_e32 v33, v33, v36
	v_add_f32_e32 v33, v33, v34
	v_exp_f32_e32 v33, v33
	v_cvt_i32_f32_e32 v34, v36
	s_mov_b32 s13, 0xc2ce8ed0
	v_cmp_ngt_f32_e32 vcc, s13, v32
	s_mov_b32 s13, 0x42b17218
	v_ldexp_f32 v33, v33, v34
	v_cndmask_b32_e32 v33, 0, v33, vcc
	v_mov_b32_e32 v34, 0x7f800000
	v_cmp_nlt_f32_e32 vcc, s13, v32
	s_mov_b32 s13, 0x3f2aaaab
	s_mov_b32 s46, 0x7f800000
	v_cndmask_b32_e32 v86, v34, v33, vcc
	v_add_f32_e32 v34, 1.0, v86
	v_add_f32_e32 v32, -1.0, v34
	v_sub_f32_e32 v33, v32, v34
	v_add_f32_e32 v33, 1.0, v33
	v_sub_f32_e32 v32, v86, v32
	v_add_f32_e32 v36, v32, v33
	v_frexp_mant_f32_e32 v37, v34
	v_cvt_f64_f32_e32 v[32:33], v34
	v_frexp_exp_i32_f64_e32 v32, v[32:33]
	v_cmp_gt_f32_e32 vcc, s13, v37
	s_mov_b32 s13, 0x3f317218
	s_nop 0
	v_subbrev_co_u32_e32 v96, vcc, 0, v32, vcc
	v_sub_u32_e32 v32, 0, v96
	v_ldexp_f32 v33, v34, v32
	v_add_f32_e32 v34, -1.0, v33
	v_add_f32_e32 v37, 1.0, v33
	v_ldexp_f32 v32, v36, v32
	v_add_f32_e32 v36, 1.0, v34
	v_add_f32_e32 v38, -1.0, v37
	v_sub_f32_e32 v36, v33, v36
	v_sub_f32_e32 v33, v33, v38
	v_add_f32_e32 v36, v32, v36
	v_add_f32_e32 v32, v32, v33
	;; [unrolled: 1-line block ×3, first 2 shown]
	v_rcp_f32_e32 v99, v97
	v_sub_f32_e32 v33, v37, v97
	v_add_f32_e32 v98, v32, v33
	v_add_f32_e32 v33, v34, v36
	v_sub_f32_e32 v32, v34, v33
	v_mul_f32_e32 v100, v33, v99
	v_add_f32_e32 v34, v36, v32
	v_mul_f32_e32 v36, v97, v100
	v_fma_f32 v38, v100, v97, -v36
	v_fmac_f32_e32 v38, v100, v98
	v_add_f32_e32 v32, v36, v38
	v_sub_f32_e32 v37, v33, v32
	v_pk_add_f32 v[84:85], v[32:33], v[36:37] neg_lo:[0,1] neg_hi:[0,1]
	v_mov_b32_e32 v39, v32
	v_pk_add_f32 v[32:33], v[84:85], v[38:39] neg_lo:[0,1] neg_hi:[0,1]
	v_cmp_eq_f32_e32 vcc, s46, v86
	v_add_f32_e32 v33, v34, v33
	v_add_f32_e32 v32, v32, v33
	;; [unrolled: 1-line block ×3, first 2 shown]
	v_mul_f32_e32 v34, v99, v33
	v_mul_f32_e32 v36, v97, v34
	v_fma_f32 v38, v34, v97, -v36
	v_fmac_f32_e32 v38, v34, v98
	v_sub_f32_e32 v37, v37, v33
	v_add_f32_e32 v97, v32, v37
	v_add_f32_e32 v32, v36, v38
	v_sub_f32_e32 v37, v33, v32
	v_pk_add_f32 v[84:85], v[32:33], v[36:37] neg_lo:[0,1] neg_hi:[0,1]
	v_mov_b32_e32 v39, v32
	v_pk_add_f32 v[32:33], v[84:85], v[38:39] neg_lo:[0,1] neg_hi:[0,1]
	v_cvt_f32_i32_e32 v36, v96
	v_add_f32_e32 v33, v97, v33
	v_add_f32_e32 v32, v32, v33
	;; [unrolled: 1-line block ×4, first 2 shown]
	v_sub_f32_e32 v33, v37, v100
	v_mul_f32_e32 v32, v99, v32
	v_sub_f32_e32 v33, v34, v33
	v_add_f32_e32 v32, v33, v32
	v_add_f32_e32 v34, v37, v32
	v_mul_f32_e32 v38, v34, v34
	v_mov_b32_e32 v33, 0x3ecc95a3
	v_sub_f32_e32 v37, v34, v37
	v_fmac_f32_e32 v33, 0x3e9b6dac, v38
	v_sub_f32_e32 v32, v32, v37
	v_fmaak_f32 v33, v38, v33, 0x3f2aaada
	v_ldexp_f32 v84, v32, 1
	v_mul_f32_e32 v37, v34, v38
	v_mov_b32_e32 v32, 0x3f317218
	v_pk_mul_f32 v[32:33], v[36:37], v[32:33]
	v_ldexp_f32 v39, v34, 1
	v_fma_f32 v34, v36, s13, -v32
	v_fmamk_f32 v38, v36, 0xb102e308, v34
	v_pk_add_f32 v[36:37], v[32:33], v[38:39]
	s_mov_b32 s13, 0x33800000
	v_sub_f32_e32 v34, v37, v39
	v_sub_f32_e32 v34, v33, v34
	v_add_f32_e32 v85, v84, v34
	v_mov_b32_e32 v84, v32
	v_pk_add_f32 v[32:33], v[36:37], v[32:33] neg_lo:[0,1] neg_hi:[0,1]
	v_pk_add_f32 v[96:97], v[36:37], v[84:85]
	v_mov_b32_e32 v39, v36
	v_mov_b32_e32 v33, v97
	v_pk_add_f32 v[98:99], v[38:39], v[32:33] neg_lo:[0,1] neg_hi:[0,1]
	v_pk_add_f32 v[32:33], v[38:39], v[32:33]
	v_cmp_lt_f32_e64 s[46:47], |v86|, s13
	v_mov_b32_e32 v34, v33
	v_pk_add_f32 v[38:39], v[34:35], v[36:37] neg_lo:[0,1] neg_hi:[0,1]
	v_mov_b32_e32 v32, v97
	v_mov_b32_e32 v39, v38
	v_pk_add_f32 v[100:101], v[96:97], v[38:39] neg_lo:[0,1] neg_hi:[0,1]
	v_mov_b32_e32 v96, v37
	v_mov_b32_e32 v97, v38
	;; [unrolled: 1-line block ×3, first 2 shown]
	v_pk_add_f32 v[32:33], v[32:33], v[96:97] neg_lo:[0,1] neg_hi:[0,1]
	v_mov_b32_e32 v38, v85
	v_mov_b32_e32 v39, v36
	v_pk_add_f32 v[32:33], v[38:39], v[32:33] neg_lo:[0,1] neg_hi:[0,1]
	v_mov_b32_e32 v100, v98
	v_pk_add_f32 v[36:37], v[100:101], v[32:33]
	s_or_b64 vcc, vcc, s[46:47]
	v_mov_b32_e32 v38, v37
	v_pk_add_f32 v[38:39], v[36:37], v[38:39]
	s_nop 0
	v_pk_add_f32 v[84:85], v[34:35], v[38:39]
	v_mov_b32_e32 v33, v38
	v_mov_b32_e32 v37, v84
	v_pk_add_f32 v[96:97], v[36:37], v[98:99] neg_lo:[0,1] neg_hi:[0,1]
	s_nop 0
	v_sub_f32_e32 v34, v36, v96
	v_pk_add_f32 v[32:33], v[32:33], v[96:97] neg_lo:[0,1] neg_hi:[0,1]
	v_sub_f32_e32 v34, v98, v34
	v_add_f32_e32 v32, v32, v34
	v_add_f32_e32 v32, v32, v33
	;; [unrolled: 1-line block ×3, first 2 shown]
	v_cndmask_b32_e32 v32, v32, v86, vcc
	v_add_f32_e32 v32, v35, v32
	v_cvt_f16_f32_e32 v33, v32
	v_cvt_f32_f16_e32 v34, v33
	v_mov_b32_e32 v32, v33
.LBB408_93:
	s_or_b64 exec, exec, s[44:45]
	v_cvt_f32_f16_sdwa v84, v18 dst_sel:DWORD dst_unused:UNUSED_PAD src0_sel:WORD_1
	v_max_f32_e32 v35, v34, v34
	v_cmp_u_f16_e32 vcc, v33, v33
	v_cmp_u_f16_sdwa s[44:45], v18, v18 src0_sel:WORD_1 src1_sel:WORD_1
	v_min_f32_e32 v36, v35, v84
	v_max_f32_e32 v35, v35, v84
	v_cndmask_b32_e32 v36, v36, v34, vcc
	v_cndmask_b32_e32 v35, v35, v34, vcc
	v_cndmask_b32_e64 v36, v36, v84, s[44:45]
	v_cndmask_b32_e64 v35, v35, v84, s[44:45]
	s_movk_i32 s13, 0x1f8
	v_cmp_neq_f32_e32 vcc, v36, v35
	v_cmp_class_f32_e64 s[46:47], v36, s13
	s_or_b64 vcc, vcc, s[46:47]
	s_and_saveexec_b64 s[46:47], vcc
	s_cbranch_execz .LBB408_95
; %bb.94:
	v_sub_f32_e32 v32, v36, v35
	s_mov_b32 s48, 0x3fb8aa3b
	v_mul_f32_e32 v33, 0x3fb8aa3b, v32
	v_fma_f32 v34, v32, s48, -v33
	v_rndne_f32_e32 v36, v33
	v_fmamk_f32 v34, v32, 0x32a5705f, v34
	v_sub_f32_e32 v33, v33, v36
	v_add_f32_e32 v33, v33, v34
	v_exp_f32_e32 v33, v33
	v_cvt_i32_f32_e32 v34, v36
	s_mov_b32 s48, 0xc2ce8ed0
	v_cmp_ngt_f32_e32 vcc, s48, v32
	s_mov_b32 s48, 0x42b17218
	v_ldexp_f32 v33, v33, v34
	v_cndmask_b32_e32 v33, 0, v33, vcc
	v_mov_b32_e32 v34, 0x7f800000
	v_cmp_nlt_f32_e32 vcc, s48, v32
	s_mov_b32 s48, 0x3f2aaaab
	s_mov_b32 s49, 0x7f800000
	v_cndmask_b32_e32 v85, v34, v33, vcc
	v_add_f32_e32 v34, 1.0, v85
	v_add_f32_e32 v32, -1.0, v34
	v_sub_f32_e32 v33, v32, v34
	v_add_f32_e32 v33, 1.0, v33
	v_sub_f32_e32 v32, v85, v32
	v_add_f32_e32 v36, v32, v33
	v_frexp_mant_f32_e32 v37, v34
	v_cvt_f64_f32_e32 v[32:33], v34
	v_frexp_exp_i32_f64_e32 v32, v[32:33]
	v_cmp_gt_f32_e32 vcc, s48, v37
	s_mov_b32 s48, 0x3f317218
	s_nop 0
	v_subbrev_co_u32_e32 v86, vcc, 0, v32, vcc
	v_sub_u32_e32 v32, 0, v86
	v_ldexp_f32 v33, v34, v32
	v_add_f32_e32 v34, -1.0, v33
	v_add_f32_e32 v37, 1.0, v33
	v_ldexp_f32 v32, v36, v32
	v_add_f32_e32 v36, 1.0, v34
	v_add_f32_e32 v38, -1.0, v37
	v_sub_f32_e32 v36, v33, v36
	v_sub_f32_e32 v33, v33, v38
	v_add_f32_e32 v36, v32, v36
	v_add_f32_e32 v32, v32, v33
	;; [unrolled: 1-line block ×3, first 2 shown]
	v_rcp_f32_e32 v100, v98
	v_sub_f32_e32 v33, v37, v98
	v_add_f32_e32 v99, v32, v33
	v_add_f32_e32 v33, v34, v36
	v_sub_f32_e32 v32, v34, v33
	v_mul_f32_e32 v101, v33, v100
	v_add_f32_e32 v34, v36, v32
	v_mul_f32_e32 v36, v98, v101
	v_fma_f32 v38, v101, v98, -v36
	v_fmac_f32_e32 v38, v101, v99
	v_add_f32_e32 v32, v36, v38
	v_sub_f32_e32 v37, v33, v32
	v_pk_add_f32 v[96:97], v[32:33], v[36:37] neg_lo:[0,1] neg_hi:[0,1]
	v_mov_b32_e32 v39, v32
	v_pk_add_f32 v[32:33], v[96:97], v[38:39] neg_lo:[0,1] neg_hi:[0,1]
	v_cmp_eq_f32_e32 vcc, s49, v85
	v_add_f32_e32 v33, v34, v33
	v_add_f32_e32 v32, v32, v33
	;; [unrolled: 1-line block ×3, first 2 shown]
	v_mul_f32_e32 v34, v100, v33
	v_mul_f32_e32 v36, v98, v34
	v_fma_f32 v38, v34, v98, -v36
	v_fmac_f32_e32 v38, v34, v99
	v_sub_f32_e32 v37, v37, v33
	v_add_f32_e32 v98, v32, v37
	v_add_f32_e32 v32, v36, v38
	v_sub_f32_e32 v37, v33, v32
	v_pk_add_f32 v[96:97], v[32:33], v[36:37] neg_lo:[0,1] neg_hi:[0,1]
	v_mov_b32_e32 v39, v32
	v_pk_add_f32 v[32:33], v[96:97], v[38:39] neg_lo:[0,1] neg_hi:[0,1]
	v_cvt_f32_i32_e32 v36, v86
	v_add_f32_e32 v33, v98, v33
	v_add_f32_e32 v32, v32, v33
	;; [unrolled: 1-line block ×4, first 2 shown]
	v_sub_f32_e32 v33, v37, v101
	v_mul_f32_e32 v32, v100, v32
	v_sub_f32_e32 v33, v34, v33
	v_add_f32_e32 v32, v33, v32
	v_add_f32_e32 v34, v37, v32
	v_mul_f32_e32 v38, v34, v34
	v_mov_b32_e32 v33, 0x3ecc95a3
	v_sub_f32_e32 v37, v34, v37
	v_fmac_f32_e32 v33, 0x3e9b6dac, v38
	v_sub_f32_e32 v32, v32, v37
	v_fmaak_f32 v33, v38, v33, 0x3f2aaada
	v_ldexp_f32 v86, v32, 1
	v_mul_f32_e32 v37, v34, v38
	v_mov_b32_e32 v32, 0x3f317218
	v_pk_mul_f32 v[32:33], v[36:37], v[32:33]
	v_ldexp_f32 v39, v34, 1
	v_fma_f32 v34, v36, s48, -v32
	v_fmamk_f32 v38, v36, 0xb102e308, v34
	v_pk_add_f32 v[36:37], v[32:33], v[38:39]
	v_mov_b32_e32 v96, v32
	v_sub_f32_e32 v34, v37, v39
	v_sub_f32_e32 v34, v33, v34
	v_add_f32_e32 v97, v86, v34
	v_pk_add_f32 v[32:33], v[36:37], v[32:33] neg_lo:[0,1] neg_hi:[0,1]
	v_pk_add_f32 v[98:99], v[36:37], v[96:97]
	v_mov_b32_e32 v39, v36
	v_mov_b32_e32 v33, v99
	v_pk_add_f32 v[100:101], v[38:39], v[32:33] neg_lo:[0,1] neg_hi:[0,1]
	v_pk_add_f32 v[32:33], v[38:39], v[32:33]
	s_mov_b32 s48, 0x33800000
	v_mov_b32_e32 v34, v33
	v_pk_add_f32 v[38:39], v[34:35], v[36:37] neg_lo:[0,1] neg_hi:[0,1]
	v_mov_b32_e32 v32, v99
	v_mov_b32_e32 v39, v38
	v_pk_add_f32 v[102:103], v[98:99], v[38:39] neg_lo:[0,1] neg_hi:[0,1]
	v_mov_b32_e32 v98, v37
	v_mov_b32_e32 v99, v38
	;; [unrolled: 1-line block ×3, first 2 shown]
	v_pk_add_f32 v[32:33], v[32:33], v[98:99] neg_lo:[0,1] neg_hi:[0,1]
	v_mov_b32_e32 v38, v97
	v_mov_b32_e32 v39, v36
	v_pk_add_f32 v[32:33], v[38:39], v[32:33] neg_lo:[0,1] neg_hi:[0,1]
	v_mov_b32_e32 v102, v100
	v_pk_add_f32 v[36:37], v[102:103], v[32:33]
	v_cmp_lt_f32_e64 s[48:49], |v85|, s48
	v_mov_b32_e32 v38, v37
	v_pk_add_f32 v[38:39], v[36:37], v[38:39]
	s_or_b64 vcc, vcc, s[48:49]
	v_pk_add_f32 v[96:97], v[34:35], v[38:39]
	v_mov_b32_e32 v33, v38
	v_mov_b32_e32 v37, v96
	v_pk_add_f32 v[98:99], v[36:37], v[100:101] neg_lo:[0,1] neg_hi:[0,1]
	s_nop 0
	v_sub_f32_e32 v34, v36, v98
	v_pk_add_f32 v[32:33], v[32:33], v[98:99] neg_lo:[0,1] neg_hi:[0,1]
	v_sub_f32_e32 v34, v100, v34
	v_add_f32_e32 v32, v32, v34
	v_add_f32_e32 v32, v32, v33
	;; [unrolled: 1-line block ×3, first 2 shown]
	v_cndmask_b32_e32 v32, v32, v85, vcc
	v_add_f32_e32 v32, v35, v32
	v_cvt_f16_f32_e32 v33, v32
	v_cvt_f32_f16_e32 v34, v33
	v_mov_b32_e32 v32, v33
.LBB408_95:
	s_or_b64 exec, exec, s[46:47]
	v_cvt_f32_f16_e32 v85, v19
	v_max_f32_e32 v35, v34, v34
	v_cmp_u_f16_e32 vcc, v33, v33
	v_cmp_u_f16_e64 s[46:47], v19, v19
	v_min_f32_e32 v36, v35, v85
	v_max_f32_e32 v35, v35, v85
	v_cndmask_b32_e32 v36, v36, v34, vcc
	v_cndmask_b32_e32 v35, v35, v34, vcc
	v_cndmask_b32_e64 v36, v36, v85, s[46:47]
	v_cndmask_b32_e64 v35, v35, v85, s[46:47]
	v_cmp_neq_f32_e32 vcc, v36, v35
	v_cmp_class_f32_e64 s[48:49], v36, s13
	s_or_b64 vcc, vcc, s[48:49]
	s_and_saveexec_b64 s[48:49], vcc
	s_cbranch_execz .LBB408_97
; %bb.96:
	v_sub_f32_e32 v32, v36, v35
	s_mov_b32 s13, 0x3fb8aa3b
	v_mul_f32_e32 v33, 0x3fb8aa3b, v32
	v_fma_f32 v34, v32, s13, -v33
	v_rndne_f32_e32 v36, v33
	v_fmamk_f32 v34, v32, 0x32a5705f, v34
	v_sub_f32_e32 v33, v33, v36
	v_add_f32_e32 v33, v33, v34
	v_exp_f32_e32 v33, v33
	v_cvt_i32_f32_e32 v34, v36
	s_mov_b32 s13, 0xc2ce8ed0
	v_cmp_ngt_f32_e32 vcc, s13, v32
	s_mov_b32 s13, 0x42b17218
	v_ldexp_f32 v33, v33, v34
	v_cndmask_b32_e32 v33, 0, v33, vcc
	v_mov_b32_e32 v34, 0x7f800000
	v_cmp_nlt_f32_e32 vcc, s13, v32
	s_mov_b32 s13, 0x3f2aaaab
	s_mov_b32 s52, 0x7f800000
	v_cndmask_b32_e32 v86, v34, v33, vcc
	v_add_f32_e32 v34, 1.0, v86
	v_add_f32_e32 v32, -1.0, v34
	v_sub_f32_e32 v33, v32, v34
	v_add_f32_e32 v33, 1.0, v33
	v_sub_f32_e32 v32, v86, v32
	v_add_f32_e32 v36, v32, v33
	v_frexp_mant_f32_e32 v37, v34
	v_cvt_f64_f32_e32 v[32:33], v34
	v_frexp_exp_i32_f64_e32 v32, v[32:33]
	v_cmp_gt_f32_e32 vcc, s13, v37
	s_mov_b32 s13, 0x3f317218
	s_nop 0
	v_subbrev_co_u32_e32 v98, vcc, 0, v32, vcc
	v_sub_u32_e32 v32, 0, v98
	v_ldexp_f32 v33, v34, v32
	v_add_f32_e32 v34, -1.0, v33
	v_add_f32_e32 v37, 1.0, v33
	v_ldexp_f32 v32, v36, v32
	v_add_f32_e32 v36, 1.0, v34
	v_add_f32_e32 v38, -1.0, v37
	v_sub_f32_e32 v36, v33, v36
	v_sub_f32_e32 v33, v33, v38
	v_add_f32_e32 v36, v32, v36
	v_add_f32_e32 v32, v32, v33
	;; [unrolled: 1-line block ×3, first 2 shown]
	v_rcp_f32_e32 v101, v99
	v_sub_f32_e32 v33, v37, v99
	v_add_f32_e32 v100, v32, v33
	v_add_f32_e32 v33, v34, v36
	v_sub_f32_e32 v32, v34, v33
	v_mul_f32_e32 v102, v33, v101
	v_add_f32_e32 v34, v36, v32
	v_mul_f32_e32 v36, v99, v102
	v_fma_f32 v38, v102, v99, -v36
	v_fmac_f32_e32 v38, v102, v100
	v_add_f32_e32 v32, v36, v38
	v_sub_f32_e32 v37, v33, v32
	v_pk_add_f32 v[96:97], v[32:33], v[36:37] neg_lo:[0,1] neg_hi:[0,1]
	v_mov_b32_e32 v39, v32
	v_pk_add_f32 v[32:33], v[96:97], v[38:39] neg_lo:[0,1] neg_hi:[0,1]
	v_cmp_eq_f32_e32 vcc, s52, v86
	v_add_f32_e32 v33, v34, v33
	v_add_f32_e32 v32, v32, v33
	;; [unrolled: 1-line block ×3, first 2 shown]
	v_mul_f32_e32 v34, v101, v33
	v_mul_f32_e32 v36, v99, v34
	v_fma_f32 v38, v34, v99, -v36
	v_fmac_f32_e32 v38, v34, v100
	v_sub_f32_e32 v37, v37, v33
	v_add_f32_e32 v99, v32, v37
	v_add_f32_e32 v32, v36, v38
	v_sub_f32_e32 v37, v33, v32
	v_pk_add_f32 v[96:97], v[32:33], v[36:37] neg_lo:[0,1] neg_hi:[0,1]
	v_mov_b32_e32 v39, v32
	v_pk_add_f32 v[32:33], v[96:97], v[38:39] neg_lo:[0,1] neg_hi:[0,1]
	v_cvt_f32_i32_e32 v36, v98
	v_add_f32_e32 v33, v99, v33
	v_add_f32_e32 v32, v32, v33
	;; [unrolled: 1-line block ×4, first 2 shown]
	v_sub_f32_e32 v33, v37, v102
	v_mul_f32_e32 v32, v101, v32
	v_sub_f32_e32 v33, v34, v33
	v_add_f32_e32 v32, v33, v32
	v_add_f32_e32 v34, v37, v32
	v_mul_f32_e32 v38, v34, v34
	v_mov_b32_e32 v33, 0x3ecc95a3
	v_sub_f32_e32 v37, v34, v37
	v_fmac_f32_e32 v33, 0x3e9b6dac, v38
	v_sub_f32_e32 v32, v32, v37
	v_fmaak_f32 v33, v38, v33, 0x3f2aaada
	v_ldexp_f32 v96, v32, 1
	v_mul_f32_e32 v37, v34, v38
	v_mov_b32_e32 v32, 0x3f317218
	v_pk_mul_f32 v[32:33], v[36:37], v[32:33]
	v_ldexp_f32 v39, v34, 1
	v_fma_f32 v34, v36, s13, -v32
	v_fmamk_f32 v38, v36, 0xb102e308, v34
	v_pk_add_f32 v[36:37], v[32:33], v[38:39]
	s_mov_b32 s13, 0x33800000
	v_sub_f32_e32 v34, v37, v39
	v_sub_f32_e32 v34, v33, v34
	v_add_f32_e32 v97, v96, v34
	v_mov_b32_e32 v96, v32
	v_pk_add_f32 v[32:33], v[36:37], v[32:33] neg_lo:[0,1] neg_hi:[0,1]
	v_pk_add_f32 v[98:99], v[36:37], v[96:97]
	v_mov_b32_e32 v39, v36
	v_mov_b32_e32 v33, v99
	v_pk_add_f32 v[100:101], v[38:39], v[32:33] neg_lo:[0,1] neg_hi:[0,1]
	v_pk_add_f32 v[32:33], v[38:39], v[32:33]
	v_cmp_lt_f32_e64 s[52:53], |v86|, s13
	v_mov_b32_e32 v34, v33
	v_pk_add_f32 v[38:39], v[34:35], v[36:37] neg_lo:[0,1] neg_hi:[0,1]
	v_mov_b32_e32 v32, v99
	v_mov_b32_e32 v39, v38
	v_pk_add_f32 v[102:103], v[98:99], v[38:39] neg_lo:[0,1] neg_hi:[0,1]
	v_mov_b32_e32 v98, v37
	v_mov_b32_e32 v99, v38
	;; [unrolled: 1-line block ×3, first 2 shown]
	v_pk_add_f32 v[32:33], v[32:33], v[98:99] neg_lo:[0,1] neg_hi:[0,1]
	v_mov_b32_e32 v38, v97
	v_mov_b32_e32 v39, v36
	v_pk_add_f32 v[32:33], v[38:39], v[32:33] neg_lo:[0,1] neg_hi:[0,1]
	v_mov_b32_e32 v102, v100
	v_pk_add_f32 v[36:37], v[102:103], v[32:33]
	s_or_b64 vcc, vcc, s[52:53]
	v_mov_b32_e32 v38, v37
	v_pk_add_f32 v[38:39], v[36:37], v[38:39]
	s_nop 0
	v_pk_add_f32 v[96:97], v[34:35], v[38:39]
	v_mov_b32_e32 v33, v38
	v_mov_b32_e32 v37, v96
	v_pk_add_f32 v[98:99], v[36:37], v[100:101] neg_lo:[0,1] neg_hi:[0,1]
	s_nop 0
	v_sub_f32_e32 v34, v36, v98
	v_pk_add_f32 v[32:33], v[32:33], v[98:99] neg_lo:[0,1] neg_hi:[0,1]
	v_sub_f32_e32 v34, v100, v34
	v_add_f32_e32 v32, v32, v34
	v_add_f32_e32 v32, v32, v33
	;; [unrolled: 1-line block ×3, first 2 shown]
	v_cndmask_b32_e32 v32, v32, v86, vcc
	v_add_f32_e32 v32, v35, v32
	v_cvt_f16_f32_e32 v33, v32
	v_cvt_f32_f16_e32 v34, v33
	v_mov_b32_e32 v32, v33
.LBB408_97:
	s_or_b64 exec, exec, s[48:49]
	v_cvt_f32_f16_sdwa v86, v19 dst_sel:DWORD dst_unused:UNUSED_PAD src0_sel:WORD_1
	v_max_f32_e32 v36, v34, v34
	v_cmp_u_f16_e32 vcc, v33, v33
	v_cmp_u_f16_sdwa s[48:49], v19, v19 src0_sel:WORD_1 src1_sel:WORD_1
	v_min_f32_e32 v35, v36, v86
	v_cndmask_b32_e32 v33, v35, v34, vcc
	v_cndmask_b32_e64 v35, v33, v86, s[48:49]
	v_max_f32_e32 v33, v36, v86
	v_cndmask_b32_e32 v33, v33, v34, vcc
	v_cndmask_b32_e64 v33, v33, v86, s[48:49]
	s_movk_i32 s13, 0x1f8
	v_cmp_neq_f32_e32 vcc, v35, v33
	v_cmp_class_f32_e64 s[52:53], v35, s13
	s_or_b64 vcc, vcc, s[52:53]
	s_and_saveexec_b64 s[52:53], vcc
	s_cbranch_execz .LBB408_99
; %bb.98:
	v_sub_f32_e32 v32, v35, v33
	s_mov_b32 s13, 0x3fb8aa3b
	v_mul_f32_e32 v34, 0x3fb8aa3b, v32
	v_fma_f32 v35, v32, s13, -v34
	v_rndne_f32_e32 v36, v34
	v_fmamk_f32 v35, v32, 0x32a5705f, v35
	v_sub_f32_e32 v34, v34, v36
	v_add_f32_e32 v34, v34, v35
	v_exp_f32_e32 v34, v34
	v_cvt_i32_f32_e32 v35, v36
	s_mov_b32 s13, 0xc2ce8ed0
	v_cmp_ngt_f32_e32 vcc, s13, v32
	s_mov_b32 s13, 0x42b17218
	v_ldexp_f32 v34, v34, v35
	v_cndmask_b32_e32 v34, 0, v34, vcc
	v_mov_b32_e32 v35, 0x7f800000
	v_cmp_nlt_f32_e32 vcc, s13, v32
	s_mov_b32 s13, 0x3f2aaaab
	s_mov_b32 s56, 0x7f800000
	v_cndmask_b32_e32 v112, v35, v34, vcc
	v_add_f32_e32 v32, 1.0, v112
	v_add_f32_e32 v34, -1.0, v32
	v_sub_f32_e32 v35, v34, v32
	v_add_f32_e32 v35, 1.0, v35
	v_sub_f32_e32 v34, v112, v34
	v_add_f32_e32 v36, v34, v35
	v_frexp_mant_f32_e32 v37, v32
	v_cvt_f64_f32_e32 v[34:35], v32
	v_frexp_exp_i32_f64_e32 v34, v[34:35]
	v_cmp_gt_f32_e32 vcc, s13, v37
	s_mov_b32 s13, 0x3f317218
	s_nop 0
	v_subbrev_co_u32_e32 v98, vcc, 0, v34, vcc
	v_sub_u32_e32 v34, 0, v98
	v_ldexp_f32 v32, v32, v34
	v_ldexp_f32 v34, v36, v34
	v_add_f32_e32 v36, -1.0, v32
	v_add_f32_e32 v35, 1.0, v36
	v_sub_f32_e32 v35, v32, v35
	v_add_f32_e32 v37, v34, v35
	v_add_f32_e32 v35, 1.0, v32
	v_add_f32_e32 v38, -1.0, v35
	v_sub_f32_e32 v32, v32, v38
	v_add_f32_e32 v32, v34, v32
	v_add_f32_e32 v99, v35, v32
	v_rcp_f32_e32 v100, v99
	v_sub_f32_e32 v34, v35, v99
	v_add_f32_e32 v35, v36, v37
	v_add_f32_e32 v32, v32, v34
	v_mul_f32_e32 v102, v35, v100
	v_sub_f32_e32 v34, v36, v35
	v_mul_f32_e32 v36, v99, v102
	v_fma_f32 v38, v102, v99, -v36
	v_fmac_f32_e32 v38, v102, v32
	v_add_f32_e32 v101, v37, v34
	v_add_f32_e32 v34, v36, v38
	v_sub_f32_e32 v37, v35, v34
	v_pk_add_f32 v[96:97], v[34:35], v[36:37] neg_lo:[0,1] neg_hi:[0,1]
	v_mov_b32_e32 v39, v34
	v_pk_add_f32 v[34:35], v[96:97], v[38:39] neg_lo:[0,1] neg_hi:[0,1]
	v_cmp_eq_f32_e32 vcc, s56, v112
	v_add_f32_e32 v35, v101, v35
	v_add_f32_e32 v34, v34, v35
	v_add_f32_e32 v35, v37, v34
	v_mul_f32_e32 v101, v100, v35
	v_mul_f32_e32 v36, v99, v101
	v_fma_f32 v38, v101, v99, -v36
	v_fmac_f32_e32 v38, v101, v32
	v_sub_f32_e32 v32, v37, v35
	v_add_f32_e32 v32, v34, v32
	v_add_f32_e32 v34, v36, v38
	v_sub_f32_e32 v37, v35, v34
	v_pk_add_f32 v[96:97], v[34:35], v[36:37] neg_lo:[0,1] neg_hi:[0,1]
	v_mov_b32_e32 v39, v34
	v_pk_add_f32 v[34:35], v[96:97], v[38:39] neg_lo:[0,1] neg_hi:[0,1]
	v_cvt_f32_i32_e32 v36, v98
	v_add_f32_e32 v32, v32, v35
	v_add_f32_e32 v32, v34, v32
	;; [unrolled: 1-line block ×4, first 2 shown]
	v_sub_f32_e32 v35, v34, v102
	v_mul_f32_e32 v32, v100, v32
	v_sub_f32_e32 v35, v101, v35
	v_add_f32_e32 v32, v35, v32
	v_add_f32_e32 v37, v34, v32
	v_mul_f32_e32 v38, v37, v37
	v_mov_b32_e32 v35, 0x3ecc95a3
	v_fmac_f32_e32 v35, 0x3e9b6dac, v38
	v_sub_f32_e32 v34, v37, v34
	v_fmaak_f32 v35, v38, v35, 0x3f2aaada
	v_sub_f32_e32 v32, v32, v34
	v_ldexp_f32 v39, v37, 1
	v_mul_f32_e32 v37, v37, v38
	v_mov_b32_e32 v34, 0x3f317218
	v_pk_mul_f32 v[34:35], v[36:37], v[34:35]
	v_ldexp_f32 v32, v32, 1
	v_fma_f32 v37, v36, s13, -v34
	v_fmamk_f32 v38, v36, 0xb102e308, v37
	v_pk_add_f32 v[36:37], v[34:35], v[38:39]
	v_mov_b32_e32 v96, v34
	v_sub_f32_e32 v39, v37, v39
	v_sub_f32_e32 v39, v35, v39
	v_add_f32_e32 v97, v32, v39
	v_pk_add_f32 v[34:35], v[36:37], v[34:35] neg_lo:[0,1] neg_hi:[0,1]
	v_pk_add_f32 v[98:99], v[36:37], v[96:97]
	v_mov_b32_e32 v39, v36
	v_mov_b32_e32 v35, v99
	v_pk_add_f32 v[100:101], v[38:39], v[34:35] neg_lo:[0,1] neg_hi:[0,1]
	v_pk_add_f32 v[34:35], v[38:39], v[34:35]
	s_mov_b32 s13, 0x33800000
	v_mov_b32_e32 v32, v35
	v_pk_add_f32 v[38:39], v[32:33], v[36:37] neg_lo:[0,1] neg_hi:[0,1]
	v_mov_b32_e32 v34, v99
	v_mov_b32_e32 v39, v38
	v_pk_add_f32 v[102:103], v[98:99], v[38:39] neg_lo:[0,1] neg_hi:[0,1]
	v_mov_b32_e32 v98, v37
	v_mov_b32_e32 v99, v38
	;; [unrolled: 1-line block ×3, first 2 shown]
	v_pk_add_f32 v[34:35], v[34:35], v[98:99] neg_lo:[0,1] neg_hi:[0,1]
	v_mov_b32_e32 v38, v97
	v_mov_b32_e32 v39, v36
	v_pk_add_f32 v[34:35], v[38:39], v[34:35] neg_lo:[0,1] neg_hi:[0,1]
	v_mov_b32_e32 v102, v100
	v_pk_add_f32 v[36:37], v[102:103], v[34:35]
	v_cmp_lt_f32_e64 s[56:57], |v112|, s13
	v_mov_b32_e32 v38, v37
	v_pk_add_f32 v[38:39], v[36:37], v[38:39]
	s_or_b64 vcc, vcc, s[56:57]
	v_pk_add_f32 v[96:97], v[32:33], v[38:39]
	v_mov_b32_e32 v35, v38
	v_mov_b32_e32 v37, v96
	v_pk_add_f32 v[98:99], v[36:37], v[100:101] neg_lo:[0,1] neg_hi:[0,1]
	s_nop 0
	v_sub_f32_e32 v32, v36, v98
	v_pk_add_f32 v[34:35], v[34:35], v[98:99] neg_lo:[0,1] neg_hi:[0,1]
	v_sub_f32_e32 v32, v100, v32
	v_add_f32_e32 v32, v34, v32
	v_add_f32_e32 v32, v32, v35
	;; [unrolled: 1-line block ×3, first 2 shown]
	v_cndmask_b32_e32 v32, v32, v112, vcc
	v_add_f32_e32 v32, v33, v32
	v_cvt_f16_f32_e32 v32, v32
.LBB408_99:
	s_or_b64 exec, exec, s[52:53]
	v_mbcnt_lo_u32_b32 v33, -1, 0
	v_mbcnt_hi_u32_b32 v33, -1, v33
	v_and_b32_e32 v34, 15, v33
	v_and_b32_e32 v35, 0xffff, v32
	v_cmp_ne_u32_e32 vcc, 0, v34
	s_nop 0
	v_mov_b32_dpp v36, v35 row_shr:1 row_mask:0xf bank_mask:0xf
	s_and_saveexec_b64 s[56:57], vcc
	s_cbranch_execz .LBB408_103
; %bb.100:
	v_cvt_f32_f16_e32 v37, v36
	v_cvt_f32_f16_e32 v38, v32
	v_cmp_u_f16_e32 vcc, v36, v36
	v_cmp_u_f16_e64 s[52:53], v32, v32
	s_movk_i32 s13, 0x1f8
	v_min_f32_e32 v35, v37, v38
	v_max_f32_e32 v32, v37, v38
	v_cndmask_b32_e32 v35, v35, v37, vcc
	v_cndmask_b32_e32 v32, v32, v37, vcc
	v_cndmask_b32_e64 v35, v35, v38, s[52:53]
	v_cndmask_b32_e64 v32, v32, v38, s[52:53]
	v_cmp_neq_f32_e32 vcc, v35, v32
	v_cmp_class_f32_e64 s[52:53], v35, s13
	s_or_b64 vcc, vcc, s[52:53]
	s_and_saveexec_b64 s[52:53], vcc
	s_cbranch_execz .LBB408_102
; %bb.101:
	v_sub_f32_e32 v35, v35, v32
	s_mov_b32 s13, 0x3fb8aa3b
	v_mul_f32_e32 v36, 0x3fb8aa3b, v35
	v_fma_f32 v37, v35, s13, -v36
	v_rndne_f32_e32 v38, v36
	v_fmamk_f32 v37, v35, 0x32a5705f, v37
	v_sub_f32_e32 v36, v36, v38
	v_add_f32_e32 v36, v36, v37
	v_exp_f32_e32 v36, v36
	v_cvt_i32_f32_e32 v37, v38
	s_mov_b32 s13, 0xc2ce8ed0
	v_cmp_ngt_f32_e32 vcc, s13, v35
	s_mov_b32 s13, 0x42b17218
	v_ldexp_f32 v36, v36, v37
	v_cndmask_b32_e32 v36, 0, v36, vcc
	v_mov_b32_e32 v37, 0x7f800000
	v_cmp_nlt_f32_e32 vcc, s13, v35
	s_mov_b32 s13, 0x3f2aaaab
	s_mov_b32 s60, 0x7f800000
	v_cndmask_b32_e32 v116, v37, v36, vcc
	v_add_f32_e32 v35, 1.0, v116
	v_add_f32_e32 v36, -1.0, v35
	v_sub_f32_e32 v37, v36, v35
	v_add_f32_e32 v37, 1.0, v37
	v_sub_f32_e32 v36, v116, v36
	v_add_f32_e32 v38, v36, v37
	v_frexp_mant_f32_e32 v39, v35
	v_cvt_f64_f32_e32 v[36:37], v35
	v_frexp_exp_i32_f64_e32 v36, v[36:37]
	v_cmp_gt_f32_e32 vcc, s13, v39
	s_mov_b32 s13, 0x3f317218
	s_nop 0
	v_subbrev_co_u32_e32 v100, vcc, 0, v36, vcc
	v_sub_u32_e32 v36, 0, v100
	v_ldexp_f32 v35, v35, v36
	v_ldexp_f32 v36, v38, v36
	v_add_f32_e32 v38, -1.0, v35
	v_add_f32_e32 v37, 1.0, v38
	v_sub_f32_e32 v37, v35, v37
	v_add_f32_e32 v39, v36, v37
	v_add_f32_e32 v37, 1.0, v35
	v_add_f32_e32 v96, -1.0, v37
	v_sub_f32_e32 v35, v35, v96
	v_add_f32_e32 v35, v36, v35
	v_add_f32_e32 v101, v37, v35
	v_rcp_f32_e32 v102, v101
	v_sub_f32_e32 v36, v37, v101
	v_add_f32_e32 v37, v38, v39
	v_add_f32_e32 v35, v35, v36
	v_mul_f32_e32 v112, v37, v102
	v_sub_f32_e32 v36, v38, v37
	v_mul_f32_e32 v38, v101, v112
	v_fma_f32 v96, v112, v101, -v38
	v_fmac_f32_e32 v96, v112, v35
	v_add_f32_e32 v103, v39, v36
	v_add_f32_e32 v36, v38, v96
	v_sub_f32_e32 v39, v37, v36
	v_pk_add_f32 v[98:99], v[36:37], v[38:39] neg_lo:[0,1] neg_hi:[0,1]
	v_mov_b32_e32 v97, v36
	v_pk_add_f32 v[36:37], v[98:99], v[96:97] neg_lo:[0,1] neg_hi:[0,1]
	v_cmp_eq_f32_e32 vcc, s60, v116
	v_add_f32_e32 v37, v103, v37
	v_add_f32_e32 v36, v36, v37
	;; [unrolled: 1-line block ×3, first 2 shown]
	v_mul_f32_e32 v103, v102, v37
	v_mul_f32_e32 v38, v101, v103
	v_fma_f32 v96, v103, v101, -v38
	v_fmac_f32_e32 v96, v103, v35
	v_sub_f32_e32 v35, v39, v37
	v_add_f32_e32 v35, v36, v35
	v_add_f32_e32 v36, v38, v96
	v_sub_f32_e32 v39, v37, v36
	v_pk_add_f32 v[98:99], v[36:37], v[38:39] neg_lo:[0,1] neg_hi:[0,1]
	v_mov_b32_e32 v97, v36
	v_pk_add_f32 v[36:37], v[98:99], v[96:97] neg_lo:[0,1] neg_hi:[0,1]
	v_cvt_f32_i32_e32 v38, v100
	v_add_f32_e32 v35, v35, v37
	v_add_f32_e32 v35, v36, v35
	;; [unrolled: 1-line block ×4, first 2 shown]
	v_sub_f32_e32 v37, v36, v112
	v_mul_f32_e32 v35, v102, v35
	v_sub_f32_e32 v37, v103, v37
	v_add_f32_e32 v35, v37, v35
	v_add_f32_e32 v39, v36, v35
	v_mul_f32_e32 v96, v39, v39
	v_mov_b32_e32 v37, 0x3ecc95a3
	v_fmac_f32_e32 v37, 0x3e9b6dac, v96
	v_sub_f32_e32 v36, v39, v36
	v_fmaak_f32 v37, v96, v37, 0x3f2aaada
	v_sub_f32_e32 v35, v35, v36
	v_ldexp_f32 v97, v39, 1
	v_mul_f32_e32 v39, v39, v96
	v_mov_b32_e32 v36, 0x3f317218
	v_pk_mul_f32 v[36:37], v[38:39], v[36:37]
	v_ldexp_f32 v35, v35, 1
	v_fma_f32 v39, v38, s13, -v36
	v_fmamk_f32 v96, v38, 0xb102e308, v39
	v_pk_add_f32 v[38:39], v[36:37], v[96:97]
	v_mov_b32_e32 v98, v36
	v_sub_f32_e32 v97, v39, v97
	v_sub_f32_e32 v97, v37, v97
	v_add_f32_e32 v99, v35, v97
	v_pk_add_f32 v[36:37], v[38:39], v[36:37] neg_lo:[0,1] neg_hi:[0,1]
	v_pk_add_f32 v[100:101], v[38:39], v[98:99]
	v_mov_b32_e32 v97, v38
	v_mov_b32_e32 v37, v101
	v_pk_add_f32 v[102:103], v[96:97], v[36:37] neg_lo:[0,1] neg_hi:[0,1]
	v_pk_add_f32 v[36:37], v[96:97], v[36:37]
	v_mov_b32_e32 v98, v99
	v_mov_b32_e32 v96, v37
	v_pk_add_f32 v[112:113], v[96:97], v[38:39] neg_lo:[0,1] neg_hi:[0,1]
	v_mov_b32_e32 v36, v101
	v_mov_b32_e32 v35, v112
	v_pk_add_f32 v[114:115], v[100:101], v[34:35] neg_lo:[0,1] neg_hi:[0,1]
	v_mov_b32_e32 v100, v39
	v_mov_b32_e32 v101, v112
	;; [unrolled: 1-line block ×3, first 2 shown]
	v_pk_add_f32 v[36:37], v[36:37], v[100:101] neg_lo:[0,1] neg_hi:[0,1]
	v_mov_b32_e32 v99, v38
	v_pk_add_f32 v[36:37], v[98:99], v[36:37] neg_lo:[0,1] neg_hi:[0,1]
	v_mov_b32_e32 v114, v102
	v_pk_add_f32 v[38:39], v[114:115], v[36:37]
	s_mov_b32 s13, 0x33800000
	v_mov_b32_e32 v98, v39
	v_pk_add_f32 v[98:99], v[38:39], v[98:99]
	v_cmp_lt_f32_e64 s[60:61], |v116|, s13
	v_pk_add_f32 v[96:97], v[96:97], v[98:99]
	v_mov_b32_e32 v37, v98
	v_mov_b32_e32 v39, v96
	v_pk_add_f32 v[100:101], v[38:39], v[102:103] neg_lo:[0,1] neg_hi:[0,1]
	s_or_b64 vcc, vcc, s[60:61]
	v_sub_f32_e32 v35, v38, v100
	v_pk_add_f32 v[36:37], v[36:37], v[100:101] neg_lo:[0,1] neg_hi:[0,1]
	v_sub_f32_e32 v35, v102, v35
	v_add_f32_e32 v35, v36, v35
	v_add_f32_e32 v35, v35, v37
	;; [unrolled: 1-line block ×3, first 2 shown]
	v_cndmask_b32_e32 v35, v35, v116, vcc
	v_add_f32_e32 v32, v32, v35
	v_cvt_f16_f32_e32 v36, v32
.LBB408_102:
	s_or_b64 exec, exec, s[52:53]
	v_and_b32_e32 v35, 0xffff, v36
	v_mov_b32_e32 v32, v36
.LBB408_103:
	s_or_b64 exec, exec, s[56:57]
	v_mov_b32_dpp v36, v35 row_shr:2 row_mask:0xf bank_mask:0xf
	v_cmp_lt_u32_e32 vcc, 1, v34
	s_and_saveexec_b64 s[56:57], vcc
	s_cbranch_execz .LBB408_107
; %bb.104:
	v_cvt_f32_f16_e32 v37, v36
	v_cvt_f32_f16_e32 v38, v32
	v_cmp_u_f16_e32 vcc, v36, v36
	v_cmp_u_f16_e64 s[52:53], v32, v32
	s_movk_i32 s13, 0x1f8
	v_min_f32_e32 v35, v37, v38
	v_max_f32_e32 v32, v37, v38
	v_cndmask_b32_e32 v35, v35, v37, vcc
	v_cndmask_b32_e32 v32, v32, v37, vcc
	v_cndmask_b32_e64 v35, v35, v38, s[52:53]
	v_cndmask_b32_e64 v32, v32, v38, s[52:53]
	v_cmp_neq_f32_e32 vcc, v35, v32
	v_cmp_class_f32_e64 s[52:53], v35, s13
	s_or_b64 vcc, vcc, s[52:53]
	s_and_saveexec_b64 s[52:53], vcc
	s_cbranch_execz .LBB408_106
; %bb.105:
	v_sub_f32_e32 v35, v35, v32
	s_mov_b32 s13, 0x3fb8aa3b
	v_mul_f32_e32 v36, 0x3fb8aa3b, v35
	v_fma_f32 v37, v35, s13, -v36
	v_rndne_f32_e32 v38, v36
	v_fmamk_f32 v37, v35, 0x32a5705f, v37
	v_sub_f32_e32 v36, v36, v38
	v_add_f32_e32 v36, v36, v37
	v_exp_f32_e32 v36, v36
	v_cvt_i32_f32_e32 v37, v38
	s_mov_b32 s13, 0xc2ce8ed0
	v_cmp_ngt_f32_e32 vcc, s13, v35
	s_mov_b32 s13, 0x42b17218
	v_ldexp_f32 v36, v36, v37
	v_cndmask_b32_e32 v36, 0, v36, vcc
	v_mov_b32_e32 v37, 0x7f800000
	v_cmp_nlt_f32_e32 vcc, s13, v35
	s_mov_b32 s13, 0x3f2aaaab
	s_mov_b32 s60, 0x7f800000
	v_cndmask_b32_e32 v116, v37, v36, vcc
	v_add_f32_e32 v35, 1.0, v116
	v_add_f32_e32 v36, -1.0, v35
	v_sub_f32_e32 v37, v36, v35
	v_add_f32_e32 v37, 1.0, v37
	v_sub_f32_e32 v36, v116, v36
	v_add_f32_e32 v38, v36, v37
	v_frexp_mant_f32_e32 v39, v35
	v_cvt_f64_f32_e32 v[36:37], v35
	v_frexp_exp_i32_f64_e32 v36, v[36:37]
	v_cmp_gt_f32_e32 vcc, s13, v39
	s_mov_b32 s13, 0x3f317218
	s_nop 0
	v_subbrev_co_u32_e32 v100, vcc, 0, v36, vcc
	v_sub_u32_e32 v36, 0, v100
	v_ldexp_f32 v35, v35, v36
	v_ldexp_f32 v36, v38, v36
	v_add_f32_e32 v38, -1.0, v35
	v_add_f32_e32 v37, 1.0, v38
	v_sub_f32_e32 v37, v35, v37
	v_add_f32_e32 v39, v36, v37
	v_add_f32_e32 v37, 1.0, v35
	v_add_f32_e32 v96, -1.0, v37
	v_sub_f32_e32 v35, v35, v96
	v_add_f32_e32 v35, v36, v35
	v_add_f32_e32 v101, v37, v35
	v_rcp_f32_e32 v102, v101
	v_sub_f32_e32 v36, v37, v101
	v_add_f32_e32 v37, v38, v39
	v_add_f32_e32 v35, v35, v36
	v_mul_f32_e32 v112, v37, v102
	v_sub_f32_e32 v36, v38, v37
	v_mul_f32_e32 v38, v101, v112
	v_fma_f32 v96, v112, v101, -v38
	v_fmac_f32_e32 v96, v112, v35
	v_add_f32_e32 v103, v39, v36
	v_add_f32_e32 v36, v38, v96
	v_sub_f32_e32 v39, v37, v36
	v_pk_add_f32 v[98:99], v[36:37], v[38:39] neg_lo:[0,1] neg_hi:[0,1]
	v_mov_b32_e32 v97, v36
	v_pk_add_f32 v[36:37], v[98:99], v[96:97] neg_lo:[0,1] neg_hi:[0,1]
	v_cmp_eq_f32_e32 vcc, s60, v116
	v_add_f32_e32 v37, v103, v37
	v_add_f32_e32 v36, v36, v37
	;; [unrolled: 1-line block ×3, first 2 shown]
	v_mul_f32_e32 v103, v102, v37
	v_mul_f32_e32 v38, v101, v103
	v_fma_f32 v96, v103, v101, -v38
	v_fmac_f32_e32 v96, v103, v35
	v_sub_f32_e32 v35, v39, v37
	v_add_f32_e32 v35, v36, v35
	v_add_f32_e32 v36, v38, v96
	v_sub_f32_e32 v39, v37, v36
	v_pk_add_f32 v[98:99], v[36:37], v[38:39] neg_lo:[0,1] neg_hi:[0,1]
	v_mov_b32_e32 v97, v36
	v_pk_add_f32 v[36:37], v[98:99], v[96:97] neg_lo:[0,1] neg_hi:[0,1]
	v_cvt_f32_i32_e32 v38, v100
	v_add_f32_e32 v35, v35, v37
	v_add_f32_e32 v35, v36, v35
	;; [unrolled: 1-line block ×4, first 2 shown]
	v_sub_f32_e32 v37, v36, v112
	v_mul_f32_e32 v35, v102, v35
	v_sub_f32_e32 v37, v103, v37
	v_add_f32_e32 v35, v37, v35
	v_add_f32_e32 v39, v36, v35
	v_mul_f32_e32 v96, v39, v39
	v_mov_b32_e32 v37, 0x3ecc95a3
	v_fmac_f32_e32 v37, 0x3e9b6dac, v96
	v_sub_f32_e32 v36, v39, v36
	v_fmaak_f32 v37, v96, v37, 0x3f2aaada
	v_sub_f32_e32 v35, v35, v36
	v_ldexp_f32 v97, v39, 1
	v_mul_f32_e32 v39, v39, v96
	v_mov_b32_e32 v36, 0x3f317218
	v_pk_mul_f32 v[36:37], v[38:39], v[36:37]
	v_ldexp_f32 v35, v35, 1
	v_fma_f32 v39, v38, s13, -v36
	v_fmamk_f32 v96, v38, 0xb102e308, v39
	v_pk_add_f32 v[38:39], v[36:37], v[96:97]
	v_mov_b32_e32 v98, v36
	v_sub_f32_e32 v97, v39, v97
	v_sub_f32_e32 v97, v37, v97
	v_add_f32_e32 v99, v35, v97
	v_pk_add_f32 v[36:37], v[38:39], v[36:37] neg_lo:[0,1] neg_hi:[0,1]
	v_pk_add_f32 v[100:101], v[38:39], v[98:99]
	v_mov_b32_e32 v97, v38
	v_mov_b32_e32 v37, v101
	v_pk_add_f32 v[102:103], v[96:97], v[36:37] neg_lo:[0,1] neg_hi:[0,1]
	v_pk_add_f32 v[36:37], v[96:97], v[36:37]
	v_mov_b32_e32 v98, v99
	v_mov_b32_e32 v96, v37
	v_pk_add_f32 v[112:113], v[96:97], v[38:39] neg_lo:[0,1] neg_hi:[0,1]
	v_mov_b32_e32 v36, v101
	v_mov_b32_e32 v35, v112
	v_pk_add_f32 v[114:115], v[100:101], v[34:35] neg_lo:[0,1] neg_hi:[0,1]
	v_mov_b32_e32 v100, v39
	v_mov_b32_e32 v101, v112
	;; [unrolled: 1-line block ×3, first 2 shown]
	v_pk_add_f32 v[36:37], v[36:37], v[100:101] neg_lo:[0,1] neg_hi:[0,1]
	v_mov_b32_e32 v99, v38
	v_pk_add_f32 v[36:37], v[98:99], v[36:37] neg_lo:[0,1] neg_hi:[0,1]
	v_mov_b32_e32 v114, v102
	v_pk_add_f32 v[38:39], v[114:115], v[36:37]
	s_mov_b32 s13, 0x33800000
	v_mov_b32_e32 v98, v39
	v_pk_add_f32 v[98:99], v[38:39], v[98:99]
	v_cmp_lt_f32_e64 s[60:61], |v116|, s13
	v_pk_add_f32 v[96:97], v[96:97], v[98:99]
	v_mov_b32_e32 v37, v98
	v_mov_b32_e32 v39, v96
	v_pk_add_f32 v[100:101], v[38:39], v[102:103] neg_lo:[0,1] neg_hi:[0,1]
	s_or_b64 vcc, vcc, s[60:61]
	v_sub_f32_e32 v35, v38, v100
	v_pk_add_f32 v[36:37], v[36:37], v[100:101] neg_lo:[0,1] neg_hi:[0,1]
	v_sub_f32_e32 v35, v102, v35
	v_add_f32_e32 v35, v36, v35
	v_add_f32_e32 v35, v35, v37
	;; [unrolled: 1-line block ×3, first 2 shown]
	v_cndmask_b32_e32 v35, v35, v116, vcc
	v_add_f32_e32 v32, v32, v35
	v_cvt_f16_f32_e32 v36, v32
.LBB408_106:
	s_or_b64 exec, exec, s[52:53]
	v_and_b32_e32 v35, 0xffff, v36
	v_mov_b32_e32 v32, v36
.LBB408_107:
	s_or_b64 exec, exec, s[56:57]
	v_mov_b32_dpp v36, v35 row_shr:4 row_mask:0xf bank_mask:0xf
	v_cmp_lt_u32_e32 vcc, 3, v34
	s_and_saveexec_b64 s[56:57], vcc
	s_cbranch_execz .LBB408_111
; %bb.108:
	v_cvt_f32_f16_e32 v37, v36
	v_cvt_f32_f16_e32 v38, v32
	v_cmp_u_f16_e32 vcc, v36, v36
	v_cmp_u_f16_e64 s[52:53], v32, v32
	s_movk_i32 s13, 0x1f8
	v_min_f32_e32 v35, v37, v38
	v_max_f32_e32 v32, v37, v38
	v_cndmask_b32_e32 v35, v35, v37, vcc
	v_cndmask_b32_e32 v32, v32, v37, vcc
	v_cndmask_b32_e64 v35, v35, v38, s[52:53]
	v_cndmask_b32_e64 v32, v32, v38, s[52:53]
	v_cmp_neq_f32_e32 vcc, v35, v32
	v_cmp_class_f32_e64 s[52:53], v35, s13
	s_or_b64 vcc, vcc, s[52:53]
	s_and_saveexec_b64 s[52:53], vcc
	s_cbranch_execz .LBB408_110
; %bb.109:
	v_sub_f32_e32 v35, v35, v32
	s_mov_b32 s13, 0x3fb8aa3b
	v_mul_f32_e32 v36, 0x3fb8aa3b, v35
	v_fma_f32 v37, v35, s13, -v36
	v_rndne_f32_e32 v38, v36
	v_fmamk_f32 v37, v35, 0x32a5705f, v37
	v_sub_f32_e32 v36, v36, v38
	v_add_f32_e32 v36, v36, v37
	v_exp_f32_e32 v36, v36
	v_cvt_i32_f32_e32 v37, v38
	s_mov_b32 s13, 0xc2ce8ed0
	v_cmp_ngt_f32_e32 vcc, s13, v35
	s_mov_b32 s13, 0x42b17218
	v_ldexp_f32 v36, v36, v37
	v_cndmask_b32_e32 v36, 0, v36, vcc
	v_mov_b32_e32 v37, 0x7f800000
	v_cmp_nlt_f32_e32 vcc, s13, v35
	s_mov_b32 s13, 0x3f2aaaab
	s_mov_b32 s60, 0x7f800000
	v_cndmask_b32_e32 v116, v37, v36, vcc
	v_add_f32_e32 v35, 1.0, v116
	v_add_f32_e32 v36, -1.0, v35
	v_sub_f32_e32 v37, v36, v35
	v_add_f32_e32 v37, 1.0, v37
	v_sub_f32_e32 v36, v116, v36
	v_add_f32_e32 v38, v36, v37
	v_frexp_mant_f32_e32 v39, v35
	v_cvt_f64_f32_e32 v[36:37], v35
	v_frexp_exp_i32_f64_e32 v36, v[36:37]
	v_cmp_gt_f32_e32 vcc, s13, v39
	s_mov_b32 s13, 0x3f317218
	s_nop 0
	v_subbrev_co_u32_e32 v100, vcc, 0, v36, vcc
	v_sub_u32_e32 v36, 0, v100
	v_ldexp_f32 v35, v35, v36
	v_ldexp_f32 v36, v38, v36
	v_add_f32_e32 v38, -1.0, v35
	v_add_f32_e32 v37, 1.0, v38
	v_sub_f32_e32 v37, v35, v37
	v_add_f32_e32 v39, v36, v37
	v_add_f32_e32 v37, 1.0, v35
	v_add_f32_e32 v96, -1.0, v37
	v_sub_f32_e32 v35, v35, v96
	v_add_f32_e32 v35, v36, v35
	v_add_f32_e32 v101, v37, v35
	v_rcp_f32_e32 v102, v101
	v_sub_f32_e32 v36, v37, v101
	v_add_f32_e32 v37, v38, v39
	v_add_f32_e32 v35, v35, v36
	v_mul_f32_e32 v112, v37, v102
	v_sub_f32_e32 v36, v38, v37
	v_mul_f32_e32 v38, v101, v112
	v_fma_f32 v96, v112, v101, -v38
	v_fmac_f32_e32 v96, v112, v35
	v_add_f32_e32 v103, v39, v36
	v_add_f32_e32 v36, v38, v96
	v_sub_f32_e32 v39, v37, v36
	v_pk_add_f32 v[98:99], v[36:37], v[38:39] neg_lo:[0,1] neg_hi:[0,1]
	v_mov_b32_e32 v97, v36
	v_pk_add_f32 v[36:37], v[98:99], v[96:97] neg_lo:[0,1] neg_hi:[0,1]
	v_cmp_eq_f32_e32 vcc, s60, v116
	v_add_f32_e32 v37, v103, v37
	v_add_f32_e32 v36, v36, v37
	;; [unrolled: 1-line block ×3, first 2 shown]
	v_mul_f32_e32 v103, v102, v37
	v_mul_f32_e32 v38, v101, v103
	v_fma_f32 v96, v103, v101, -v38
	v_fmac_f32_e32 v96, v103, v35
	v_sub_f32_e32 v35, v39, v37
	v_add_f32_e32 v35, v36, v35
	v_add_f32_e32 v36, v38, v96
	v_sub_f32_e32 v39, v37, v36
	v_pk_add_f32 v[98:99], v[36:37], v[38:39] neg_lo:[0,1] neg_hi:[0,1]
	v_mov_b32_e32 v97, v36
	v_pk_add_f32 v[36:37], v[98:99], v[96:97] neg_lo:[0,1] neg_hi:[0,1]
	v_cvt_f32_i32_e32 v38, v100
	v_add_f32_e32 v35, v35, v37
	v_add_f32_e32 v35, v36, v35
	;; [unrolled: 1-line block ×4, first 2 shown]
	v_sub_f32_e32 v37, v36, v112
	v_mul_f32_e32 v35, v102, v35
	v_sub_f32_e32 v37, v103, v37
	v_add_f32_e32 v35, v37, v35
	v_add_f32_e32 v39, v36, v35
	v_mul_f32_e32 v96, v39, v39
	v_mov_b32_e32 v37, 0x3ecc95a3
	v_fmac_f32_e32 v37, 0x3e9b6dac, v96
	v_sub_f32_e32 v36, v39, v36
	v_fmaak_f32 v37, v96, v37, 0x3f2aaada
	v_sub_f32_e32 v35, v35, v36
	v_ldexp_f32 v97, v39, 1
	v_mul_f32_e32 v39, v39, v96
	v_mov_b32_e32 v36, 0x3f317218
	v_pk_mul_f32 v[36:37], v[38:39], v[36:37]
	v_ldexp_f32 v35, v35, 1
	v_fma_f32 v39, v38, s13, -v36
	v_fmamk_f32 v96, v38, 0xb102e308, v39
	v_pk_add_f32 v[38:39], v[36:37], v[96:97]
	v_mov_b32_e32 v98, v36
	v_sub_f32_e32 v97, v39, v97
	v_sub_f32_e32 v97, v37, v97
	v_add_f32_e32 v99, v35, v97
	v_pk_add_f32 v[36:37], v[38:39], v[36:37] neg_lo:[0,1] neg_hi:[0,1]
	v_pk_add_f32 v[100:101], v[38:39], v[98:99]
	v_mov_b32_e32 v97, v38
	v_mov_b32_e32 v37, v101
	v_pk_add_f32 v[102:103], v[96:97], v[36:37] neg_lo:[0,1] neg_hi:[0,1]
	v_pk_add_f32 v[36:37], v[96:97], v[36:37]
	v_mov_b32_e32 v98, v99
	v_mov_b32_e32 v96, v37
	v_pk_add_f32 v[112:113], v[96:97], v[38:39] neg_lo:[0,1] neg_hi:[0,1]
	v_mov_b32_e32 v36, v101
	v_mov_b32_e32 v35, v112
	v_pk_add_f32 v[114:115], v[100:101], v[34:35] neg_lo:[0,1] neg_hi:[0,1]
	v_mov_b32_e32 v100, v39
	v_mov_b32_e32 v101, v112
	;; [unrolled: 1-line block ×3, first 2 shown]
	v_pk_add_f32 v[36:37], v[36:37], v[100:101] neg_lo:[0,1] neg_hi:[0,1]
	v_mov_b32_e32 v99, v38
	v_pk_add_f32 v[36:37], v[98:99], v[36:37] neg_lo:[0,1] neg_hi:[0,1]
	v_mov_b32_e32 v114, v102
	v_pk_add_f32 v[38:39], v[114:115], v[36:37]
	s_mov_b32 s13, 0x33800000
	v_mov_b32_e32 v98, v39
	v_pk_add_f32 v[98:99], v[38:39], v[98:99]
	v_cmp_lt_f32_e64 s[60:61], |v116|, s13
	v_pk_add_f32 v[96:97], v[96:97], v[98:99]
	v_mov_b32_e32 v37, v98
	v_mov_b32_e32 v39, v96
	v_pk_add_f32 v[100:101], v[38:39], v[102:103] neg_lo:[0,1] neg_hi:[0,1]
	s_or_b64 vcc, vcc, s[60:61]
	v_sub_f32_e32 v35, v38, v100
	v_pk_add_f32 v[36:37], v[36:37], v[100:101] neg_lo:[0,1] neg_hi:[0,1]
	v_sub_f32_e32 v35, v102, v35
	v_add_f32_e32 v35, v36, v35
	v_add_f32_e32 v35, v35, v37
	;; [unrolled: 1-line block ×3, first 2 shown]
	v_cndmask_b32_e32 v35, v35, v116, vcc
	v_add_f32_e32 v32, v32, v35
	v_cvt_f16_f32_e32 v36, v32
.LBB408_110:
	s_or_b64 exec, exec, s[52:53]
	v_and_b32_e32 v35, 0xffff, v36
	v_mov_b32_e32 v32, v36
.LBB408_111:
	s_or_b64 exec, exec, s[56:57]
	v_mov_b32_dpp v36, v35 row_shr:8 row_mask:0xf bank_mask:0xf
	v_cmp_lt_u32_e32 vcc, 7, v34
	s_and_saveexec_b64 s[56:57], vcc
	s_cbranch_execz .LBB408_115
; %bb.112:
	v_cvt_f32_f16_e32 v35, v36
	v_cvt_f32_f16_e32 v37, v32
	v_cmp_u_f16_e32 vcc, v36, v36
	v_cmp_u_f16_e64 s[52:53], v32, v32
	s_movk_i32 s13, 0x1f8
	v_min_f32_e32 v34, v35, v37
	v_max_f32_e32 v32, v35, v37
	v_cndmask_b32_e32 v34, v34, v35, vcc
	v_cndmask_b32_e32 v32, v32, v35, vcc
	v_cndmask_b32_e64 v34, v34, v37, s[52:53]
	v_cndmask_b32_e64 v32, v32, v37, s[52:53]
	v_cmp_neq_f32_e32 vcc, v34, v32
	v_cmp_class_f32_e64 s[52:53], v34, s13
	s_or_b64 vcc, vcc, s[52:53]
	s_and_saveexec_b64 s[52:53], vcc
	s_cbranch_execz .LBB408_114
; %bb.113:
	v_sub_f32_e32 v34, v34, v32
	s_mov_b32 s13, 0x3fb8aa3b
	v_mul_f32_e32 v35, 0x3fb8aa3b, v34
	v_fma_f32 v36, v34, s13, -v35
	v_rndne_f32_e32 v37, v35
	v_fmamk_f32 v36, v34, 0x32a5705f, v36
	v_sub_f32_e32 v35, v35, v37
	v_add_f32_e32 v35, v35, v36
	v_exp_f32_e32 v35, v35
	v_cvt_i32_f32_e32 v36, v37
	s_mov_b32 s13, 0xc2ce8ed0
	v_cmp_ngt_f32_e32 vcc, s13, v34
	s_mov_b32 s13, 0x42b17218
	v_ldexp_f32 v35, v35, v36
	v_cndmask_b32_e32 v35, 0, v35, vcc
	v_mov_b32_e32 v36, 0x7f800000
	v_cmp_nlt_f32_e32 vcc, s13, v34
	s_mov_b32 s13, 0x3f2aaaab
	s_mov_b32 s60, 0x7f800000
	v_cndmask_b32_e32 v114, v36, v35, vcc
	v_add_f32_e32 v36, 1.0, v114
	v_add_f32_e32 v34, -1.0, v36
	v_sub_f32_e32 v35, v34, v36
	v_add_f32_e32 v35, 1.0, v35
	v_sub_f32_e32 v34, v114, v34
	v_add_f32_e32 v37, v34, v35
	v_frexp_mant_f32_e32 v38, v36
	v_cvt_f64_f32_e32 v[34:35], v36
	v_frexp_exp_i32_f64_e32 v34, v[34:35]
	v_cmp_gt_f32_e32 vcc, s13, v38
	s_mov_b32 s13, 0x3f317218
	s_nop 0
	v_subbrev_co_u32_e32 v98, vcc, 0, v34, vcc
	v_sub_u32_e32 v34, 0, v98
	v_ldexp_f32 v35, v36, v34
	v_add_f32_e32 v36, -1.0, v35
	v_add_f32_e32 v38, 1.0, v35
	v_ldexp_f32 v34, v37, v34
	v_add_f32_e32 v37, 1.0, v36
	v_add_f32_e32 v39, -1.0, v38
	v_sub_f32_e32 v37, v35, v37
	v_sub_f32_e32 v35, v35, v39
	v_add_f32_e32 v37, v34, v37
	v_add_f32_e32 v34, v34, v35
	;; [unrolled: 1-line block ×3, first 2 shown]
	v_rcp_f32_e32 v101, v99
	v_sub_f32_e32 v35, v38, v99
	v_add_f32_e32 v100, v34, v35
	v_add_f32_e32 v35, v36, v37
	v_mul_f32_e32 v103, v35, v101
	v_sub_f32_e32 v34, v36, v35
	v_mul_f32_e32 v36, v99, v103
	v_fma_f32 v38, v103, v99, -v36
	v_fmac_f32_e32 v38, v103, v100
	v_add_f32_e32 v102, v37, v34
	v_add_f32_e32 v34, v36, v38
	v_sub_f32_e32 v37, v35, v34
	v_pk_add_f32 v[96:97], v[34:35], v[36:37] neg_lo:[0,1] neg_hi:[0,1]
	v_mov_b32_e32 v39, v34
	v_pk_add_f32 v[34:35], v[96:97], v[38:39] neg_lo:[0,1] neg_hi:[0,1]
	v_cmp_eq_f32_e32 vcc, s60, v114
	v_add_f32_e32 v35, v102, v35
	v_add_f32_e32 v34, v34, v35
	;; [unrolled: 1-line block ×3, first 2 shown]
	v_mul_f32_e32 v102, v101, v35
	v_mul_f32_e32 v36, v99, v102
	v_fma_f32 v38, v102, v99, -v36
	v_fmac_f32_e32 v38, v102, v100
	v_sub_f32_e32 v37, v37, v35
	v_add_f32_e32 v99, v34, v37
	v_add_f32_e32 v34, v36, v38
	v_sub_f32_e32 v37, v35, v34
	v_pk_add_f32 v[96:97], v[34:35], v[36:37] neg_lo:[0,1] neg_hi:[0,1]
	v_mov_b32_e32 v39, v34
	v_pk_add_f32 v[34:35], v[96:97], v[38:39] neg_lo:[0,1] neg_hi:[0,1]
	v_cvt_f32_i32_e32 v36, v98
	v_add_f32_e32 v35, v99, v35
	v_add_f32_e32 v34, v34, v35
	;; [unrolled: 1-line block ×4, first 2 shown]
	v_sub_f32_e32 v35, v37, v103
	v_mul_f32_e32 v34, v101, v34
	v_sub_f32_e32 v35, v102, v35
	v_add_f32_e32 v34, v35, v34
	v_add_f32_e32 v38, v37, v34
	v_mul_f32_e32 v96, v38, v38
	v_mov_b32_e32 v35, 0x3ecc95a3
	v_sub_f32_e32 v37, v38, v37
	v_fmac_f32_e32 v35, 0x3e9b6dac, v96
	v_sub_f32_e32 v34, v34, v37
	v_fmaak_f32 v35, v96, v35, 0x3f2aaada
	v_ldexp_f32 v97, v34, 1
	v_mul_f32_e32 v37, v38, v96
	v_mov_b32_e32 v34, 0x3f317218
	v_pk_mul_f32 v[34:35], v[36:37], v[34:35]
	v_ldexp_f32 v39, v38, 1
	v_fma_f32 v37, v36, s13, -v34
	v_fmamk_f32 v38, v36, 0xb102e308, v37
	v_pk_add_f32 v[36:37], v[34:35], v[38:39]
	v_mov_b32_e32 v96, v34
	v_sub_f32_e32 v39, v37, v39
	v_sub_f32_e32 v39, v35, v39
	v_add_f32_e32 v97, v97, v39
	v_pk_add_f32 v[34:35], v[36:37], v[34:35] neg_lo:[0,1] neg_hi:[0,1]
	v_pk_add_f32 v[98:99], v[36:37], v[96:97]
	v_mov_b32_e32 v39, v36
	v_mov_b32_e32 v35, v99
	v_pk_add_f32 v[100:101], v[38:39], v[34:35] neg_lo:[0,1] neg_hi:[0,1]
	v_pk_add_f32 v[34:35], v[38:39], v[34:35]
	v_mov_b32_e32 v96, v97
	v_mov_b32_e32 v38, v35
	v_pk_add_f32 v[102:103], v[38:39], v[36:37] neg_lo:[0,1] neg_hi:[0,1]
	v_mov_b32_e32 v34, v99
	v_mov_b32_e32 v39, v102
	v_pk_add_f32 v[112:113], v[98:99], v[38:39] neg_lo:[0,1] neg_hi:[0,1]
	v_mov_b32_e32 v98, v37
	v_mov_b32_e32 v99, v102
	;; [unrolled: 1-line block ×3, first 2 shown]
	v_pk_add_f32 v[34:35], v[34:35], v[98:99] neg_lo:[0,1] neg_hi:[0,1]
	v_mov_b32_e32 v97, v36
	v_pk_add_f32 v[34:35], v[96:97], v[34:35] neg_lo:[0,1] neg_hi:[0,1]
	v_mov_b32_e32 v112, v100
	v_pk_add_f32 v[36:37], v[112:113], v[34:35]
	s_mov_b32 s13, 0x33800000
	v_mov_b32_e32 v96, v37
	v_pk_add_f32 v[96:97], v[36:37], v[96:97]
	v_cmp_lt_f32_e64 s[60:61], |v114|, s13
	v_pk_add_f32 v[38:39], v[38:39], v[96:97]
	v_mov_b32_e32 v35, v96
	v_mov_b32_e32 v37, v38
	v_pk_add_f32 v[98:99], v[36:37], v[100:101] neg_lo:[0,1] neg_hi:[0,1]
	s_or_b64 vcc, vcc, s[60:61]
	v_sub_f32_e32 v36, v36, v98
	v_pk_add_f32 v[34:35], v[34:35], v[98:99] neg_lo:[0,1] neg_hi:[0,1]
	v_sub_f32_e32 v36, v100, v36
	v_add_f32_e32 v34, v34, v36
	v_add_f32_e32 v34, v34, v35
	;; [unrolled: 1-line block ×3, first 2 shown]
	v_cndmask_b32_e32 v34, v34, v114, vcc
	v_add_f32_e32 v32, v32, v34
	v_cvt_f16_f32_e32 v36, v32
.LBB408_114:
	s_or_b64 exec, exec, s[52:53]
	v_and_b32_e32 v35, 0xffff, v36
	v_mov_b32_e32 v32, v36
.LBB408_115:
	s_or_b64 exec, exec, s[56:57]
	v_and_b32_e32 v36, 16, v33
	v_mov_b32_dpp v34, v35 row_bcast:15 row_mask:0xf bank_mask:0xf
	v_cmp_ne_u32_e32 vcc, 0, v36
	s_and_saveexec_b64 s[56:57], vcc
	s_cbranch_execz .LBB408_119
; %bb.116:
	v_cvt_f32_f16_e32 v36, v34
	v_cvt_f32_f16_e32 v37, v32
	v_cmp_u_f16_e32 vcc, v34, v34
	v_cmp_u_f16_e64 s[52:53], v32, v32
	s_movk_i32 s13, 0x1f8
	v_min_f32_e32 v35, v36, v37
	v_max_f32_e32 v32, v36, v37
	v_cndmask_b32_e32 v35, v35, v36, vcc
	v_cndmask_b32_e32 v32, v32, v36, vcc
	v_cndmask_b32_e64 v35, v35, v37, s[52:53]
	v_cndmask_b32_e64 v32, v32, v37, s[52:53]
	v_cmp_neq_f32_e32 vcc, v35, v32
	v_cmp_class_f32_e64 s[52:53], v35, s13
	s_or_b64 vcc, vcc, s[52:53]
	s_and_saveexec_b64 s[52:53], vcc
	s_cbranch_execz .LBB408_118
; %bb.117:
	v_sub_f32_e32 v34, v35, v32
	s_mov_b32 s13, 0x3fb8aa3b
	v_mul_f32_e32 v35, 0x3fb8aa3b, v34
	v_fma_f32 v36, v34, s13, -v35
	v_rndne_f32_e32 v37, v35
	v_fmamk_f32 v36, v34, 0x32a5705f, v36
	v_sub_f32_e32 v35, v35, v37
	v_add_f32_e32 v35, v35, v36
	v_exp_f32_e32 v35, v35
	v_cvt_i32_f32_e32 v36, v37
	s_mov_b32 s13, 0xc2ce8ed0
	v_cmp_ngt_f32_e32 vcc, s13, v34
	s_mov_b32 s13, 0x42b17218
	v_ldexp_f32 v35, v35, v36
	v_cndmask_b32_e32 v35, 0, v35, vcc
	v_mov_b32_e32 v36, 0x7f800000
	v_cmp_nlt_f32_e32 vcc, s13, v34
	s_mov_b32 s13, 0x3f2aaaab
	s_mov_b32 s60, 0x7f800000
	v_cndmask_b32_e32 v114, v36, v35, vcc
	v_add_f32_e32 v36, 1.0, v114
	v_add_f32_e32 v34, -1.0, v36
	v_sub_f32_e32 v35, v34, v36
	v_add_f32_e32 v35, 1.0, v35
	v_sub_f32_e32 v34, v114, v34
	v_add_f32_e32 v37, v34, v35
	v_frexp_mant_f32_e32 v38, v36
	v_cvt_f64_f32_e32 v[34:35], v36
	v_frexp_exp_i32_f64_e32 v34, v[34:35]
	v_cmp_gt_f32_e32 vcc, s13, v38
	s_mov_b32 s13, 0x3f317218
	s_nop 0
	v_subbrev_co_u32_e32 v98, vcc, 0, v34, vcc
	v_sub_u32_e32 v34, 0, v98
	v_ldexp_f32 v35, v36, v34
	v_add_f32_e32 v36, -1.0, v35
	v_add_f32_e32 v38, 1.0, v35
	v_ldexp_f32 v34, v37, v34
	v_add_f32_e32 v37, 1.0, v36
	v_add_f32_e32 v39, -1.0, v38
	v_sub_f32_e32 v37, v35, v37
	v_sub_f32_e32 v35, v35, v39
	v_add_f32_e32 v37, v34, v37
	v_add_f32_e32 v34, v34, v35
	;; [unrolled: 1-line block ×3, first 2 shown]
	v_rcp_f32_e32 v101, v99
	v_sub_f32_e32 v35, v38, v99
	v_add_f32_e32 v100, v34, v35
	v_add_f32_e32 v35, v36, v37
	v_mul_f32_e32 v103, v35, v101
	v_sub_f32_e32 v34, v36, v35
	v_mul_f32_e32 v36, v99, v103
	v_fma_f32 v38, v103, v99, -v36
	v_fmac_f32_e32 v38, v103, v100
	v_add_f32_e32 v102, v37, v34
	v_add_f32_e32 v34, v36, v38
	v_sub_f32_e32 v37, v35, v34
	v_pk_add_f32 v[96:97], v[34:35], v[36:37] neg_lo:[0,1] neg_hi:[0,1]
	v_mov_b32_e32 v39, v34
	v_pk_add_f32 v[34:35], v[96:97], v[38:39] neg_lo:[0,1] neg_hi:[0,1]
	v_cmp_eq_f32_e32 vcc, s60, v114
	v_add_f32_e32 v35, v102, v35
	v_add_f32_e32 v34, v34, v35
	;; [unrolled: 1-line block ×3, first 2 shown]
	v_mul_f32_e32 v102, v101, v35
	v_mul_f32_e32 v36, v99, v102
	v_fma_f32 v38, v102, v99, -v36
	v_fmac_f32_e32 v38, v102, v100
	v_sub_f32_e32 v37, v37, v35
	v_add_f32_e32 v99, v34, v37
	v_add_f32_e32 v34, v36, v38
	v_sub_f32_e32 v37, v35, v34
	v_pk_add_f32 v[96:97], v[34:35], v[36:37] neg_lo:[0,1] neg_hi:[0,1]
	v_mov_b32_e32 v39, v34
	v_pk_add_f32 v[34:35], v[96:97], v[38:39] neg_lo:[0,1] neg_hi:[0,1]
	v_cvt_f32_i32_e32 v36, v98
	v_add_f32_e32 v35, v99, v35
	v_add_f32_e32 v34, v34, v35
	;; [unrolled: 1-line block ×4, first 2 shown]
	v_sub_f32_e32 v35, v37, v103
	v_mul_f32_e32 v34, v101, v34
	v_sub_f32_e32 v35, v102, v35
	v_add_f32_e32 v34, v35, v34
	v_add_f32_e32 v38, v37, v34
	v_mul_f32_e32 v96, v38, v38
	v_mov_b32_e32 v35, 0x3ecc95a3
	v_sub_f32_e32 v37, v38, v37
	v_fmac_f32_e32 v35, 0x3e9b6dac, v96
	v_sub_f32_e32 v34, v34, v37
	v_fmaak_f32 v35, v96, v35, 0x3f2aaada
	v_ldexp_f32 v97, v34, 1
	v_mul_f32_e32 v37, v38, v96
	v_mov_b32_e32 v34, 0x3f317218
	v_pk_mul_f32 v[34:35], v[36:37], v[34:35]
	v_ldexp_f32 v39, v38, 1
	v_fma_f32 v37, v36, s13, -v34
	v_fmamk_f32 v38, v36, 0xb102e308, v37
	v_pk_add_f32 v[36:37], v[34:35], v[38:39]
	v_mov_b32_e32 v96, v34
	v_sub_f32_e32 v39, v37, v39
	v_sub_f32_e32 v39, v35, v39
	v_add_f32_e32 v97, v97, v39
	v_pk_add_f32 v[34:35], v[36:37], v[34:35] neg_lo:[0,1] neg_hi:[0,1]
	v_pk_add_f32 v[98:99], v[36:37], v[96:97]
	v_mov_b32_e32 v39, v36
	v_mov_b32_e32 v35, v99
	v_pk_add_f32 v[100:101], v[38:39], v[34:35] neg_lo:[0,1] neg_hi:[0,1]
	v_pk_add_f32 v[34:35], v[38:39], v[34:35]
	v_mov_b32_e32 v96, v97
	v_mov_b32_e32 v38, v35
	v_pk_add_f32 v[102:103], v[38:39], v[36:37] neg_lo:[0,1] neg_hi:[0,1]
	v_mov_b32_e32 v34, v99
	v_mov_b32_e32 v39, v102
	v_pk_add_f32 v[112:113], v[98:99], v[38:39] neg_lo:[0,1] neg_hi:[0,1]
	v_mov_b32_e32 v98, v37
	v_mov_b32_e32 v99, v102
	;; [unrolled: 1-line block ×3, first 2 shown]
	v_pk_add_f32 v[34:35], v[34:35], v[98:99] neg_lo:[0,1] neg_hi:[0,1]
	v_mov_b32_e32 v97, v36
	v_pk_add_f32 v[34:35], v[96:97], v[34:35] neg_lo:[0,1] neg_hi:[0,1]
	v_mov_b32_e32 v112, v100
	v_pk_add_f32 v[36:37], v[112:113], v[34:35]
	s_mov_b32 s13, 0x33800000
	v_mov_b32_e32 v96, v37
	v_pk_add_f32 v[96:97], v[36:37], v[96:97]
	v_cmp_lt_f32_e64 s[60:61], |v114|, s13
	v_pk_add_f32 v[38:39], v[38:39], v[96:97]
	v_mov_b32_e32 v35, v96
	v_mov_b32_e32 v37, v38
	v_pk_add_f32 v[98:99], v[36:37], v[100:101] neg_lo:[0,1] neg_hi:[0,1]
	s_or_b64 vcc, vcc, s[60:61]
	v_sub_f32_e32 v36, v36, v98
	v_pk_add_f32 v[34:35], v[34:35], v[98:99] neg_lo:[0,1] neg_hi:[0,1]
	v_sub_f32_e32 v36, v100, v36
	v_add_f32_e32 v34, v34, v36
	v_add_f32_e32 v34, v34, v35
	;; [unrolled: 1-line block ×3, first 2 shown]
	v_cndmask_b32_e32 v34, v34, v114, vcc
	v_add_f32_e32 v32, v32, v34
	v_cvt_f16_f32_e32 v34, v32
.LBB408_118:
	s_or_b64 exec, exec, s[52:53]
	v_and_b32_e32 v35, 0xffff, v34
	v_mov_b32_e32 v32, v34
.LBB408_119:
	s_or_b64 exec, exec, s[56:57]
	v_mov_b32_dpp v34, v35 row_bcast:31 row_mask:0xf bank_mask:0xf
	v_cmp_lt_u32_e32 vcc, 31, v33
	s_and_saveexec_b64 s[56:57], vcc
	s_cbranch_execz .LBB408_123
; %bb.120:
	v_cvt_f32_f16_e32 v36, v34
	v_cvt_f32_f16_e32 v37, v32
	v_cmp_u_f16_e32 vcc, v34, v34
	v_cmp_u_f16_e64 s[52:53], v32, v32
	s_movk_i32 s13, 0x1f8
	v_min_f32_e32 v35, v36, v37
	v_max_f32_e32 v32, v36, v37
	v_cndmask_b32_e32 v35, v35, v36, vcc
	v_cndmask_b32_e32 v32, v32, v36, vcc
	v_cndmask_b32_e64 v35, v35, v37, s[52:53]
	v_cndmask_b32_e64 v32, v32, v37, s[52:53]
	v_cmp_neq_f32_e32 vcc, v35, v32
	v_cmp_class_f32_e64 s[52:53], v35, s13
	s_or_b64 vcc, vcc, s[52:53]
	s_and_saveexec_b64 s[52:53], vcc
	s_cbranch_execz .LBB408_122
; %bb.121:
	v_sub_f32_e32 v34, v35, v32
	s_mov_b32 s13, 0x3fb8aa3b
	v_mul_f32_e32 v35, 0x3fb8aa3b, v34
	v_fma_f32 v36, v34, s13, -v35
	v_rndne_f32_e32 v37, v35
	v_fmamk_f32 v36, v34, 0x32a5705f, v36
	v_sub_f32_e32 v35, v35, v37
	v_add_f32_e32 v35, v35, v36
	v_exp_f32_e32 v35, v35
	v_cvt_i32_f32_e32 v36, v37
	s_mov_b32 s13, 0xc2ce8ed0
	v_cmp_ngt_f32_e32 vcc, s13, v34
	s_mov_b32 s13, 0x42b17218
	v_ldexp_f32 v35, v35, v36
	v_cndmask_b32_e32 v35, 0, v35, vcc
	v_mov_b32_e32 v36, 0x7f800000
	v_cmp_nlt_f32_e32 vcc, s13, v34
	s_mov_b32 s13, 0x3f2aaaab
	s_mov_b32 s60, 0x7f800000
	v_cndmask_b32_e32 v114, v36, v35, vcc
	v_add_f32_e32 v36, 1.0, v114
	v_add_f32_e32 v34, -1.0, v36
	v_sub_f32_e32 v35, v34, v36
	v_add_f32_e32 v35, 1.0, v35
	v_sub_f32_e32 v34, v114, v34
	v_add_f32_e32 v37, v34, v35
	v_frexp_mant_f32_e32 v38, v36
	v_cvt_f64_f32_e32 v[34:35], v36
	v_frexp_exp_i32_f64_e32 v34, v[34:35]
	v_cmp_gt_f32_e32 vcc, s13, v38
	s_mov_b32 s13, 0x3f317218
	s_nop 0
	v_subbrev_co_u32_e32 v98, vcc, 0, v34, vcc
	v_sub_u32_e32 v34, 0, v98
	v_ldexp_f32 v35, v36, v34
	v_add_f32_e32 v36, -1.0, v35
	v_add_f32_e32 v38, 1.0, v35
	v_ldexp_f32 v34, v37, v34
	v_add_f32_e32 v37, 1.0, v36
	v_add_f32_e32 v39, -1.0, v38
	v_sub_f32_e32 v37, v35, v37
	v_sub_f32_e32 v35, v35, v39
	v_add_f32_e32 v37, v34, v37
	v_add_f32_e32 v34, v34, v35
	;; [unrolled: 1-line block ×3, first 2 shown]
	v_rcp_f32_e32 v101, v99
	v_sub_f32_e32 v35, v38, v99
	v_add_f32_e32 v100, v34, v35
	v_add_f32_e32 v35, v36, v37
	v_mul_f32_e32 v103, v35, v101
	v_sub_f32_e32 v34, v36, v35
	v_mul_f32_e32 v36, v99, v103
	v_fma_f32 v38, v103, v99, -v36
	v_fmac_f32_e32 v38, v103, v100
	v_add_f32_e32 v102, v37, v34
	v_add_f32_e32 v34, v36, v38
	v_sub_f32_e32 v37, v35, v34
	v_pk_add_f32 v[96:97], v[34:35], v[36:37] neg_lo:[0,1] neg_hi:[0,1]
	v_mov_b32_e32 v39, v34
	v_pk_add_f32 v[34:35], v[96:97], v[38:39] neg_lo:[0,1] neg_hi:[0,1]
	v_cmp_eq_f32_e32 vcc, s60, v114
	v_add_f32_e32 v35, v102, v35
	v_add_f32_e32 v34, v34, v35
	v_add_f32_e32 v35, v37, v34
	v_mul_f32_e32 v102, v101, v35
	v_mul_f32_e32 v36, v99, v102
	v_fma_f32 v38, v102, v99, -v36
	v_fmac_f32_e32 v38, v102, v100
	v_sub_f32_e32 v37, v37, v35
	v_add_f32_e32 v99, v34, v37
	v_add_f32_e32 v34, v36, v38
	v_sub_f32_e32 v37, v35, v34
	v_pk_add_f32 v[96:97], v[34:35], v[36:37] neg_lo:[0,1] neg_hi:[0,1]
	v_mov_b32_e32 v39, v34
	v_pk_add_f32 v[34:35], v[96:97], v[38:39] neg_lo:[0,1] neg_hi:[0,1]
	v_cvt_f32_i32_e32 v36, v98
	v_add_f32_e32 v35, v99, v35
	v_add_f32_e32 v34, v34, v35
	;; [unrolled: 1-line block ×4, first 2 shown]
	v_sub_f32_e32 v35, v37, v103
	v_mul_f32_e32 v34, v101, v34
	v_sub_f32_e32 v35, v102, v35
	v_add_f32_e32 v34, v35, v34
	v_add_f32_e32 v38, v37, v34
	v_mul_f32_e32 v96, v38, v38
	v_mov_b32_e32 v35, 0x3ecc95a3
	v_sub_f32_e32 v37, v38, v37
	v_fmac_f32_e32 v35, 0x3e9b6dac, v96
	v_sub_f32_e32 v34, v34, v37
	v_fmaak_f32 v35, v96, v35, 0x3f2aaada
	v_ldexp_f32 v97, v34, 1
	v_mul_f32_e32 v37, v38, v96
	v_mov_b32_e32 v34, 0x3f317218
	v_pk_mul_f32 v[34:35], v[36:37], v[34:35]
	v_ldexp_f32 v39, v38, 1
	v_fma_f32 v37, v36, s13, -v34
	v_fmamk_f32 v38, v36, 0xb102e308, v37
	v_pk_add_f32 v[36:37], v[34:35], v[38:39]
	v_mov_b32_e32 v96, v34
	v_sub_f32_e32 v39, v37, v39
	v_sub_f32_e32 v39, v35, v39
	v_add_f32_e32 v97, v97, v39
	v_pk_add_f32 v[34:35], v[36:37], v[34:35] neg_lo:[0,1] neg_hi:[0,1]
	v_pk_add_f32 v[98:99], v[36:37], v[96:97]
	v_mov_b32_e32 v39, v36
	v_mov_b32_e32 v35, v99
	v_pk_add_f32 v[100:101], v[38:39], v[34:35] neg_lo:[0,1] neg_hi:[0,1]
	v_pk_add_f32 v[34:35], v[38:39], v[34:35]
	v_mov_b32_e32 v96, v97
	v_mov_b32_e32 v38, v35
	v_pk_add_f32 v[102:103], v[38:39], v[36:37] neg_lo:[0,1] neg_hi:[0,1]
	v_mov_b32_e32 v34, v99
	v_mov_b32_e32 v39, v102
	v_pk_add_f32 v[112:113], v[98:99], v[38:39] neg_lo:[0,1] neg_hi:[0,1]
	v_mov_b32_e32 v98, v37
	v_mov_b32_e32 v99, v102
	;; [unrolled: 1-line block ×3, first 2 shown]
	v_pk_add_f32 v[34:35], v[34:35], v[98:99] neg_lo:[0,1] neg_hi:[0,1]
	v_mov_b32_e32 v97, v36
	v_pk_add_f32 v[34:35], v[96:97], v[34:35] neg_lo:[0,1] neg_hi:[0,1]
	v_mov_b32_e32 v112, v100
	v_pk_add_f32 v[36:37], v[112:113], v[34:35]
	s_mov_b32 s13, 0x33800000
	v_mov_b32_e32 v96, v37
	v_pk_add_f32 v[96:97], v[36:37], v[96:97]
	v_cmp_lt_f32_e64 s[60:61], |v114|, s13
	v_pk_add_f32 v[38:39], v[38:39], v[96:97]
	v_mov_b32_e32 v35, v96
	v_mov_b32_e32 v37, v38
	v_pk_add_f32 v[98:99], v[36:37], v[100:101] neg_lo:[0,1] neg_hi:[0,1]
	s_or_b64 vcc, vcc, s[60:61]
	v_sub_f32_e32 v36, v36, v98
	v_pk_add_f32 v[34:35], v[34:35], v[98:99] neg_lo:[0,1] neg_hi:[0,1]
	v_sub_f32_e32 v36, v100, v36
	v_add_f32_e32 v34, v34, v36
	v_add_f32_e32 v34, v34, v35
	;; [unrolled: 1-line block ×3, first 2 shown]
	v_cndmask_b32_e32 v34, v34, v114, vcc
	v_add_f32_e32 v32, v32, v34
	v_cvt_f16_f32_e32 v34, v32
.LBB408_122:
	s_or_b64 exec, exec, s[52:53]
	v_mov_b32_e32 v32, v34
.LBB408_123:
	s_or_b64 exec, exec, s[56:57]
	v_and_b32_e32 v35, 0x3c0, v0
	v_min_u32_e32 v35, 0xc0, v35
	v_or_b32_e32 v35, 63, v35
	v_lshrrev_b32_e32 v34, 6, v0
	v_cmp_eq_u32_e32 vcc, v35, v0
	s_and_saveexec_b64 s[52:53], vcc
	s_cbranch_execz .LBB408_125
; %bb.124:
	v_lshlrev_b32_e32 v35, 1, v34
	ds_write_b16 v35, v32
.LBB408_125:
	s_or_b64 exec, exec, s[52:53]
	v_cmp_gt_u32_e32 vcc, 4, v0
	s_waitcnt lgkmcnt(0)
	s_barrier
	s_and_saveexec_b64 s[56:57], vcc
	s_cbranch_execz .LBB408_135
; %bb.126:
	ds_read_u16 v36, v10
	v_and_b32_e32 v35, 3, v33
	v_cmp_ne_u32_e32 vcc, 0, v35
	s_waitcnt lgkmcnt(0)
	v_and_b32_e32 v38, 0xffff, v36
	s_nop 1
	v_mov_b32_dpp v37, v38 row_shr:1 row_mask:0xf bank_mask:0xf
	s_and_saveexec_b64 s[60:61], vcc
	s_cbranch_execz .LBB408_130
; %bb.127:
	v_cvt_f32_f16_e32 v39, v37
	v_cvt_f32_f16_e32 v96, v36
	v_cmp_u_f16_e32 vcc, v37, v37
	v_cmp_u_f16_e64 s[52:53], v36, v36
	s_movk_i32 s13, 0x1f8
	v_min_f32_e32 v38, v39, v96
	v_max_f32_e32 v36, v39, v96
	v_cndmask_b32_e32 v38, v38, v39, vcc
	v_cndmask_b32_e32 v36, v36, v39, vcc
	v_cndmask_b32_e64 v38, v38, v96, s[52:53]
	v_cndmask_b32_e64 v36, v36, v96, s[52:53]
	v_cmp_neq_f32_e32 vcc, v38, v36
	v_cmp_class_f32_e64 s[52:53], v38, s13
	s_or_b64 vcc, vcc, s[52:53]
	s_and_saveexec_b64 s[52:53], vcc
	s_cbranch_execz .LBB408_129
; %bb.128:
	v_sub_f32_e32 v37, v38, v36
	s_mov_b32 s13, 0x3fb8aa3b
	v_mul_f32_e32 v38, 0x3fb8aa3b, v37
	v_fma_f32 v39, v37, s13, -v38
	v_rndne_f32_e32 v96, v38
	v_fmamk_f32 v39, v37, 0x32a5705f, v39
	v_sub_f32_e32 v38, v38, v96
	v_add_f32_e32 v38, v38, v39
	v_exp_f32_e32 v38, v38
	v_cvt_i32_f32_e32 v39, v96
	s_mov_b32 s13, 0xc2ce8ed0
	v_cmp_ngt_f32_e32 vcc, s13, v37
	s_mov_b32 s13, 0x42b17218
	v_ldexp_f32 v38, v38, v39
	v_cndmask_b32_e32 v38, 0, v38, vcc
	v_mov_b32_e32 v39, 0x7f800000
	v_cmp_nlt_f32_e32 vcc, s13, v37
	s_mov_b32 s13, 0x3f2aaaab
	s_mov_b32 s62, 0x7f800000
	v_cndmask_b32_e32 v118, v39, v38, vcc
	v_add_f32_e32 v37, 1.0, v118
	v_add_f32_e32 v38, -1.0, v37
	v_sub_f32_e32 v39, v38, v37
	v_add_f32_e32 v39, 1.0, v39
	v_sub_f32_e32 v38, v118, v38
	v_add_f32_e32 v96, v38, v39
	v_frexp_mant_f32_e32 v97, v37
	v_cvt_f64_f32_e32 v[38:39], v37
	v_frexp_exp_i32_f64_e32 v38, v[38:39]
	v_cmp_gt_f32_e32 vcc, s13, v97
	s_mov_b32 s13, 0x3f317218
	s_nop 0
	v_subbrev_co_u32_e32 v102, vcc, 0, v38, vcc
	v_sub_u32_e32 v38, 0, v102
	v_ldexp_f32 v37, v37, v38
	v_ldexp_f32 v38, v96, v38
	v_add_f32_e32 v96, -1.0, v37
	v_add_f32_e32 v39, 1.0, v96
	v_sub_f32_e32 v39, v37, v39
	v_add_f32_e32 v97, v38, v39
	v_add_f32_e32 v39, 1.0, v37
	v_add_f32_e32 v98, -1.0, v39
	v_sub_f32_e32 v37, v37, v98
	v_add_f32_e32 v37, v38, v37
	v_add_f32_e32 v103, v39, v37
	v_rcp_f32_e32 v112, v103
	v_sub_f32_e32 v38, v39, v103
	v_add_f32_e32 v39, v96, v97
	v_add_f32_e32 v37, v37, v38
	v_mul_f32_e32 v114, v39, v112
	v_sub_f32_e32 v38, v96, v39
	v_mul_f32_e32 v96, v103, v114
	v_fma_f32 v98, v114, v103, -v96
	v_fmac_f32_e32 v98, v114, v37
	v_add_f32_e32 v113, v97, v38
	v_add_f32_e32 v38, v96, v98
	v_sub_f32_e32 v97, v39, v38
	v_pk_add_f32 v[100:101], v[38:39], v[96:97] neg_lo:[0,1] neg_hi:[0,1]
	v_mov_b32_e32 v99, v38
	v_pk_add_f32 v[38:39], v[100:101], v[98:99] neg_lo:[0,1] neg_hi:[0,1]
	v_cmp_eq_f32_e32 vcc, s62, v118
	v_add_f32_e32 v39, v113, v39
	v_add_f32_e32 v38, v38, v39
	v_add_f32_e32 v39, v97, v38
	v_mul_f32_e32 v113, v112, v39
	v_mul_f32_e32 v96, v103, v113
	v_fma_f32 v98, v113, v103, -v96
	v_fmac_f32_e32 v98, v113, v37
	v_sub_f32_e32 v37, v97, v39
	v_add_f32_e32 v37, v38, v37
	v_add_f32_e32 v38, v96, v98
	v_sub_f32_e32 v97, v39, v38
	v_pk_add_f32 v[100:101], v[38:39], v[96:97] neg_lo:[0,1] neg_hi:[0,1]
	v_mov_b32_e32 v99, v38
	v_pk_add_f32 v[38:39], v[100:101], v[98:99] neg_lo:[0,1] neg_hi:[0,1]
	v_cvt_f32_i32_e32 v96, v102
	v_add_f32_e32 v37, v37, v39
	v_add_f32_e32 v37, v38, v37
	;; [unrolled: 1-line block ×4, first 2 shown]
	v_sub_f32_e32 v39, v38, v114
	v_mul_f32_e32 v37, v112, v37
	v_sub_f32_e32 v39, v113, v39
	v_add_f32_e32 v37, v39, v37
	v_add_f32_e32 v97, v38, v37
	v_mul_f32_e32 v98, v97, v97
	v_mov_b32_e32 v39, 0x3ecc95a3
	v_fmac_f32_e32 v39, 0x3e9b6dac, v98
	v_sub_f32_e32 v38, v97, v38
	v_fmaak_f32 v39, v98, v39, 0x3f2aaada
	v_sub_f32_e32 v37, v37, v38
	v_ldexp_f32 v99, v97, 1
	v_mul_f32_e32 v97, v97, v98
	v_mov_b32_e32 v38, 0x3f317218
	v_pk_mul_f32 v[38:39], v[96:97], v[38:39]
	v_ldexp_f32 v37, v37, 1
	v_fma_f32 v97, v96, s13, -v38
	v_fmamk_f32 v98, v96, 0xb102e308, v97
	v_pk_add_f32 v[96:97], v[38:39], v[98:99]
	v_mov_b32_e32 v100, v38
	v_sub_f32_e32 v99, v97, v99
	v_sub_f32_e32 v99, v39, v99
	v_add_f32_e32 v101, v37, v99
	v_pk_add_f32 v[38:39], v[96:97], v[38:39] neg_lo:[0,1] neg_hi:[0,1]
	v_pk_add_f32 v[102:103], v[96:97], v[100:101]
	v_mov_b32_e32 v99, v96
	v_mov_b32_e32 v39, v103
	v_pk_add_f32 v[112:113], v[98:99], v[38:39] neg_lo:[0,1] neg_hi:[0,1]
	v_pk_add_f32 v[38:39], v[98:99], v[38:39]
	v_mov_b32_e32 v100, v101
	v_mov_b32_e32 v98, v39
	v_pk_add_f32 v[114:115], v[98:99], v[96:97] neg_lo:[0,1] neg_hi:[0,1]
	v_mov_b32_e32 v38, v103
	v_mov_b32_e32 v37, v114
	v_pk_add_f32 v[116:117], v[102:103], v[36:37] neg_lo:[0,1] neg_hi:[0,1]
	v_mov_b32_e32 v102, v97
	v_mov_b32_e32 v103, v114
	;; [unrolled: 1-line block ×3, first 2 shown]
	v_pk_add_f32 v[38:39], v[38:39], v[102:103] neg_lo:[0,1] neg_hi:[0,1]
	v_mov_b32_e32 v101, v96
	v_pk_add_f32 v[38:39], v[100:101], v[38:39] neg_lo:[0,1] neg_hi:[0,1]
	v_mov_b32_e32 v116, v112
	v_pk_add_f32 v[96:97], v[116:117], v[38:39]
	s_mov_b32 s13, 0x33800000
	v_mov_b32_e32 v100, v97
	v_pk_add_f32 v[100:101], v[96:97], v[100:101]
	v_cmp_lt_f32_e64 s[62:63], |v118|, s13
	v_pk_add_f32 v[98:99], v[98:99], v[100:101]
	v_mov_b32_e32 v39, v100
	v_mov_b32_e32 v97, v98
	v_pk_add_f32 v[102:103], v[96:97], v[112:113] neg_lo:[0,1] neg_hi:[0,1]
	s_or_b64 vcc, vcc, s[62:63]
	v_sub_f32_e32 v37, v96, v102
	v_pk_add_f32 v[38:39], v[38:39], v[102:103] neg_lo:[0,1] neg_hi:[0,1]
	v_sub_f32_e32 v37, v112, v37
	v_add_f32_e32 v37, v38, v37
	v_add_f32_e32 v37, v37, v39
	;; [unrolled: 1-line block ×3, first 2 shown]
	v_cndmask_b32_e32 v37, v37, v118, vcc
	v_add_f32_e32 v36, v36, v37
	v_cvt_f16_f32_e32 v37, v36
.LBB408_129:
	s_or_b64 exec, exec, s[52:53]
	v_and_b32_e32 v38, 0xffff, v37
	v_mov_b32_e32 v36, v37
.LBB408_130:
	s_or_b64 exec, exec, s[60:61]
	v_mov_b32_dpp v37, v38 row_shr:2 row_mask:0xf bank_mask:0xf
	v_cmp_lt_u32_e32 vcc, 1, v35
	s_and_saveexec_b64 s[60:61], vcc
	s_cbranch_execz .LBB408_134
; %bb.131:
	v_cvt_f32_f16_e32 v35, v37
	v_cvt_f32_f16_e32 v38, v36
	v_cmp_u_f16_e32 vcc, v37, v37
	v_cmp_u_f16_e64 s[52:53], v36, v36
	s_movk_i32 s13, 0x1f8
	v_min_f32_e32 v39, v35, v38
	v_cndmask_b32_e32 v39, v39, v35, vcc
	v_cndmask_b32_e64 v36, v39, v38, s[52:53]
	v_max_f32_e32 v39, v35, v38
	v_cndmask_b32_e32 v35, v39, v35, vcc
	v_cndmask_b32_e64 v35, v35, v38, s[52:53]
	v_cmp_neq_f32_e32 vcc, v36, v35
	v_cmp_class_f32_e64 s[52:53], v36, s13
	s_or_b64 vcc, vcc, s[52:53]
	s_and_saveexec_b64 s[52:53], vcc
	s_cbranch_execz .LBB408_133
; %bb.132:
	v_sub_f32_e32 v36, v36, v35
	s_mov_b32 s13, 0x3fb8aa3b
	v_mul_f32_e32 v37, 0x3fb8aa3b, v36
	v_fma_f32 v38, v36, s13, -v37
	v_rndne_f32_e32 v39, v37
	v_fmamk_f32 v38, v36, 0x32a5705f, v38
	v_sub_f32_e32 v37, v37, v39
	v_add_f32_e32 v37, v37, v38
	v_exp_f32_e32 v37, v37
	v_cvt_i32_f32_e32 v38, v39
	s_mov_b32 s13, 0xc2ce8ed0
	v_cmp_ngt_f32_e32 vcc, s13, v36
	s_mov_b32 s13, 0x42b17218
	v_ldexp_f32 v37, v37, v38
	v_cndmask_b32_e32 v37, 0, v37, vcc
	v_mov_b32_e32 v38, 0x7f800000
	v_cmp_nlt_f32_e32 vcc, s13, v36
	s_mov_b32 s13, 0x3f2aaaab
	s_mov_b32 s62, 0x7f800000
	v_cndmask_b32_e32 v116, v38, v37, vcc
	v_add_f32_e32 v38, 1.0, v116
	v_add_f32_e32 v36, -1.0, v38
	v_sub_f32_e32 v37, v36, v38
	v_add_f32_e32 v37, 1.0, v37
	v_sub_f32_e32 v36, v116, v36
	v_add_f32_e32 v39, v36, v37
	v_frexp_mant_f32_e32 v96, v38
	v_cvt_f64_f32_e32 v[36:37], v38
	v_frexp_exp_i32_f64_e32 v36, v[36:37]
	v_cmp_gt_f32_e32 vcc, s13, v96
	s_mov_b32 s13, 0x3f317218
	s_nop 0
	v_subbrev_co_u32_e32 v100, vcc, 0, v36, vcc
	v_sub_u32_e32 v36, 0, v100
	v_ldexp_f32 v37, v38, v36
	v_add_f32_e32 v38, -1.0, v37
	v_add_f32_e32 v96, 1.0, v37
	v_ldexp_f32 v36, v39, v36
	v_add_f32_e32 v39, 1.0, v38
	v_add_f32_e32 v97, -1.0, v96
	v_sub_f32_e32 v39, v37, v39
	v_sub_f32_e32 v37, v37, v97
	v_add_f32_e32 v39, v36, v39
	v_add_f32_e32 v36, v36, v37
	;; [unrolled: 1-line block ×3, first 2 shown]
	v_rcp_f32_e32 v103, v101
	v_sub_f32_e32 v37, v96, v101
	v_add_f32_e32 v102, v36, v37
	v_add_f32_e32 v37, v38, v39
	v_mul_f32_e32 v113, v37, v103
	v_sub_f32_e32 v36, v38, v37
	v_mul_f32_e32 v38, v101, v113
	v_fma_f32 v96, v113, v101, -v38
	v_fmac_f32_e32 v96, v113, v102
	v_add_f32_e32 v112, v39, v36
	v_add_f32_e32 v36, v38, v96
	v_sub_f32_e32 v39, v37, v36
	v_pk_add_f32 v[98:99], v[36:37], v[38:39] neg_lo:[0,1] neg_hi:[0,1]
	v_mov_b32_e32 v97, v36
	v_pk_add_f32 v[36:37], v[98:99], v[96:97] neg_lo:[0,1] neg_hi:[0,1]
	v_cmp_eq_f32_e32 vcc, s62, v116
	v_add_f32_e32 v37, v112, v37
	v_add_f32_e32 v36, v36, v37
	;; [unrolled: 1-line block ×3, first 2 shown]
	v_mul_f32_e32 v112, v103, v37
	v_mul_f32_e32 v38, v101, v112
	v_fma_f32 v96, v112, v101, -v38
	v_fmac_f32_e32 v96, v112, v102
	v_sub_f32_e32 v39, v39, v37
	v_add_f32_e32 v101, v36, v39
	v_add_f32_e32 v36, v38, v96
	v_sub_f32_e32 v39, v37, v36
	v_pk_add_f32 v[98:99], v[36:37], v[38:39] neg_lo:[0,1] neg_hi:[0,1]
	v_mov_b32_e32 v97, v36
	v_pk_add_f32 v[36:37], v[98:99], v[96:97] neg_lo:[0,1] neg_hi:[0,1]
	v_cvt_f32_i32_e32 v38, v100
	v_add_f32_e32 v37, v101, v37
	v_add_f32_e32 v36, v36, v37
	v_add_f32_e32 v36, v39, v36
	v_add_f32_e32 v39, v113, v112
	v_sub_f32_e32 v37, v39, v113
	v_mul_f32_e32 v36, v103, v36
	v_sub_f32_e32 v37, v112, v37
	v_add_f32_e32 v36, v37, v36
	v_add_f32_e32 v96, v39, v36
	v_mul_f32_e32 v98, v96, v96
	v_mov_b32_e32 v37, 0x3ecc95a3
	v_sub_f32_e32 v39, v96, v39
	v_fmac_f32_e32 v37, 0x3e9b6dac, v98
	v_sub_f32_e32 v36, v36, v39
	v_fmaak_f32 v37, v98, v37, 0x3f2aaada
	v_ldexp_f32 v99, v36, 1
	v_mul_f32_e32 v39, v96, v98
	v_mov_b32_e32 v36, 0x3f317218
	v_pk_mul_f32 v[36:37], v[38:39], v[36:37]
	v_ldexp_f32 v97, v96, 1
	v_fma_f32 v39, v38, s13, -v36
	v_fmamk_f32 v96, v38, 0xb102e308, v39
	v_pk_add_f32 v[38:39], v[36:37], v[96:97]
	v_mov_b32_e32 v98, v36
	v_sub_f32_e32 v97, v39, v97
	v_sub_f32_e32 v97, v37, v97
	v_add_f32_e32 v99, v99, v97
	v_pk_add_f32 v[36:37], v[38:39], v[36:37] neg_lo:[0,1] neg_hi:[0,1]
	v_pk_add_f32 v[100:101], v[38:39], v[98:99]
	v_mov_b32_e32 v97, v38
	v_mov_b32_e32 v37, v101
	v_pk_add_f32 v[102:103], v[96:97], v[36:37] neg_lo:[0,1] neg_hi:[0,1]
	v_pk_add_f32 v[36:37], v[96:97], v[36:37]
	v_mov_b32_e32 v98, v99
	v_mov_b32_e32 v96, v37
	v_pk_add_f32 v[112:113], v[96:97], v[38:39] neg_lo:[0,1] neg_hi:[0,1]
	v_mov_b32_e32 v36, v101
	v_mov_b32_e32 v97, v112
	v_pk_add_f32 v[114:115], v[100:101], v[96:97] neg_lo:[0,1] neg_hi:[0,1]
	v_mov_b32_e32 v100, v39
	v_mov_b32_e32 v101, v112
	;; [unrolled: 1-line block ×3, first 2 shown]
	v_pk_add_f32 v[36:37], v[36:37], v[100:101] neg_lo:[0,1] neg_hi:[0,1]
	v_mov_b32_e32 v99, v38
	v_pk_add_f32 v[36:37], v[98:99], v[36:37] neg_lo:[0,1] neg_hi:[0,1]
	v_mov_b32_e32 v114, v102
	v_pk_add_f32 v[38:39], v[114:115], v[36:37]
	s_mov_b32 s13, 0x33800000
	v_mov_b32_e32 v98, v39
	v_pk_add_f32 v[98:99], v[38:39], v[98:99]
	v_cmp_lt_f32_e64 s[62:63], |v116|, s13
	v_pk_add_f32 v[96:97], v[96:97], v[98:99]
	v_mov_b32_e32 v37, v98
	v_mov_b32_e32 v39, v96
	v_pk_add_f32 v[100:101], v[38:39], v[102:103] neg_lo:[0,1] neg_hi:[0,1]
	s_or_b64 vcc, vcc, s[62:63]
	v_sub_f32_e32 v38, v38, v100
	v_pk_add_f32 v[36:37], v[36:37], v[100:101] neg_lo:[0,1] neg_hi:[0,1]
	v_sub_f32_e32 v38, v102, v38
	v_add_f32_e32 v36, v36, v38
	v_add_f32_e32 v36, v36, v37
	;; [unrolled: 1-line block ×3, first 2 shown]
	v_cndmask_b32_e32 v36, v36, v116, vcc
	v_add_f32_e32 v35, v35, v36
	v_cvt_f16_f32_e32 v37, v35
.LBB408_133:
	s_or_b64 exec, exec, s[52:53]
	v_mov_b32_e32 v36, v37
.LBB408_134:
	s_or_b64 exec, exec, s[60:61]
	ds_write_b16 v10, v36
.LBB408_135:
	s_or_b64 exec, exec, s[56:57]
	v_cmp_gt_u32_e32 vcc, 64, v0
	v_cmp_lt_u32_e64 s[52:53], 63, v0
	s_waitcnt lgkmcnt(0)
	s_barrier
	s_waitcnt lgkmcnt(0)
                                        ; implicit-def: $vgpr96
	s_and_saveexec_b64 s[56:57], s[52:53]
	s_cbranch_execz .LBB408_139
; %bb.136:
	v_lshl_add_u32 v34, v34, 1, -2
	ds_read_u16 v96, v34
	v_cvt_f32_f16_e32 v34, v32
	s_movk_i32 s13, 0x1f8
	s_waitcnt lgkmcnt(0)
	v_cvt_f32_f16_e32 v35, v96
	v_cmp_u_f16_e64 s[52:53], v96, v96
	v_min_f32_e32 v36, v35, v34
	v_max_f32_e32 v37, v35, v34
	v_cndmask_b32_e64 v36, v36, v35, s[52:53]
	v_cndmask_b32_e64 v37, v37, v35, s[52:53]
	v_cmp_u_f16_e64 s[52:53], v32, v32
	v_mov_b32_e32 v32, v96
	s_nop 0
	v_cndmask_b32_e64 v35, v36, v34, s[52:53]
	v_cndmask_b32_e64 v34, v37, v34, s[52:53]
	v_cmp_neq_f32_e64 s[52:53], v35, v34
	v_cmp_class_f32_e64 s[60:61], v35, s13
	s_or_b64 s[52:53], s[52:53], s[60:61]
	s_and_saveexec_b64 s[60:61], s[52:53]
	s_cbranch_execz .LBB408_138
; %bb.137:
	v_sub_f32_e32 v32, v35, v34
	s_mov_b32 s13, 0x3fb8aa3b
	v_mul_f32_e32 v35, 0x3fb8aa3b, v32
	v_fma_f32 v36, v32, s13, -v35
	v_rndne_f32_e32 v37, v35
	v_fmamk_f32 v36, v32, 0x32a5705f, v36
	v_sub_f32_e32 v35, v35, v37
	v_add_f32_e32 v35, v35, v36
	v_exp_f32_e32 v35, v35
	v_cvt_i32_f32_e32 v36, v37
	s_mov_b32 s13, 0xc2ce8ed0
	v_cmp_ngt_f32_e64 s[52:53], s13, v32
	s_mov_b32 s13, 0x42b17218
	v_ldexp_f32 v35, v35, v36
	v_cndmask_b32_e64 v35, 0, v35, s[52:53]
	v_mov_b32_e32 v36, 0x7f800000
	v_cmp_nlt_f32_e64 s[52:53], s13, v32
	s_mov_b32 s13, 0x3f2aaaab
	s_mov_b32 s62, 0x7f800000
	v_cndmask_b32_e64 v97, v36, v35, s[52:53]
	v_add_f32_e32 v32, 1.0, v97
	v_add_f32_e32 v35, -1.0, v32
	v_sub_f32_e32 v36, v35, v32
	v_add_f32_e32 v36, 1.0, v36
	v_sub_f32_e32 v35, v97, v35
	v_add_f32_e32 v35, v35, v36
	v_frexp_mant_f32_e32 v38, v32
	v_cvt_f64_f32_e32 v[36:37], v32
	v_frexp_exp_i32_f64_e32 v36, v[36:37]
	v_cmp_gt_f32_e64 s[52:53], s13, v38
	s_mov_b32 s13, 0x3f317218
	s_nop 0
	v_subbrev_co_u32_e64 v102, s[52:53], 0, v36, s[52:53]
	v_sub_u32_e32 v36, 0, v102
	v_ldexp_f32 v32, v32, v36
	v_ldexp_f32 v35, v35, v36
	v_add_f32_e32 v36, -1.0, v32
	v_add_f32_e32 v37, 1.0, v36
	v_sub_f32_e32 v37, v32, v37
	v_add_f32_e32 v38, v35, v37
	v_add_f32_e32 v37, 1.0, v32
	v_add_f32_e32 v39, -1.0, v37
	v_sub_f32_e32 v32, v32, v39
	v_add_f32_e32 v32, v35, v32
	v_add_f32_e32 v35, v37, v32
	v_rcp_f32_e32 v103, v35
	v_sub_f32_e32 v37, v37, v35
	v_add_f32_e32 v32, v32, v37
	v_add_f32_e32 v37, v36, v38
	v_sub_f32_e32 v36, v36, v37
	v_mul_f32_e32 v113, v37, v103
	v_add_f32_e32 v112, v38, v36
	v_mul_f32_e32 v38, v35, v113
	v_fma_f32 v98, v113, v35, -v38
	v_fmac_f32_e32 v98, v113, v32
	v_add_f32_e32 v36, v38, v98
	v_sub_f32_e32 v39, v37, v36
	v_pk_add_f32 v[100:101], v[36:37], v[38:39] neg_lo:[0,1] neg_hi:[0,1]
	v_mov_b32_e32 v99, v36
	v_pk_add_f32 v[36:37], v[100:101], v[98:99] neg_lo:[0,1] neg_hi:[0,1]
	v_cmp_eq_f32_e64 s[52:53], s62, v97
	v_add_f32_e32 v37, v112, v37
	v_add_f32_e32 v36, v36, v37
	;; [unrolled: 1-line block ×3, first 2 shown]
	v_mul_f32_e32 v112, v103, v37
	v_mul_f32_e32 v38, v35, v112
	v_fma_f32 v98, v112, v35, -v38
	v_fmac_f32_e32 v98, v112, v32
	v_sub_f32_e32 v32, v39, v37
	v_add_f32_e32 v32, v36, v32
	v_add_f32_e32 v36, v38, v98
	v_sub_f32_e32 v39, v37, v36
	v_pk_add_f32 v[100:101], v[36:37], v[38:39] neg_lo:[0,1] neg_hi:[0,1]
	v_mov_b32_e32 v99, v36
	v_pk_add_f32 v[36:37], v[100:101], v[98:99] neg_lo:[0,1] neg_hi:[0,1]
	v_add_f32_e32 v35, v113, v112
	v_add_f32_e32 v32, v32, v37
	v_add_f32_e32 v32, v36, v32
	v_add_f32_e32 v32, v39, v32
	v_sub_f32_e32 v36, v35, v113
	v_mul_f32_e32 v32, v103, v32
	v_sub_f32_e32 v36, v112, v36
	v_add_f32_e32 v32, v36, v32
	v_add_f32_e32 v36, v35, v32
	v_cvt_f32_i32_e32 v38, v102
	v_mul_f32_e32 v39, v36, v36
	v_mov_b32_e32 v37, 0x3ecc95a3
	v_fmac_f32_e32 v37, 0x3e9b6dac, v39
	v_fmaak_f32 v37, v39, v37, 0x3f2aaada
	v_sub_f32_e32 v35, v36, v35
	v_ldexp_f32 v99, v36, 1
	v_mul_f32_e32 v39, v36, v39
	v_mov_b32_e32 v36, 0x3f317218
	v_pk_mul_f32 v[36:37], v[38:39], v[36:37]
	v_sub_f32_e32 v32, v32, v35
	v_fma_f32 v35, v38, s13, -v36
	v_fmamk_f32 v98, v38, 0xb102e308, v35
	v_pk_add_f32 v[38:39], v[36:37], v[98:99]
	v_ldexp_f32 v32, v32, 1
	v_sub_f32_e32 v35, v39, v99
	v_sub_f32_e32 v35, v37, v35
	v_add_f32_e32 v101, v32, v35
	v_mov_b32_e32 v100, v36
	v_pk_add_f32 v[36:37], v[38:39], v[36:37] neg_lo:[0,1] neg_hi:[0,1]
	v_pk_add_f32 v[102:103], v[38:39], v[100:101]
	v_mov_b32_e32 v99, v38
	v_mov_b32_e32 v37, v103
	v_pk_add_f32 v[112:113], v[98:99], v[36:37] neg_lo:[0,1] neg_hi:[0,1]
	v_pk_add_f32 v[36:37], v[98:99], v[36:37]
	s_mov_b32 s13, 0x33800000
	v_mov_b32_e32 v32, v37
	v_pk_add_f32 v[98:99], v[32:33], v[38:39] neg_lo:[0,1] neg_hi:[0,1]
	v_mov_b32_e32 v36, v103
	v_mov_b32_e32 v35, v98
	v_pk_add_f32 v[114:115], v[102:103], v[34:35] neg_lo:[0,1] neg_hi:[0,1]
	v_mov_b32_e32 v102, v39
	v_mov_b32_e32 v103, v98
	v_mov_b32_e32 v113, v37
	v_pk_add_f32 v[36:37], v[36:37], v[102:103] neg_lo:[0,1] neg_hi:[0,1]
	v_mov_b32_e32 v98, v101
	v_mov_b32_e32 v99, v38
	v_pk_add_f32 v[36:37], v[98:99], v[36:37] neg_lo:[0,1] neg_hi:[0,1]
	v_mov_b32_e32 v114, v112
	v_pk_add_f32 v[38:39], v[114:115], v[36:37]
	v_cmp_lt_f32_e64 s[62:63], |v97|, s13
	v_mov_b32_e32 v98, v39
	v_pk_add_f32 v[98:99], v[38:39], v[98:99]
	s_or_b64 s[52:53], s[52:53], s[62:63]
	v_pk_add_f32 v[100:101], v[32:33], v[98:99]
	v_mov_b32_e32 v37, v98
	v_mov_b32_e32 v39, v100
	v_pk_add_f32 v[102:103], v[38:39], v[112:113] neg_lo:[0,1] neg_hi:[0,1]
	s_nop 0
	v_sub_f32_e32 v32, v38, v102
	v_pk_add_f32 v[36:37], v[36:37], v[102:103] neg_lo:[0,1] neg_hi:[0,1]
	v_sub_f32_e32 v32, v112, v32
	v_add_f32_e32 v32, v36, v32
	v_add_f32_e32 v32, v32, v37
	;; [unrolled: 1-line block ×3, first 2 shown]
	v_cndmask_b32_e64 v32, v32, v97, s[52:53]
	v_add_f32_e32 v32, v34, v32
	v_cvt_f16_f32_e32 v32, v32
.LBB408_138:
	s_or_b64 exec, exec, s[60:61]
.LBB408_139:
	s_or_b64 exec, exec, s[56:57]
	v_add_u32_e32 v34, -1, v33
	v_and_b32_e32 v35, 64, v33
	v_cmp_lt_i32_e64 s[52:53], v34, v35
	v_and_b32_e32 v32, 0xffff, v32
	s_nop 0
	v_cndmask_b32_e64 v34, v34, v33, s[52:53]
	v_lshlrev_b32_e32 v34, 2, v34
	ds_bpermute_b32 v97, v34, v32
	v_cmp_eq_u32_e64 s[52:53], 0, v33
	s_and_saveexec_b64 s[60:61], vcc
	s_cbranch_execz .LBB408_214
; %bb.140:
	v_mov_b32_e32 v37, 0
	ds_read_u16 v98, v37 offset:6
	s_and_saveexec_b64 vcc, s[52:53]
	s_cbranch_execz .LBB408_142
; %bb.141:
	s_add_i32 s56, s12, 64
	s_mov_b32 s57, 0
	v_lshl_add_u64 v[34:35], s[56:57], 2, v[28:29]
	s_waitcnt lgkmcnt(0)
	v_or_b32_e32 v32, 0x10000, v98
	flat_store_dword v[34:35], v32 sc1
.LBB408_142:
	s_or_b64 exec, exec, vcc
	v_xad_u32 v32, v33, -1, s12
	v_add_u32_e32 v36, 64, v32
	v_lshl_add_u64 v[34:35], v[36:37], 2, v[28:29]
	flat_load_dword v132, v[34:35] sc1
	s_waitcnt vmcnt(0) lgkmcnt(0)
	v_lshrrev_b32_e32 v101, 16, v132
	v_cmp_eq_u16_sdwa s[56:57], v101, v37 src0_sel:BYTE_0 src1_sel:DWORD
	s_and_saveexec_b64 vcc, s[56:57]
	s_cbranch_execz .LBB408_148
; %bb.143:
	s_mov_b32 s13, 1
	s_mov_b64 s[56:57], 0
	v_mov_b32_e32 v36, 0
.LBB408_144:                            ; =>This Loop Header: Depth=1
                                        ;     Child Loop BB408_145 Depth 2
	s_max_u32 s62, s13, 1
.LBB408_145:                            ;   Parent Loop BB408_144 Depth=1
                                        ; =>  This Inner Loop Header: Depth=2
	s_add_i32 s62, s62, -1
	s_cmp_eq_u32 s62, 0
	s_sleep 1
	s_cbranch_scc0 .LBB408_145
; %bb.146:                              ;   in Loop: Header=BB408_144 Depth=1
	flat_load_dword v132, v[34:35] sc1
	s_cmp_lt_u32 s13, 32
	s_cselect_b64 s[62:63], -1, 0
	s_cmp_lg_u64 s[62:63], 0
	s_addc_u32 s13, s13, 0
	s_waitcnt vmcnt(0) lgkmcnt(0)
	v_lshrrev_b32_e32 v101, 16, v132
	v_cmp_ne_u16_sdwa s[62:63], v101, v36 src0_sel:BYTE_0 src1_sel:DWORD
	s_or_b64 s[56:57], s[62:63], s[56:57]
	s_andn2_b64 exec, exec, s[56:57]
	s_cbranch_execnz .LBB408_144
; %bb.147:
	s_or_b64 exec, exec, s[56:57]
.LBB408_148:
	s_or_b64 exec, exec, vcc
	v_mov_b32_e32 v34, 2
	v_cmp_eq_u16_sdwa vcc, v101, v34 src0_sel:BYTE_0 src1_sel:DWORD
	v_lshlrev_b64 v[34:35], v33, -1
	v_and_b32_e32 v99, 63, v33
	v_and_b32_e32 v36, vcc_hi, v35
	v_and_b32_e32 v39, vcc_lo, v34
	v_cmp_ne_u32_e32 vcc, 63, v99
	v_and_b32_e32 v37, 0xffff, v132
	v_or_b32_e32 v36, 0x80000000, v36
	v_addc_co_u32_e32 v38, vcc, 0, v33, vcc
	v_lshlrev_b32_e32 v100, 2, v38
	ds_bpermute_b32 v38, v100, v37
	v_ffbl_b32_e32 v36, v36
	v_add_u32_e32 v36, 32, v36
	v_ffbl_b32_e32 v39, v39
	v_min_u32_e32 v36, v39, v36
	v_cmp_lt_u32_e32 vcc, v99, v36
	s_and_saveexec_b64 s[62:63], vcc
	s_cbranch_execz .LBB408_152
; %bb.149:
	s_waitcnt lgkmcnt(0)
	v_cvt_f32_f16_e32 v37, v38
	v_cvt_f32_f16_e32 v102, v132
	v_cmp_u_f16_e32 vcc, v38, v38
	v_cmp_u_f16_e64 s[56:57], v132, v132
	s_movk_i32 s13, 0x1f8
	v_min_f32_e32 v39, v37, v102
	v_max_f32_e32 v103, v37, v102
	v_cndmask_b32_e32 v39, v39, v37, vcc
	v_cndmask_b32_e32 v37, v103, v37, vcc
	v_cndmask_b32_e64 v39, v39, v102, s[56:57]
	v_cndmask_b32_e64 v37, v37, v102, s[56:57]
	v_cmp_neq_f32_e32 vcc, v39, v37
	v_cmp_class_f32_e64 s[56:57], v39, s13
	s_or_b64 vcc, vcc, s[56:57]
	s_and_saveexec_b64 s[56:57], vcc
	s_cbranch_execz .LBB408_151
; %bb.150:
	v_sub_f32_e32 v38, v39, v37
	s_mov_b32 s13, 0x3fb8aa3b
	v_mul_f32_e32 v39, 0x3fb8aa3b, v38
	v_fma_f32 v102, v38, s13, -v39
	v_rndne_f32_e32 v103, v39
	v_fmamk_f32 v102, v38, 0x32a5705f, v102
	v_sub_f32_e32 v39, v39, v103
	v_add_f32_e32 v39, v39, v102
	v_exp_f32_e32 v39, v39
	v_cvt_i32_f32_e32 v102, v103
	s_mov_b32 s13, 0xc2ce8ed0
	v_cmp_ngt_f32_e32 vcc, s13, v38
	s_mov_b32 s13, 0x42b17218
	v_ldexp_f32 v39, v39, v102
	v_cndmask_b32_e32 v39, 0, v39, vcc
	v_mov_b32_e32 v102, 0x7f800000
	v_cmp_nlt_f32_e32 vcc, s13, v38
	s_mov_b32 s13, 0x3f2aaaab
	s_mov_b32 s64, 0x7f800000
	v_cndmask_b32_e32 v132, v102, v39, vcc
	v_add_f32_e32 v102, 1.0, v132
	v_add_f32_e32 v38, -1.0, v102
	v_sub_f32_e32 v39, v38, v102
	v_add_f32_e32 v39, 1.0, v39
	v_sub_f32_e32 v38, v132, v38
	v_add_f32_e32 v103, v38, v39
	v_frexp_mant_f32_e32 v112, v102
	v_cvt_f64_f32_e32 v[38:39], v102
	v_frexp_exp_i32_f64_e32 v38, v[38:39]
	v_cmp_gt_f32_e32 vcc, s13, v112
	s_mov_b32 s13, 0x3f317218
	s_nop 0
	v_subbrev_co_u32_e32 v116, vcc, 0, v38, vcc
	v_sub_u32_e32 v38, 0, v116
	v_ldexp_f32 v39, v102, v38
	v_add_f32_e32 v102, -1.0, v39
	v_add_f32_e32 v112, 1.0, v39
	v_ldexp_f32 v38, v103, v38
	v_add_f32_e32 v103, 1.0, v102
	v_add_f32_e32 v113, -1.0, v112
	v_sub_f32_e32 v103, v39, v103
	v_sub_f32_e32 v39, v39, v113
	v_add_f32_e32 v103, v38, v103
	v_add_f32_e32 v38, v38, v39
	;; [unrolled: 1-line block ×3, first 2 shown]
	v_rcp_f32_e32 v119, v117
	v_sub_f32_e32 v39, v112, v117
	v_add_f32_e32 v118, v38, v39
	v_add_f32_e32 v39, v102, v103
	v_mul_f32_e32 v129, v39, v119
	v_sub_f32_e32 v38, v102, v39
	v_mul_f32_e32 v102, v117, v129
	v_fma_f32 v112, v129, v117, -v102
	v_fmac_f32_e32 v112, v129, v118
	v_add_f32_e32 v128, v103, v38
	v_add_f32_e32 v38, v102, v112
	v_sub_f32_e32 v103, v39, v38
	v_pk_add_f32 v[114:115], v[38:39], v[102:103] neg_lo:[0,1] neg_hi:[0,1]
	v_mov_b32_e32 v113, v38
	v_pk_add_f32 v[38:39], v[114:115], v[112:113] neg_lo:[0,1] neg_hi:[0,1]
	v_cmp_eq_f32_e32 vcc, s64, v132
	v_add_f32_e32 v39, v128, v39
	v_add_f32_e32 v38, v38, v39
	;; [unrolled: 1-line block ×3, first 2 shown]
	v_mul_f32_e32 v128, v119, v39
	v_mul_f32_e32 v102, v117, v128
	v_fma_f32 v112, v128, v117, -v102
	v_fmac_f32_e32 v112, v128, v118
	v_sub_f32_e32 v103, v103, v39
	v_add_f32_e32 v117, v38, v103
	v_add_f32_e32 v38, v102, v112
	v_sub_f32_e32 v103, v39, v38
	v_pk_add_f32 v[114:115], v[38:39], v[102:103] neg_lo:[0,1] neg_hi:[0,1]
	v_mov_b32_e32 v113, v38
	v_pk_add_f32 v[38:39], v[114:115], v[112:113] neg_lo:[0,1] neg_hi:[0,1]
	v_cvt_f32_i32_e32 v102, v116
	v_add_f32_e32 v39, v117, v39
	v_add_f32_e32 v38, v38, v39
	;; [unrolled: 1-line block ×4, first 2 shown]
	v_sub_f32_e32 v39, v103, v129
	v_mul_f32_e32 v38, v119, v38
	v_sub_f32_e32 v39, v128, v39
	v_add_f32_e32 v38, v39, v38
	v_add_f32_e32 v112, v103, v38
	v_mul_f32_e32 v114, v112, v112
	v_mov_b32_e32 v39, 0x3ecc95a3
	v_sub_f32_e32 v103, v112, v103
	v_fmac_f32_e32 v39, 0x3e9b6dac, v114
	v_sub_f32_e32 v38, v38, v103
	v_fmaak_f32 v39, v114, v39, 0x3f2aaada
	v_ldexp_f32 v115, v38, 1
	v_mul_f32_e32 v103, v112, v114
	v_mov_b32_e32 v38, 0x3f317218
	v_pk_mul_f32 v[38:39], v[102:103], v[38:39]
	v_ldexp_f32 v113, v112, 1
	v_fma_f32 v103, v102, s13, -v38
	v_fmamk_f32 v112, v102, 0xb102e308, v103
	v_pk_add_f32 v[102:103], v[38:39], v[112:113]
	v_mov_b32_e32 v114, v38
	v_sub_f32_e32 v113, v103, v113
	v_sub_f32_e32 v113, v39, v113
	v_add_f32_e32 v115, v115, v113
	v_pk_add_f32 v[38:39], v[102:103], v[38:39] neg_lo:[0,1] neg_hi:[0,1]
	v_pk_add_f32 v[116:117], v[102:103], v[114:115]
	v_mov_b32_e32 v113, v102
	v_mov_b32_e32 v39, v117
	v_pk_add_f32 v[118:119], v[112:113], v[38:39] neg_lo:[0,1] neg_hi:[0,1]
	v_pk_add_f32 v[38:39], v[112:113], v[38:39]
	v_mov_b32_e32 v114, v115
	v_mov_b32_e32 v112, v39
	v_pk_add_f32 v[128:129], v[112:113], v[102:103] neg_lo:[0,1] neg_hi:[0,1]
	v_mov_b32_e32 v38, v117
	v_mov_b32_e32 v113, v128
	v_pk_add_f32 v[130:131], v[116:117], v[112:113] neg_lo:[0,1] neg_hi:[0,1]
	v_mov_b32_e32 v116, v103
	v_mov_b32_e32 v117, v128
	;; [unrolled: 1-line block ×3, first 2 shown]
	v_pk_add_f32 v[38:39], v[38:39], v[116:117] neg_lo:[0,1] neg_hi:[0,1]
	v_mov_b32_e32 v115, v102
	v_pk_add_f32 v[38:39], v[114:115], v[38:39] neg_lo:[0,1] neg_hi:[0,1]
	v_mov_b32_e32 v130, v118
	v_pk_add_f32 v[102:103], v[130:131], v[38:39]
	s_mov_b32 s13, 0x33800000
	v_mov_b32_e32 v114, v103
	v_pk_add_f32 v[114:115], v[102:103], v[114:115]
	v_cmp_lt_f32_e64 s[64:65], |v132|, s13
	v_pk_add_f32 v[112:113], v[112:113], v[114:115]
	v_mov_b32_e32 v39, v114
	v_mov_b32_e32 v103, v112
	v_pk_add_f32 v[116:117], v[102:103], v[118:119] neg_lo:[0,1] neg_hi:[0,1]
	s_or_b64 vcc, vcc, s[64:65]
	v_sub_f32_e32 v102, v102, v116
	v_pk_add_f32 v[38:39], v[38:39], v[116:117] neg_lo:[0,1] neg_hi:[0,1]
	v_sub_f32_e32 v102, v118, v102
	v_add_f32_e32 v38, v38, v102
	v_add_f32_e32 v38, v38, v39
	;; [unrolled: 1-line block ×3, first 2 shown]
	v_cndmask_b32_e32 v38, v38, v132, vcc
	v_add_f32_e32 v37, v37, v38
	v_cvt_f16_f32_e32 v38, v37
.LBB408_151:
	s_or_b64 exec, exec, s[56:57]
	v_and_b32_e32 v37, 0xffff, v38
	v_mov_b32_e32 v132, v38
.LBB408_152:
	s_or_b64 exec, exec, s[62:63]
	v_cmp_gt_u32_e32 vcc, 62, v99
	v_add_u32_e32 v103, 2, v99
	s_waitcnt lgkmcnt(0)
	v_cndmask_b32_e64 v38, 0, 1, vcc
	v_lshlrev_b32_e32 v38, 1, v38
	v_add_lshl_u32 v102, v38, v33, 2
	ds_bpermute_b32 v38, v102, v37
	v_cmp_le_u32_e32 vcc, v103, v36
	s_and_saveexec_b64 s[62:63], vcc
	s_cbranch_execz .LBB408_156
; %bb.153:
	s_waitcnt lgkmcnt(0)
	v_cvt_f32_f16_e32 v37, v38
	v_cvt_f32_f16_e32 v112, v132
	v_cmp_u_f16_e32 vcc, v38, v38
	v_cmp_u_f16_e64 s[56:57], v132, v132
	s_movk_i32 s13, 0x1f8
	v_min_f32_e32 v39, v37, v112
	v_max_f32_e32 v113, v37, v112
	v_cndmask_b32_e32 v39, v39, v37, vcc
	v_cndmask_b32_e32 v37, v113, v37, vcc
	v_cndmask_b32_e64 v39, v39, v112, s[56:57]
	v_cndmask_b32_e64 v37, v37, v112, s[56:57]
	v_cmp_neq_f32_e32 vcc, v39, v37
	v_cmp_class_f32_e64 s[56:57], v39, s13
	s_or_b64 vcc, vcc, s[56:57]
	s_and_saveexec_b64 s[56:57], vcc
	s_cbranch_execz .LBB408_155
; %bb.154:
	v_sub_f32_e32 v38, v39, v37
	s_mov_b32 s13, 0x3fb8aa3b
	v_mul_f32_e32 v39, 0x3fb8aa3b, v38
	v_fma_f32 v112, v38, s13, -v39
	v_rndne_f32_e32 v113, v39
	v_fmamk_f32 v112, v38, 0x32a5705f, v112
	v_sub_f32_e32 v39, v39, v113
	v_add_f32_e32 v39, v39, v112
	v_exp_f32_e32 v39, v39
	v_cvt_i32_f32_e32 v112, v113
	s_mov_b32 s13, 0xc2ce8ed0
	v_cmp_ngt_f32_e32 vcc, s13, v38
	s_mov_b32 s13, 0x42b17218
	v_ldexp_f32 v39, v39, v112
	v_cndmask_b32_e32 v39, 0, v39, vcc
	v_mov_b32_e32 v112, 0x7f800000
	v_cmp_nlt_f32_e32 vcc, s13, v38
	s_mov_b32 s13, 0x3f2aaaab
	s_mov_b32 s64, 0x7f800000
	v_cndmask_b32_e32 v134, v112, v39, vcc
	v_add_f32_e32 v112, 1.0, v134
	v_add_f32_e32 v38, -1.0, v112
	v_sub_f32_e32 v39, v38, v112
	v_add_f32_e32 v39, 1.0, v39
	v_sub_f32_e32 v38, v134, v38
	v_add_f32_e32 v113, v38, v39
	v_frexp_mant_f32_e32 v114, v112
	v_cvt_f64_f32_e32 v[38:39], v112
	v_frexp_exp_i32_f64_e32 v38, v[38:39]
	v_cmp_gt_f32_e32 vcc, s13, v114
	s_mov_b32 s13, 0x3f317218
	s_nop 0
	v_subbrev_co_u32_e32 v118, vcc, 0, v38, vcc
	v_sub_u32_e32 v38, 0, v118
	v_ldexp_f32 v39, v112, v38
	v_add_f32_e32 v112, -1.0, v39
	v_add_f32_e32 v114, 1.0, v39
	v_ldexp_f32 v38, v113, v38
	v_add_f32_e32 v113, 1.0, v112
	v_add_f32_e32 v115, -1.0, v114
	v_sub_f32_e32 v113, v39, v113
	v_sub_f32_e32 v39, v39, v115
	v_add_f32_e32 v113, v38, v113
	v_add_f32_e32 v38, v38, v39
	;; [unrolled: 1-line block ×3, first 2 shown]
	v_rcp_f32_e32 v129, v119
	v_sub_f32_e32 v39, v114, v119
	v_add_f32_e32 v128, v38, v39
	v_add_f32_e32 v39, v112, v113
	v_mul_f32_e32 v131, v39, v129
	v_sub_f32_e32 v38, v112, v39
	v_mul_f32_e32 v112, v119, v131
	v_fma_f32 v114, v131, v119, -v112
	v_fmac_f32_e32 v114, v131, v128
	v_add_f32_e32 v130, v113, v38
	v_add_f32_e32 v38, v112, v114
	v_sub_f32_e32 v113, v39, v38
	v_pk_add_f32 v[116:117], v[38:39], v[112:113] neg_lo:[0,1] neg_hi:[0,1]
	v_mov_b32_e32 v115, v38
	v_pk_add_f32 v[38:39], v[116:117], v[114:115] neg_lo:[0,1] neg_hi:[0,1]
	v_cmp_eq_f32_e32 vcc, s64, v134
	v_add_f32_e32 v39, v130, v39
	v_add_f32_e32 v38, v38, v39
	v_add_f32_e32 v39, v113, v38
	v_mul_f32_e32 v130, v129, v39
	v_mul_f32_e32 v112, v119, v130
	v_fma_f32 v114, v130, v119, -v112
	v_fmac_f32_e32 v114, v130, v128
	v_sub_f32_e32 v113, v113, v39
	v_add_f32_e32 v119, v38, v113
	v_add_f32_e32 v38, v112, v114
	v_sub_f32_e32 v113, v39, v38
	v_pk_add_f32 v[116:117], v[38:39], v[112:113] neg_lo:[0,1] neg_hi:[0,1]
	v_mov_b32_e32 v115, v38
	v_pk_add_f32 v[38:39], v[116:117], v[114:115] neg_lo:[0,1] neg_hi:[0,1]
	v_cvt_f32_i32_e32 v112, v118
	v_add_f32_e32 v39, v119, v39
	v_add_f32_e32 v38, v38, v39
	;; [unrolled: 1-line block ×4, first 2 shown]
	v_sub_f32_e32 v39, v113, v131
	v_mul_f32_e32 v38, v129, v38
	v_sub_f32_e32 v39, v130, v39
	v_add_f32_e32 v38, v39, v38
	v_add_f32_e32 v114, v113, v38
	v_mul_f32_e32 v116, v114, v114
	v_mov_b32_e32 v39, 0x3ecc95a3
	v_sub_f32_e32 v113, v114, v113
	v_fmac_f32_e32 v39, 0x3e9b6dac, v116
	v_sub_f32_e32 v38, v38, v113
	v_fmaak_f32 v39, v116, v39, 0x3f2aaada
	v_ldexp_f32 v117, v38, 1
	v_mul_f32_e32 v113, v114, v116
	v_mov_b32_e32 v38, 0x3f317218
	v_pk_mul_f32 v[38:39], v[112:113], v[38:39]
	v_ldexp_f32 v115, v114, 1
	v_fma_f32 v113, v112, s13, -v38
	v_fmamk_f32 v114, v112, 0xb102e308, v113
	v_pk_add_f32 v[112:113], v[38:39], v[114:115]
	v_mov_b32_e32 v116, v38
	v_sub_f32_e32 v115, v113, v115
	v_sub_f32_e32 v115, v39, v115
	v_add_f32_e32 v117, v117, v115
	v_pk_add_f32 v[38:39], v[112:113], v[38:39] neg_lo:[0,1] neg_hi:[0,1]
	v_pk_add_f32 v[118:119], v[112:113], v[116:117]
	v_mov_b32_e32 v115, v112
	v_mov_b32_e32 v39, v119
	v_pk_add_f32 v[128:129], v[114:115], v[38:39] neg_lo:[0,1] neg_hi:[0,1]
	v_pk_add_f32 v[38:39], v[114:115], v[38:39]
	v_mov_b32_e32 v116, v117
	v_mov_b32_e32 v114, v39
	v_pk_add_f32 v[130:131], v[114:115], v[112:113] neg_lo:[0,1] neg_hi:[0,1]
	v_mov_b32_e32 v38, v119
	v_mov_b32_e32 v115, v130
	v_pk_add_f32 v[132:133], v[118:119], v[114:115] neg_lo:[0,1] neg_hi:[0,1]
	v_mov_b32_e32 v118, v113
	v_mov_b32_e32 v119, v130
	;; [unrolled: 1-line block ×3, first 2 shown]
	v_pk_add_f32 v[38:39], v[38:39], v[118:119] neg_lo:[0,1] neg_hi:[0,1]
	v_mov_b32_e32 v117, v112
	v_pk_add_f32 v[38:39], v[116:117], v[38:39] neg_lo:[0,1] neg_hi:[0,1]
	v_mov_b32_e32 v132, v128
	v_pk_add_f32 v[112:113], v[132:133], v[38:39]
	s_mov_b32 s13, 0x33800000
	v_mov_b32_e32 v116, v113
	v_pk_add_f32 v[116:117], v[112:113], v[116:117]
	v_cmp_lt_f32_e64 s[64:65], |v134|, s13
	v_pk_add_f32 v[114:115], v[114:115], v[116:117]
	v_mov_b32_e32 v39, v116
	v_mov_b32_e32 v113, v114
	v_pk_add_f32 v[118:119], v[112:113], v[128:129] neg_lo:[0,1] neg_hi:[0,1]
	s_or_b64 vcc, vcc, s[64:65]
	v_sub_f32_e32 v112, v112, v118
	v_pk_add_f32 v[38:39], v[38:39], v[118:119] neg_lo:[0,1] neg_hi:[0,1]
	v_sub_f32_e32 v112, v128, v112
	v_add_f32_e32 v38, v38, v112
	v_add_f32_e32 v38, v38, v39
	;; [unrolled: 1-line block ×3, first 2 shown]
	v_cndmask_b32_e32 v38, v38, v134, vcc
	v_add_f32_e32 v37, v37, v38
	v_cvt_f16_f32_e32 v38, v37
.LBB408_155:
	s_or_b64 exec, exec, s[56:57]
	v_and_b32_e32 v37, 0xffff, v38
	v_mov_b32_e32 v132, v38
.LBB408_156:
	s_or_b64 exec, exec, s[62:63]
	v_cmp_gt_u32_e32 vcc, 60, v99
	v_add_u32_e32 v113, 4, v99
	s_waitcnt lgkmcnt(0)
	v_cndmask_b32_e64 v38, 0, 1, vcc
	v_lshlrev_b32_e32 v38, 2, v38
	v_add_lshl_u32 v112, v38, v33, 2
	ds_bpermute_b32 v38, v112, v37
	v_cmp_le_u32_e32 vcc, v113, v36
	s_and_saveexec_b64 s[62:63], vcc
	s_cbranch_execz .LBB408_160
; %bb.157:
	s_waitcnt lgkmcnt(0)
	v_cvt_f32_f16_e32 v37, v38
	v_cvt_f32_f16_e32 v114, v132
	v_cmp_u_f16_e32 vcc, v38, v38
	v_cmp_u_f16_e64 s[56:57], v132, v132
	s_movk_i32 s13, 0x1f8
	v_min_f32_e32 v39, v37, v114
	v_max_f32_e32 v115, v37, v114
	v_cndmask_b32_e32 v39, v39, v37, vcc
	v_cndmask_b32_e32 v37, v115, v37, vcc
	v_cndmask_b32_e64 v39, v39, v114, s[56:57]
	v_cndmask_b32_e64 v37, v37, v114, s[56:57]
	v_cmp_neq_f32_e32 vcc, v39, v37
	v_cmp_class_f32_e64 s[56:57], v39, s13
	s_or_b64 vcc, vcc, s[56:57]
	s_and_saveexec_b64 s[56:57], vcc
	s_cbranch_execz .LBB408_159
; %bb.158:
	v_sub_f32_e32 v38, v39, v37
	s_mov_b32 s13, 0x3fb8aa3b
	v_mul_f32_e32 v39, 0x3fb8aa3b, v38
	v_fma_f32 v114, v38, s13, -v39
	v_rndne_f32_e32 v115, v39
	v_fmamk_f32 v114, v38, 0x32a5705f, v114
	v_sub_f32_e32 v39, v39, v115
	v_add_f32_e32 v39, v39, v114
	v_exp_f32_e32 v39, v39
	v_cvt_i32_f32_e32 v114, v115
	s_mov_b32 s13, 0xc2ce8ed0
	v_cmp_ngt_f32_e32 vcc, s13, v38
	s_mov_b32 s13, 0x42b17218
	v_ldexp_f32 v39, v39, v114
	v_cndmask_b32_e32 v39, 0, v39, vcc
	v_mov_b32_e32 v114, 0x7f800000
	v_cmp_nlt_f32_e32 vcc, s13, v38
	s_mov_b32 s13, 0x3f2aaaab
	s_mov_b32 s64, 0x7f800000
	v_cndmask_b32_e32 v144, v114, v39, vcc
	v_add_f32_e32 v114, 1.0, v144
	v_add_f32_e32 v38, -1.0, v114
	v_sub_f32_e32 v39, v38, v114
	v_add_f32_e32 v39, 1.0, v39
	v_sub_f32_e32 v38, v144, v38
	v_add_f32_e32 v115, v38, v39
	v_frexp_mant_f32_e32 v116, v114
	v_cvt_f64_f32_e32 v[38:39], v114
	v_frexp_exp_i32_f64_e32 v38, v[38:39]
	v_cmp_gt_f32_e32 vcc, s13, v116
	s_mov_b32 s13, 0x3f317218
	s_nop 0
	v_subbrev_co_u32_e32 v128, vcc, 0, v38, vcc
	v_sub_u32_e32 v38, 0, v128
	v_ldexp_f32 v39, v114, v38
	v_add_f32_e32 v114, -1.0, v39
	v_add_f32_e32 v116, 1.0, v39
	v_ldexp_f32 v38, v115, v38
	v_add_f32_e32 v115, 1.0, v114
	v_add_f32_e32 v117, -1.0, v116
	v_sub_f32_e32 v115, v39, v115
	v_sub_f32_e32 v39, v39, v117
	v_add_f32_e32 v115, v38, v115
	v_add_f32_e32 v38, v38, v39
	;; [unrolled: 1-line block ×3, first 2 shown]
	v_rcp_f32_e32 v131, v129
	v_sub_f32_e32 v39, v116, v129
	v_add_f32_e32 v130, v38, v39
	v_add_f32_e32 v39, v114, v115
	v_mul_f32_e32 v133, v39, v131
	v_sub_f32_e32 v38, v114, v39
	v_mul_f32_e32 v114, v129, v133
	v_fma_f32 v116, v133, v129, -v114
	v_fmac_f32_e32 v116, v133, v130
	v_add_f32_e32 v132, v115, v38
	v_add_f32_e32 v38, v114, v116
	v_sub_f32_e32 v115, v39, v38
	v_pk_add_f32 v[118:119], v[38:39], v[114:115] neg_lo:[0,1] neg_hi:[0,1]
	v_mov_b32_e32 v117, v38
	v_pk_add_f32 v[38:39], v[118:119], v[116:117] neg_lo:[0,1] neg_hi:[0,1]
	v_cmp_eq_f32_e32 vcc, s64, v144
	v_add_f32_e32 v39, v132, v39
	v_add_f32_e32 v38, v38, v39
	;; [unrolled: 1-line block ×3, first 2 shown]
	v_mul_f32_e32 v132, v131, v39
	v_mul_f32_e32 v114, v129, v132
	v_fma_f32 v116, v132, v129, -v114
	v_fmac_f32_e32 v116, v132, v130
	v_sub_f32_e32 v115, v115, v39
	v_add_f32_e32 v129, v38, v115
	v_add_f32_e32 v38, v114, v116
	v_sub_f32_e32 v115, v39, v38
	v_pk_add_f32 v[118:119], v[38:39], v[114:115] neg_lo:[0,1] neg_hi:[0,1]
	v_mov_b32_e32 v117, v38
	v_pk_add_f32 v[38:39], v[118:119], v[116:117] neg_lo:[0,1] neg_hi:[0,1]
	v_cvt_f32_i32_e32 v114, v128
	v_add_f32_e32 v39, v129, v39
	v_add_f32_e32 v38, v38, v39
	;; [unrolled: 1-line block ×4, first 2 shown]
	v_sub_f32_e32 v39, v115, v133
	v_mul_f32_e32 v38, v131, v38
	v_sub_f32_e32 v39, v132, v39
	v_add_f32_e32 v38, v39, v38
	v_add_f32_e32 v116, v115, v38
	v_mul_f32_e32 v118, v116, v116
	v_mov_b32_e32 v39, 0x3ecc95a3
	v_sub_f32_e32 v115, v116, v115
	v_fmac_f32_e32 v39, 0x3e9b6dac, v118
	v_sub_f32_e32 v38, v38, v115
	v_fmaak_f32 v39, v118, v39, 0x3f2aaada
	v_ldexp_f32 v119, v38, 1
	v_mul_f32_e32 v115, v116, v118
	v_mov_b32_e32 v38, 0x3f317218
	v_pk_mul_f32 v[38:39], v[114:115], v[38:39]
	v_ldexp_f32 v117, v116, 1
	v_fma_f32 v115, v114, s13, -v38
	v_fmamk_f32 v116, v114, 0xb102e308, v115
	v_pk_add_f32 v[114:115], v[38:39], v[116:117]
	v_mov_b32_e32 v118, v38
	v_sub_f32_e32 v117, v115, v117
	v_sub_f32_e32 v117, v39, v117
	v_add_f32_e32 v119, v119, v117
	v_pk_add_f32 v[38:39], v[114:115], v[38:39] neg_lo:[0,1] neg_hi:[0,1]
	v_pk_add_f32 v[128:129], v[114:115], v[118:119]
	v_mov_b32_e32 v117, v114
	v_mov_b32_e32 v39, v129
	v_pk_add_f32 v[130:131], v[116:117], v[38:39] neg_lo:[0,1] neg_hi:[0,1]
	v_pk_add_f32 v[38:39], v[116:117], v[38:39]
	v_mov_b32_e32 v118, v119
	v_mov_b32_e32 v116, v39
	v_pk_add_f32 v[132:133], v[116:117], v[114:115] neg_lo:[0,1] neg_hi:[0,1]
	v_mov_b32_e32 v38, v129
	v_mov_b32_e32 v117, v132
	v_pk_add_f32 v[134:135], v[128:129], v[116:117] neg_lo:[0,1] neg_hi:[0,1]
	v_mov_b32_e32 v128, v115
	v_mov_b32_e32 v129, v132
	;; [unrolled: 1-line block ×3, first 2 shown]
	v_pk_add_f32 v[38:39], v[38:39], v[128:129] neg_lo:[0,1] neg_hi:[0,1]
	v_mov_b32_e32 v119, v114
	v_pk_add_f32 v[38:39], v[118:119], v[38:39] neg_lo:[0,1] neg_hi:[0,1]
	v_mov_b32_e32 v134, v130
	v_pk_add_f32 v[114:115], v[134:135], v[38:39]
	s_mov_b32 s13, 0x33800000
	v_mov_b32_e32 v118, v115
	v_pk_add_f32 v[118:119], v[114:115], v[118:119]
	v_cmp_lt_f32_e64 s[64:65], |v144|, s13
	v_pk_add_f32 v[116:117], v[116:117], v[118:119]
	v_mov_b32_e32 v39, v118
	v_mov_b32_e32 v115, v116
	v_pk_add_f32 v[128:129], v[114:115], v[130:131] neg_lo:[0,1] neg_hi:[0,1]
	s_or_b64 vcc, vcc, s[64:65]
	v_sub_f32_e32 v114, v114, v128
	v_pk_add_f32 v[38:39], v[38:39], v[128:129] neg_lo:[0,1] neg_hi:[0,1]
	v_sub_f32_e32 v114, v130, v114
	v_add_f32_e32 v38, v38, v114
	v_add_f32_e32 v38, v38, v39
	;; [unrolled: 1-line block ×3, first 2 shown]
	v_cndmask_b32_e32 v38, v38, v144, vcc
	v_add_f32_e32 v37, v37, v38
	v_cvt_f16_f32_e32 v38, v37
.LBB408_159:
	s_or_b64 exec, exec, s[56:57]
	v_and_b32_e32 v37, 0xffff, v38
	v_mov_b32_e32 v132, v38
.LBB408_160:
	s_or_b64 exec, exec, s[62:63]
	v_cmp_gt_u32_e32 vcc, 56, v99
	v_add_u32_e32 v115, 8, v99
	s_waitcnt lgkmcnt(0)
	v_cndmask_b32_e64 v38, 0, 1, vcc
	v_lshlrev_b32_e32 v38, 3, v38
	v_add_lshl_u32 v114, v38, v33, 2
	ds_bpermute_b32 v38, v114, v37
	v_cmp_le_u32_e32 vcc, v115, v36
	s_and_saveexec_b64 s[62:63], vcc
	s_cbranch_execz .LBB408_164
; %bb.161:
	s_waitcnt lgkmcnt(0)
	v_cvt_f32_f16_e32 v37, v38
	v_cvt_f32_f16_e32 v116, v132
	v_cmp_u_f16_e32 vcc, v38, v38
	v_cmp_u_f16_e64 s[56:57], v132, v132
	s_movk_i32 s13, 0x1f8
	v_min_f32_e32 v39, v37, v116
	v_max_f32_e32 v117, v37, v116
	v_cndmask_b32_e32 v39, v39, v37, vcc
	v_cndmask_b32_e32 v37, v117, v37, vcc
	v_cndmask_b32_e64 v39, v39, v116, s[56:57]
	v_cndmask_b32_e64 v37, v37, v116, s[56:57]
	v_cmp_neq_f32_e32 vcc, v39, v37
	v_cmp_class_f32_e64 s[56:57], v39, s13
	s_or_b64 vcc, vcc, s[56:57]
	s_and_saveexec_b64 s[56:57], vcc
	s_cbranch_execz .LBB408_163
; %bb.162:
	v_sub_f32_e32 v38, v39, v37
	s_mov_b32 s13, 0x3fb8aa3b
	v_mul_f32_e32 v39, 0x3fb8aa3b, v38
	v_fma_f32 v116, v38, s13, -v39
	v_rndne_f32_e32 v117, v39
	v_fmamk_f32 v116, v38, 0x32a5705f, v116
	v_sub_f32_e32 v39, v39, v117
	v_add_f32_e32 v39, v39, v116
	v_exp_f32_e32 v39, v39
	v_cvt_i32_f32_e32 v116, v117
	s_mov_b32 s13, 0xc2ce8ed0
	v_cmp_ngt_f32_e32 vcc, s13, v38
	s_mov_b32 s13, 0x42b17218
	v_ldexp_f32 v39, v39, v116
	v_cndmask_b32_e32 v39, 0, v39, vcc
	v_mov_b32_e32 v116, 0x7f800000
	v_cmp_nlt_f32_e32 vcc, s13, v38
	s_mov_b32 s13, 0x3f2aaaab
	s_mov_b32 s64, 0x7f800000
	v_cndmask_b32_e32 v146, v116, v39, vcc
	v_add_f32_e32 v116, 1.0, v146
	v_add_f32_e32 v38, -1.0, v116
	v_sub_f32_e32 v39, v38, v116
	v_add_f32_e32 v39, 1.0, v39
	v_sub_f32_e32 v38, v146, v38
	v_add_f32_e32 v117, v38, v39
	v_frexp_mant_f32_e32 v118, v116
	v_cvt_f64_f32_e32 v[38:39], v116
	v_frexp_exp_i32_f64_e32 v38, v[38:39]
	v_cmp_gt_f32_e32 vcc, s13, v118
	s_mov_b32 s13, 0x3f317218
	s_nop 0
	v_subbrev_co_u32_e32 v130, vcc, 0, v38, vcc
	v_sub_u32_e32 v38, 0, v130
	v_ldexp_f32 v39, v116, v38
	v_add_f32_e32 v116, -1.0, v39
	v_add_f32_e32 v118, 1.0, v39
	v_ldexp_f32 v38, v117, v38
	v_add_f32_e32 v117, 1.0, v116
	v_add_f32_e32 v119, -1.0, v118
	v_sub_f32_e32 v117, v39, v117
	v_sub_f32_e32 v39, v39, v119
	v_add_f32_e32 v117, v38, v117
	v_add_f32_e32 v38, v38, v39
	;; [unrolled: 1-line block ×3, first 2 shown]
	v_rcp_f32_e32 v133, v131
	v_sub_f32_e32 v39, v118, v131
	v_add_f32_e32 v132, v38, v39
	v_add_f32_e32 v39, v116, v117
	v_mul_f32_e32 v135, v39, v133
	v_sub_f32_e32 v38, v116, v39
	v_mul_f32_e32 v116, v131, v135
	v_fma_f32 v118, v135, v131, -v116
	v_fmac_f32_e32 v118, v135, v132
	v_add_f32_e32 v134, v117, v38
	v_add_f32_e32 v38, v116, v118
	v_sub_f32_e32 v117, v39, v38
	v_pk_add_f32 v[128:129], v[38:39], v[116:117] neg_lo:[0,1] neg_hi:[0,1]
	v_mov_b32_e32 v119, v38
	v_pk_add_f32 v[38:39], v[128:129], v[118:119] neg_lo:[0,1] neg_hi:[0,1]
	v_cmp_eq_f32_e32 vcc, s64, v146
	v_add_f32_e32 v39, v134, v39
	v_add_f32_e32 v38, v38, v39
	;; [unrolled: 1-line block ×3, first 2 shown]
	v_mul_f32_e32 v134, v133, v39
	v_mul_f32_e32 v116, v131, v134
	v_fma_f32 v118, v134, v131, -v116
	v_fmac_f32_e32 v118, v134, v132
	v_sub_f32_e32 v117, v117, v39
	v_add_f32_e32 v131, v38, v117
	v_add_f32_e32 v38, v116, v118
	v_sub_f32_e32 v117, v39, v38
	v_pk_add_f32 v[128:129], v[38:39], v[116:117] neg_lo:[0,1] neg_hi:[0,1]
	v_mov_b32_e32 v119, v38
	v_pk_add_f32 v[38:39], v[128:129], v[118:119] neg_lo:[0,1] neg_hi:[0,1]
	v_cvt_f32_i32_e32 v116, v130
	v_add_f32_e32 v39, v131, v39
	v_add_f32_e32 v38, v38, v39
	v_add_f32_e32 v38, v117, v38
	v_add_f32_e32 v117, v135, v134
	v_sub_f32_e32 v39, v117, v135
	v_mul_f32_e32 v38, v133, v38
	v_sub_f32_e32 v39, v134, v39
	v_add_f32_e32 v38, v39, v38
	v_add_f32_e32 v118, v117, v38
	v_mul_f32_e32 v128, v118, v118
	v_mov_b32_e32 v39, 0x3ecc95a3
	v_sub_f32_e32 v117, v118, v117
	v_fmac_f32_e32 v39, 0x3e9b6dac, v128
	v_sub_f32_e32 v38, v38, v117
	v_fmaak_f32 v39, v128, v39, 0x3f2aaada
	v_ldexp_f32 v129, v38, 1
	v_mul_f32_e32 v117, v118, v128
	v_mov_b32_e32 v38, 0x3f317218
	v_pk_mul_f32 v[38:39], v[116:117], v[38:39]
	v_ldexp_f32 v119, v118, 1
	v_fma_f32 v117, v116, s13, -v38
	v_fmamk_f32 v118, v116, 0xb102e308, v117
	v_pk_add_f32 v[116:117], v[38:39], v[118:119]
	v_mov_b32_e32 v128, v38
	v_sub_f32_e32 v119, v117, v119
	v_sub_f32_e32 v119, v39, v119
	v_add_f32_e32 v129, v129, v119
	v_pk_add_f32 v[38:39], v[116:117], v[38:39] neg_lo:[0,1] neg_hi:[0,1]
	v_pk_add_f32 v[130:131], v[116:117], v[128:129]
	v_mov_b32_e32 v119, v116
	v_mov_b32_e32 v39, v131
	v_pk_add_f32 v[132:133], v[118:119], v[38:39] neg_lo:[0,1] neg_hi:[0,1]
	v_pk_add_f32 v[38:39], v[118:119], v[38:39]
	v_mov_b32_e32 v128, v129
	v_mov_b32_e32 v118, v39
	v_pk_add_f32 v[134:135], v[118:119], v[116:117] neg_lo:[0,1] neg_hi:[0,1]
	v_mov_b32_e32 v38, v131
	v_mov_b32_e32 v119, v134
	v_pk_add_f32 v[144:145], v[130:131], v[118:119] neg_lo:[0,1] neg_hi:[0,1]
	v_mov_b32_e32 v130, v117
	v_mov_b32_e32 v131, v134
	;; [unrolled: 1-line block ×3, first 2 shown]
	v_pk_add_f32 v[38:39], v[38:39], v[130:131] neg_lo:[0,1] neg_hi:[0,1]
	v_mov_b32_e32 v129, v116
	v_pk_add_f32 v[38:39], v[128:129], v[38:39] neg_lo:[0,1] neg_hi:[0,1]
	v_mov_b32_e32 v144, v132
	v_pk_add_f32 v[116:117], v[144:145], v[38:39]
	s_mov_b32 s13, 0x33800000
	v_mov_b32_e32 v128, v117
	v_pk_add_f32 v[128:129], v[116:117], v[128:129]
	v_cmp_lt_f32_e64 s[64:65], |v146|, s13
	v_pk_add_f32 v[118:119], v[118:119], v[128:129]
	v_mov_b32_e32 v39, v128
	v_mov_b32_e32 v117, v118
	v_pk_add_f32 v[130:131], v[116:117], v[132:133] neg_lo:[0,1] neg_hi:[0,1]
	s_or_b64 vcc, vcc, s[64:65]
	v_sub_f32_e32 v116, v116, v130
	v_pk_add_f32 v[38:39], v[38:39], v[130:131] neg_lo:[0,1] neg_hi:[0,1]
	v_sub_f32_e32 v116, v132, v116
	v_add_f32_e32 v38, v38, v116
	v_add_f32_e32 v38, v38, v39
	;; [unrolled: 1-line block ×3, first 2 shown]
	v_cndmask_b32_e32 v38, v38, v146, vcc
	v_add_f32_e32 v37, v37, v38
	v_cvt_f16_f32_e32 v38, v37
.LBB408_163:
	s_or_b64 exec, exec, s[56:57]
	v_and_b32_e32 v37, 0xffff, v38
	v_mov_b32_e32 v132, v38
.LBB408_164:
	s_or_b64 exec, exec, s[62:63]
	v_cmp_gt_u32_e32 vcc, 48, v99
	v_add_u32_e32 v117, 16, v99
	s_waitcnt lgkmcnt(0)
	v_cndmask_b32_e64 v38, 0, 1, vcc
	v_lshlrev_b32_e32 v38, 4, v38
	v_add_lshl_u32 v116, v38, v33, 2
	ds_bpermute_b32 v38, v116, v37
	v_cmp_le_u32_e32 vcc, v117, v36
	s_and_saveexec_b64 s[62:63], vcc
	s_cbranch_execz .LBB408_168
; %bb.165:
	s_waitcnt lgkmcnt(0)
	v_cvt_f32_f16_e32 v37, v38
	v_cvt_f32_f16_e32 v118, v132
	v_cmp_u_f16_e32 vcc, v38, v38
	v_cmp_u_f16_e64 s[56:57], v132, v132
	s_movk_i32 s13, 0x1f8
	v_min_f32_e32 v39, v37, v118
	v_max_f32_e32 v119, v37, v118
	v_cndmask_b32_e32 v39, v39, v37, vcc
	v_cndmask_b32_e32 v37, v119, v37, vcc
	v_cndmask_b32_e64 v39, v39, v118, s[56:57]
	v_cndmask_b32_e64 v37, v37, v118, s[56:57]
	v_cmp_neq_f32_e32 vcc, v39, v37
	v_cmp_class_f32_e64 s[56:57], v39, s13
	s_or_b64 vcc, vcc, s[56:57]
	s_and_saveexec_b64 s[56:57], vcc
	s_cbranch_execz .LBB408_167
; %bb.166:
	v_sub_f32_e32 v38, v39, v37
	s_mov_b32 s13, 0x3fb8aa3b
	v_mul_f32_e32 v39, 0x3fb8aa3b, v38
	v_fma_f32 v118, v38, s13, -v39
	v_rndne_f32_e32 v119, v39
	v_fmamk_f32 v118, v38, 0x32a5705f, v118
	v_sub_f32_e32 v39, v39, v119
	v_add_f32_e32 v39, v39, v118
	v_exp_f32_e32 v39, v39
	v_cvt_i32_f32_e32 v118, v119
	s_mov_b32 s13, 0xc2ce8ed0
	v_cmp_ngt_f32_e32 vcc, s13, v38
	s_mov_b32 s13, 0x42b17218
	v_ldexp_f32 v39, v39, v118
	v_cndmask_b32_e32 v39, 0, v39, vcc
	v_mov_b32_e32 v118, 0x7f800000
	v_cmp_nlt_f32_e32 vcc, s13, v38
	s_mov_b32 s13, 0x3f2aaaab
	s_mov_b32 s64, 0x7f800000
	v_cndmask_b32_e32 v148, v118, v39, vcc
	v_add_f32_e32 v118, 1.0, v148
	v_add_f32_e32 v38, -1.0, v118
	v_sub_f32_e32 v39, v38, v118
	v_add_f32_e32 v39, 1.0, v39
	v_sub_f32_e32 v38, v148, v38
	v_add_f32_e32 v119, v38, v39
	v_frexp_mant_f32_e32 v128, v118
	v_cvt_f64_f32_e32 v[38:39], v118
	v_frexp_exp_i32_f64_e32 v38, v[38:39]
	v_cmp_gt_f32_e32 vcc, s13, v128
	s_mov_b32 s13, 0x3f317218
	s_nop 0
	v_subbrev_co_u32_e32 v132, vcc, 0, v38, vcc
	v_sub_u32_e32 v38, 0, v132
	v_ldexp_f32 v39, v118, v38
	v_add_f32_e32 v118, -1.0, v39
	v_add_f32_e32 v128, 1.0, v39
	v_ldexp_f32 v38, v119, v38
	v_add_f32_e32 v119, 1.0, v118
	v_add_f32_e32 v129, -1.0, v128
	v_sub_f32_e32 v119, v39, v119
	v_sub_f32_e32 v39, v39, v129
	v_add_f32_e32 v119, v38, v119
	v_add_f32_e32 v38, v38, v39
	;; [unrolled: 1-line block ×3, first 2 shown]
	v_rcp_f32_e32 v135, v133
	v_sub_f32_e32 v39, v128, v133
	v_add_f32_e32 v134, v38, v39
	v_add_f32_e32 v39, v118, v119
	v_mul_f32_e32 v145, v39, v135
	v_sub_f32_e32 v38, v118, v39
	v_mul_f32_e32 v118, v133, v145
	v_fma_f32 v128, v145, v133, -v118
	v_fmac_f32_e32 v128, v145, v134
	v_add_f32_e32 v144, v119, v38
	v_add_f32_e32 v38, v118, v128
	v_sub_f32_e32 v119, v39, v38
	v_pk_add_f32 v[130:131], v[38:39], v[118:119] neg_lo:[0,1] neg_hi:[0,1]
	v_mov_b32_e32 v129, v38
	v_pk_add_f32 v[38:39], v[130:131], v[128:129] neg_lo:[0,1] neg_hi:[0,1]
	v_cmp_eq_f32_e32 vcc, s64, v148
	v_add_f32_e32 v39, v144, v39
	v_add_f32_e32 v38, v38, v39
	;; [unrolled: 1-line block ×3, first 2 shown]
	v_mul_f32_e32 v144, v135, v39
	v_mul_f32_e32 v118, v133, v144
	v_fma_f32 v128, v144, v133, -v118
	v_fmac_f32_e32 v128, v144, v134
	v_sub_f32_e32 v119, v119, v39
	v_add_f32_e32 v133, v38, v119
	v_add_f32_e32 v38, v118, v128
	v_sub_f32_e32 v119, v39, v38
	v_pk_add_f32 v[130:131], v[38:39], v[118:119] neg_lo:[0,1] neg_hi:[0,1]
	v_mov_b32_e32 v129, v38
	v_pk_add_f32 v[38:39], v[130:131], v[128:129] neg_lo:[0,1] neg_hi:[0,1]
	v_cvt_f32_i32_e32 v118, v132
	v_add_f32_e32 v39, v133, v39
	v_add_f32_e32 v38, v38, v39
	;; [unrolled: 1-line block ×4, first 2 shown]
	v_sub_f32_e32 v39, v119, v145
	v_mul_f32_e32 v38, v135, v38
	v_sub_f32_e32 v39, v144, v39
	v_add_f32_e32 v38, v39, v38
	v_add_f32_e32 v128, v119, v38
	v_mul_f32_e32 v130, v128, v128
	v_mov_b32_e32 v39, 0x3ecc95a3
	v_sub_f32_e32 v119, v128, v119
	v_fmac_f32_e32 v39, 0x3e9b6dac, v130
	v_sub_f32_e32 v38, v38, v119
	v_fmaak_f32 v39, v130, v39, 0x3f2aaada
	v_ldexp_f32 v131, v38, 1
	v_mul_f32_e32 v119, v128, v130
	v_mov_b32_e32 v38, 0x3f317218
	v_pk_mul_f32 v[38:39], v[118:119], v[38:39]
	v_ldexp_f32 v129, v128, 1
	v_fma_f32 v119, v118, s13, -v38
	v_fmamk_f32 v128, v118, 0xb102e308, v119
	v_pk_add_f32 v[118:119], v[38:39], v[128:129]
	v_mov_b32_e32 v130, v38
	v_sub_f32_e32 v129, v119, v129
	v_sub_f32_e32 v129, v39, v129
	v_add_f32_e32 v131, v131, v129
	v_pk_add_f32 v[38:39], v[118:119], v[38:39] neg_lo:[0,1] neg_hi:[0,1]
	v_pk_add_f32 v[132:133], v[118:119], v[130:131]
	v_mov_b32_e32 v129, v118
	v_mov_b32_e32 v39, v133
	v_pk_add_f32 v[134:135], v[128:129], v[38:39] neg_lo:[0,1] neg_hi:[0,1]
	v_pk_add_f32 v[38:39], v[128:129], v[38:39]
	v_mov_b32_e32 v130, v131
	v_mov_b32_e32 v128, v39
	v_pk_add_f32 v[144:145], v[128:129], v[118:119] neg_lo:[0,1] neg_hi:[0,1]
	v_mov_b32_e32 v38, v133
	v_mov_b32_e32 v129, v144
	v_pk_add_f32 v[146:147], v[132:133], v[128:129] neg_lo:[0,1] neg_hi:[0,1]
	v_mov_b32_e32 v132, v119
	v_mov_b32_e32 v133, v144
	;; [unrolled: 1-line block ×3, first 2 shown]
	v_pk_add_f32 v[38:39], v[38:39], v[132:133] neg_lo:[0,1] neg_hi:[0,1]
	v_mov_b32_e32 v131, v118
	v_pk_add_f32 v[38:39], v[130:131], v[38:39] neg_lo:[0,1] neg_hi:[0,1]
	v_mov_b32_e32 v146, v134
	v_pk_add_f32 v[118:119], v[146:147], v[38:39]
	s_mov_b32 s13, 0x33800000
	v_mov_b32_e32 v130, v119
	v_pk_add_f32 v[130:131], v[118:119], v[130:131]
	v_cmp_lt_f32_e64 s[64:65], |v148|, s13
	v_pk_add_f32 v[128:129], v[128:129], v[130:131]
	v_mov_b32_e32 v39, v130
	v_mov_b32_e32 v119, v128
	v_pk_add_f32 v[132:133], v[118:119], v[134:135] neg_lo:[0,1] neg_hi:[0,1]
	s_or_b64 vcc, vcc, s[64:65]
	v_sub_f32_e32 v118, v118, v132
	v_pk_add_f32 v[38:39], v[38:39], v[132:133] neg_lo:[0,1] neg_hi:[0,1]
	v_sub_f32_e32 v118, v134, v118
	v_add_f32_e32 v38, v38, v118
	v_add_f32_e32 v38, v38, v39
	v_add_f32_e32 v38, v128, v38
	v_cndmask_b32_e32 v38, v38, v148, vcc
	v_add_f32_e32 v37, v37, v38
	v_cvt_f16_f32_e32 v38, v37
.LBB408_167:
	s_or_b64 exec, exec, s[56:57]
	v_and_b32_e32 v37, 0xffff, v38
	v_mov_b32_e32 v132, v38
.LBB408_168:
	s_or_b64 exec, exec, s[62:63]
	v_cmp_gt_u32_e32 vcc, 32, v99
	v_add_u32_e32 v119, 32, v99
	s_waitcnt lgkmcnt(0)
	v_cndmask_b32_e64 v38, 0, 1, vcc
	v_lshlrev_b32_e32 v38, 5, v38
	v_add_lshl_u32 v118, v38, v33, 2
	ds_bpermute_b32 v37, v118, v37
	v_cmp_le_u32_e32 vcc, v119, v36
	s_and_saveexec_b64 s[62:63], vcc
	s_cbranch_execz .LBB408_172
; %bb.169:
	s_waitcnt lgkmcnt(0)
	v_cvt_f32_f16_e32 v33, v37
	v_cvt_f32_f16_e32 v38, v132
	v_cmp_u_f16_e32 vcc, v37, v37
	v_cmp_u_f16_e64 s[56:57], v132, v132
	s_movk_i32 s13, 0x1f8
	v_min_f32_e32 v36, v33, v38
	v_max_f32_e32 v39, v33, v38
	v_cndmask_b32_e32 v36, v36, v33, vcc
	v_cndmask_b32_e32 v33, v39, v33, vcc
	v_cndmask_b32_e64 v36, v36, v38, s[56:57]
	v_cndmask_b32_e64 v33, v33, v38, s[56:57]
	v_cmp_neq_f32_e32 vcc, v36, v33
	v_cmp_class_f32_e64 s[56:57], v36, s13
	s_or_b64 vcc, vcc, s[56:57]
	s_and_saveexec_b64 s[56:57], vcc
	s_cbranch_execz .LBB408_171
; %bb.170:
	v_sub_f32_e32 v36, v36, v33
	s_mov_b32 s13, 0x3fb8aa3b
	v_mul_f32_e32 v37, 0x3fb8aa3b, v36
	v_fma_f32 v38, v36, s13, -v37
	v_rndne_f32_e32 v39, v37
	v_fmamk_f32 v38, v36, 0x32a5705f, v38
	v_sub_f32_e32 v37, v37, v39
	v_add_f32_e32 v37, v37, v38
	v_exp_f32_e32 v37, v37
	v_cvt_i32_f32_e32 v38, v39
	s_mov_b32 s13, 0xc2ce8ed0
	v_cmp_ngt_f32_e32 vcc, s13, v36
	s_mov_b32 s13, 0x42b17218
	v_ldexp_f32 v37, v37, v38
	v_cndmask_b32_e32 v37, 0, v37, vcc
	v_mov_b32_e32 v38, 0x7f800000
	v_cmp_nlt_f32_e32 vcc, s13, v36
	s_mov_b32 s13, 0x3f2aaaab
	s_mov_b32 s64, 0x7f800000
	v_cndmask_b32_e32 v148, v38, v37, vcc
	v_add_f32_e32 v38, 1.0, v148
	v_add_f32_e32 v36, -1.0, v38
	v_sub_f32_e32 v37, v36, v38
	v_add_f32_e32 v37, 1.0, v37
	v_sub_f32_e32 v36, v148, v36
	v_add_f32_e32 v39, v36, v37
	v_frexp_mant_f32_e32 v128, v38
	v_cvt_f64_f32_e32 v[36:37], v38
	v_frexp_exp_i32_f64_e32 v36, v[36:37]
	v_cmp_gt_f32_e32 vcc, s13, v128
	s_mov_b32 s13, 0x3f317218
	s_nop 0
	v_subbrev_co_u32_e32 v132, vcc, 0, v36, vcc
	v_sub_u32_e32 v36, 0, v132
	v_ldexp_f32 v37, v38, v36
	v_add_f32_e32 v38, -1.0, v37
	v_add_f32_e32 v128, 1.0, v37
	v_ldexp_f32 v36, v39, v36
	v_add_f32_e32 v39, 1.0, v38
	v_add_f32_e32 v129, -1.0, v128
	v_sub_f32_e32 v39, v37, v39
	v_sub_f32_e32 v37, v37, v129
	v_add_f32_e32 v39, v36, v39
	v_add_f32_e32 v36, v36, v37
	;; [unrolled: 1-line block ×3, first 2 shown]
	v_rcp_f32_e32 v135, v133
	v_sub_f32_e32 v37, v128, v133
	v_add_f32_e32 v134, v36, v37
	v_add_f32_e32 v37, v38, v39
	v_mul_f32_e32 v145, v37, v135
	v_sub_f32_e32 v36, v38, v37
	v_mul_f32_e32 v38, v133, v145
	v_fma_f32 v128, v145, v133, -v38
	v_fmac_f32_e32 v128, v145, v134
	v_add_f32_e32 v144, v39, v36
	v_add_f32_e32 v36, v38, v128
	v_sub_f32_e32 v39, v37, v36
	v_pk_add_f32 v[130:131], v[36:37], v[38:39] neg_lo:[0,1] neg_hi:[0,1]
	v_mov_b32_e32 v129, v36
	v_pk_add_f32 v[36:37], v[130:131], v[128:129] neg_lo:[0,1] neg_hi:[0,1]
	v_cmp_eq_f32_e32 vcc, s64, v148
	v_add_f32_e32 v37, v144, v37
	v_add_f32_e32 v36, v36, v37
	;; [unrolled: 1-line block ×3, first 2 shown]
	v_mul_f32_e32 v144, v135, v37
	v_mul_f32_e32 v38, v133, v144
	v_fma_f32 v128, v144, v133, -v38
	v_fmac_f32_e32 v128, v144, v134
	v_sub_f32_e32 v39, v39, v37
	v_add_f32_e32 v133, v36, v39
	v_add_f32_e32 v36, v38, v128
	v_sub_f32_e32 v39, v37, v36
	v_pk_add_f32 v[130:131], v[36:37], v[38:39] neg_lo:[0,1] neg_hi:[0,1]
	v_mov_b32_e32 v129, v36
	v_pk_add_f32 v[36:37], v[130:131], v[128:129] neg_lo:[0,1] neg_hi:[0,1]
	v_cvt_f32_i32_e32 v38, v132
	v_add_f32_e32 v37, v133, v37
	v_add_f32_e32 v36, v36, v37
	;; [unrolled: 1-line block ×4, first 2 shown]
	v_sub_f32_e32 v37, v39, v145
	v_mul_f32_e32 v36, v135, v36
	v_sub_f32_e32 v37, v144, v37
	v_add_f32_e32 v36, v37, v36
	v_add_f32_e32 v128, v39, v36
	v_mul_f32_e32 v130, v128, v128
	v_mov_b32_e32 v37, 0x3ecc95a3
	v_sub_f32_e32 v39, v128, v39
	v_fmac_f32_e32 v37, 0x3e9b6dac, v130
	v_sub_f32_e32 v36, v36, v39
	v_fmaak_f32 v37, v130, v37, 0x3f2aaada
	v_ldexp_f32 v131, v36, 1
	v_mul_f32_e32 v39, v128, v130
	v_mov_b32_e32 v36, 0x3f317218
	v_pk_mul_f32 v[36:37], v[38:39], v[36:37]
	v_ldexp_f32 v129, v128, 1
	v_fma_f32 v39, v38, s13, -v36
	v_fmamk_f32 v128, v38, 0xb102e308, v39
	v_pk_add_f32 v[38:39], v[36:37], v[128:129]
	v_mov_b32_e32 v130, v36
	v_sub_f32_e32 v129, v39, v129
	v_sub_f32_e32 v129, v37, v129
	v_add_f32_e32 v131, v131, v129
	v_pk_add_f32 v[36:37], v[38:39], v[36:37] neg_lo:[0,1] neg_hi:[0,1]
	v_pk_add_f32 v[132:133], v[38:39], v[130:131]
	v_mov_b32_e32 v129, v38
	v_mov_b32_e32 v37, v133
	v_pk_add_f32 v[134:135], v[128:129], v[36:37] neg_lo:[0,1] neg_hi:[0,1]
	v_pk_add_f32 v[36:37], v[128:129], v[36:37]
	v_mov_b32_e32 v130, v131
	v_mov_b32_e32 v128, v37
	v_pk_add_f32 v[144:145], v[128:129], v[38:39] neg_lo:[0,1] neg_hi:[0,1]
	v_mov_b32_e32 v36, v133
	v_mov_b32_e32 v129, v144
	v_pk_add_f32 v[146:147], v[132:133], v[128:129] neg_lo:[0,1] neg_hi:[0,1]
	v_mov_b32_e32 v132, v39
	v_mov_b32_e32 v133, v144
	;; [unrolled: 1-line block ×3, first 2 shown]
	v_pk_add_f32 v[36:37], v[36:37], v[132:133] neg_lo:[0,1] neg_hi:[0,1]
	v_mov_b32_e32 v131, v38
	v_pk_add_f32 v[36:37], v[130:131], v[36:37] neg_lo:[0,1] neg_hi:[0,1]
	v_mov_b32_e32 v146, v134
	v_pk_add_f32 v[38:39], v[146:147], v[36:37]
	s_mov_b32 s13, 0x33800000
	v_mov_b32_e32 v130, v39
	v_pk_add_f32 v[130:131], v[38:39], v[130:131]
	v_cmp_lt_f32_e64 s[64:65], |v148|, s13
	v_pk_add_f32 v[128:129], v[128:129], v[130:131]
	v_mov_b32_e32 v37, v130
	v_mov_b32_e32 v39, v128
	v_pk_add_f32 v[132:133], v[38:39], v[134:135] neg_lo:[0,1] neg_hi:[0,1]
	s_or_b64 vcc, vcc, s[64:65]
	v_sub_f32_e32 v38, v38, v132
	v_pk_add_f32 v[36:37], v[36:37], v[132:133] neg_lo:[0,1] neg_hi:[0,1]
	v_sub_f32_e32 v38, v134, v38
	v_add_f32_e32 v36, v36, v38
	v_add_f32_e32 v36, v36, v37
	;; [unrolled: 1-line block ×3, first 2 shown]
	v_cndmask_b32_e32 v36, v36, v148, vcc
	v_add_f32_e32 v33, v33, v36
	v_cvt_f16_f32_e32 v37, v33
.LBB408_171:
	s_or_b64 exec, exec, s[56:57]
	v_mov_b32_e32 v132, v37
.LBB408_172:
	s_or_b64 exec, exec, s[62:63]
                                        ; implicit-def: $vgpr36
	v_mov_b32_e32 v33, 0
	s_movk_i32 s13, 0x1f8
	s_mov_b32 s64, 0x3fb8aa3b
	s_mov_b32 s65, 0xc2ce8ed0
	;; [unrolled: 1-line block ×5, first 2 shown]
	v_mov_b32_e32 v129, 0x3ecc95a3
	s_mov_b32 s69, 0x3f317218
	s_mov_b32 s70, 0x33800000
	v_mov_b32_e32 v130, 2
	v_mov_b32_e32 v131, 0x7f800000
	;; [unrolled: 1-line block ×3, first 2 shown]
	s_branch .LBB408_174
.LBB408_173:                            ;   in Loop: Header=BB408_174 Depth=1
	s_or_b64 exec, exec, s[56:57]
	v_subrev_u32_e32 v32, 64, v32
.LBB408_174:                            ; =>This Loop Header: Depth=1
                                        ;     Child Loop BB408_177 Depth 2
                                        ;       Child Loop BB408_178 Depth 3
	v_cmp_ne_u16_sdwa vcc, v101, v130 src0_sel:BYTE_0 src1_sel:DWORD
	v_mov_b32_e32 v128, v132
	s_waitcnt lgkmcnt(0)
	v_cndmask_b32_e64 v37, 0, 1, vcc
	;;#ASMSTART
	;;#ASMEND
	s_nop 0
	v_cmp_ne_u32_e32 vcc, 0, v37
	s_cmp_lg_u64 vcc, exec
	s_cbranch_scc1 .LBB408_207
; %bb.175:                              ;   in Loop: Header=BB408_174 Depth=1
	v_lshl_add_u64 v[38:39], v[32:33], 2, v[28:29]
	flat_load_dword v132, v[38:39] sc1
	s_waitcnt vmcnt(0) lgkmcnt(0)
	v_lshrrev_b32_e32 v101, 16, v132
	v_cmp_eq_u16_sdwa s[56:57], v101, v33 src0_sel:BYTE_0 src1_sel:DWORD
	s_and_saveexec_b64 vcc, s[56:57]
	s_cbranch_execz .LBB408_181
; %bb.176:                              ;   in Loop: Header=BB408_174 Depth=1
	s_mov_b32 s62, 1
	s_mov_b64 s[56:57], 0
.LBB408_177:                            ;   Parent Loop BB408_174 Depth=1
                                        ; =>  This Loop Header: Depth=2
                                        ;       Child Loop BB408_178 Depth 3
	s_max_u32 s63, s62, 1
.LBB408_178:                            ;   Parent Loop BB408_174 Depth=1
                                        ;     Parent Loop BB408_177 Depth=2
                                        ; =>    This Inner Loop Header: Depth=3
	s_add_i32 s63, s63, -1
	s_cmp_eq_u32 s63, 0
	s_sleep 1
	s_cbranch_scc0 .LBB408_178
; %bb.179:                              ;   in Loop: Header=BB408_177 Depth=2
	flat_load_dword v132, v[38:39] sc1
	s_cmp_lt_u32 s62, 32
	s_cselect_b64 s[72:73], -1, 0
	s_cmp_lg_u64 s[72:73], 0
	s_addc_u32 s62, s62, 0
	s_waitcnt vmcnt(0) lgkmcnt(0)
	v_lshrrev_b32_e32 v101, 16, v132
	v_cmp_ne_u16_sdwa s[72:73], v101, v33 src0_sel:BYTE_0 src1_sel:DWORD
	s_or_b64 s[56:57], s[72:73], s[56:57]
	s_andn2_b64 exec, exec, s[56:57]
	s_cbranch_execnz .LBB408_177
; %bb.180:                              ;   in Loop: Header=BB408_174 Depth=1
	s_or_b64 exec, exec, s[56:57]
.LBB408_181:                            ;   in Loop: Header=BB408_174 Depth=1
	s_or_b64 exec, exec, vcc
	v_cmp_eq_u16_sdwa vcc, v101, v130 src0_sel:BYTE_0 src1_sel:DWORD
	s_nop 1
	v_and_b32_e32 v37, vcc_hi, v35
	v_or_b32_e32 v37, 0x80000000, v37
	v_ffbl_b32_e32 v39, v37
	v_and_b32_e32 v37, 0xffff, v132
	ds_bpermute_b32 v133, v100, v37
	v_and_b32_e32 v38, vcc_lo, v34
	v_add_u32_e32 v39, 32, v39
	v_ffbl_b32_e32 v38, v38
	v_min_u32_e32 v38, v38, v39
	v_cmp_lt_u32_e32 vcc, v99, v38
	s_and_saveexec_b64 s[62:63], vcc
	s_cbranch_execz .LBB408_185
; %bb.182:                              ;   in Loop: Header=BB408_174 Depth=1
	s_waitcnt lgkmcnt(0)
	v_cvt_f32_f16_e32 v39, v133
	v_cvt_f32_f16_e32 v134, v132
	v_cmp_u_f16_e32 vcc, v133, v133
	v_cmp_u_f16_e64 s[56:57], v132, v132
	v_min_f32_e32 v37, v39, v134
	v_max_f32_e32 v132, v39, v134
	v_cndmask_b32_e32 v37, v37, v39, vcc
	v_cndmask_b32_e32 v39, v132, v39, vcc
	v_cndmask_b32_e64 v37, v37, v134, s[56:57]
	v_cndmask_b32_e64 v39, v39, v134, s[56:57]
	v_cmp_neq_f32_e32 vcc, v37, v39
	v_cmp_class_f32_e64 s[56:57], v37, s13
	s_or_b64 vcc, vcc, s[56:57]
	s_and_saveexec_b64 s[56:57], vcc
	s_cbranch_execz .LBB408_184
; %bb.183:                              ;   in Loop: Header=BB408_174 Depth=1
	v_sub_f32_e32 v37, v37, v39
	v_mul_f32_e32 v132, 0x3fb8aa3b, v37
	v_fma_f32 v133, v37, s64, -v132
	v_rndne_f32_e32 v134, v132
	v_fmac_f32_e32 v133, 0x32a5705f, v37
	v_sub_f32_e32 v132, v132, v134
	v_add_f32_e32 v132, v132, v133
	v_cvt_i32_f32_e32 v133, v134
	v_exp_f32_e32 v132, v132
	v_cmp_ngt_f32_e32 vcc, s65, v37
	v_ldexp_f32 v132, v132, v133
	s_nop 0
	v_cndmask_b32_e32 v132, 0, v132, vcc
	v_cmp_nlt_f32_e32 vcc, s66, v37
	s_nop 1
	v_cndmask_b32_e32 v164, v131, v132, vcc
	v_add_f32_e32 v37, 1.0, v164
	v_add_f32_e32 v132, -1.0, v37
	v_sub_f32_e32 v133, v132, v37
	v_add_f32_e32 v133, 1.0, v133
	v_sub_f32_e32 v132, v164, v132
	v_add_f32_e32 v134, v132, v133
	v_frexp_mant_f32_e32 v135, v37
	v_cvt_f64_f32_e32 v[132:133], v37
	v_frexp_exp_i32_f64_e32 v132, v[132:133]
	v_cmp_gt_f32_e32 vcc, s68, v135
	v_cmp_lt_f32_e64 s[72:73], |v164|, s70
	s_nop 0
	v_subbrev_co_u32_e32 v148, vcc, 0, v132, vcc
	v_sub_u32_e32 v132, 0, v148
	v_ldexp_f32 v37, v37, v132
	v_ldexp_f32 v132, v134, v132
	v_add_f32_e32 v134, -1.0, v37
	v_add_f32_e32 v133, 1.0, v134
	v_sub_f32_e32 v133, v37, v133
	v_add_f32_e32 v135, v132, v133
	v_add_f32_e32 v133, 1.0, v37
	v_add_f32_e32 v144, -1.0, v133
	v_sub_f32_e32 v37, v37, v144
	v_add_f32_e32 v37, v132, v37
	v_add_f32_e32 v149, v133, v37
	v_rcp_f32_e32 v150, v149
	v_sub_f32_e32 v132, v133, v149
	v_add_f32_e32 v133, v134, v135
	v_add_f32_e32 v37, v37, v132
	v_mul_f32_e32 v160, v133, v150
	v_sub_f32_e32 v132, v134, v133
	v_mul_f32_e32 v134, v149, v160
	v_fma_f32 v144, v160, v149, -v134
	v_fmac_f32_e32 v144, v160, v37
	v_add_f32_e32 v151, v135, v132
	v_add_f32_e32 v132, v134, v144
	v_sub_f32_e32 v135, v133, v132
	v_pk_add_f32 v[146:147], v[132:133], v[134:135] neg_lo:[0,1] neg_hi:[0,1]
	v_mov_b32_e32 v145, v132
	v_pk_add_f32 v[132:133], v[146:147], v[144:145] neg_lo:[0,1] neg_hi:[0,1]
	v_cmp_eq_f32_e32 vcc, s67, v164
	v_add_f32_e32 v133, v151, v133
	v_add_f32_e32 v132, v132, v133
	;; [unrolled: 1-line block ×3, first 2 shown]
	v_mul_f32_e32 v151, v150, v133
	v_mul_f32_e32 v134, v149, v151
	v_fma_f32 v144, v151, v149, -v134
	v_fmac_f32_e32 v144, v151, v37
	v_sub_f32_e32 v37, v135, v133
	v_add_f32_e32 v37, v132, v37
	v_add_f32_e32 v132, v134, v144
	v_sub_f32_e32 v135, v133, v132
	v_pk_add_f32 v[146:147], v[132:133], v[134:135] neg_lo:[0,1] neg_hi:[0,1]
	v_mov_b32_e32 v145, v132
	v_pk_add_f32 v[132:133], v[146:147], v[144:145] neg_lo:[0,1] neg_hi:[0,1]
	s_or_b64 vcc, vcc, s[72:73]
	v_add_f32_e32 v37, v37, v133
	v_add_f32_e32 v37, v132, v37
	v_add_f32_e32 v133, v160, v151
	v_add_f32_e32 v37, v135, v37
	v_sub_f32_e32 v132, v133, v160
	v_mul_f32_e32 v37, v150, v37
	v_sub_f32_e32 v132, v151, v132
	v_add_f32_e32 v134, v132, v37
	v_add_f32_e32 v144, v133, v134
	v_cvt_f32_i32_e32 v132, v148
	v_mul_f32_e32 v145, v144, v144
	v_sub_f32_e32 v133, v144, v133
	v_fmamk_f32 v37, v145, 0x3e9b6dac, v129
	v_sub_f32_e32 v133, v134, v133
	v_fmaak_f32 v37, v145, v37, 0x3f2aaada
	v_ldexp_f32 v146, v133, 1
	v_mul_f32_e32 v133, v144, v145
	v_ldexp_f32 v135, v144, 1
	v_pk_mul_f32 v[144:145], v[132:133], v[36:37]
	s_nop 0
	v_fma_f32 v134, v132, s69, -v144
	v_fmac_f32_e32 v134, 0xb102e308, v132
	v_pk_add_f32 v[132:133], v[144:145], v[134:135]
	s_nop 0
	v_sub_f32_e32 v37, v133, v135
	v_sub_f32_e32 v37, v145, v37
	v_add_f32_e32 v147, v146, v37
	v_mov_b32_e32 v146, v144
	v_pk_add_f32 v[144:145], v[132:133], v[144:145] neg_lo:[0,1] neg_hi:[0,1]
	v_pk_add_f32 v[148:149], v[132:133], v[146:147]
	v_mov_b32_e32 v135, v132
	v_mov_b32_e32 v145, v149
	v_pk_add_f32 v[150:151], v[134:135], v[144:145] neg_lo:[0,1] neg_hi:[0,1]
	v_pk_add_f32 v[134:135], v[134:135], v[144:145]
	v_mov_b32_e32 v146, v147
	v_mov_b32_e32 v144, v135
	v_pk_add_f32 v[160:161], v[144:145], v[132:133] neg_lo:[0,1] neg_hi:[0,1]
	v_mov_b32_e32 v134, v149
	v_mov_b32_e32 v37, v160
	v_pk_add_f32 v[162:163], v[148:149], v[36:37] neg_lo:[0,1] neg_hi:[0,1]
	v_mov_b32_e32 v148, v133
	v_mov_b32_e32 v149, v160
	;; [unrolled: 1-line block ×3, first 2 shown]
	v_pk_add_f32 v[134:135], v[134:135], v[148:149] neg_lo:[0,1] neg_hi:[0,1]
	v_mov_b32_e32 v147, v132
	v_pk_add_f32 v[132:133], v[146:147], v[134:135] neg_lo:[0,1] neg_hi:[0,1]
	v_mov_b32_e32 v162, v150
	v_pk_add_f32 v[134:135], v[162:163], v[132:133]
	s_nop 0
	v_mov_b32_e32 v146, v135
	v_pk_add_f32 v[146:147], v[134:135], v[146:147]
	s_nop 0
	v_pk_add_f32 v[144:145], v[144:145], v[146:147]
	v_mov_b32_e32 v133, v146
	v_mov_b32_e32 v135, v144
	v_pk_add_f32 v[148:149], v[134:135], v[150:151] neg_lo:[0,1] neg_hi:[0,1]
	s_nop 0
	v_sub_f32_e32 v37, v134, v148
	v_pk_add_f32 v[132:133], v[132:133], v[148:149] neg_lo:[0,1] neg_hi:[0,1]
	v_sub_f32_e32 v37, v150, v37
	v_add_f32_e32 v37, v132, v37
	v_add_f32_e32 v37, v37, v133
	;; [unrolled: 1-line block ×3, first 2 shown]
	v_cndmask_b32_e32 v37, v37, v164, vcc
	v_add_f32_e32 v37, v39, v37
	v_cvt_f16_f32_e32 v133, v37
.LBB408_184:                            ;   in Loop: Header=BB408_174 Depth=1
	s_or_b64 exec, exec, s[56:57]
	v_and_b32_e32 v37, 0xffff, v133
	v_mov_b32_e32 v132, v133
.LBB408_185:                            ;   in Loop: Header=BB408_174 Depth=1
	s_or_b64 exec, exec, s[62:63]
	s_waitcnt lgkmcnt(0)
	ds_bpermute_b32 v133, v102, v37
	v_cmp_le_u32_e32 vcc, v103, v38
	s_and_saveexec_b64 s[62:63], vcc
	s_cbranch_execz .LBB408_189
; %bb.186:                              ;   in Loop: Header=BB408_174 Depth=1
	s_waitcnt lgkmcnt(0)
	v_cvt_f32_f16_e32 v39, v133
	v_cvt_f32_f16_e32 v134, v132
	v_cmp_u_f16_e32 vcc, v133, v133
	v_cmp_u_f16_e64 s[56:57], v132, v132
	v_min_f32_e32 v37, v39, v134
	v_max_f32_e32 v132, v39, v134
	v_cndmask_b32_e32 v37, v37, v39, vcc
	v_cndmask_b32_e32 v39, v132, v39, vcc
	v_cndmask_b32_e64 v37, v37, v134, s[56:57]
	v_cndmask_b32_e64 v39, v39, v134, s[56:57]
	v_cmp_neq_f32_e32 vcc, v37, v39
	v_cmp_class_f32_e64 s[56:57], v37, s13
	s_or_b64 vcc, vcc, s[56:57]
	s_and_saveexec_b64 s[56:57], vcc
	s_cbranch_execz .LBB408_188
; %bb.187:                              ;   in Loop: Header=BB408_174 Depth=1
	v_sub_f32_e32 v37, v37, v39
	v_mul_f32_e32 v132, 0x3fb8aa3b, v37
	v_fma_f32 v133, v37, s64, -v132
	v_rndne_f32_e32 v134, v132
	v_fmac_f32_e32 v133, 0x32a5705f, v37
	v_sub_f32_e32 v132, v132, v134
	v_add_f32_e32 v132, v132, v133
	v_cvt_i32_f32_e32 v133, v134
	v_exp_f32_e32 v132, v132
	v_cmp_ngt_f32_e32 vcc, s65, v37
	v_ldexp_f32 v132, v132, v133
	s_nop 0
	v_cndmask_b32_e32 v132, 0, v132, vcc
	v_cmp_nlt_f32_e32 vcc, s66, v37
	s_nop 1
	v_cndmask_b32_e32 v164, v131, v132, vcc
	v_add_f32_e32 v37, 1.0, v164
	v_add_f32_e32 v132, -1.0, v37
	v_sub_f32_e32 v133, v132, v37
	v_add_f32_e32 v133, 1.0, v133
	v_sub_f32_e32 v132, v164, v132
	v_add_f32_e32 v134, v132, v133
	v_frexp_mant_f32_e32 v135, v37
	v_cvt_f64_f32_e32 v[132:133], v37
	v_frexp_exp_i32_f64_e32 v132, v[132:133]
	v_cmp_gt_f32_e32 vcc, s68, v135
	v_cmp_lt_f32_e64 s[72:73], |v164|, s70
	s_nop 0
	v_subbrev_co_u32_e32 v148, vcc, 0, v132, vcc
	v_sub_u32_e32 v132, 0, v148
	v_ldexp_f32 v37, v37, v132
	v_ldexp_f32 v132, v134, v132
	v_add_f32_e32 v134, -1.0, v37
	v_add_f32_e32 v133, 1.0, v134
	v_sub_f32_e32 v133, v37, v133
	v_add_f32_e32 v135, v132, v133
	v_add_f32_e32 v133, 1.0, v37
	v_add_f32_e32 v144, -1.0, v133
	v_sub_f32_e32 v37, v37, v144
	v_add_f32_e32 v37, v132, v37
	v_add_f32_e32 v149, v133, v37
	v_rcp_f32_e32 v150, v149
	v_sub_f32_e32 v132, v133, v149
	v_add_f32_e32 v133, v134, v135
	v_add_f32_e32 v37, v37, v132
	v_mul_f32_e32 v160, v133, v150
	v_sub_f32_e32 v132, v134, v133
	v_mul_f32_e32 v134, v149, v160
	v_fma_f32 v144, v160, v149, -v134
	v_fmac_f32_e32 v144, v160, v37
	v_add_f32_e32 v151, v135, v132
	v_add_f32_e32 v132, v134, v144
	v_sub_f32_e32 v135, v133, v132
	v_pk_add_f32 v[146:147], v[132:133], v[134:135] neg_lo:[0,1] neg_hi:[0,1]
	v_mov_b32_e32 v145, v132
	v_pk_add_f32 v[132:133], v[146:147], v[144:145] neg_lo:[0,1] neg_hi:[0,1]
	v_cmp_eq_f32_e32 vcc, s67, v164
	v_add_f32_e32 v133, v151, v133
	v_add_f32_e32 v132, v132, v133
	;; [unrolled: 1-line block ×3, first 2 shown]
	v_mul_f32_e32 v151, v150, v133
	v_mul_f32_e32 v134, v149, v151
	v_fma_f32 v144, v151, v149, -v134
	v_fmac_f32_e32 v144, v151, v37
	v_sub_f32_e32 v37, v135, v133
	v_add_f32_e32 v37, v132, v37
	v_add_f32_e32 v132, v134, v144
	v_sub_f32_e32 v135, v133, v132
	v_pk_add_f32 v[146:147], v[132:133], v[134:135] neg_lo:[0,1] neg_hi:[0,1]
	v_mov_b32_e32 v145, v132
	v_pk_add_f32 v[132:133], v[146:147], v[144:145] neg_lo:[0,1] neg_hi:[0,1]
	s_or_b64 vcc, vcc, s[72:73]
	v_add_f32_e32 v37, v37, v133
	v_add_f32_e32 v37, v132, v37
	;; [unrolled: 1-line block ×4, first 2 shown]
	v_sub_f32_e32 v132, v133, v160
	v_mul_f32_e32 v37, v150, v37
	v_sub_f32_e32 v132, v151, v132
	v_add_f32_e32 v134, v132, v37
	v_add_f32_e32 v144, v133, v134
	v_cvt_f32_i32_e32 v132, v148
	v_mul_f32_e32 v145, v144, v144
	v_sub_f32_e32 v133, v144, v133
	v_fmamk_f32 v37, v145, 0x3e9b6dac, v129
	v_sub_f32_e32 v133, v134, v133
	v_fmaak_f32 v37, v145, v37, 0x3f2aaada
	v_ldexp_f32 v146, v133, 1
	v_mul_f32_e32 v133, v144, v145
	v_ldexp_f32 v135, v144, 1
	v_pk_mul_f32 v[144:145], v[132:133], v[36:37]
	s_nop 0
	v_fma_f32 v134, v132, s69, -v144
	v_fmac_f32_e32 v134, 0xb102e308, v132
	v_pk_add_f32 v[132:133], v[144:145], v[134:135]
	s_nop 0
	v_sub_f32_e32 v37, v133, v135
	v_sub_f32_e32 v37, v145, v37
	v_add_f32_e32 v147, v146, v37
	v_mov_b32_e32 v146, v144
	v_pk_add_f32 v[144:145], v[132:133], v[144:145] neg_lo:[0,1] neg_hi:[0,1]
	v_pk_add_f32 v[148:149], v[132:133], v[146:147]
	v_mov_b32_e32 v135, v132
	v_mov_b32_e32 v145, v149
	v_pk_add_f32 v[150:151], v[134:135], v[144:145] neg_lo:[0,1] neg_hi:[0,1]
	v_pk_add_f32 v[134:135], v[134:135], v[144:145]
	v_mov_b32_e32 v146, v147
	v_mov_b32_e32 v144, v135
	v_pk_add_f32 v[160:161], v[144:145], v[132:133] neg_lo:[0,1] neg_hi:[0,1]
	v_mov_b32_e32 v134, v149
	v_mov_b32_e32 v37, v160
	v_pk_add_f32 v[162:163], v[148:149], v[36:37] neg_lo:[0,1] neg_hi:[0,1]
	v_mov_b32_e32 v148, v133
	v_mov_b32_e32 v149, v160
	;; [unrolled: 1-line block ×3, first 2 shown]
	v_pk_add_f32 v[134:135], v[134:135], v[148:149] neg_lo:[0,1] neg_hi:[0,1]
	v_mov_b32_e32 v147, v132
	v_pk_add_f32 v[132:133], v[146:147], v[134:135] neg_lo:[0,1] neg_hi:[0,1]
	v_mov_b32_e32 v162, v150
	v_pk_add_f32 v[134:135], v[162:163], v[132:133]
	s_nop 0
	v_mov_b32_e32 v146, v135
	v_pk_add_f32 v[146:147], v[134:135], v[146:147]
	s_nop 0
	v_pk_add_f32 v[144:145], v[144:145], v[146:147]
	v_mov_b32_e32 v133, v146
	v_mov_b32_e32 v135, v144
	v_pk_add_f32 v[148:149], v[134:135], v[150:151] neg_lo:[0,1] neg_hi:[0,1]
	s_nop 0
	v_sub_f32_e32 v37, v134, v148
	v_pk_add_f32 v[132:133], v[132:133], v[148:149] neg_lo:[0,1] neg_hi:[0,1]
	v_sub_f32_e32 v37, v150, v37
	v_add_f32_e32 v37, v132, v37
	v_add_f32_e32 v37, v37, v133
	;; [unrolled: 1-line block ×3, first 2 shown]
	v_cndmask_b32_e32 v37, v37, v164, vcc
	v_add_f32_e32 v37, v39, v37
	v_cvt_f16_f32_e32 v133, v37
.LBB408_188:                            ;   in Loop: Header=BB408_174 Depth=1
	s_or_b64 exec, exec, s[56:57]
	v_and_b32_e32 v37, 0xffff, v133
	v_mov_b32_e32 v132, v133
.LBB408_189:                            ;   in Loop: Header=BB408_174 Depth=1
	s_or_b64 exec, exec, s[62:63]
	s_waitcnt lgkmcnt(0)
	ds_bpermute_b32 v133, v112, v37
	v_cmp_le_u32_e32 vcc, v113, v38
	s_and_saveexec_b64 s[62:63], vcc
	s_cbranch_execz .LBB408_193
; %bb.190:                              ;   in Loop: Header=BB408_174 Depth=1
	s_waitcnt lgkmcnt(0)
	v_cvt_f32_f16_e32 v39, v133
	v_cvt_f32_f16_e32 v134, v132
	v_cmp_u_f16_e32 vcc, v133, v133
	v_cmp_u_f16_e64 s[56:57], v132, v132
	v_min_f32_e32 v37, v39, v134
	v_max_f32_e32 v132, v39, v134
	v_cndmask_b32_e32 v37, v37, v39, vcc
	v_cndmask_b32_e32 v39, v132, v39, vcc
	v_cndmask_b32_e64 v37, v37, v134, s[56:57]
	v_cndmask_b32_e64 v39, v39, v134, s[56:57]
	v_cmp_neq_f32_e32 vcc, v37, v39
	v_cmp_class_f32_e64 s[56:57], v37, s13
	s_or_b64 vcc, vcc, s[56:57]
	s_and_saveexec_b64 s[56:57], vcc
	s_cbranch_execz .LBB408_192
; %bb.191:                              ;   in Loop: Header=BB408_174 Depth=1
	v_sub_f32_e32 v37, v37, v39
	v_mul_f32_e32 v132, 0x3fb8aa3b, v37
	v_fma_f32 v133, v37, s64, -v132
	v_rndne_f32_e32 v134, v132
	v_fmac_f32_e32 v133, 0x32a5705f, v37
	v_sub_f32_e32 v132, v132, v134
	v_add_f32_e32 v132, v132, v133
	v_cvt_i32_f32_e32 v133, v134
	v_exp_f32_e32 v132, v132
	v_cmp_ngt_f32_e32 vcc, s65, v37
	v_ldexp_f32 v132, v132, v133
	s_nop 0
	v_cndmask_b32_e32 v132, 0, v132, vcc
	v_cmp_nlt_f32_e32 vcc, s66, v37
	s_nop 1
	v_cndmask_b32_e32 v164, v131, v132, vcc
	v_add_f32_e32 v37, 1.0, v164
	v_add_f32_e32 v132, -1.0, v37
	v_sub_f32_e32 v133, v132, v37
	v_add_f32_e32 v133, 1.0, v133
	v_sub_f32_e32 v132, v164, v132
	v_add_f32_e32 v134, v132, v133
	v_frexp_mant_f32_e32 v135, v37
	v_cvt_f64_f32_e32 v[132:133], v37
	v_frexp_exp_i32_f64_e32 v132, v[132:133]
	v_cmp_gt_f32_e32 vcc, s68, v135
	v_cmp_lt_f32_e64 s[72:73], |v164|, s70
	s_nop 0
	v_subbrev_co_u32_e32 v148, vcc, 0, v132, vcc
	v_sub_u32_e32 v132, 0, v148
	v_ldexp_f32 v37, v37, v132
	v_ldexp_f32 v132, v134, v132
	v_add_f32_e32 v134, -1.0, v37
	v_add_f32_e32 v133, 1.0, v134
	v_sub_f32_e32 v133, v37, v133
	v_add_f32_e32 v135, v132, v133
	v_add_f32_e32 v133, 1.0, v37
	v_add_f32_e32 v144, -1.0, v133
	v_sub_f32_e32 v37, v37, v144
	v_add_f32_e32 v37, v132, v37
	v_add_f32_e32 v149, v133, v37
	v_rcp_f32_e32 v150, v149
	v_sub_f32_e32 v132, v133, v149
	v_add_f32_e32 v133, v134, v135
	v_add_f32_e32 v37, v37, v132
	v_mul_f32_e32 v160, v133, v150
	v_sub_f32_e32 v132, v134, v133
	v_mul_f32_e32 v134, v149, v160
	v_fma_f32 v144, v160, v149, -v134
	v_fmac_f32_e32 v144, v160, v37
	v_add_f32_e32 v151, v135, v132
	v_add_f32_e32 v132, v134, v144
	v_sub_f32_e32 v135, v133, v132
	v_pk_add_f32 v[146:147], v[132:133], v[134:135] neg_lo:[0,1] neg_hi:[0,1]
	v_mov_b32_e32 v145, v132
	v_pk_add_f32 v[132:133], v[146:147], v[144:145] neg_lo:[0,1] neg_hi:[0,1]
	v_cmp_eq_f32_e32 vcc, s67, v164
	v_add_f32_e32 v133, v151, v133
	v_add_f32_e32 v132, v132, v133
	;; [unrolled: 1-line block ×3, first 2 shown]
	v_mul_f32_e32 v151, v150, v133
	v_mul_f32_e32 v134, v149, v151
	v_fma_f32 v144, v151, v149, -v134
	v_fmac_f32_e32 v144, v151, v37
	v_sub_f32_e32 v37, v135, v133
	v_add_f32_e32 v37, v132, v37
	v_add_f32_e32 v132, v134, v144
	v_sub_f32_e32 v135, v133, v132
	v_pk_add_f32 v[146:147], v[132:133], v[134:135] neg_lo:[0,1] neg_hi:[0,1]
	v_mov_b32_e32 v145, v132
	v_pk_add_f32 v[132:133], v[146:147], v[144:145] neg_lo:[0,1] neg_hi:[0,1]
	s_or_b64 vcc, vcc, s[72:73]
	v_add_f32_e32 v37, v37, v133
	v_add_f32_e32 v37, v132, v37
	;; [unrolled: 1-line block ×4, first 2 shown]
	v_sub_f32_e32 v132, v133, v160
	v_mul_f32_e32 v37, v150, v37
	v_sub_f32_e32 v132, v151, v132
	v_add_f32_e32 v134, v132, v37
	v_add_f32_e32 v144, v133, v134
	v_cvt_f32_i32_e32 v132, v148
	v_mul_f32_e32 v145, v144, v144
	v_sub_f32_e32 v133, v144, v133
	v_fmamk_f32 v37, v145, 0x3e9b6dac, v129
	v_sub_f32_e32 v133, v134, v133
	v_fmaak_f32 v37, v145, v37, 0x3f2aaada
	v_ldexp_f32 v146, v133, 1
	v_mul_f32_e32 v133, v144, v145
	v_ldexp_f32 v135, v144, 1
	v_pk_mul_f32 v[144:145], v[132:133], v[36:37]
	s_nop 0
	v_fma_f32 v134, v132, s69, -v144
	v_fmac_f32_e32 v134, 0xb102e308, v132
	v_pk_add_f32 v[132:133], v[144:145], v[134:135]
	s_nop 0
	v_sub_f32_e32 v37, v133, v135
	v_sub_f32_e32 v37, v145, v37
	v_add_f32_e32 v147, v146, v37
	v_mov_b32_e32 v146, v144
	v_pk_add_f32 v[144:145], v[132:133], v[144:145] neg_lo:[0,1] neg_hi:[0,1]
	v_pk_add_f32 v[148:149], v[132:133], v[146:147]
	v_mov_b32_e32 v135, v132
	v_mov_b32_e32 v145, v149
	v_pk_add_f32 v[150:151], v[134:135], v[144:145] neg_lo:[0,1] neg_hi:[0,1]
	v_pk_add_f32 v[134:135], v[134:135], v[144:145]
	v_mov_b32_e32 v146, v147
	v_mov_b32_e32 v144, v135
	v_pk_add_f32 v[160:161], v[144:145], v[132:133] neg_lo:[0,1] neg_hi:[0,1]
	v_mov_b32_e32 v134, v149
	v_mov_b32_e32 v37, v160
	v_pk_add_f32 v[162:163], v[148:149], v[36:37] neg_lo:[0,1] neg_hi:[0,1]
	v_mov_b32_e32 v148, v133
	v_mov_b32_e32 v149, v160
	;; [unrolled: 1-line block ×3, first 2 shown]
	v_pk_add_f32 v[134:135], v[134:135], v[148:149] neg_lo:[0,1] neg_hi:[0,1]
	v_mov_b32_e32 v147, v132
	v_pk_add_f32 v[132:133], v[146:147], v[134:135] neg_lo:[0,1] neg_hi:[0,1]
	v_mov_b32_e32 v162, v150
	v_pk_add_f32 v[134:135], v[162:163], v[132:133]
	s_nop 0
	v_mov_b32_e32 v146, v135
	v_pk_add_f32 v[146:147], v[134:135], v[146:147]
	s_nop 0
	v_pk_add_f32 v[144:145], v[144:145], v[146:147]
	v_mov_b32_e32 v133, v146
	v_mov_b32_e32 v135, v144
	v_pk_add_f32 v[148:149], v[134:135], v[150:151] neg_lo:[0,1] neg_hi:[0,1]
	s_nop 0
	v_sub_f32_e32 v37, v134, v148
	v_pk_add_f32 v[132:133], v[132:133], v[148:149] neg_lo:[0,1] neg_hi:[0,1]
	v_sub_f32_e32 v37, v150, v37
	v_add_f32_e32 v37, v132, v37
	v_add_f32_e32 v37, v37, v133
	;; [unrolled: 1-line block ×3, first 2 shown]
	v_cndmask_b32_e32 v37, v37, v164, vcc
	v_add_f32_e32 v37, v39, v37
	v_cvt_f16_f32_e32 v133, v37
.LBB408_192:                            ;   in Loop: Header=BB408_174 Depth=1
	s_or_b64 exec, exec, s[56:57]
	v_and_b32_e32 v37, 0xffff, v133
	v_mov_b32_e32 v132, v133
.LBB408_193:                            ;   in Loop: Header=BB408_174 Depth=1
	s_or_b64 exec, exec, s[62:63]
	s_waitcnt lgkmcnt(0)
	ds_bpermute_b32 v133, v114, v37
	v_cmp_le_u32_e32 vcc, v115, v38
	s_and_saveexec_b64 s[62:63], vcc
	s_cbranch_execz .LBB408_197
; %bb.194:                              ;   in Loop: Header=BB408_174 Depth=1
	s_waitcnt lgkmcnt(0)
	v_cvt_f32_f16_e32 v39, v133
	v_cvt_f32_f16_e32 v134, v132
	v_cmp_u_f16_e32 vcc, v133, v133
	v_cmp_u_f16_e64 s[56:57], v132, v132
	v_min_f32_e32 v37, v39, v134
	v_max_f32_e32 v132, v39, v134
	v_cndmask_b32_e32 v37, v37, v39, vcc
	v_cndmask_b32_e32 v39, v132, v39, vcc
	v_cndmask_b32_e64 v37, v37, v134, s[56:57]
	v_cndmask_b32_e64 v39, v39, v134, s[56:57]
	v_cmp_neq_f32_e32 vcc, v37, v39
	v_cmp_class_f32_e64 s[56:57], v37, s13
	s_or_b64 vcc, vcc, s[56:57]
	s_and_saveexec_b64 s[56:57], vcc
	s_cbranch_execz .LBB408_196
; %bb.195:                              ;   in Loop: Header=BB408_174 Depth=1
	v_sub_f32_e32 v37, v37, v39
	v_mul_f32_e32 v132, 0x3fb8aa3b, v37
	v_fma_f32 v133, v37, s64, -v132
	v_rndne_f32_e32 v134, v132
	v_fmac_f32_e32 v133, 0x32a5705f, v37
	v_sub_f32_e32 v132, v132, v134
	v_add_f32_e32 v132, v132, v133
	v_cvt_i32_f32_e32 v133, v134
	v_exp_f32_e32 v132, v132
	v_cmp_ngt_f32_e32 vcc, s65, v37
	v_ldexp_f32 v132, v132, v133
	s_nop 0
	v_cndmask_b32_e32 v132, 0, v132, vcc
	v_cmp_nlt_f32_e32 vcc, s66, v37
	s_nop 1
	v_cndmask_b32_e32 v164, v131, v132, vcc
	v_add_f32_e32 v37, 1.0, v164
	v_add_f32_e32 v132, -1.0, v37
	v_sub_f32_e32 v133, v132, v37
	v_add_f32_e32 v133, 1.0, v133
	v_sub_f32_e32 v132, v164, v132
	v_add_f32_e32 v134, v132, v133
	v_frexp_mant_f32_e32 v135, v37
	v_cvt_f64_f32_e32 v[132:133], v37
	v_frexp_exp_i32_f64_e32 v132, v[132:133]
	v_cmp_gt_f32_e32 vcc, s68, v135
	v_cmp_lt_f32_e64 s[72:73], |v164|, s70
	s_nop 0
	v_subbrev_co_u32_e32 v148, vcc, 0, v132, vcc
	v_sub_u32_e32 v132, 0, v148
	v_ldexp_f32 v37, v37, v132
	v_ldexp_f32 v132, v134, v132
	v_add_f32_e32 v134, -1.0, v37
	v_add_f32_e32 v133, 1.0, v134
	v_sub_f32_e32 v133, v37, v133
	v_add_f32_e32 v135, v132, v133
	v_add_f32_e32 v133, 1.0, v37
	v_add_f32_e32 v144, -1.0, v133
	v_sub_f32_e32 v37, v37, v144
	v_add_f32_e32 v37, v132, v37
	v_add_f32_e32 v149, v133, v37
	v_rcp_f32_e32 v150, v149
	v_sub_f32_e32 v132, v133, v149
	v_add_f32_e32 v133, v134, v135
	v_add_f32_e32 v37, v37, v132
	v_mul_f32_e32 v160, v133, v150
	v_sub_f32_e32 v132, v134, v133
	v_mul_f32_e32 v134, v149, v160
	v_fma_f32 v144, v160, v149, -v134
	v_fmac_f32_e32 v144, v160, v37
	v_add_f32_e32 v151, v135, v132
	v_add_f32_e32 v132, v134, v144
	v_sub_f32_e32 v135, v133, v132
	v_pk_add_f32 v[146:147], v[132:133], v[134:135] neg_lo:[0,1] neg_hi:[0,1]
	v_mov_b32_e32 v145, v132
	v_pk_add_f32 v[132:133], v[146:147], v[144:145] neg_lo:[0,1] neg_hi:[0,1]
	v_cmp_eq_f32_e32 vcc, s67, v164
	v_add_f32_e32 v133, v151, v133
	v_add_f32_e32 v132, v132, v133
	;; [unrolled: 1-line block ×3, first 2 shown]
	v_mul_f32_e32 v151, v150, v133
	v_mul_f32_e32 v134, v149, v151
	v_fma_f32 v144, v151, v149, -v134
	v_fmac_f32_e32 v144, v151, v37
	v_sub_f32_e32 v37, v135, v133
	v_add_f32_e32 v37, v132, v37
	v_add_f32_e32 v132, v134, v144
	v_sub_f32_e32 v135, v133, v132
	v_pk_add_f32 v[146:147], v[132:133], v[134:135] neg_lo:[0,1] neg_hi:[0,1]
	v_mov_b32_e32 v145, v132
	v_pk_add_f32 v[132:133], v[146:147], v[144:145] neg_lo:[0,1] neg_hi:[0,1]
	s_or_b64 vcc, vcc, s[72:73]
	v_add_f32_e32 v37, v37, v133
	v_add_f32_e32 v37, v132, v37
	;; [unrolled: 1-line block ×4, first 2 shown]
	v_sub_f32_e32 v132, v133, v160
	v_mul_f32_e32 v37, v150, v37
	v_sub_f32_e32 v132, v151, v132
	v_add_f32_e32 v134, v132, v37
	v_add_f32_e32 v144, v133, v134
	v_cvt_f32_i32_e32 v132, v148
	v_mul_f32_e32 v145, v144, v144
	v_sub_f32_e32 v133, v144, v133
	v_fmamk_f32 v37, v145, 0x3e9b6dac, v129
	v_sub_f32_e32 v133, v134, v133
	v_fmaak_f32 v37, v145, v37, 0x3f2aaada
	v_ldexp_f32 v146, v133, 1
	v_mul_f32_e32 v133, v144, v145
	v_ldexp_f32 v135, v144, 1
	v_pk_mul_f32 v[144:145], v[132:133], v[36:37]
	s_nop 0
	v_fma_f32 v134, v132, s69, -v144
	v_fmac_f32_e32 v134, 0xb102e308, v132
	v_pk_add_f32 v[132:133], v[144:145], v[134:135]
	s_nop 0
	v_sub_f32_e32 v37, v133, v135
	v_sub_f32_e32 v37, v145, v37
	v_add_f32_e32 v147, v146, v37
	v_mov_b32_e32 v146, v144
	v_pk_add_f32 v[144:145], v[132:133], v[144:145] neg_lo:[0,1] neg_hi:[0,1]
	v_pk_add_f32 v[148:149], v[132:133], v[146:147]
	v_mov_b32_e32 v135, v132
	v_mov_b32_e32 v145, v149
	v_pk_add_f32 v[150:151], v[134:135], v[144:145] neg_lo:[0,1] neg_hi:[0,1]
	v_pk_add_f32 v[134:135], v[134:135], v[144:145]
	v_mov_b32_e32 v146, v147
	v_mov_b32_e32 v144, v135
	v_pk_add_f32 v[160:161], v[144:145], v[132:133] neg_lo:[0,1] neg_hi:[0,1]
	v_mov_b32_e32 v134, v149
	v_mov_b32_e32 v37, v160
	v_pk_add_f32 v[162:163], v[148:149], v[36:37] neg_lo:[0,1] neg_hi:[0,1]
	v_mov_b32_e32 v148, v133
	v_mov_b32_e32 v149, v160
	;; [unrolled: 1-line block ×3, first 2 shown]
	v_pk_add_f32 v[134:135], v[134:135], v[148:149] neg_lo:[0,1] neg_hi:[0,1]
	v_mov_b32_e32 v147, v132
	v_pk_add_f32 v[132:133], v[146:147], v[134:135] neg_lo:[0,1] neg_hi:[0,1]
	v_mov_b32_e32 v162, v150
	v_pk_add_f32 v[134:135], v[162:163], v[132:133]
	s_nop 0
	v_mov_b32_e32 v146, v135
	v_pk_add_f32 v[146:147], v[134:135], v[146:147]
	s_nop 0
	v_pk_add_f32 v[144:145], v[144:145], v[146:147]
	v_mov_b32_e32 v133, v146
	v_mov_b32_e32 v135, v144
	v_pk_add_f32 v[148:149], v[134:135], v[150:151] neg_lo:[0,1] neg_hi:[0,1]
	s_nop 0
	v_sub_f32_e32 v37, v134, v148
	v_pk_add_f32 v[132:133], v[132:133], v[148:149] neg_lo:[0,1] neg_hi:[0,1]
	v_sub_f32_e32 v37, v150, v37
	v_add_f32_e32 v37, v132, v37
	v_add_f32_e32 v37, v37, v133
	;; [unrolled: 1-line block ×3, first 2 shown]
	v_cndmask_b32_e32 v37, v37, v164, vcc
	v_add_f32_e32 v37, v39, v37
	v_cvt_f16_f32_e32 v133, v37
.LBB408_196:                            ;   in Loop: Header=BB408_174 Depth=1
	s_or_b64 exec, exec, s[56:57]
	v_and_b32_e32 v37, 0xffff, v133
	v_mov_b32_e32 v132, v133
.LBB408_197:                            ;   in Loop: Header=BB408_174 Depth=1
	s_or_b64 exec, exec, s[62:63]
	s_waitcnt lgkmcnt(0)
	ds_bpermute_b32 v133, v116, v37
	v_cmp_le_u32_e32 vcc, v117, v38
	s_and_saveexec_b64 s[62:63], vcc
	s_cbranch_execz .LBB408_201
; %bb.198:                              ;   in Loop: Header=BB408_174 Depth=1
	s_waitcnt lgkmcnt(0)
	v_cvt_f32_f16_e32 v39, v133
	v_cvt_f32_f16_e32 v134, v132
	v_cmp_u_f16_e32 vcc, v133, v133
	v_cmp_u_f16_e64 s[56:57], v132, v132
	v_min_f32_e32 v37, v39, v134
	v_max_f32_e32 v132, v39, v134
	v_cndmask_b32_e32 v37, v37, v39, vcc
	v_cndmask_b32_e32 v39, v132, v39, vcc
	v_cndmask_b32_e64 v37, v37, v134, s[56:57]
	v_cndmask_b32_e64 v39, v39, v134, s[56:57]
	v_cmp_neq_f32_e32 vcc, v37, v39
	v_cmp_class_f32_e64 s[56:57], v37, s13
	s_or_b64 vcc, vcc, s[56:57]
	s_and_saveexec_b64 s[56:57], vcc
	s_cbranch_execz .LBB408_200
; %bb.199:                              ;   in Loop: Header=BB408_174 Depth=1
	v_sub_f32_e32 v37, v37, v39
	v_mul_f32_e32 v132, 0x3fb8aa3b, v37
	v_fma_f32 v133, v37, s64, -v132
	v_rndne_f32_e32 v134, v132
	v_fmac_f32_e32 v133, 0x32a5705f, v37
	v_sub_f32_e32 v132, v132, v134
	v_add_f32_e32 v132, v132, v133
	v_cvt_i32_f32_e32 v133, v134
	v_exp_f32_e32 v132, v132
	v_cmp_ngt_f32_e32 vcc, s65, v37
	v_ldexp_f32 v132, v132, v133
	s_nop 0
	v_cndmask_b32_e32 v132, 0, v132, vcc
	v_cmp_nlt_f32_e32 vcc, s66, v37
	s_nop 1
	v_cndmask_b32_e32 v164, v131, v132, vcc
	v_add_f32_e32 v37, 1.0, v164
	v_add_f32_e32 v132, -1.0, v37
	v_sub_f32_e32 v133, v132, v37
	v_add_f32_e32 v133, 1.0, v133
	v_sub_f32_e32 v132, v164, v132
	v_add_f32_e32 v134, v132, v133
	v_frexp_mant_f32_e32 v135, v37
	v_cvt_f64_f32_e32 v[132:133], v37
	v_frexp_exp_i32_f64_e32 v132, v[132:133]
	v_cmp_gt_f32_e32 vcc, s68, v135
	v_cmp_lt_f32_e64 s[72:73], |v164|, s70
	s_nop 0
	v_subbrev_co_u32_e32 v148, vcc, 0, v132, vcc
	v_sub_u32_e32 v132, 0, v148
	v_ldexp_f32 v37, v37, v132
	v_ldexp_f32 v132, v134, v132
	v_add_f32_e32 v134, -1.0, v37
	v_add_f32_e32 v133, 1.0, v134
	v_sub_f32_e32 v133, v37, v133
	v_add_f32_e32 v135, v132, v133
	v_add_f32_e32 v133, 1.0, v37
	v_add_f32_e32 v144, -1.0, v133
	v_sub_f32_e32 v37, v37, v144
	v_add_f32_e32 v37, v132, v37
	v_add_f32_e32 v149, v133, v37
	v_rcp_f32_e32 v150, v149
	v_sub_f32_e32 v132, v133, v149
	v_add_f32_e32 v133, v134, v135
	v_add_f32_e32 v37, v37, v132
	v_mul_f32_e32 v160, v133, v150
	v_sub_f32_e32 v132, v134, v133
	v_mul_f32_e32 v134, v149, v160
	v_fma_f32 v144, v160, v149, -v134
	v_fmac_f32_e32 v144, v160, v37
	v_add_f32_e32 v151, v135, v132
	v_add_f32_e32 v132, v134, v144
	v_sub_f32_e32 v135, v133, v132
	v_pk_add_f32 v[146:147], v[132:133], v[134:135] neg_lo:[0,1] neg_hi:[0,1]
	v_mov_b32_e32 v145, v132
	v_pk_add_f32 v[132:133], v[146:147], v[144:145] neg_lo:[0,1] neg_hi:[0,1]
	v_cmp_eq_f32_e32 vcc, s67, v164
	v_add_f32_e32 v133, v151, v133
	v_add_f32_e32 v132, v132, v133
	;; [unrolled: 1-line block ×3, first 2 shown]
	v_mul_f32_e32 v151, v150, v133
	v_mul_f32_e32 v134, v149, v151
	v_fma_f32 v144, v151, v149, -v134
	v_fmac_f32_e32 v144, v151, v37
	v_sub_f32_e32 v37, v135, v133
	v_add_f32_e32 v37, v132, v37
	v_add_f32_e32 v132, v134, v144
	v_sub_f32_e32 v135, v133, v132
	v_pk_add_f32 v[146:147], v[132:133], v[134:135] neg_lo:[0,1] neg_hi:[0,1]
	v_mov_b32_e32 v145, v132
	v_pk_add_f32 v[132:133], v[146:147], v[144:145] neg_lo:[0,1] neg_hi:[0,1]
	s_or_b64 vcc, vcc, s[72:73]
	v_add_f32_e32 v37, v37, v133
	v_add_f32_e32 v37, v132, v37
	;; [unrolled: 1-line block ×4, first 2 shown]
	v_sub_f32_e32 v132, v133, v160
	v_mul_f32_e32 v37, v150, v37
	v_sub_f32_e32 v132, v151, v132
	v_add_f32_e32 v134, v132, v37
	v_add_f32_e32 v144, v133, v134
	v_cvt_f32_i32_e32 v132, v148
	v_mul_f32_e32 v145, v144, v144
	v_sub_f32_e32 v133, v144, v133
	v_fmamk_f32 v37, v145, 0x3e9b6dac, v129
	v_sub_f32_e32 v133, v134, v133
	v_fmaak_f32 v37, v145, v37, 0x3f2aaada
	v_ldexp_f32 v146, v133, 1
	v_mul_f32_e32 v133, v144, v145
	v_ldexp_f32 v135, v144, 1
	v_pk_mul_f32 v[144:145], v[132:133], v[36:37]
	s_nop 0
	v_fma_f32 v134, v132, s69, -v144
	v_fmac_f32_e32 v134, 0xb102e308, v132
	v_pk_add_f32 v[132:133], v[144:145], v[134:135]
	s_nop 0
	v_sub_f32_e32 v37, v133, v135
	v_sub_f32_e32 v37, v145, v37
	v_add_f32_e32 v147, v146, v37
	v_mov_b32_e32 v146, v144
	v_pk_add_f32 v[144:145], v[132:133], v[144:145] neg_lo:[0,1] neg_hi:[0,1]
	v_pk_add_f32 v[148:149], v[132:133], v[146:147]
	v_mov_b32_e32 v135, v132
	v_mov_b32_e32 v145, v149
	v_pk_add_f32 v[150:151], v[134:135], v[144:145] neg_lo:[0,1] neg_hi:[0,1]
	v_pk_add_f32 v[134:135], v[134:135], v[144:145]
	v_mov_b32_e32 v146, v147
	v_mov_b32_e32 v144, v135
	v_pk_add_f32 v[160:161], v[144:145], v[132:133] neg_lo:[0,1] neg_hi:[0,1]
	v_mov_b32_e32 v134, v149
	v_mov_b32_e32 v37, v160
	v_pk_add_f32 v[162:163], v[148:149], v[36:37] neg_lo:[0,1] neg_hi:[0,1]
	v_mov_b32_e32 v148, v133
	v_mov_b32_e32 v149, v160
	;; [unrolled: 1-line block ×3, first 2 shown]
	v_pk_add_f32 v[134:135], v[134:135], v[148:149] neg_lo:[0,1] neg_hi:[0,1]
	v_mov_b32_e32 v147, v132
	v_pk_add_f32 v[132:133], v[146:147], v[134:135] neg_lo:[0,1] neg_hi:[0,1]
	v_mov_b32_e32 v162, v150
	v_pk_add_f32 v[134:135], v[162:163], v[132:133]
	s_nop 0
	v_mov_b32_e32 v146, v135
	v_pk_add_f32 v[146:147], v[134:135], v[146:147]
	s_nop 0
	v_pk_add_f32 v[144:145], v[144:145], v[146:147]
	v_mov_b32_e32 v133, v146
	v_mov_b32_e32 v135, v144
	v_pk_add_f32 v[148:149], v[134:135], v[150:151] neg_lo:[0,1] neg_hi:[0,1]
	s_nop 0
	v_sub_f32_e32 v37, v134, v148
	v_pk_add_f32 v[132:133], v[132:133], v[148:149] neg_lo:[0,1] neg_hi:[0,1]
	v_sub_f32_e32 v37, v150, v37
	v_add_f32_e32 v37, v132, v37
	v_add_f32_e32 v37, v37, v133
	;; [unrolled: 1-line block ×3, first 2 shown]
	v_cndmask_b32_e32 v37, v37, v164, vcc
	v_add_f32_e32 v37, v39, v37
	v_cvt_f16_f32_e32 v133, v37
.LBB408_200:                            ;   in Loop: Header=BB408_174 Depth=1
	s_or_b64 exec, exec, s[56:57]
	v_and_b32_e32 v37, 0xffff, v133
	v_mov_b32_e32 v132, v133
.LBB408_201:                            ;   in Loop: Header=BB408_174 Depth=1
	s_or_b64 exec, exec, s[62:63]
	ds_bpermute_b32 v37, v118, v37
	v_cmp_le_u32_e32 vcc, v119, v38
	s_and_saveexec_b64 s[62:63], vcc
	s_cbranch_execz .LBB408_205
; %bb.202:                              ;   in Loop: Header=BB408_174 Depth=1
	s_waitcnt lgkmcnt(0)
	v_cvt_f32_f16_e32 v38, v37
	v_cvt_f32_f16_e32 v133, v132
	v_cmp_u_f16_e32 vcc, v37, v37
	v_cmp_u_f16_e64 s[56:57], v132, v132
	v_min_f32_e32 v39, v38, v133
	v_max_f32_e32 v132, v38, v133
	v_cndmask_b32_e32 v39, v39, v38, vcc
	v_cndmask_b32_e32 v38, v132, v38, vcc
	v_cndmask_b32_e64 v39, v39, v133, s[56:57]
	v_cndmask_b32_e64 v38, v38, v133, s[56:57]
	v_cmp_neq_f32_e32 vcc, v39, v38
	v_cmp_class_f32_e64 s[56:57], v39, s13
	s_or_b64 vcc, vcc, s[56:57]
	s_and_saveexec_b64 s[56:57], vcc
	s_cbranch_execz .LBB408_204
; %bb.203:                              ;   in Loop: Header=BB408_174 Depth=1
	v_sub_f32_e32 v37, v39, v38
	v_mul_f32_e32 v39, 0x3fb8aa3b, v37
	v_fma_f32 v132, v37, s64, -v39
	v_rndne_f32_e32 v133, v39
	v_fmac_f32_e32 v132, 0x32a5705f, v37
	v_sub_f32_e32 v39, v39, v133
	v_add_f32_e32 v39, v39, v132
	v_cvt_i32_f32_e32 v132, v133
	v_exp_f32_e32 v39, v39
	v_cmp_ngt_f32_e32 vcc, s65, v37
	v_ldexp_f32 v39, v39, v132
	s_nop 0
	v_cndmask_b32_e32 v39, 0, v39, vcc
	v_cmp_nlt_f32_e32 vcc, s66, v37
	s_nop 1
	v_cndmask_b32_e32 v39, v131, v39, vcc
	v_add_f32_e32 v37, 1.0, v39
	v_add_f32_e32 v132, -1.0, v37
	v_sub_f32_e32 v133, v132, v37
	v_add_f32_e32 v133, 1.0, v133
	v_sub_f32_e32 v132, v39, v132
	v_add_f32_e32 v134, v132, v133
	v_frexp_mant_f32_e32 v135, v37
	v_cvt_f64_f32_e32 v[132:133], v37
	v_frexp_exp_i32_f64_e32 v132, v[132:133]
	v_cmp_gt_f32_e32 vcc, s68, v135
	v_cmp_lt_f32_e64 s[72:73], |v39|, s70
	s_nop 0
	v_subbrev_co_u32_e32 v148, vcc, 0, v132, vcc
	v_sub_u32_e32 v132, 0, v148
	v_ldexp_f32 v37, v37, v132
	v_ldexp_f32 v132, v134, v132
	v_add_f32_e32 v134, -1.0, v37
	v_add_f32_e32 v133, 1.0, v134
	v_sub_f32_e32 v133, v37, v133
	v_add_f32_e32 v135, v132, v133
	v_add_f32_e32 v133, 1.0, v37
	v_add_f32_e32 v144, -1.0, v133
	v_sub_f32_e32 v37, v37, v144
	v_add_f32_e32 v37, v132, v37
	v_add_f32_e32 v149, v133, v37
	v_rcp_f32_e32 v150, v149
	v_sub_f32_e32 v132, v133, v149
	v_add_f32_e32 v133, v134, v135
	v_add_f32_e32 v37, v37, v132
	v_mul_f32_e32 v160, v133, v150
	v_sub_f32_e32 v132, v134, v133
	v_mul_f32_e32 v134, v149, v160
	v_fma_f32 v144, v160, v149, -v134
	v_fmac_f32_e32 v144, v160, v37
	v_add_f32_e32 v151, v135, v132
	v_add_f32_e32 v132, v134, v144
	v_sub_f32_e32 v135, v133, v132
	v_pk_add_f32 v[146:147], v[132:133], v[134:135] neg_lo:[0,1] neg_hi:[0,1]
	v_mov_b32_e32 v145, v132
	v_pk_add_f32 v[132:133], v[146:147], v[144:145] neg_lo:[0,1] neg_hi:[0,1]
	v_cmp_eq_f32_e32 vcc, s67, v39
	v_add_f32_e32 v133, v151, v133
	v_add_f32_e32 v132, v132, v133
	v_add_f32_e32 v133, v135, v132
	v_mul_f32_e32 v151, v150, v133
	v_mul_f32_e32 v134, v149, v151
	v_fma_f32 v144, v151, v149, -v134
	v_fmac_f32_e32 v144, v151, v37
	v_sub_f32_e32 v37, v135, v133
	v_add_f32_e32 v37, v132, v37
	v_add_f32_e32 v132, v134, v144
	v_sub_f32_e32 v135, v133, v132
	v_pk_add_f32 v[146:147], v[132:133], v[134:135] neg_lo:[0,1] neg_hi:[0,1]
	v_mov_b32_e32 v145, v132
	v_pk_add_f32 v[132:133], v[146:147], v[144:145] neg_lo:[0,1] neg_hi:[0,1]
	s_or_b64 vcc, vcc, s[72:73]
	v_add_f32_e32 v37, v37, v133
	v_add_f32_e32 v37, v132, v37
	;; [unrolled: 1-line block ×4, first 2 shown]
	v_sub_f32_e32 v132, v133, v160
	v_mul_f32_e32 v37, v150, v37
	v_sub_f32_e32 v132, v151, v132
	v_add_f32_e32 v134, v132, v37
	v_add_f32_e32 v144, v133, v134
	v_cvt_f32_i32_e32 v132, v148
	v_mul_f32_e32 v145, v144, v144
	v_sub_f32_e32 v133, v144, v133
	v_fmamk_f32 v37, v145, 0x3e9b6dac, v129
	v_sub_f32_e32 v133, v134, v133
	v_fmaak_f32 v37, v145, v37, 0x3f2aaada
	v_ldexp_f32 v146, v133, 1
	v_mul_f32_e32 v133, v144, v145
	v_ldexp_f32 v135, v144, 1
	v_pk_mul_f32 v[144:145], v[132:133], v[36:37]
	s_nop 0
	v_fma_f32 v134, v132, s69, -v144
	v_fmac_f32_e32 v134, 0xb102e308, v132
	v_pk_add_f32 v[132:133], v[144:145], v[134:135]
	s_nop 0
	v_sub_f32_e32 v37, v133, v135
	v_sub_f32_e32 v37, v145, v37
	v_add_f32_e32 v147, v146, v37
	v_mov_b32_e32 v146, v144
	v_pk_add_f32 v[144:145], v[132:133], v[144:145] neg_lo:[0,1] neg_hi:[0,1]
	v_pk_add_f32 v[148:149], v[132:133], v[146:147]
	v_mov_b32_e32 v135, v132
	v_mov_b32_e32 v145, v149
	v_pk_add_f32 v[150:151], v[134:135], v[144:145] neg_lo:[0,1] neg_hi:[0,1]
	v_pk_add_f32 v[134:135], v[134:135], v[144:145]
	v_mov_b32_e32 v146, v147
	v_mov_b32_e32 v144, v135
	v_pk_add_f32 v[160:161], v[144:145], v[132:133] neg_lo:[0,1] neg_hi:[0,1]
	v_mov_b32_e32 v134, v149
	v_mov_b32_e32 v37, v160
	v_pk_add_f32 v[162:163], v[148:149], v[36:37] neg_lo:[0,1] neg_hi:[0,1]
	v_mov_b32_e32 v148, v133
	v_mov_b32_e32 v149, v160
	;; [unrolled: 1-line block ×3, first 2 shown]
	v_pk_add_f32 v[134:135], v[134:135], v[148:149] neg_lo:[0,1] neg_hi:[0,1]
	v_mov_b32_e32 v147, v132
	v_pk_add_f32 v[132:133], v[146:147], v[134:135] neg_lo:[0,1] neg_hi:[0,1]
	v_mov_b32_e32 v162, v150
	v_pk_add_f32 v[134:135], v[162:163], v[132:133]
	s_nop 0
	v_mov_b32_e32 v146, v135
	v_pk_add_f32 v[146:147], v[134:135], v[146:147]
	s_nop 0
	v_pk_add_f32 v[144:145], v[144:145], v[146:147]
	v_mov_b32_e32 v133, v146
	v_mov_b32_e32 v135, v144
	v_pk_add_f32 v[148:149], v[134:135], v[150:151] neg_lo:[0,1] neg_hi:[0,1]
	s_nop 0
	v_sub_f32_e32 v37, v134, v148
	v_pk_add_f32 v[132:133], v[132:133], v[148:149] neg_lo:[0,1] neg_hi:[0,1]
	v_sub_f32_e32 v37, v150, v37
	v_add_f32_e32 v37, v132, v37
	v_add_f32_e32 v37, v37, v133
	;; [unrolled: 1-line block ×3, first 2 shown]
	v_cndmask_b32_e32 v37, v37, v39, vcc
	v_add_f32_e32 v37, v38, v37
	v_cvt_f16_f32_e32 v37, v37
.LBB408_204:                            ;   in Loop: Header=BB408_174 Depth=1
	s_or_b64 exec, exec, s[56:57]
	v_mov_b32_e32 v132, v37
.LBB408_205:                            ;   in Loop: Header=BB408_174 Depth=1
	s_or_b64 exec, exec, s[62:63]
	v_cvt_f32_f16_e32 v38, v132
	v_cvt_f32_f16_e32 v39, v128
	v_cmp_u_f16_e32 vcc, v132, v132
	v_cmp_u_f16_e64 s[56:57], v128, v128
	s_waitcnt lgkmcnt(0)
	v_min_f32_e32 v37, v38, v39
	v_max_f32_e32 v133, v38, v39
	v_cndmask_b32_e32 v37, v37, v38, vcc
	v_cndmask_b32_e32 v38, v133, v38, vcc
	v_cndmask_b32_e64 v37, v37, v39, s[56:57]
	v_cndmask_b32_e64 v38, v38, v39, s[56:57]
	v_cmp_neq_f32_e32 vcc, v37, v38
	v_cmp_class_f32_e64 s[56:57], v37, s13
	s_or_b64 vcc, vcc, s[56:57]
	s_and_saveexec_b64 s[56:57], vcc
	s_xor_b64 s[56:57], exec, s[56:57]
	s_cbranch_execz .LBB408_173
; %bb.206:                              ;   in Loop: Header=BB408_174 Depth=1
	v_sub_f32_e32 v37, v37, v38
	v_mul_f32_e32 v39, 0x3fb8aa3b, v37
	v_fma_f32 v132, v37, s64, -v39
	v_rndne_f32_e32 v133, v39
	v_fmac_f32_e32 v132, 0x32a5705f, v37
	v_sub_f32_e32 v39, v39, v133
	v_add_f32_e32 v39, v39, v132
	v_cvt_i32_f32_e32 v132, v133
	v_exp_f32_e32 v39, v39
	v_cmp_ngt_f32_e32 vcc, s65, v37
	v_ldexp_f32 v39, v39, v132
	s_nop 0
	v_cndmask_b32_e32 v39, 0, v39, vcc
	v_cmp_nlt_f32_e32 vcc, s66, v37
	s_nop 1
	v_cndmask_b32_e32 v39, v131, v39, vcc
	v_add_f32_e32 v37, 1.0, v39
	v_add_f32_e32 v132, -1.0, v37
	v_sub_f32_e32 v133, v132, v37
	v_add_f32_e32 v133, 1.0, v133
	v_sub_f32_e32 v132, v39, v132
	v_add_f32_e32 v134, v132, v133
	v_frexp_mant_f32_e32 v135, v37
	v_cvt_f64_f32_e32 v[132:133], v37
	v_frexp_exp_i32_f64_e32 v132, v[132:133]
	v_cmp_gt_f32_e32 vcc, s68, v135
	v_cmp_lt_f32_e64 s[62:63], |v39|, s70
	s_nop 0
	v_subbrev_co_u32_e32 v132, vcc, 0, v132, vcc
	v_sub_u32_e32 v133, 0, v132
	v_ldexp_f32 v37, v37, v133
	v_ldexp_f32 v133, v134, v133
	v_add_f32_e32 v134, -1.0, v37
	v_add_f32_e32 v145, 1.0, v37
	v_add_f32_e32 v135, 1.0, v134
	v_add_f32_e32 v146, -1.0, v145
	v_sub_f32_e32 v135, v37, v135
	v_sub_f32_e32 v37, v37, v146
	v_add_f32_e32 v37, v133, v37
	v_add_f32_e32 v135, v133, v135
	;; [unrolled: 1-line block ×3, first 2 shown]
	v_rcp_f32_e32 v146, v133
	v_add_f32_e32 v144, v134, v135
	v_sub_f32_e32 v134, v134, v144
	v_add_f32_e32 v134, v135, v134
	v_sub_f32_e32 v135, v145, v133
	v_add_f32_e32 v37, v37, v135
	v_mul_f32_e32 v135, v144, v146
	v_mul_f32_e32 v145, v133, v135
	v_fma_f32 v147, v135, v133, -v145
	v_fmac_f32_e32 v147, v135, v37
	v_add_f32_e32 v148, v145, v147
	v_sub_f32_e32 v149, v144, v148
	v_sub_f32_e32 v144, v144, v149
	;; [unrolled: 1-line block ×4, first 2 shown]
	v_add_f32_e32 v134, v134, v144
	v_sub_f32_e32 v144, v145, v147
	v_add_f32_e32 v134, v144, v134
	v_add_f32_e32 v144, v149, v134
	v_mul_f32_e32 v145, v146, v144
	v_mul_f32_e32 v147, v133, v145
	v_fma_f32 v133, v145, v133, -v147
	v_fmac_f32_e32 v133, v145, v37
	v_sub_f32_e32 v37, v149, v144
	v_add_f32_e32 v37, v134, v37
	v_add_f32_e32 v134, v147, v133
	v_sub_f32_e32 v148, v144, v134
	v_sub_f32_e32 v144, v144, v148
	;; [unrolled: 1-line block ×4, first 2 shown]
	v_add_f32_e32 v37, v37, v134
	v_sub_f32_e32 v133, v147, v133
	v_add_f32_e32 v37, v133, v37
	v_add_f32_e32 v133, v135, v145
	;; [unrolled: 1-line block ×3, first 2 shown]
	v_sub_f32_e32 v134, v133, v135
	v_mul_f32_e32 v37, v146, v37
	v_sub_f32_e32 v134, v145, v134
	v_add_f32_e32 v134, v134, v37
	v_add_f32_e32 v144, v133, v134
	v_cvt_f32_i32_e32 v132, v132
	v_mul_f32_e32 v145, v144, v144
	v_sub_f32_e32 v133, v144, v133
	v_fmamk_f32 v37, v145, 0x3e9b6dac, v129
	v_sub_f32_e32 v133, v134, v133
	v_fmaak_f32 v37, v145, v37, 0x3f2aaada
	v_ldexp_f32 v146, v133, 1
	v_mul_f32_e32 v133, v144, v145
	v_ldexp_f32 v135, v144, 1
	v_pk_mul_f32 v[144:145], v[132:133], v[36:37]
	v_cmp_eq_f32_e32 vcc, s67, v39
	v_fma_f32 v134, v132, s69, -v144
	v_fmac_f32_e32 v134, 0xb102e308, v132
	v_pk_add_f32 v[132:133], v[144:145], v[134:135]
	s_or_b64 vcc, vcc, s[62:63]
	v_sub_f32_e32 v37, v133, v135
	v_sub_f32_e32 v37, v145, v37
	v_add_f32_e32 v147, v146, v37
	v_mov_b32_e32 v146, v144
	v_pk_add_f32 v[144:145], v[132:133], v[144:145] neg_lo:[0,1] neg_hi:[0,1]
	v_pk_add_f32 v[148:149], v[132:133], v[146:147]
	v_mov_b32_e32 v135, v132
	v_mov_b32_e32 v145, v149
	v_pk_add_f32 v[150:151], v[134:135], v[144:145] neg_lo:[0,1] neg_hi:[0,1]
	v_pk_add_f32 v[134:135], v[134:135], v[144:145]
	v_mov_b32_e32 v146, v147
	v_mov_b32_e32 v144, v135
	v_pk_add_f32 v[160:161], v[144:145], v[132:133] neg_lo:[0,1] neg_hi:[0,1]
	v_mov_b32_e32 v134, v149
	v_mov_b32_e32 v37, v160
	v_pk_add_f32 v[162:163], v[148:149], v[36:37] neg_lo:[0,1] neg_hi:[0,1]
	v_mov_b32_e32 v148, v133
	v_mov_b32_e32 v149, v160
	;; [unrolled: 1-line block ×3, first 2 shown]
	v_pk_add_f32 v[134:135], v[134:135], v[148:149] neg_lo:[0,1] neg_hi:[0,1]
	v_mov_b32_e32 v147, v132
	v_pk_add_f32 v[132:133], v[146:147], v[134:135] neg_lo:[0,1] neg_hi:[0,1]
	v_mov_b32_e32 v162, v150
	v_pk_add_f32 v[134:135], v[162:163], v[132:133]
	s_nop 0
	v_mov_b32_e32 v146, v135
	v_pk_add_f32 v[146:147], v[134:135], v[146:147]
	s_nop 0
	v_pk_add_f32 v[144:145], v[144:145], v[146:147]
	v_mov_b32_e32 v133, v146
	v_mov_b32_e32 v135, v144
	v_pk_add_f32 v[148:149], v[134:135], v[150:151] neg_lo:[0,1] neg_hi:[0,1]
	s_nop 0
	v_sub_f32_e32 v37, v134, v148
	v_pk_add_f32 v[132:133], v[132:133], v[148:149] neg_lo:[0,1] neg_hi:[0,1]
	v_sub_f32_e32 v37, v150, v37
	v_add_f32_e32 v37, v132, v37
	v_add_f32_e32 v37, v37, v133
	;; [unrolled: 1-line block ×3, first 2 shown]
	v_cndmask_b32_e32 v37, v37, v39, vcc
	v_add_f32_e32 v37, v38, v37
	v_cvt_f16_f32_e32 v132, v37
	s_branch .LBB408_173
.LBB408_207:                            ;   in Loop: Header=BB408_174 Depth=1
                                        ; implicit-def: $vgpr132
                                        ; implicit-def: $vgpr101
	s_cbranch_execz .LBB408_174
; %bb.208:
	s_and_saveexec_b64 s[62:63], s[52:53]
	s_cbranch_execz .LBB408_212
; %bb.209:
	v_cvt_f32_f16_e32 v32, v128
	v_cvt_f32_f16_e32 v33, v98
	v_cmp_u_f16_e32 vcc, v128, v128
	v_cmp_u_f16_e64 s[56:57], v98, v98
	s_movk_i32 s13, 0x1f8
	v_min_f32_e32 v34, v32, v33
	v_max_f32_e32 v35, v32, v33
	v_cndmask_b32_e32 v34, v34, v32, vcc
	v_cndmask_b32_e32 v32, v35, v32, vcc
	v_cndmask_b32_e64 v34, v34, v33, s[56:57]
	v_cndmask_b32_e64 v32, v32, v33, s[56:57]
	v_cmp_neq_f32_e32 vcc, v34, v32
	v_cmp_class_f32_e64 s[56:57], v34, s13
	s_or_b64 vcc, vcc, s[56:57]
	v_mov_b32_e32 v33, v128
	s_and_saveexec_b64 s[56:57], vcc
	s_cbranch_execz .LBB408_211
; %bb.210:
	v_sub_f32_e32 v33, v34, v32
	s_mov_b32 s13, 0x3fb8aa3b
	v_mul_f32_e32 v34, 0x3fb8aa3b, v33
	v_fma_f32 v35, v33, s13, -v34
	v_rndne_f32_e32 v36, v34
	v_fmamk_f32 v35, v33, 0x32a5705f, v35
	v_sub_f32_e32 v34, v34, v36
	v_add_f32_e32 v34, v34, v35
	v_exp_f32_e32 v34, v34
	v_cvt_i32_f32_e32 v35, v36
	s_mov_b32 s13, 0xc2ce8ed0
	v_cmp_ngt_f32_e32 vcc, s13, v33
	s_mov_b32 s13, 0x42b17218
	v_ldexp_f32 v34, v34, v35
	v_cndmask_b32_e32 v34, 0, v34, vcc
	v_mov_b32_e32 v35, 0x7f800000
	v_cmp_nlt_f32_e32 vcc, s13, v33
	s_mov_b32 s13, 0x3f2aaaab
	s_mov_b32 s64, 0x7f800000
	v_cndmask_b32_e32 v116, v35, v34, vcc
	v_add_f32_e32 v33, 1.0, v116
	v_add_f32_e32 v34, -1.0, v33
	v_sub_f32_e32 v35, v34, v33
	v_add_f32_e32 v35, 1.0, v35
	v_sub_f32_e32 v34, v116, v34
	v_add_f32_e32 v36, v34, v35
	v_frexp_mant_f32_e32 v37, v33
	v_cvt_f64_f32_e32 v[34:35], v33
	v_frexp_exp_i32_f64_e32 v34, v[34:35]
	v_cmp_gt_f32_e32 vcc, s13, v37
	s_mov_b32 s13, 0x3f317218
	s_nop 0
	v_subbrev_co_u32_e32 v100, vcc, 0, v34, vcc
	v_sub_u32_e32 v34, 0, v100
	v_ldexp_f32 v33, v33, v34
	v_ldexp_f32 v34, v36, v34
	v_add_f32_e32 v36, -1.0, v33
	v_add_f32_e32 v35, 1.0, v36
	v_sub_f32_e32 v35, v33, v35
	v_add_f32_e32 v37, v34, v35
	v_add_f32_e32 v35, 1.0, v33
	v_add_f32_e32 v38, -1.0, v35
	v_sub_f32_e32 v33, v33, v38
	v_add_f32_e32 v33, v34, v33
	v_add_f32_e32 v101, v35, v33
	v_rcp_f32_e32 v102, v101
	v_sub_f32_e32 v34, v35, v101
	v_add_f32_e32 v35, v36, v37
	v_add_f32_e32 v33, v33, v34
	v_mul_f32_e32 v112, v35, v102
	v_sub_f32_e32 v34, v36, v35
	v_mul_f32_e32 v36, v101, v112
	v_fma_f32 v38, v112, v101, -v36
	v_fmac_f32_e32 v38, v112, v33
	v_add_f32_e32 v103, v37, v34
	v_add_f32_e32 v34, v36, v38
	v_sub_f32_e32 v37, v35, v34
	v_pk_add_f32 v[98:99], v[34:35], v[36:37] neg_lo:[0,1] neg_hi:[0,1]
	v_mov_b32_e32 v39, v34
	v_pk_add_f32 v[34:35], v[98:99], v[38:39] neg_lo:[0,1] neg_hi:[0,1]
	v_cmp_eq_f32_e32 vcc, s64, v116
	v_add_f32_e32 v35, v103, v35
	v_add_f32_e32 v34, v34, v35
	;; [unrolled: 1-line block ×3, first 2 shown]
	v_mul_f32_e32 v103, v102, v35
	v_mul_f32_e32 v36, v101, v103
	v_fma_f32 v38, v103, v101, -v36
	v_fmac_f32_e32 v38, v103, v33
	v_sub_f32_e32 v33, v37, v35
	v_add_f32_e32 v33, v34, v33
	v_add_f32_e32 v34, v36, v38
	v_sub_f32_e32 v37, v35, v34
	v_pk_add_f32 v[98:99], v[34:35], v[36:37] neg_lo:[0,1] neg_hi:[0,1]
	v_mov_b32_e32 v39, v34
	v_pk_add_f32 v[34:35], v[98:99], v[38:39] neg_lo:[0,1] neg_hi:[0,1]
	v_cvt_f32_i32_e32 v36, v100
	v_add_f32_e32 v33, v33, v35
	v_add_f32_e32 v33, v34, v33
	;; [unrolled: 1-line block ×4, first 2 shown]
	v_sub_f32_e32 v35, v34, v112
	v_mul_f32_e32 v33, v102, v33
	v_sub_f32_e32 v35, v103, v35
	v_add_f32_e32 v33, v35, v33
	v_add_f32_e32 v37, v34, v33
	v_mul_f32_e32 v38, v37, v37
	v_mov_b32_e32 v35, 0x3ecc95a3
	v_fmac_f32_e32 v35, 0x3e9b6dac, v38
	v_sub_f32_e32 v34, v37, v34
	v_fmaak_f32 v35, v38, v35, 0x3f2aaada
	v_sub_f32_e32 v33, v33, v34
	v_ldexp_f32 v39, v37, 1
	v_mul_f32_e32 v37, v37, v38
	v_mov_b32_e32 v34, 0x3f317218
	v_pk_mul_f32 v[34:35], v[36:37], v[34:35]
	v_ldexp_f32 v33, v33, 1
	v_fma_f32 v37, v36, s13, -v34
	v_fmamk_f32 v38, v36, 0xb102e308, v37
	v_pk_add_f32 v[36:37], v[34:35], v[38:39]
	v_mov_b32_e32 v98, v34
	v_sub_f32_e32 v39, v37, v39
	v_sub_f32_e32 v39, v35, v39
	v_add_f32_e32 v99, v33, v39
	v_pk_add_f32 v[34:35], v[36:37], v[34:35] neg_lo:[0,1] neg_hi:[0,1]
	v_pk_add_f32 v[100:101], v[36:37], v[98:99]
	v_mov_b32_e32 v39, v36
	v_mov_b32_e32 v35, v101
	v_pk_add_f32 v[102:103], v[38:39], v[34:35] neg_lo:[0,1] neg_hi:[0,1]
	v_pk_add_f32 v[34:35], v[38:39], v[34:35]
	v_mov_b32_e32 v98, v99
	v_mov_b32_e32 v38, v35
	v_pk_add_f32 v[112:113], v[38:39], v[36:37] neg_lo:[0,1] neg_hi:[0,1]
	v_mov_b32_e32 v34, v101
	v_mov_b32_e32 v33, v112
	v_pk_add_f32 v[114:115], v[100:101], v[32:33] neg_lo:[0,1] neg_hi:[0,1]
	v_mov_b32_e32 v100, v37
	v_mov_b32_e32 v101, v112
	;; [unrolled: 1-line block ×3, first 2 shown]
	v_pk_add_f32 v[34:35], v[34:35], v[100:101] neg_lo:[0,1] neg_hi:[0,1]
	v_mov_b32_e32 v99, v36
	v_pk_add_f32 v[34:35], v[98:99], v[34:35] neg_lo:[0,1] neg_hi:[0,1]
	v_mov_b32_e32 v114, v102
	v_pk_add_f32 v[36:37], v[114:115], v[34:35]
	s_mov_b32 s13, 0x33800000
	v_mov_b32_e32 v98, v37
	v_pk_add_f32 v[98:99], v[36:37], v[98:99]
	v_cmp_lt_f32_e64 s[64:65], |v116|, s13
	v_pk_add_f32 v[38:39], v[38:39], v[98:99]
	v_mov_b32_e32 v35, v98
	v_mov_b32_e32 v37, v38
	v_pk_add_f32 v[100:101], v[36:37], v[102:103] neg_lo:[0,1] neg_hi:[0,1]
	s_or_b64 vcc, vcc, s[64:65]
	v_sub_f32_e32 v33, v36, v100
	v_pk_add_f32 v[34:35], v[34:35], v[100:101] neg_lo:[0,1] neg_hi:[0,1]
	v_sub_f32_e32 v33, v102, v33
	v_add_f32_e32 v33, v34, v33
	v_add_f32_e32 v33, v33, v35
	;; [unrolled: 1-line block ×3, first 2 shown]
	v_cndmask_b32_e32 v33, v33, v116, vcc
	v_add_f32_e32 v32, v32, v33
	v_cvt_f16_f32_e32 v33, v32
.LBB408_211:
	s_or_b64 exec, exec, s[56:57]
	s_add_i32 s12, s12, 64
	s_mov_b32 s13, 0
	v_lshl_add_u64 v[34:35], s[12:13], 2, v[28:29]
	s_mov_b32 s12, 0x20000
	v_or_b32_sdwa v32, v33, s12 dst_sel:DWORD dst_unused:UNUSED_PAD src0_sel:WORD_0 src1_sel:DWORD
	flat_store_dword v[34:35], v32 sc1
.LBB408_212:
	s_or_b64 exec, exec, s[62:63]
	v_cmp_eq_u32_e32 vcc, 0, v0
	s_and_b64 exec, exec, vcc
	s_cbranch_execz .LBB408_214
; %bb.213:
	v_mov_b32_e32 v32, 0
	ds_write_b16 v32, v128 offset:6
.LBB408_214:
	s_or_b64 exec, exec, s[60:61]
	v_mov_b32_e32 v32, 0
	s_waitcnt lgkmcnt(0)
	s_barrier
	ds_read_u16 v32, v32 offset:6
	v_cmp_ne_u32_e32 vcc, 0, v0
	v_mov_b32_e32 v34, v24
	s_and_saveexec_b64 s[12:13], vcc
	s_cbranch_execz .LBB408_218
; %bb.215:
	v_cndmask_b32_e64 v34, v97, v96, s[52:53]
	v_cvt_f32_f16_e32 v35, v34
	v_max_f32_e32 v33, v87, v87
	v_cmp_u_f16_e32 vcc, v34, v34
	v_min_f32_e32 v36, v35, v33
	v_max_f32_e32 v33, v35, v33
	v_cndmask_b32_e32 v36, v36, v35, vcc
	v_cndmask_b32_e32 v33, v33, v35, vcc
	v_cndmask_b32_e64 v36, v36, v87, s[50:51]
	v_cndmask_b32_e64 v33, v33, v87, s[50:51]
	s_movk_i32 s50, 0x1f8
	v_cmp_neq_f32_e32 vcc, v36, v33
	v_cmp_class_f32_e64 s[50:51], v36, s50
	s_or_b64 vcc, vcc, s[50:51]
	s_and_saveexec_b64 s[50:51], vcc
	s_cbranch_execz .LBB408_217
; %bb.216:
	v_sub_f32_e32 v34, v36, v33
	s_mov_b32 s52, 0x3fb8aa3b
	v_mul_f32_e32 v35, 0x3fb8aa3b, v34
	v_fma_f32 v36, v34, s52, -v35
	v_rndne_f32_e32 v37, v35
	v_fmamk_f32 v36, v34, 0x32a5705f, v36
	v_sub_f32_e32 v35, v35, v37
	v_add_f32_e32 v35, v35, v36
	v_exp_f32_e32 v35, v35
	v_cvt_i32_f32_e32 v36, v37
	s_mov_b32 s52, 0xc2ce8ed0
	v_cmp_ngt_f32_e32 vcc, s52, v34
	s_mov_b32 s52, 0x42b17218
	v_ldexp_f32 v35, v35, v36
	v_cndmask_b32_e32 v35, 0, v35, vcc
	v_mov_b32_e32 v36, 0x7f800000
	v_cmp_nlt_f32_e32 vcc, s52, v34
	s_mov_b32 s52, 0x3f2aaaab
	s_mov_b32 s53, 0x7f800000
	v_cndmask_b32_e32 v87, v36, v35, vcc
	v_add_f32_e32 v36, 1.0, v87
	v_add_f32_e32 v34, -1.0, v36
	v_sub_f32_e32 v35, v34, v36
	v_add_f32_e32 v35, 1.0, v35
	v_sub_f32_e32 v34, v87, v34
	v_add_f32_e32 v37, v34, v35
	v_frexp_mant_f32_e32 v38, v36
	v_cvt_f64_f32_e32 v[34:35], v36
	v_frexp_exp_i32_f64_e32 v34, v[34:35]
	v_cmp_gt_f32_e32 vcc, s52, v38
	s_mov_b32 s52, 0x3f317218
	s_nop 0
	v_subbrev_co_u32_e32 v98, vcc, 0, v34, vcc
	v_sub_u32_e32 v34, 0, v98
	v_ldexp_f32 v35, v36, v34
	v_add_f32_e32 v36, -1.0, v35
	v_add_f32_e32 v38, 1.0, v35
	v_ldexp_f32 v34, v37, v34
	v_add_f32_e32 v37, 1.0, v36
	v_add_f32_e32 v39, -1.0, v38
	v_sub_f32_e32 v37, v35, v37
	v_sub_f32_e32 v35, v35, v39
	v_add_f32_e32 v37, v34, v37
	v_add_f32_e32 v34, v34, v35
	;; [unrolled: 1-line block ×3, first 2 shown]
	v_rcp_f32_e32 v101, v99
	v_sub_f32_e32 v35, v38, v99
	v_add_f32_e32 v100, v34, v35
	v_add_f32_e32 v35, v36, v37
	v_mul_f32_e32 v103, v35, v101
	v_sub_f32_e32 v34, v36, v35
	v_mul_f32_e32 v36, v99, v103
	v_fma_f32 v38, v103, v99, -v36
	v_fmac_f32_e32 v38, v103, v100
	v_add_f32_e32 v102, v37, v34
	v_add_f32_e32 v34, v36, v38
	v_sub_f32_e32 v37, v35, v34
	v_pk_add_f32 v[96:97], v[34:35], v[36:37] neg_lo:[0,1] neg_hi:[0,1]
	v_mov_b32_e32 v39, v34
	v_pk_add_f32 v[34:35], v[96:97], v[38:39] neg_lo:[0,1] neg_hi:[0,1]
	v_cmp_eq_f32_e32 vcc, s53, v87
	v_add_f32_e32 v35, v102, v35
	v_add_f32_e32 v34, v34, v35
	v_add_f32_e32 v35, v37, v34
	v_mul_f32_e32 v102, v101, v35
	v_mul_f32_e32 v36, v99, v102
	v_fma_f32 v38, v102, v99, -v36
	v_fmac_f32_e32 v38, v102, v100
	v_sub_f32_e32 v37, v37, v35
	v_add_f32_e32 v99, v34, v37
	v_add_f32_e32 v34, v36, v38
	v_sub_f32_e32 v37, v35, v34
	v_pk_add_f32 v[96:97], v[34:35], v[36:37] neg_lo:[0,1] neg_hi:[0,1]
	v_mov_b32_e32 v39, v34
	v_pk_add_f32 v[34:35], v[96:97], v[38:39] neg_lo:[0,1] neg_hi:[0,1]
	v_cvt_f32_i32_e32 v36, v98
	v_add_f32_e32 v35, v99, v35
	v_add_f32_e32 v34, v34, v35
	v_add_f32_e32 v34, v37, v34
	v_add_f32_e32 v37, v103, v102
	v_sub_f32_e32 v35, v37, v103
	v_mul_f32_e32 v34, v101, v34
	v_sub_f32_e32 v35, v102, v35
	v_add_f32_e32 v34, v35, v34
	v_add_f32_e32 v38, v37, v34
	v_mul_f32_e32 v96, v38, v38
	v_mov_b32_e32 v35, 0x3ecc95a3
	v_sub_f32_e32 v37, v38, v37
	v_fmac_f32_e32 v35, 0x3e9b6dac, v96
	v_sub_f32_e32 v34, v34, v37
	v_fmaak_f32 v35, v96, v35, 0x3f2aaada
	v_ldexp_f32 v97, v34, 1
	v_mul_f32_e32 v37, v38, v96
	v_mov_b32_e32 v34, 0x3f317218
	v_pk_mul_f32 v[34:35], v[36:37], v[34:35]
	v_ldexp_f32 v39, v38, 1
	v_fma_f32 v37, v36, s52, -v34
	v_fmamk_f32 v38, v36, 0xb102e308, v37
	v_pk_add_f32 v[36:37], v[34:35], v[38:39]
	v_mov_b32_e32 v96, v34
	v_sub_f32_e32 v39, v37, v39
	v_sub_f32_e32 v39, v35, v39
	v_add_f32_e32 v97, v97, v39
	v_pk_add_f32 v[34:35], v[36:37], v[34:35] neg_lo:[0,1] neg_hi:[0,1]
	v_pk_add_f32 v[98:99], v[36:37], v[96:97]
	v_mov_b32_e32 v39, v36
	v_mov_b32_e32 v35, v99
	v_pk_add_f32 v[100:101], v[38:39], v[34:35] neg_lo:[0,1] neg_hi:[0,1]
	v_pk_add_f32 v[34:35], v[38:39], v[34:35]
	v_mov_b32_e32 v96, v97
	v_mov_b32_e32 v38, v35
	v_pk_add_f32 v[102:103], v[38:39], v[36:37] neg_lo:[0,1] neg_hi:[0,1]
	v_mov_b32_e32 v34, v99
	v_mov_b32_e32 v39, v102
	v_pk_add_f32 v[112:113], v[98:99], v[38:39] neg_lo:[0,1] neg_hi:[0,1]
	v_mov_b32_e32 v98, v37
	v_mov_b32_e32 v99, v102
	;; [unrolled: 1-line block ×3, first 2 shown]
	v_pk_add_f32 v[34:35], v[34:35], v[98:99] neg_lo:[0,1] neg_hi:[0,1]
	v_mov_b32_e32 v97, v36
	v_pk_add_f32 v[34:35], v[96:97], v[34:35] neg_lo:[0,1] neg_hi:[0,1]
	v_mov_b32_e32 v112, v100
	v_pk_add_f32 v[36:37], v[112:113], v[34:35]
	s_mov_b32 s52, 0x33800000
	v_mov_b32_e32 v96, v37
	v_pk_add_f32 v[96:97], v[36:37], v[96:97]
	v_cmp_lt_f32_e64 s[52:53], |v87|, s52
	v_pk_add_f32 v[38:39], v[38:39], v[96:97]
	v_mov_b32_e32 v35, v96
	v_mov_b32_e32 v37, v38
	v_pk_add_f32 v[98:99], v[36:37], v[100:101] neg_lo:[0,1] neg_hi:[0,1]
	s_or_b64 vcc, vcc, s[52:53]
	v_sub_f32_e32 v36, v36, v98
	v_pk_add_f32 v[34:35], v[34:35], v[98:99] neg_lo:[0,1] neg_hi:[0,1]
	v_sub_f32_e32 v36, v100, v36
	v_add_f32_e32 v34, v34, v36
	v_add_f32_e32 v34, v34, v35
	;; [unrolled: 1-line block ×3, first 2 shown]
	v_cndmask_b32_e32 v34, v34, v87, vcc
	v_add_f32_e32 v33, v33, v34
	v_cvt_f16_f32_e32 v34, v33
	v_cvt_f32_f16_e32 v35, v34
.LBB408_217:
	s_or_b64 exec, exec, s[50:51]
	v_mov_b32_e32 v87, v35
.LBB408_218:
	s_or_b64 exec, exec, s[12:13]
	s_waitcnt lgkmcnt(0)
	v_cvt_f32_f16_e32 v97, v32
	v_max_f32_e32 v33, v87, v87
	v_cmp_u_f16_e32 vcc, v32, v32
	v_cmp_u_f16_e64 s[12:13], v34, v34
	v_min_f32_e32 v35, v97, v33
	v_max_f32_e32 v33, v97, v33
	v_cndmask_b32_e32 v35, v35, v97, vcc
	v_cndmask_b32_e32 v33, v33, v97, vcc
	v_cndmask_b32_e64 v34, v35, v87, s[12:13]
	v_cndmask_b32_e64 v33, v33, v87, s[12:13]
	s_movk_i32 s50, 0x1f8
	v_cmp_neq_f32_e32 vcc, v34, v33
	v_cmp_class_f32_e64 s[12:13], v34, s50
	s_or_b64 vcc, vcc, s[12:13]
	s_and_saveexec_b64 s[12:13], vcc
	s_cbranch_execz .LBB408_220
; %bb.219:
	v_sub_f32_e32 v32, v34, v33
	s_mov_b32 s51, 0x3fb8aa3b
	v_mul_f32_e32 v34, 0x3fb8aa3b, v32
	v_fma_f32 v35, v32, s51, -v34
	v_rndne_f32_e32 v36, v34
	v_fmamk_f32 v35, v32, 0x32a5705f, v35
	v_sub_f32_e32 v34, v34, v36
	v_add_f32_e32 v34, v34, v35
	v_exp_f32_e32 v34, v34
	v_cvt_i32_f32_e32 v35, v36
	s_mov_b32 s51, 0xc2ce8ed0
	v_cmp_ngt_f32_e32 vcc, s51, v32
	s_mov_b32 s51, 0x42b17218
	v_ldexp_f32 v34, v34, v35
	v_cndmask_b32_e32 v34, 0, v34, vcc
	v_mov_b32_e32 v35, 0x7f800000
	v_cmp_nlt_f32_e32 vcc, s51, v32
	s_mov_b32 s51, 0x3f2aaaab
	s_mov_b32 s52, 0x7f800000
	v_cndmask_b32_e32 v87, v35, v34, vcc
	v_add_f32_e32 v32, 1.0, v87
	v_add_f32_e32 v34, -1.0, v32
	v_sub_f32_e32 v35, v34, v32
	v_add_f32_e32 v35, 1.0, v35
	v_sub_f32_e32 v34, v87, v34
	v_add_f32_e32 v36, v34, v35
	v_frexp_mant_f32_e32 v37, v32
	v_cvt_f64_f32_e32 v[34:35], v32
	v_frexp_exp_i32_f64_e32 v34, v[34:35]
	v_cmp_gt_f32_e32 vcc, s51, v37
	s_mov_b32 s51, 0x3f317218
	s_nop 0
	v_subbrev_co_u32_e32 v98, vcc, 0, v34, vcc
	v_sub_u32_e32 v34, 0, v98
	v_ldexp_f32 v32, v32, v34
	v_ldexp_f32 v34, v36, v34
	v_add_f32_e32 v36, -1.0, v32
	v_add_f32_e32 v35, 1.0, v36
	v_sub_f32_e32 v35, v32, v35
	v_add_f32_e32 v37, v34, v35
	v_add_f32_e32 v35, 1.0, v32
	v_add_f32_e32 v38, -1.0, v35
	v_sub_f32_e32 v32, v32, v38
	v_add_f32_e32 v32, v34, v32
	v_add_f32_e32 v99, v35, v32
	v_rcp_f32_e32 v100, v99
	v_sub_f32_e32 v34, v35, v99
	v_add_f32_e32 v35, v36, v37
	v_add_f32_e32 v32, v32, v34
	v_mul_f32_e32 v102, v35, v100
	v_sub_f32_e32 v34, v36, v35
	v_mul_f32_e32 v36, v99, v102
	v_fma_f32 v38, v102, v99, -v36
	v_fmac_f32_e32 v38, v102, v32
	v_add_f32_e32 v101, v37, v34
	v_add_f32_e32 v34, v36, v38
	v_sub_f32_e32 v37, v35, v34
	v_pk_add_f32 v[96:97], v[34:35], v[36:37] neg_lo:[0,1] neg_hi:[0,1]
	v_mov_b32_e32 v39, v34
	v_pk_add_f32 v[34:35], v[96:97], v[38:39] neg_lo:[0,1] neg_hi:[0,1]
	v_cmp_eq_f32_e32 vcc, s52, v87
	v_add_f32_e32 v35, v101, v35
	v_add_f32_e32 v34, v34, v35
	;; [unrolled: 1-line block ×3, first 2 shown]
	v_mul_f32_e32 v101, v100, v35
	v_mul_f32_e32 v36, v99, v101
	v_fma_f32 v38, v101, v99, -v36
	v_fmac_f32_e32 v38, v101, v32
	v_sub_f32_e32 v32, v37, v35
	v_add_f32_e32 v32, v34, v32
	v_add_f32_e32 v34, v36, v38
	v_sub_f32_e32 v37, v35, v34
	v_pk_add_f32 v[96:97], v[34:35], v[36:37] neg_lo:[0,1] neg_hi:[0,1]
	v_mov_b32_e32 v39, v34
	v_pk_add_f32 v[34:35], v[96:97], v[38:39] neg_lo:[0,1] neg_hi:[0,1]
	v_cvt_f32_i32_e32 v36, v98
	v_add_f32_e32 v32, v32, v35
	v_add_f32_e32 v32, v34, v32
	;; [unrolled: 1-line block ×4, first 2 shown]
	v_sub_f32_e32 v35, v34, v102
	v_mul_f32_e32 v32, v100, v32
	v_sub_f32_e32 v35, v101, v35
	v_add_f32_e32 v32, v35, v32
	v_add_f32_e32 v37, v34, v32
	v_mul_f32_e32 v38, v37, v37
	v_mov_b32_e32 v35, 0x3ecc95a3
	v_fmac_f32_e32 v35, 0x3e9b6dac, v38
	v_sub_f32_e32 v34, v37, v34
	v_fmaak_f32 v35, v38, v35, 0x3f2aaada
	v_sub_f32_e32 v32, v32, v34
	v_ldexp_f32 v39, v37, 1
	v_mul_f32_e32 v37, v37, v38
	v_mov_b32_e32 v34, 0x3f317218
	v_pk_mul_f32 v[34:35], v[36:37], v[34:35]
	v_ldexp_f32 v32, v32, 1
	v_fma_f32 v37, v36, s51, -v34
	v_fmamk_f32 v38, v36, 0xb102e308, v37
	v_pk_add_f32 v[36:37], v[34:35], v[38:39]
	v_mov_b32_e32 v96, v34
	v_sub_f32_e32 v39, v37, v39
	v_sub_f32_e32 v39, v35, v39
	v_add_f32_e32 v97, v32, v39
	v_pk_add_f32 v[34:35], v[36:37], v[34:35] neg_lo:[0,1] neg_hi:[0,1]
	v_pk_add_f32 v[98:99], v[36:37], v[96:97]
	v_mov_b32_e32 v39, v36
	v_mov_b32_e32 v35, v99
	v_pk_add_f32 v[100:101], v[38:39], v[34:35] neg_lo:[0,1] neg_hi:[0,1]
	v_pk_add_f32 v[34:35], v[38:39], v[34:35]
	s_mov_b32 s51, 0x33800000
	v_mov_b32_e32 v32, v35
	v_pk_add_f32 v[38:39], v[32:33], v[36:37] neg_lo:[0,1] neg_hi:[0,1]
	v_mov_b32_e32 v34, v99
	v_mov_b32_e32 v39, v38
	v_pk_add_f32 v[102:103], v[98:99], v[38:39] neg_lo:[0,1] neg_hi:[0,1]
	v_mov_b32_e32 v98, v37
	v_mov_b32_e32 v99, v38
	v_mov_b32_e32 v101, v35
	v_pk_add_f32 v[34:35], v[34:35], v[98:99] neg_lo:[0,1] neg_hi:[0,1]
	v_mov_b32_e32 v38, v97
	v_mov_b32_e32 v39, v36
	v_pk_add_f32 v[34:35], v[38:39], v[34:35] neg_lo:[0,1] neg_hi:[0,1]
	v_mov_b32_e32 v102, v100
	v_pk_add_f32 v[36:37], v[102:103], v[34:35]
	v_cmp_lt_f32_e64 s[52:53], |v87|, s51
	v_mov_b32_e32 v38, v37
	v_pk_add_f32 v[38:39], v[36:37], v[38:39]
	s_or_b64 vcc, vcc, s[52:53]
	v_pk_add_f32 v[96:97], v[32:33], v[38:39]
	v_mov_b32_e32 v35, v38
	v_mov_b32_e32 v37, v96
	v_pk_add_f32 v[98:99], v[36:37], v[100:101] neg_lo:[0,1] neg_hi:[0,1]
	s_nop 0
	v_sub_f32_e32 v32, v36, v98
	v_pk_add_f32 v[34:35], v[34:35], v[98:99] neg_lo:[0,1] neg_hi:[0,1]
	v_sub_f32_e32 v32, v100, v32
	v_add_f32_e32 v32, v34, v32
	v_add_f32_e32 v32, v32, v35
	;; [unrolled: 1-line block ×3, first 2 shown]
	v_cndmask_b32_e32 v32, v32, v87, vcc
	v_add_f32_e32 v32, v33, v32
	v_cvt_f16_f32_e32 v32, v32
	v_cvt_f32_f16_e32 v97, v32
.LBB408_220:
	s_or_b64 exec, exec, s[12:13]
	v_max_f32_e32 v33, v11, v11
	v_max_f32_e32 v34, v97, v97
	v_min_f32_e32 v35, v34, v33
	v_cmp_u_f16_e32 vcc, v32, v32
	v_max_f32_e32 v33, v34, v33
	v_mov_b32_e32 v98, v32
	v_cndmask_b32_e32 v35, v35, v97, vcc
	v_cndmask_b32_e32 v33, v33, v97, vcc
	v_cndmask_b32_e64 v35, v35, v11, s[2:3]
	v_cndmask_b32_e64 v34, v33, v11, s[2:3]
	v_cmp_neq_f32_e32 vcc, v35, v34
	v_cmp_class_f32_e64 s[2:3], v35, s50
	s_or_b64 s[12:13], vcc, s[2:3]
	v_mov_b32_e32 v33, v32
	s_and_saveexec_b64 s[2:3], s[12:13]
	s_cbranch_execz .LBB408_222
; %bb.221:
	v_sub_f32_e32 v33, v35, v34
	s_mov_b32 s12, 0x3fb8aa3b
	v_mul_f32_e32 v35, 0x3fb8aa3b, v33
	v_fma_f32 v36, v33, s12, -v35
	v_rndne_f32_e32 v37, v35
	v_fmamk_f32 v36, v33, 0x32a5705f, v36
	v_sub_f32_e32 v35, v35, v37
	v_add_f32_e32 v35, v35, v36
	v_exp_f32_e32 v35, v35
	v_cvt_i32_f32_e32 v36, v37
	s_mov_b32 s12, 0xc2ce8ed0
	v_cmp_ngt_f32_e32 vcc, s12, v33
	s_mov_b32 s12, 0x42b17218
	v_ldexp_f32 v35, v35, v36
	v_cndmask_b32_e32 v35, 0, v35, vcc
	v_mov_b32_e32 v36, 0x7f800000
	v_cmp_nlt_f32_e32 vcc, s12, v33
	s_mov_b32 s12, 0x3f2aaaab
	s_mov_b32 s13, 0x7f800000
	v_cndmask_b32_e32 v35, v36, v35, vcc
	v_add_f32_e32 v33, 1.0, v35
	v_add_f32_e32 v36, -1.0, v33
	v_sub_f32_e32 v37, v36, v33
	v_add_f32_e32 v37, 1.0, v37
	v_sub_f32_e32 v36, v35, v36
	v_add_f32_e32 v38, v36, v37
	v_frexp_mant_f32_e32 v39, v33
	v_cvt_f64_f32_e32 v[36:37], v33
	v_frexp_exp_i32_f64_e32 v36, v[36:37]
	v_cmp_gt_f32_e32 vcc, s12, v39
	s_mov_b32 s12, 0x3f317218
	s_nop 0
	v_subbrev_co_u32_e32 v87, vcc, 0, v36, vcc
	v_sub_u32_e32 v36, 0, v87
	v_ldexp_f32 v33, v33, v36
	v_ldexp_f32 v36, v38, v36
	v_add_f32_e32 v38, -1.0, v33
	v_add_f32_e32 v37, 1.0, v38
	v_sub_f32_e32 v37, v33, v37
	v_add_f32_e32 v39, v36, v37
	v_add_f32_e32 v37, 1.0, v33
	v_add_f32_e32 v96, -1.0, v37
	v_sub_f32_e32 v33, v33, v96
	v_add_f32_e32 v33, v36, v33
	v_add_f32_e32 v100, v37, v33
	v_rcp_f32_e32 v101, v100
	v_sub_f32_e32 v36, v37, v100
	v_add_f32_e32 v37, v38, v39
	v_add_f32_e32 v33, v33, v36
	v_mul_f32_e32 v103, v37, v101
	v_sub_f32_e32 v36, v38, v37
	v_mul_f32_e32 v38, v100, v103
	v_fma_f32 v96, v103, v100, -v38
	v_fmac_f32_e32 v96, v103, v33
	v_add_f32_e32 v102, v39, v36
	v_add_f32_e32 v36, v38, v96
	v_sub_f32_e32 v39, v37, v36
	v_pk_add_f32 v[98:99], v[36:37], v[38:39] neg_lo:[0,1] neg_hi:[0,1]
	v_mov_b32_e32 v97, v36
	v_pk_add_f32 v[36:37], v[98:99], v[96:97] neg_lo:[0,1] neg_hi:[0,1]
	v_cmp_eq_f32_e32 vcc, s13, v35
	v_add_f32_e32 v37, v102, v37
	v_add_f32_e32 v36, v36, v37
	;; [unrolled: 1-line block ×3, first 2 shown]
	v_mul_f32_e32 v102, v101, v37
	v_mul_f32_e32 v38, v100, v102
	v_fma_f32 v96, v102, v100, -v38
	v_fmac_f32_e32 v96, v102, v33
	v_sub_f32_e32 v33, v39, v37
	v_add_f32_e32 v33, v36, v33
	v_add_f32_e32 v36, v38, v96
	v_sub_f32_e32 v39, v37, v36
	v_pk_add_f32 v[98:99], v[36:37], v[38:39] neg_lo:[0,1] neg_hi:[0,1]
	v_mov_b32_e32 v97, v36
	v_pk_add_f32 v[36:37], v[98:99], v[96:97] neg_lo:[0,1] neg_hi:[0,1]
	v_cvt_f32_i32_e32 v38, v87
	v_add_f32_e32 v33, v33, v37
	v_add_f32_e32 v33, v36, v33
	;; [unrolled: 1-line block ×4, first 2 shown]
	v_sub_f32_e32 v37, v36, v103
	v_mul_f32_e32 v33, v101, v33
	v_sub_f32_e32 v37, v102, v37
	v_add_f32_e32 v33, v37, v33
	v_add_f32_e32 v39, v36, v33
	v_mul_f32_e32 v96, v39, v39
	v_mov_b32_e32 v37, 0x3ecc95a3
	v_fmac_f32_e32 v37, 0x3e9b6dac, v96
	v_sub_f32_e32 v36, v39, v36
	v_fmaak_f32 v37, v96, v37, 0x3f2aaada
	v_sub_f32_e32 v33, v33, v36
	v_ldexp_f32 v97, v39, 1
	v_mul_f32_e32 v39, v39, v96
	v_mov_b32_e32 v36, 0x3f317218
	v_pk_mul_f32 v[36:37], v[38:39], v[36:37]
	v_ldexp_f32 v33, v33, 1
	v_fma_f32 v39, v38, s12, -v36
	v_fmamk_f32 v96, v38, 0xb102e308, v39
	v_pk_add_f32 v[38:39], v[36:37], v[96:97]
	v_mov_b32_e32 v98, v36
	v_sub_f32_e32 v87, v39, v97
	v_sub_f32_e32 v87, v37, v87
	v_add_f32_e32 v99, v33, v87
	v_pk_add_f32 v[36:37], v[38:39], v[36:37] neg_lo:[0,1] neg_hi:[0,1]
	v_pk_add_f32 v[100:101], v[38:39], v[98:99]
	v_mov_b32_e32 v97, v38
	v_mov_b32_e32 v37, v101
	v_pk_add_f32 v[102:103], v[96:97], v[36:37] neg_lo:[0,1] neg_hi:[0,1]
	v_pk_add_f32 v[36:37], v[96:97], v[36:37]
	v_mov_b32_e32 v98, v99
	v_mov_b32_e32 v96, v37
	v_pk_add_f32 v[112:113], v[96:97], v[38:39] neg_lo:[0,1] neg_hi:[0,1]
	v_mov_b32_e32 v36, v101
	v_mov_b32_e32 v33, v112
	v_pk_add_f32 v[114:115], v[100:101], v[32:33] neg_lo:[0,1] neg_hi:[0,1]
	v_mov_b32_e32 v100, v39
	v_mov_b32_e32 v101, v112
	;; [unrolled: 1-line block ×3, first 2 shown]
	v_pk_add_f32 v[36:37], v[36:37], v[100:101] neg_lo:[0,1] neg_hi:[0,1]
	v_mov_b32_e32 v99, v38
	v_pk_add_f32 v[36:37], v[98:99], v[36:37] neg_lo:[0,1] neg_hi:[0,1]
	v_mov_b32_e32 v114, v102
	v_pk_add_f32 v[38:39], v[114:115], v[36:37]
	s_mov_b32 s12, 0x33800000
	v_mov_b32_e32 v98, v39
	v_pk_add_f32 v[98:99], v[38:39], v[98:99]
	v_cmp_lt_f32_e64 s[12:13], |v35|, s12
	v_pk_add_f32 v[96:97], v[96:97], v[98:99]
	v_mov_b32_e32 v37, v98
	v_mov_b32_e32 v39, v96
	v_pk_add_f32 v[100:101], v[38:39], v[102:103] neg_lo:[0,1] neg_hi:[0,1]
	s_or_b64 vcc, vcc, s[12:13]
	v_sub_f32_e32 v33, v38, v100
	v_pk_add_f32 v[36:37], v[36:37], v[100:101] neg_lo:[0,1] neg_hi:[0,1]
	v_sub_f32_e32 v33, v102, v33
	v_add_f32_e32 v33, v36, v33
	v_add_f32_e32 v33, v33, v37
	;; [unrolled: 1-line block ×3, first 2 shown]
	v_cndmask_b32_e32 v33, v33, v35, vcc
	v_add_f32_e32 v33, v34, v33
	v_cvt_f16_f32_e32 v98, v33
	v_cvt_f32_f16_e32 v97, v98
	v_mov_b32_e32 v33, v98
.LBB408_222:
	s_or_b64 exec, exec, s[2:3]
	v_max_f32_e32 v34, v49, v49
	v_max_f32_e32 v35, v97, v97
	v_min_f32_e32 v36, v35, v34
	v_cmp_u_f16_e32 vcc, v98, v98
	v_max_f32_e32 v34, v35, v34
	s_nop 0
	v_cndmask_b32_e32 v36, v36, v97, vcc
	v_cndmask_b32_e32 v34, v34, v97, vcc
	v_cndmask_b32_e64 v36, v36, v49, s[4:5]
	v_cndmask_b32_e64 v35, v34, v49, s[4:5]
	s_movk_i32 s4, 0x1f8
	v_cmp_neq_f32_e32 vcc, v36, v35
	v_cmp_class_f32_e64 s[2:3], v36, s4
	s_or_b64 s[12:13], vcc, s[2:3]
	v_mov_b32_e32 v34, v33
	s_and_saveexec_b64 s[2:3], s[12:13]
	s_cbranch_execz .LBB408_224
; %bb.223:
	v_sub_f32_e32 v34, v36, v35
	s_mov_b32 s5, 0x3fb8aa3b
	v_mul_f32_e32 v36, 0x3fb8aa3b, v34
	v_fma_f32 v37, v34, s5, -v36
	v_rndne_f32_e32 v38, v36
	v_fmamk_f32 v37, v34, 0x32a5705f, v37
	v_sub_f32_e32 v36, v36, v38
	v_add_f32_e32 v36, v36, v37
	v_exp_f32_e32 v36, v36
	v_cvt_i32_f32_e32 v37, v38
	s_mov_b32 s5, 0xc2ce8ed0
	v_cmp_ngt_f32_e32 vcc, s5, v34
	s_mov_b32 s5, 0x42b17218
	v_ldexp_f32 v36, v36, v37
	v_cndmask_b32_e32 v36, 0, v36, vcc
	v_mov_b32_e32 v37, 0x7f800000
	v_cmp_nlt_f32_e32 vcc, s5, v34
	s_mov_b32 s5, 0x3f2aaaab
	s_mov_b32 s12, 0x7f800000
	v_cndmask_b32_e32 v87, v37, v36, vcc
	v_add_f32_e32 v34, 1.0, v87
	v_add_f32_e32 v36, -1.0, v34
	v_sub_f32_e32 v37, v36, v34
	v_add_f32_e32 v37, 1.0, v37
	v_sub_f32_e32 v36, v87, v36
	v_add_f32_e32 v38, v36, v37
	v_frexp_mant_f32_e32 v39, v34
	v_cvt_f64_f32_e32 v[36:37], v34
	v_frexp_exp_i32_f64_e32 v36, v[36:37]
	v_cmp_gt_f32_e32 vcc, s5, v39
	s_mov_b32 s5, 0x3f317218
	s_nop 0
	v_subbrev_co_u32_e32 v49, vcc, 0, v36, vcc
	v_sub_u32_e32 v36, 0, v49
	v_ldexp_f32 v34, v34, v36
	v_ldexp_f32 v36, v38, v36
	v_add_f32_e32 v38, -1.0, v34
	v_add_f32_e32 v37, 1.0, v38
	v_sub_f32_e32 v37, v34, v37
	v_add_f32_e32 v39, v36, v37
	v_add_f32_e32 v37, 1.0, v34
	v_add_f32_e32 v96, -1.0, v37
	v_sub_f32_e32 v34, v34, v96
	v_add_f32_e32 v34, v36, v34
	v_add_f32_e32 v100, v37, v34
	v_rcp_f32_e32 v101, v100
	v_sub_f32_e32 v36, v37, v100
	v_add_f32_e32 v37, v38, v39
	v_add_f32_e32 v34, v34, v36
	v_mul_f32_e32 v103, v37, v101
	v_sub_f32_e32 v36, v38, v37
	v_mul_f32_e32 v38, v100, v103
	v_fma_f32 v96, v103, v100, -v38
	v_fmac_f32_e32 v96, v103, v34
	v_add_f32_e32 v102, v39, v36
	v_add_f32_e32 v36, v38, v96
	v_sub_f32_e32 v39, v37, v36
	v_pk_add_f32 v[98:99], v[36:37], v[38:39] neg_lo:[0,1] neg_hi:[0,1]
	v_mov_b32_e32 v97, v36
	v_pk_add_f32 v[36:37], v[98:99], v[96:97] neg_lo:[0,1] neg_hi:[0,1]
	v_cmp_eq_f32_e32 vcc, s12, v87
	v_add_f32_e32 v37, v102, v37
	v_add_f32_e32 v36, v36, v37
	v_add_f32_e32 v37, v39, v36
	v_mul_f32_e32 v102, v101, v37
	v_mul_f32_e32 v38, v100, v102
	v_fma_f32 v96, v102, v100, -v38
	v_fmac_f32_e32 v96, v102, v34
	v_sub_f32_e32 v34, v39, v37
	v_add_f32_e32 v34, v36, v34
	v_add_f32_e32 v36, v38, v96
	v_sub_f32_e32 v39, v37, v36
	v_pk_add_f32 v[98:99], v[36:37], v[38:39] neg_lo:[0,1] neg_hi:[0,1]
	v_mov_b32_e32 v97, v36
	v_pk_add_f32 v[36:37], v[98:99], v[96:97] neg_lo:[0,1] neg_hi:[0,1]
	v_cvt_f32_i32_e32 v38, v49
	v_add_f32_e32 v34, v34, v37
	v_add_f32_e32 v34, v36, v34
	;; [unrolled: 1-line block ×4, first 2 shown]
	v_sub_f32_e32 v37, v36, v103
	v_mul_f32_e32 v34, v101, v34
	v_sub_f32_e32 v37, v102, v37
	v_add_f32_e32 v34, v37, v34
	v_add_f32_e32 v39, v36, v34
	v_mul_f32_e32 v96, v39, v39
	v_mov_b32_e32 v37, 0x3ecc95a3
	v_fmac_f32_e32 v37, 0x3e9b6dac, v96
	v_sub_f32_e32 v36, v39, v36
	v_fmaak_f32 v37, v96, v37, 0x3f2aaada
	v_sub_f32_e32 v34, v34, v36
	v_ldexp_f32 v97, v39, 1
	v_mul_f32_e32 v39, v39, v96
	v_mov_b32_e32 v36, 0x3f317218
	v_pk_mul_f32 v[36:37], v[38:39], v[36:37]
	v_ldexp_f32 v34, v34, 1
	v_fma_f32 v39, v38, s5, -v36
	v_fmamk_f32 v96, v38, 0xb102e308, v39
	v_pk_add_f32 v[38:39], v[36:37], v[96:97]
	v_mov_b32_e32 v98, v36
	v_sub_f32_e32 v49, v39, v97
	v_sub_f32_e32 v49, v37, v49
	v_add_f32_e32 v99, v34, v49
	v_pk_add_f32 v[36:37], v[38:39], v[36:37] neg_lo:[0,1] neg_hi:[0,1]
	v_pk_add_f32 v[100:101], v[38:39], v[98:99]
	v_mov_b32_e32 v97, v38
	v_mov_b32_e32 v37, v101
	v_pk_add_f32 v[102:103], v[96:97], v[36:37] neg_lo:[0,1] neg_hi:[0,1]
	v_pk_add_f32 v[36:37], v[96:97], v[36:37]
	s_mov_b32 s5, 0x33800000
	v_mov_b32_e32 v34, v37
	v_pk_add_f32 v[96:97], v[34:35], v[38:39] neg_lo:[0,1] neg_hi:[0,1]
	v_mov_b32_e32 v36, v101
	v_mov_b32_e32 v49, v96
	v_pk_add_f32 v[112:113], v[100:101], v[48:49] neg_lo:[0,1] neg_hi:[0,1]
	v_mov_b32_e32 v100, v39
	v_mov_b32_e32 v101, v96
	;; [unrolled: 1-line block ×3, first 2 shown]
	v_pk_add_f32 v[36:37], v[36:37], v[100:101] neg_lo:[0,1] neg_hi:[0,1]
	v_mov_b32_e32 v96, v99
	v_mov_b32_e32 v97, v38
	v_pk_add_f32 v[36:37], v[96:97], v[36:37] neg_lo:[0,1] neg_hi:[0,1]
	v_mov_b32_e32 v112, v102
	v_pk_add_f32 v[38:39], v[112:113], v[36:37]
	v_cmp_lt_f32_e64 s[12:13], |v87|, s5
	v_mov_b32_e32 v96, v39
	v_pk_add_f32 v[96:97], v[38:39], v[96:97]
	s_or_b64 vcc, vcc, s[12:13]
	v_pk_add_f32 v[98:99], v[34:35], v[96:97]
	v_mov_b32_e32 v37, v96
	v_mov_b32_e32 v39, v98
	v_pk_add_f32 v[100:101], v[38:39], v[102:103] neg_lo:[0,1] neg_hi:[0,1]
	s_nop 0
	v_sub_f32_e32 v34, v38, v100
	v_pk_add_f32 v[36:37], v[36:37], v[100:101] neg_lo:[0,1] neg_hi:[0,1]
	v_sub_f32_e32 v34, v102, v34
	v_add_f32_e32 v34, v36, v34
	v_add_f32_e32 v34, v34, v37
	;; [unrolled: 1-line block ×3, first 2 shown]
	v_cndmask_b32_e32 v34, v34, v87, vcc
	v_add_f32_e32 v34, v35, v34
	v_cvt_f16_f32_e32 v98, v34
	v_cvt_f32_f16_e32 v97, v98
	v_mov_b32_e32 v34, v98
.LBB408_224:
	s_or_b64 exec, exec, s[2:3]
	v_max_f32_e32 v35, v50, v50
	v_max_f32_e32 v36, v97, v97
	v_min_f32_e32 v37, v36, v35
	v_cmp_u_f16_e32 vcc, v98, v98
	v_max_f32_e32 v35, v36, v35
	s_nop 0
	v_cndmask_b32_e32 v37, v37, v97, vcc
	v_cndmask_b32_e32 v35, v35, v97, vcc
	v_cndmask_b32_e64 v37, v37, v50, s[6:7]
	v_cndmask_b32_e64 v36, v35, v50, s[6:7]
	v_cmp_neq_f32_e32 vcc, v37, v36
	v_cmp_class_f32_e64 s[2:3], v37, s4
	s_or_b64 s[4:5], vcc, s[2:3]
	v_mov_b32_e32 v35, v34
	s_and_saveexec_b64 s[2:3], s[4:5]
	s_cbranch_execz .LBB408_226
; %bb.225:
	v_sub_f32_e32 v35, v37, v36
	s_mov_b32 s4, 0x3fb8aa3b
	v_mul_f32_e32 v37, 0x3fb8aa3b, v35
	v_fma_f32 v38, v35, s4, -v37
	v_rndne_f32_e32 v39, v37
	v_fmamk_f32 v38, v35, 0x32a5705f, v38
	v_sub_f32_e32 v37, v37, v39
	v_add_f32_e32 v37, v37, v38
	v_exp_f32_e32 v37, v37
	v_cvt_i32_f32_e32 v38, v39
	s_mov_b32 s4, 0xc2ce8ed0
	v_cmp_ngt_f32_e32 vcc, s4, v35
	s_mov_b32 s4, 0x42b17218
	v_ldexp_f32 v37, v37, v38
	v_cndmask_b32_e32 v37, 0, v37, vcc
	v_mov_b32_e32 v38, 0x7f800000
	v_cmp_nlt_f32_e32 vcc, s4, v35
	s_mov_b32 s4, 0x3f2aaaab
	s_mov_b32 s5, 0x7f800000
	v_cndmask_b32_e32 v37, v38, v37, vcc
	v_add_f32_e32 v35, 1.0, v37
	v_add_f32_e32 v38, -1.0, v35
	v_sub_f32_e32 v39, v38, v35
	v_add_f32_e32 v39, 1.0, v39
	v_sub_f32_e32 v38, v37, v38
	v_add_f32_e32 v49, v38, v39
	v_frexp_mant_f32_e32 v50, v35
	v_cvt_f64_f32_e32 v[38:39], v35
	v_frexp_exp_i32_f64_e32 v38, v[38:39]
	v_cmp_gt_f32_e32 vcc, s4, v50
	s_mov_b32 s4, 0x3f317218
	s_nop 0
	v_subbrev_co_u32_e32 v50, vcc, 0, v38, vcc
	v_sub_u32_e32 v38, 0, v50
	v_ldexp_f32 v35, v35, v38
	v_ldexp_f32 v38, v49, v38
	v_add_f32_e32 v49, -1.0, v35
	v_add_f32_e32 v39, 1.0, v49
	v_sub_f32_e32 v39, v35, v39
	v_add_f32_e32 v87, v38, v39
	v_add_f32_e32 v39, 1.0, v35
	v_add_f32_e32 v96, -1.0, v39
	v_sub_f32_e32 v35, v35, v96
	v_add_f32_e32 v35, v38, v35
	v_add_f32_e32 v102, v39, v35
	v_rcp_f32_e32 v103, v102
	v_sub_f32_e32 v38, v39, v102
	v_add_f32_e32 v39, v49, v87
	v_add_f32_e32 v35, v35, v38
	v_sub_f32_e32 v38, v49, v39
	v_add_f32_e32 v49, v87, v38
	v_mul_f32_e32 v87, v39, v103
	v_mul_f32_e32 v96, v102, v87
	v_fma_f32 v98, v87, v102, -v96
	v_fmac_f32_e32 v98, v87, v35
	v_add_f32_e32 v38, v96, v98
	v_sub_f32_e32 v97, v39, v38
	v_pk_add_f32 v[100:101], v[38:39], v[96:97] neg_lo:[0,1] neg_hi:[0,1]
	v_mov_b32_e32 v99, v38
	v_pk_add_f32 v[38:39], v[100:101], v[98:99] neg_lo:[0,1] neg_hi:[0,1]
	v_cmp_eq_f32_e32 vcc, s5, v37
	v_add_f32_e32 v39, v49, v39
	v_add_f32_e32 v38, v38, v39
	;; [unrolled: 1-line block ×3, first 2 shown]
	v_mul_f32_e32 v49, v103, v39
	v_mul_f32_e32 v96, v102, v49
	v_fma_f32 v98, v49, v102, -v96
	v_fmac_f32_e32 v98, v49, v35
	v_sub_f32_e32 v35, v97, v39
	v_add_f32_e32 v35, v38, v35
	v_add_f32_e32 v38, v96, v98
	v_sub_f32_e32 v97, v39, v38
	v_pk_add_f32 v[100:101], v[38:39], v[96:97] neg_lo:[0,1] neg_hi:[0,1]
	v_mov_b32_e32 v99, v38
	v_pk_add_f32 v[38:39], v[100:101], v[98:99] neg_lo:[0,1] neg_hi:[0,1]
	v_cvt_f32_i32_e32 v96, v50
	v_add_f32_e32 v35, v35, v39
	v_add_f32_e32 v35, v38, v35
	v_add_f32_e32 v38, v87, v49
	v_add_f32_e32 v35, v97, v35
	v_sub_f32_e32 v39, v38, v87
	v_mul_f32_e32 v35, v103, v35
	v_sub_f32_e32 v39, v49, v39
	v_add_f32_e32 v35, v39, v35
	v_add_f32_e32 v49, v38, v35
	v_mul_f32_e32 v87, v49, v49
	v_mov_b32_e32 v39, 0x3ecc95a3
	v_fmac_f32_e32 v39, 0x3e9b6dac, v87
	v_sub_f32_e32 v38, v49, v38
	v_fmaak_f32 v39, v87, v39, 0x3f2aaada
	v_sub_f32_e32 v35, v35, v38
	v_mul_f32_e32 v97, v49, v87
	v_mov_b32_e32 v38, 0x3f317218
	v_pk_mul_f32 v[38:39], v[96:97], v[38:39]
	v_ldexp_f32 v99, v49, 1
	v_fma_f32 v49, v96, s4, -v38
	v_fmamk_f32 v98, v96, 0xb102e308, v49
	v_pk_add_f32 v[96:97], v[38:39], v[98:99]
	v_ldexp_f32 v35, v35, 1
	v_sub_f32_e32 v49, v97, v99
	v_sub_f32_e32 v49, v39, v49
	v_add_f32_e32 v101, v35, v49
	v_mov_b32_e32 v100, v38
	v_pk_add_f32 v[38:39], v[96:97], v[38:39] neg_lo:[0,1] neg_hi:[0,1]
	v_pk_add_f32 v[102:103], v[96:97], v[100:101]
	v_mov_b32_e32 v99, v96
	v_mov_b32_e32 v39, v103
	v_pk_add_f32 v[112:113], v[98:99], v[38:39] neg_lo:[0,1] neg_hi:[0,1]
	v_pk_add_f32 v[38:39], v[98:99], v[38:39]
	s_mov_b32 s4, 0x33800000
	v_mov_b32_e32 v50, v39
	v_pk_add_f32 v[98:99], v[50:51], v[96:97] neg_lo:[0,1] neg_hi:[0,1]
	v_mov_b32_e32 v38, v103
	v_mov_b32_e32 v35, v98
	v_pk_add_f32 v[114:115], v[102:103], v[34:35] neg_lo:[0,1] neg_hi:[0,1]
	v_mov_b32_e32 v102, v97
	v_mov_b32_e32 v103, v98
	;; [unrolled: 1-line block ×3, first 2 shown]
	v_pk_add_f32 v[38:39], v[38:39], v[102:103] neg_lo:[0,1] neg_hi:[0,1]
	v_mov_b32_e32 v98, v101
	v_mov_b32_e32 v99, v96
	v_pk_add_f32 v[38:39], v[98:99], v[38:39] neg_lo:[0,1] neg_hi:[0,1]
	v_mov_b32_e32 v114, v112
	v_pk_add_f32 v[96:97], v[114:115], v[38:39]
	v_cmp_lt_f32_e64 s[4:5], |v37|, s4
	v_mov_b32_e32 v98, v97
	v_pk_add_f32 v[98:99], v[96:97], v[98:99]
	s_or_b64 vcc, vcc, s[4:5]
	v_pk_add_f32 v[100:101], v[50:51], v[98:99]
	v_mov_b32_e32 v39, v98
	v_mov_b32_e32 v97, v100
	v_pk_add_f32 v[102:103], v[96:97], v[112:113] neg_lo:[0,1] neg_hi:[0,1]
	s_nop 0
	v_sub_f32_e32 v35, v96, v102
	v_pk_add_f32 v[38:39], v[38:39], v[102:103] neg_lo:[0,1] neg_hi:[0,1]
	v_sub_f32_e32 v35, v112, v35
	v_add_f32_e32 v35, v38, v35
	v_add_f32_e32 v35, v35, v39
	;; [unrolled: 1-line block ×3, first 2 shown]
	v_cndmask_b32_e32 v35, v35, v37, vcc
	v_add_f32_e32 v35, v36, v35
	v_cvt_f16_f32_e32 v98, v35
	v_cvt_f32_f16_e32 v97, v98
	v_mov_b32_e32 v35, v98
.LBB408_226:
	s_or_b64 exec, exec, s[2:3]
	v_max_f32_e32 v36, v51, v51
	v_max_f32_e32 v37, v97, v97
	v_min_f32_e32 v38, v37, v36
	v_cmp_u_f16_e32 vcc, v98, v98
	v_max_f32_e32 v36, v37, v36
	s_movk_i32 s4, 0x1f8
	v_cndmask_b32_e32 v38, v38, v97, vcc
	v_cndmask_b32_e32 v36, v36, v97, vcc
	v_cndmask_b32_e64 v38, v38, v51, s[8:9]
	v_cndmask_b32_e64 v37, v36, v51, s[8:9]
	v_cmp_neq_f32_e32 vcc, v38, v37
	v_cmp_class_f32_e64 s[2:3], v38, s4
	s_or_b64 s[6:7], vcc, s[2:3]
	v_mov_b32_e32 v36, v35
	s_and_saveexec_b64 s[2:3], s[6:7]
	s_cbranch_execz .LBB408_228
; %bb.227:
	v_sub_f32_e32 v36, v38, v37
	s_mov_b32 s5, 0x3fb8aa3b
	v_mul_f32_e32 v38, 0x3fb8aa3b, v36
	v_fma_f32 v39, v36, s5, -v38
	v_rndne_f32_e32 v49, v38
	v_fmamk_f32 v39, v36, 0x32a5705f, v39
	v_sub_f32_e32 v38, v38, v49
	v_add_f32_e32 v38, v38, v39
	v_exp_f32_e32 v38, v38
	v_cvt_i32_f32_e32 v39, v49
	s_mov_b32 s5, 0xc2ce8ed0
	v_cmp_ngt_f32_e32 vcc, s5, v36
	s_mov_b32 s5, 0x42b17218
	v_ldexp_f32 v38, v38, v39
	v_cndmask_b32_e32 v38, 0, v38, vcc
	v_mov_b32_e32 v39, 0x7f800000
	v_cmp_nlt_f32_e32 vcc, s5, v36
	s_mov_b32 s5, 0x3f2aaaab
	s_mov_b32 s6, 0x7f800000
	v_cndmask_b32_e32 v87, v39, v38, vcc
	v_add_f32_e32 v36, 1.0, v87
	v_add_f32_e32 v38, -1.0, v36
	v_sub_f32_e32 v39, v38, v36
	v_add_f32_e32 v39, 1.0, v39
	v_sub_f32_e32 v38, v87, v38
	v_add_f32_e32 v49, v38, v39
	v_frexp_mant_f32_e32 v50, v36
	v_cvt_f64_f32_e32 v[38:39], v36
	v_frexp_exp_i32_f64_e32 v38, v[38:39]
	v_cmp_gt_f32_e32 vcc, s5, v50
	s_mov_b32 s5, 0x3f317218
	s_nop 0
	v_subbrev_co_u32_e32 v100, vcc, 0, v38, vcc
	v_sub_u32_e32 v38, 0, v100
	v_ldexp_f32 v36, v36, v38
	v_ldexp_f32 v38, v49, v38
	v_add_f32_e32 v49, -1.0, v36
	v_add_f32_e32 v39, 1.0, v49
	v_sub_f32_e32 v39, v36, v39
	v_add_f32_e32 v50, v38, v39
	v_add_f32_e32 v39, 1.0, v36
	v_add_f32_e32 v51, -1.0, v39
	v_sub_f32_e32 v36, v36, v51
	v_add_f32_e32 v36, v38, v36
	v_add_f32_e32 v101, v39, v36
	v_rcp_f32_e32 v102, v101
	v_sub_f32_e32 v38, v39, v101
	v_add_f32_e32 v39, v49, v50
	v_add_f32_e32 v36, v36, v38
	v_sub_f32_e32 v38, v49, v39
	v_mul_f32_e32 v103, v39, v102
	v_add_f32_e32 v49, v50, v38
	v_mul_f32_e32 v50, v101, v103
	v_fma_f32 v96, v103, v101, -v50
	v_fmac_f32_e32 v96, v103, v36
	v_add_f32_e32 v38, v50, v96
	v_sub_f32_e32 v51, v39, v38
	v_pk_add_f32 v[98:99], v[38:39], v[50:51] neg_lo:[0,1] neg_hi:[0,1]
	v_mov_b32_e32 v97, v38
	v_pk_add_f32 v[38:39], v[98:99], v[96:97] neg_lo:[0,1] neg_hi:[0,1]
	v_cmp_eq_f32_e32 vcc, s6, v87
	v_add_f32_e32 v39, v49, v39
	v_add_f32_e32 v38, v38, v39
	;; [unrolled: 1-line block ×3, first 2 shown]
	v_mul_f32_e32 v49, v102, v39
	v_mul_f32_e32 v50, v101, v49
	v_fma_f32 v96, v49, v101, -v50
	v_fmac_f32_e32 v96, v49, v36
	v_sub_f32_e32 v36, v51, v39
	v_add_f32_e32 v36, v38, v36
	v_add_f32_e32 v38, v50, v96
	v_sub_f32_e32 v51, v39, v38
	v_pk_add_f32 v[98:99], v[38:39], v[50:51] neg_lo:[0,1] neg_hi:[0,1]
	v_mov_b32_e32 v97, v38
	v_pk_add_f32 v[38:39], v[98:99], v[96:97] neg_lo:[0,1] neg_hi:[0,1]
	v_cvt_f32_i32_e32 v50, v100
	v_add_f32_e32 v36, v36, v39
	v_add_f32_e32 v36, v38, v36
	;; [unrolled: 1-line block ×4, first 2 shown]
	v_sub_f32_e32 v39, v38, v103
	v_mul_f32_e32 v36, v102, v36
	v_sub_f32_e32 v39, v49, v39
	v_add_f32_e32 v36, v39, v36
	v_add_f32_e32 v49, v38, v36
	v_mul_f32_e32 v51, v49, v49
	v_mov_b32_e32 v39, 0x3ecc95a3
	v_fmac_f32_e32 v39, 0x3e9b6dac, v51
	v_sub_f32_e32 v38, v49, v38
	v_fmaak_f32 v39, v51, v39, 0x3f2aaada
	v_sub_f32_e32 v36, v36, v38
	v_mul_f32_e32 v51, v49, v51
	v_mov_b32_e32 v38, 0x3f317218
	v_pk_mul_f32 v[38:39], v[50:51], v[38:39]
	v_ldexp_f32 v97, v49, 1
	v_fma_f32 v49, v50, s5, -v38
	v_fmamk_f32 v96, v50, 0xb102e308, v49
	v_pk_add_f32 v[50:51], v[38:39], v[96:97]
	v_ldexp_f32 v36, v36, 1
	v_sub_f32_e32 v49, v51, v97
	v_sub_f32_e32 v49, v39, v49
	v_add_f32_e32 v99, v36, v49
	v_mov_b32_e32 v98, v38
	v_pk_add_f32 v[38:39], v[50:51], v[38:39] neg_lo:[0,1] neg_hi:[0,1]
	v_pk_add_f32 v[100:101], v[50:51], v[98:99]
	v_mov_b32_e32 v97, v50
	v_mov_b32_e32 v39, v101
	v_pk_add_f32 v[102:103], v[96:97], v[38:39] neg_lo:[0,1] neg_hi:[0,1]
	v_pk_add_f32 v[38:39], v[96:97], v[38:39]
	s_mov_b32 s5, 0x33800000
	v_mov_b32_e32 v36, v39
	v_pk_add_f32 v[96:97], v[36:37], v[50:51] neg_lo:[0,1] neg_hi:[0,1]
	v_mov_b32_e32 v38, v101
	v_mov_b32_e32 v49, v96
	v_pk_add_f32 v[112:113], v[100:101], v[48:49] neg_lo:[0,1] neg_hi:[0,1]
	v_mov_b32_e32 v100, v51
	v_mov_b32_e32 v101, v96
	;; [unrolled: 1-line block ×3, first 2 shown]
	v_pk_add_f32 v[38:39], v[38:39], v[100:101] neg_lo:[0,1] neg_hi:[0,1]
	v_mov_b32_e32 v96, v99
	v_mov_b32_e32 v97, v50
	v_pk_add_f32 v[38:39], v[96:97], v[38:39] neg_lo:[0,1] neg_hi:[0,1]
	v_mov_b32_e32 v112, v102
	v_pk_add_f32 v[50:51], v[112:113], v[38:39]
	v_cmp_lt_f32_e64 s[6:7], |v87|, s5
	v_mov_b32_e32 v96, v51
	v_pk_add_f32 v[96:97], v[50:51], v[96:97]
	s_or_b64 vcc, vcc, s[6:7]
	v_pk_add_f32 v[98:99], v[36:37], v[96:97]
	v_mov_b32_e32 v39, v96
	v_mov_b32_e32 v51, v98
	v_pk_add_f32 v[100:101], v[50:51], v[102:103] neg_lo:[0,1] neg_hi:[0,1]
	s_nop 0
	v_sub_f32_e32 v36, v50, v100
	v_pk_add_f32 v[38:39], v[38:39], v[100:101] neg_lo:[0,1] neg_hi:[0,1]
	v_sub_f32_e32 v36, v102, v36
	v_add_f32_e32 v36, v38, v36
	v_add_f32_e32 v36, v36, v39
	;; [unrolled: 1-line block ×3, first 2 shown]
	v_cndmask_b32_e32 v36, v36, v87, vcc
	v_add_f32_e32 v36, v37, v36
	v_cvt_f16_f32_e32 v98, v36
	v_cvt_f32_f16_e32 v97, v98
	v_mov_b32_e32 v36, v98
.LBB408_228:
	s_or_b64 exec, exec, s[2:3]
	v_max_f32_e32 v37, v52, v52
	v_max_f32_e32 v38, v97, v97
	v_min_f32_e32 v39, v38, v37
	v_cmp_u_f16_e32 vcc, v98, v98
	v_max_f32_e32 v37, v38, v37
	s_nop 0
	v_cndmask_b32_e32 v39, v39, v97, vcc
	v_cndmask_b32_e32 v37, v37, v97, vcc
	v_cndmask_b32_e64 v39, v39, v52, s[10:11]
	v_cndmask_b32_e64 v38, v37, v52, s[10:11]
	v_cmp_neq_f32_e32 vcc, v39, v38
	v_cmp_class_f32_e64 s[2:3], v39, s4
	s_or_b64 s[4:5], vcc, s[2:3]
	v_mov_b32_e32 v37, v36
	s_and_saveexec_b64 s[2:3], s[4:5]
	s_cbranch_execz .LBB408_230
; %bb.229:
	v_sub_f32_e32 v37, v39, v38
	s_mov_b32 s4, 0x3fb8aa3b
	v_mul_f32_e32 v39, 0x3fb8aa3b, v37
	v_fma_f32 v49, v37, s4, -v39
	v_rndne_f32_e32 v50, v39
	v_fmamk_f32 v49, v37, 0x32a5705f, v49
	v_sub_f32_e32 v39, v39, v50
	v_add_f32_e32 v39, v39, v49
	v_exp_f32_e32 v39, v39
	v_cvt_i32_f32_e32 v49, v50
	s_mov_b32 s4, 0xc2ce8ed0
	v_cmp_ngt_f32_e32 vcc, s4, v37
	s_mov_b32 s4, 0x42b17218
	v_ldexp_f32 v39, v39, v49
	v_cndmask_b32_e32 v39, 0, v39, vcc
	v_mov_b32_e32 v49, 0x7f800000
	v_cmp_nlt_f32_e32 vcc, s4, v37
	s_mov_b32 s4, 0x3f2aaaab
	s_mov_b32 s5, 0x7f800000
	v_cndmask_b32_e32 v39, v49, v39, vcc
	v_add_f32_e32 v37, 1.0, v39
	v_add_f32_e32 v49, -1.0, v37
	v_sub_f32_e32 v50, v49, v37
	v_add_f32_e32 v50, 1.0, v50
	v_sub_f32_e32 v49, v39, v49
	v_add_f32_e32 v49, v49, v50
	v_frexp_mant_f32_e32 v52, v37
	v_cvt_f64_f32_e32 v[50:51], v37
	v_frexp_exp_i32_f64_e32 v50, v[50:51]
	v_cmp_gt_f32_e32 vcc, s4, v52
	s_mov_b32 s4, 0x3f317218
	s_nop 0
	v_subbrev_co_u32_e32 v52, vcc, 0, v50, vcc
	v_sub_u32_e32 v50, 0, v52
	v_ldexp_f32 v37, v37, v50
	v_ldexp_f32 v49, v49, v50
	v_add_f32_e32 v50, -1.0, v37
	v_add_f32_e32 v51, 1.0, v50
	v_sub_f32_e32 v51, v37, v51
	v_add_f32_e32 v87, v49, v51
	v_add_f32_e32 v51, 1.0, v37
	v_add_f32_e32 v96, -1.0, v51
	v_sub_f32_e32 v37, v37, v96
	v_add_f32_e32 v37, v49, v37
	v_add_f32_e32 v49, v51, v37
	v_rcp_f32_e32 v102, v49
	v_sub_f32_e32 v51, v51, v49
	v_add_f32_e32 v37, v37, v51
	v_add_f32_e32 v51, v50, v87
	v_mul_f32_e32 v103, v51, v102
	v_mul_f32_e32 v96, v49, v103
	v_fma_f32 v98, v103, v49, -v96
	v_sub_f32_e32 v50, v50, v51
	v_fmac_f32_e32 v98, v103, v37
	v_add_f32_e32 v87, v87, v50
	v_add_f32_e32 v50, v96, v98
	v_sub_f32_e32 v97, v51, v50
	v_pk_add_f32 v[100:101], v[50:51], v[96:97] neg_lo:[0,1] neg_hi:[0,1]
	v_mov_b32_e32 v99, v50
	v_pk_add_f32 v[50:51], v[100:101], v[98:99] neg_lo:[0,1] neg_hi:[0,1]
	v_cmp_eq_f32_e32 vcc, s5, v39
	v_add_f32_e32 v51, v87, v51
	v_add_f32_e32 v50, v50, v51
	;; [unrolled: 1-line block ×3, first 2 shown]
	v_mul_f32_e32 v87, v102, v51
	v_mul_f32_e32 v96, v49, v87
	v_fma_f32 v98, v87, v49, -v96
	v_fmac_f32_e32 v98, v87, v37
	v_sub_f32_e32 v37, v97, v51
	v_add_f32_e32 v37, v50, v37
	v_add_f32_e32 v50, v96, v98
	v_sub_f32_e32 v97, v51, v50
	v_pk_add_f32 v[100:101], v[50:51], v[96:97] neg_lo:[0,1] neg_hi:[0,1]
	v_mov_b32_e32 v99, v50
	v_pk_add_f32 v[50:51], v[100:101], v[98:99] neg_lo:[0,1] neg_hi:[0,1]
	v_add_f32_e32 v49, v103, v87
	v_add_f32_e32 v37, v37, v51
	;; [unrolled: 1-line block ×4, first 2 shown]
	v_sub_f32_e32 v50, v49, v103
	v_mul_f32_e32 v37, v102, v37
	v_sub_f32_e32 v50, v87, v50
	v_add_f32_e32 v37, v50, v37
	v_add_f32_e32 v50, v49, v37
	v_cvt_f32_i32_e32 v96, v52
	v_mul_f32_e32 v87, v50, v50
	v_mov_b32_e32 v51, 0x3ecc95a3
	v_fmac_f32_e32 v51, 0x3e9b6dac, v87
	v_fmaak_f32 v51, v87, v51, 0x3f2aaada
	v_sub_f32_e32 v49, v50, v49
	v_ldexp_f32 v99, v50, 1
	v_mul_f32_e32 v97, v50, v87
	v_mov_b32_e32 v50, 0x3f317218
	v_pk_mul_f32 v[50:51], v[96:97], v[50:51]
	v_sub_f32_e32 v37, v37, v49
	v_fma_f32 v49, v96, s4, -v50
	v_fmamk_f32 v98, v96, 0xb102e308, v49
	v_pk_add_f32 v[96:97], v[50:51], v[98:99]
	v_ldexp_f32 v37, v37, 1
	v_sub_f32_e32 v49, v97, v99
	v_sub_f32_e32 v49, v51, v49
	v_add_f32_e32 v101, v37, v49
	v_mov_b32_e32 v100, v50
	v_pk_add_f32 v[50:51], v[96:97], v[50:51] neg_lo:[0,1] neg_hi:[0,1]
	v_pk_add_f32 v[102:103], v[96:97], v[100:101]
	v_mov_b32_e32 v99, v96
	v_mov_b32_e32 v51, v103
	v_pk_add_f32 v[112:113], v[98:99], v[50:51] neg_lo:[0,1] neg_hi:[0,1]
	v_pk_add_f32 v[50:51], v[98:99], v[50:51]
	s_mov_b32 s4, 0x33800000
	v_mov_b32_e32 v52, v51
	v_pk_add_f32 v[98:99], v[52:53], v[96:97] neg_lo:[0,1] neg_hi:[0,1]
	v_mov_b32_e32 v50, v103
	v_mov_b32_e32 v37, v98
	v_pk_add_f32 v[114:115], v[102:103], v[36:37] neg_lo:[0,1] neg_hi:[0,1]
	v_mov_b32_e32 v102, v97
	v_mov_b32_e32 v103, v98
	;; [unrolled: 1-line block ×3, first 2 shown]
	v_pk_add_f32 v[50:51], v[50:51], v[102:103] neg_lo:[0,1] neg_hi:[0,1]
	v_mov_b32_e32 v98, v101
	v_mov_b32_e32 v99, v96
	v_pk_add_f32 v[50:51], v[98:99], v[50:51] neg_lo:[0,1] neg_hi:[0,1]
	v_mov_b32_e32 v114, v112
	v_pk_add_f32 v[96:97], v[114:115], v[50:51]
	v_cmp_lt_f32_e64 s[4:5], |v39|, s4
	v_mov_b32_e32 v98, v97
	v_pk_add_f32 v[98:99], v[96:97], v[98:99]
	s_or_b64 vcc, vcc, s[4:5]
	v_pk_add_f32 v[100:101], v[52:53], v[98:99]
	v_mov_b32_e32 v51, v98
	v_mov_b32_e32 v97, v100
	v_pk_add_f32 v[102:103], v[96:97], v[112:113] neg_lo:[0,1] neg_hi:[0,1]
	s_nop 0
	v_sub_f32_e32 v37, v96, v102
	v_pk_add_f32 v[50:51], v[50:51], v[102:103] neg_lo:[0,1] neg_hi:[0,1]
	v_sub_f32_e32 v37, v112, v37
	v_add_f32_e32 v37, v50, v37
	v_add_f32_e32 v37, v37, v51
	;; [unrolled: 1-line block ×3, first 2 shown]
	v_cndmask_b32_e32 v37, v37, v39, vcc
	v_add_f32_e32 v37, v38, v37
	v_cvt_f16_f32_e32 v98, v37
	v_cvt_f32_f16_e32 v97, v98
	v_mov_b32_e32 v37, v98
.LBB408_230:
	s_or_b64 exec, exec, s[2:3]
	v_max_f32_e32 v38, v53, v53
	v_max_f32_e32 v39, v97, v97
	v_min_f32_e32 v49, v39, v38
	v_cmp_u_f16_e32 vcc, v98, v98
	v_max_f32_e32 v38, v39, v38
	s_movk_i32 s4, 0x1f8
	v_cndmask_b32_e32 v49, v49, v97, vcc
	v_cndmask_b32_e32 v38, v38, v97, vcc
	v_cndmask_b32_e64 v49, v49, v53, s[54:55]
	v_cndmask_b32_e64 v39, v38, v53, s[54:55]
	v_cmp_neq_f32_e32 vcc, v49, v39
	v_cmp_class_f32_e64 s[2:3], v49, s4
	s_or_b64 s[6:7], vcc, s[2:3]
	v_mov_b32_e32 v38, v37
	s_and_saveexec_b64 s[2:3], s[6:7]
	s_cbranch_execz .LBB408_232
; %bb.231:
	v_sub_f32_e32 v38, v49, v39
	s_mov_b32 s5, 0x3fb8aa3b
	v_mul_f32_e32 v49, 0x3fb8aa3b, v38
	v_fma_f32 v50, v38, s5, -v49
	v_rndne_f32_e32 v51, v49
	v_fmamk_f32 v50, v38, 0x32a5705f, v50
	v_sub_f32_e32 v49, v49, v51
	v_add_f32_e32 v49, v49, v50
	v_exp_f32_e32 v49, v49
	v_cvt_i32_f32_e32 v50, v51
	s_mov_b32 s5, 0xc2ce8ed0
	v_cmp_ngt_f32_e32 vcc, s5, v38
	s_mov_b32 s5, 0x42b17218
	v_ldexp_f32 v49, v49, v50
	v_cndmask_b32_e32 v49, 0, v49, vcc
	v_mov_b32_e32 v50, 0x7f800000
	v_cmp_nlt_f32_e32 vcc, s5, v38
	s_mov_b32 s5, 0x3f2aaaab
	s_mov_b32 s6, 0x7f800000
	v_cndmask_b32_e32 v87, v50, v49, vcc
	v_add_f32_e32 v38, 1.0, v87
	v_add_f32_e32 v49, -1.0, v38
	v_sub_f32_e32 v50, v49, v38
	v_add_f32_e32 v50, 1.0, v50
	v_sub_f32_e32 v49, v87, v49
	v_add_f32_e32 v49, v49, v50
	v_frexp_mant_f32_e32 v52, v38
	v_cvt_f64_f32_e32 v[50:51], v38
	v_frexp_exp_i32_f64_e32 v50, v[50:51]
	v_cmp_gt_f32_e32 vcc, s5, v52
	s_mov_b32 s5, 0x3f317218
	s_nop 0
	v_subbrev_co_u32_e32 v100, vcc, 0, v50, vcc
	v_sub_u32_e32 v50, 0, v100
	v_ldexp_f32 v38, v38, v50
	v_ldexp_f32 v49, v49, v50
	v_add_f32_e32 v50, -1.0, v38
	v_add_f32_e32 v51, 1.0, v50
	v_sub_f32_e32 v51, v38, v51
	v_add_f32_e32 v52, v49, v51
	v_add_f32_e32 v51, 1.0, v38
	v_add_f32_e32 v53, -1.0, v51
	v_sub_f32_e32 v38, v38, v53
	v_add_f32_e32 v38, v49, v38
	v_add_f32_e32 v49, v51, v38
	v_rcp_f32_e32 v101, v49
	v_sub_f32_e32 v51, v51, v49
	v_add_f32_e32 v38, v38, v51
	v_add_f32_e32 v51, v50, v52
	v_sub_f32_e32 v50, v50, v51
	v_mul_f32_e32 v103, v51, v101
	v_add_f32_e32 v102, v52, v50
	v_mul_f32_e32 v52, v49, v103
	v_fma_f32 v96, v103, v49, -v52
	v_fmac_f32_e32 v96, v103, v38
	v_add_f32_e32 v50, v52, v96
	v_sub_f32_e32 v53, v51, v50
	v_pk_add_f32 v[98:99], v[50:51], v[52:53] neg_lo:[0,1] neg_hi:[0,1]
	v_mov_b32_e32 v97, v50
	v_pk_add_f32 v[50:51], v[98:99], v[96:97] neg_lo:[0,1] neg_hi:[0,1]
	v_cmp_eq_f32_e32 vcc, s6, v87
	v_add_f32_e32 v51, v102, v51
	v_add_f32_e32 v50, v50, v51
	;; [unrolled: 1-line block ×3, first 2 shown]
	v_mul_f32_e32 v102, v101, v51
	v_mul_f32_e32 v52, v49, v102
	v_fma_f32 v96, v102, v49, -v52
	v_fmac_f32_e32 v96, v102, v38
	v_sub_f32_e32 v38, v53, v51
	v_add_f32_e32 v38, v50, v38
	v_add_f32_e32 v50, v52, v96
	v_sub_f32_e32 v53, v51, v50
	v_pk_add_f32 v[98:99], v[50:51], v[52:53] neg_lo:[0,1] neg_hi:[0,1]
	v_mov_b32_e32 v97, v50
	v_pk_add_f32 v[50:51], v[98:99], v[96:97] neg_lo:[0,1] neg_hi:[0,1]
	v_add_f32_e32 v49, v103, v102
	v_add_f32_e32 v38, v38, v51
	;; [unrolled: 1-line block ×4, first 2 shown]
	v_sub_f32_e32 v50, v49, v103
	v_mul_f32_e32 v38, v101, v38
	v_sub_f32_e32 v50, v102, v50
	v_add_f32_e32 v38, v50, v38
	v_add_f32_e32 v50, v49, v38
	v_cvt_f32_i32_e32 v52, v100
	v_mul_f32_e32 v53, v50, v50
	v_mov_b32_e32 v51, 0x3ecc95a3
	v_fmac_f32_e32 v51, 0x3e9b6dac, v53
	v_fmaak_f32 v51, v53, v51, 0x3f2aaada
	v_sub_f32_e32 v49, v50, v49
	v_ldexp_f32 v97, v50, 1
	v_mul_f32_e32 v53, v50, v53
	v_mov_b32_e32 v50, 0x3f317218
	v_pk_mul_f32 v[50:51], v[52:53], v[50:51]
	v_sub_f32_e32 v38, v38, v49
	v_fma_f32 v49, v52, s5, -v50
	v_fmamk_f32 v96, v52, 0xb102e308, v49
	v_pk_add_f32 v[52:53], v[50:51], v[96:97]
	v_ldexp_f32 v38, v38, 1
	v_sub_f32_e32 v49, v53, v97
	v_sub_f32_e32 v49, v51, v49
	v_add_f32_e32 v99, v38, v49
	v_mov_b32_e32 v98, v50
	v_pk_add_f32 v[50:51], v[52:53], v[50:51] neg_lo:[0,1] neg_hi:[0,1]
	v_pk_add_f32 v[100:101], v[52:53], v[98:99]
	v_mov_b32_e32 v97, v52
	v_mov_b32_e32 v51, v101
	v_pk_add_f32 v[102:103], v[96:97], v[50:51] neg_lo:[0,1] neg_hi:[0,1]
	v_pk_add_f32 v[50:51], v[96:97], v[50:51]
	s_mov_b32 s5, 0x33800000
	v_mov_b32_e32 v38, v51
	v_pk_add_f32 v[96:97], v[38:39], v[52:53] neg_lo:[0,1] neg_hi:[0,1]
	v_mov_b32_e32 v50, v101
	v_mov_b32_e32 v49, v96
	v_pk_add_f32 v[112:113], v[100:101], v[48:49] neg_lo:[0,1] neg_hi:[0,1]
	v_mov_b32_e32 v100, v53
	v_mov_b32_e32 v101, v96
	;; [unrolled: 1-line block ×3, first 2 shown]
	v_pk_add_f32 v[50:51], v[50:51], v[100:101] neg_lo:[0,1] neg_hi:[0,1]
	v_mov_b32_e32 v96, v99
	v_mov_b32_e32 v97, v52
	v_pk_add_f32 v[50:51], v[96:97], v[50:51] neg_lo:[0,1] neg_hi:[0,1]
	v_mov_b32_e32 v112, v102
	v_pk_add_f32 v[52:53], v[112:113], v[50:51]
	v_cmp_lt_f32_e64 s[6:7], |v87|, s5
	v_mov_b32_e32 v96, v53
	v_pk_add_f32 v[96:97], v[52:53], v[96:97]
	s_or_b64 vcc, vcc, s[6:7]
	v_pk_add_f32 v[98:99], v[38:39], v[96:97]
	v_mov_b32_e32 v51, v96
	v_mov_b32_e32 v53, v98
	v_pk_add_f32 v[100:101], v[52:53], v[102:103] neg_lo:[0,1] neg_hi:[0,1]
	s_nop 0
	v_sub_f32_e32 v38, v52, v100
	v_pk_add_f32 v[50:51], v[50:51], v[100:101] neg_lo:[0,1] neg_hi:[0,1]
	v_sub_f32_e32 v38, v102, v38
	v_add_f32_e32 v38, v50, v38
	v_add_f32_e32 v38, v38, v51
	v_add_f32_e32 v38, v98, v38
	v_cndmask_b32_e32 v38, v38, v87, vcc
	v_add_f32_e32 v38, v39, v38
	v_cvt_f16_f32_e32 v98, v38
	v_cvt_f32_f16_e32 v97, v98
	v_mov_b32_e32 v38, v98
.LBB408_232:
	s_or_b64 exec, exec, s[2:3]
	v_max_f32_e32 v39, v54, v54
	v_max_f32_e32 v50, v97, v97
	v_min_f32_e32 v49, v50, v39
	v_cmp_u_f16_e32 vcc, v98, v98
	v_max_f32_e32 v39, v50, v39
	v_mov_b32_e32 v87, v38
	v_cndmask_b32_e32 v49, v49, v97, vcc
	v_cndmask_b32_e32 v39, v39, v97, vcc
	v_cndmask_b32_e64 v49, v49, v54, s[14:15]
	v_cndmask_b32_e64 v39, v39, v54, s[14:15]
	v_cmp_neq_f32_e32 vcc, v49, v39
	v_cmp_class_f32_e64 s[2:3], v49, s4
	s_or_b64 s[4:5], vcc, s[2:3]
	s_and_saveexec_b64 s[2:3], s[4:5]
	s_cbranch_execz .LBB408_234
; %bb.233:
	v_sub_f32_e32 v49, v49, v39
	s_mov_b32 s4, 0x3fb8aa3b
	v_mul_f32_e32 v50, 0x3fb8aa3b, v49
	v_fma_f32 v51, v49, s4, -v50
	v_rndne_f32_e32 v52, v50
	v_fmamk_f32 v51, v49, 0x32a5705f, v51
	v_sub_f32_e32 v50, v50, v52
	v_add_f32_e32 v50, v50, v51
	v_exp_f32_e32 v50, v50
	v_cvt_i32_f32_e32 v51, v52
	s_mov_b32 s4, 0xc2ce8ed0
	v_cmp_ngt_f32_e32 vcc, s4, v49
	s_mov_b32 s4, 0x42b17218
	v_ldexp_f32 v50, v50, v51
	v_cndmask_b32_e32 v50, 0, v50, vcc
	v_mov_b32_e32 v51, 0x7f800000
	v_cmp_nlt_f32_e32 vcc, s4, v49
	s_mov_b32 s4, 0x3f2aaaab
	s_mov_b32 s5, 0x7f800000
	v_cndmask_b32_e32 v87, v51, v50, vcc
	v_add_f32_e32 v49, 1.0, v87
	v_add_f32_e32 v50, -1.0, v49
	v_sub_f32_e32 v51, v50, v49
	v_add_f32_e32 v51, 1.0, v51
	v_sub_f32_e32 v50, v87, v50
	v_add_f32_e32 v52, v50, v51
	v_frexp_mant_f32_e32 v53, v49
	v_cvt_f64_f32_e32 v[50:51], v49
	v_frexp_exp_i32_f64_e32 v50, v[50:51]
	v_cmp_gt_f32_e32 vcc, s4, v53
	s_mov_b32 s4, 0x3f317218
	s_nop 0
	v_subbrev_co_u32_e32 v54, vcc, 0, v50, vcc
	v_sub_u32_e32 v50, 0, v54
	v_ldexp_f32 v49, v49, v50
	v_ldexp_f32 v50, v52, v50
	v_add_f32_e32 v52, -1.0, v49
	v_add_f32_e32 v51, 1.0, v52
	v_sub_f32_e32 v51, v49, v51
	v_add_f32_e32 v53, v50, v51
	v_add_f32_e32 v51, 1.0, v49
	v_add_f32_e32 v96, -1.0, v51
	v_sub_f32_e32 v49, v49, v96
	v_add_f32_e32 v49, v50, v49
	v_add_f32_e32 v100, v51, v49
	v_rcp_f32_e32 v101, v100
	v_sub_f32_e32 v50, v51, v100
	v_add_f32_e32 v51, v52, v53
	v_add_f32_e32 v49, v49, v50
	v_mul_f32_e32 v103, v51, v101
	v_sub_f32_e32 v50, v52, v51
	v_mul_f32_e32 v52, v100, v103
	v_fma_f32 v96, v103, v100, -v52
	v_fmac_f32_e32 v96, v103, v49
	v_add_f32_e32 v102, v53, v50
	v_add_f32_e32 v50, v52, v96
	v_sub_f32_e32 v53, v51, v50
	v_pk_add_f32 v[98:99], v[50:51], v[52:53] neg_lo:[0,1] neg_hi:[0,1]
	v_mov_b32_e32 v97, v50
	v_pk_add_f32 v[50:51], v[98:99], v[96:97] neg_lo:[0,1] neg_hi:[0,1]
	v_cmp_eq_f32_e32 vcc, s5, v87
	v_add_f32_e32 v51, v102, v51
	v_add_f32_e32 v50, v50, v51
	;; [unrolled: 1-line block ×3, first 2 shown]
	v_mul_f32_e32 v102, v101, v51
	v_mul_f32_e32 v52, v100, v102
	v_fma_f32 v96, v102, v100, -v52
	v_fmac_f32_e32 v96, v102, v49
	v_sub_f32_e32 v49, v53, v51
	v_add_f32_e32 v49, v50, v49
	v_add_f32_e32 v50, v52, v96
	v_sub_f32_e32 v53, v51, v50
	v_pk_add_f32 v[98:99], v[50:51], v[52:53] neg_lo:[0,1] neg_hi:[0,1]
	v_mov_b32_e32 v97, v50
	v_pk_add_f32 v[50:51], v[98:99], v[96:97] neg_lo:[0,1] neg_hi:[0,1]
	v_cvt_f32_i32_e32 v52, v54
	v_add_f32_e32 v49, v49, v51
	v_add_f32_e32 v49, v50, v49
	;; [unrolled: 1-line block ×4, first 2 shown]
	v_sub_f32_e32 v51, v50, v103
	v_mul_f32_e32 v49, v101, v49
	v_sub_f32_e32 v51, v102, v51
	v_add_f32_e32 v49, v51, v49
	v_add_f32_e32 v53, v50, v49
	v_mul_f32_e32 v96, v53, v53
	v_mov_b32_e32 v51, 0x3ecc95a3
	v_fmac_f32_e32 v51, 0x3e9b6dac, v96
	v_sub_f32_e32 v50, v53, v50
	v_fmaak_f32 v51, v96, v51, 0x3f2aaada
	v_sub_f32_e32 v49, v49, v50
	v_ldexp_f32 v97, v53, 1
	v_mul_f32_e32 v53, v53, v96
	v_mov_b32_e32 v50, 0x3f317218
	v_pk_mul_f32 v[50:51], v[52:53], v[50:51]
	v_ldexp_f32 v49, v49, 1
	v_fma_f32 v53, v52, s4, -v50
	v_fmamk_f32 v96, v52, 0xb102e308, v53
	v_pk_add_f32 v[52:53], v[50:51], v[96:97]
	v_mov_b32_e32 v98, v50
	v_sub_f32_e32 v54, v53, v97
	v_sub_f32_e32 v54, v51, v54
	v_add_f32_e32 v99, v49, v54
	v_pk_add_f32 v[50:51], v[52:53], v[50:51] neg_lo:[0,1] neg_hi:[0,1]
	v_pk_add_f32 v[100:101], v[52:53], v[98:99]
	v_mov_b32_e32 v97, v52
	v_mov_b32_e32 v51, v101
	v_pk_add_f32 v[102:103], v[96:97], v[50:51] neg_lo:[0,1] neg_hi:[0,1]
	v_pk_add_f32 v[50:51], v[96:97], v[50:51]
	s_mov_b32 s4, 0x33800000
	v_mov_b32_e32 v54, v51
	v_pk_add_f32 v[96:97], v[54:55], v[52:53] neg_lo:[0,1] neg_hi:[0,1]
	v_mov_b32_e32 v50, v101
	v_mov_b32_e32 v49, v96
	v_pk_add_f32 v[112:113], v[100:101], v[48:49] neg_lo:[0,1] neg_hi:[0,1]
	v_mov_b32_e32 v100, v53
	v_mov_b32_e32 v101, v96
	v_mov_b32_e32 v103, v51
	v_pk_add_f32 v[50:51], v[50:51], v[100:101] neg_lo:[0,1] neg_hi:[0,1]
	v_mov_b32_e32 v96, v99
	v_mov_b32_e32 v97, v52
	v_pk_add_f32 v[50:51], v[96:97], v[50:51] neg_lo:[0,1] neg_hi:[0,1]
	v_mov_b32_e32 v112, v102
	v_pk_add_f32 v[52:53], v[112:113], v[50:51]
	v_cmp_lt_f32_e64 s[4:5], |v87|, s4
	v_mov_b32_e32 v96, v53
	v_pk_add_f32 v[96:97], v[52:53], v[96:97]
	s_or_b64 vcc, vcc, s[4:5]
	v_pk_add_f32 v[98:99], v[54:55], v[96:97]
	v_mov_b32_e32 v51, v96
	v_mov_b32_e32 v53, v98
	v_pk_add_f32 v[100:101], v[52:53], v[102:103] neg_lo:[0,1] neg_hi:[0,1]
	s_nop 0
	v_sub_f32_e32 v49, v52, v100
	v_pk_add_f32 v[50:51], v[50:51], v[100:101] neg_lo:[0,1] neg_hi:[0,1]
	v_sub_f32_e32 v49, v102, v49
	v_add_f32_e32 v49, v50, v49
	v_add_f32_e32 v49, v49, v51
	;; [unrolled: 1-line block ×3, first 2 shown]
	v_cndmask_b32_e32 v49, v49, v87, vcc
	v_add_f32_e32 v39, v39, v49
	v_cvt_f16_f32_e32 v98, v39
	v_cvt_f32_f16_e32 v97, v98
	v_mov_b32_e32 v87, v98
.LBB408_234:
	s_or_b64 exec, exec, s[2:3]
	v_max_f32_e32 v39, v55, v55
	v_max_f32_e32 v50, v97, v97
	v_min_f32_e32 v49, v50, v39
	v_cmp_u_f16_e32 vcc, v98, v98
	v_max_f32_e32 v39, v50, v39
	s_movk_i32 s4, 0x1f8
	v_cndmask_b32_e32 v49, v49, v97, vcc
	v_cndmask_b32_e32 v39, v39, v97, vcc
	v_cndmask_b32_e64 v49, v49, v55, s[16:17]
	v_cndmask_b32_e64 v39, v39, v55, s[16:17]
	v_cmp_neq_f32_e32 vcc, v49, v39
	v_cmp_class_f32_e64 s[2:3], v49, s4
	s_or_b64 s[6:7], vcc, s[2:3]
	v_mov_b32_e32 v96, v87
	s_and_saveexec_b64 s[2:3], s[6:7]
	s_cbranch_execz .LBB408_236
; %bb.235:
	v_sub_f32_e32 v49, v49, v39
	s_mov_b32 s5, 0x3fb8aa3b
	v_mul_f32_e32 v50, 0x3fb8aa3b, v49
	v_fma_f32 v51, v49, s5, -v50
	v_rndne_f32_e32 v52, v50
	v_fmamk_f32 v51, v49, 0x32a5705f, v51
	v_sub_f32_e32 v50, v50, v52
	v_add_f32_e32 v50, v50, v51
	v_exp_f32_e32 v50, v50
	v_cvt_i32_f32_e32 v51, v52
	s_mov_b32 s5, 0xc2ce8ed0
	v_cmp_ngt_f32_e32 vcc, s5, v49
	s_mov_b32 s5, 0x42b17218
	v_ldexp_f32 v50, v50, v51
	v_cndmask_b32_e32 v50, 0, v50, vcc
	v_mov_b32_e32 v51, 0x7f800000
	v_cmp_nlt_f32_e32 vcc, s5, v49
	s_mov_b32 s5, 0x3f2aaaab
	s_mov_b32 s6, 0x7f800000
	v_cndmask_b32_e32 v114, v51, v50, vcc
	v_add_f32_e32 v49, 1.0, v114
	v_add_f32_e32 v50, -1.0, v49
	v_sub_f32_e32 v51, v50, v49
	v_add_f32_e32 v51, 1.0, v51
	v_sub_f32_e32 v50, v114, v50
	v_add_f32_e32 v52, v50, v51
	v_frexp_mant_f32_e32 v53, v49
	v_cvt_f64_f32_e32 v[50:51], v49
	v_frexp_exp_i32_f64_e32 v50, v[50:51]
	v_cmp_gt_f32_e32 vcc, s5, v53
	s_mov_b32 s5, 0x3f317218
	s_nop 0
	v_subbrev_co_u32_e32 v98, vcc, 0, v50, vcc
	v_sub_u32_e32 v50, 0, v98
	v_ldexp_f32 v49, v49, v50
	v_ldexp_f32 v50, v52, v50
	v_add_f32_e32 v52, -1.0, v49
	v_add_f32_e32 v51, 1.0, v52
	v_sub_f32_e32 v51, v49, v51
	v_add_f32_e32 v53, v50, v51
	v_add_f32_e32 v51, 1.0, v49
	v_add_f32_e32 v54, -1.0, v51
	v_sub_f32_e32 v49, v49, v54
	v_add_f32_e32 v49, v50, v49
	v_add_f32_e32 v99, v51, v49
	v_rcp_f32_e32 v100, v99
	v_sub_f32_e32 v50, v51, v99
	v_add_f32_e32 v51, v52, v53
	v_add_f32_e32 v49, v49, v50
	v_mul_f32_e32 v102, v51, v100
	v_sub_f32_e32 v50, v52, v51
	v_mul_f32_e32 v52, v99, v102
	v_fma_f32 v54, v102, v99, -v52
	v_fmac_f32_e32 v54, v102, v49
	v_add_f32_e32 v101, v53, v50
	v_add_f32_e32 v50, v52, v54
	v_sub_f32_e32 v53, v51, v50
	v_pk_add_f32 v[96:97], v[50:51], v[52:53] neg_lo:[0,1] neg_hi:[0,1]
	v_mov_b32_e32 v55, v50
	v_pk_add_f32 v[50:51], v[96:97], v[54:55] neg_lo:[0,1] neg_hi:[0,1]
	v_cmp_eq_f32_e32 vcc, s6, v114
	v_add_f32_e32 v51, v101, v51
	v_add_f32_e32 v50, v50, v51
	;; [unrolled: 1-line block ×3, first 2 shown]
	v_mul_f32_e32 v101, v100, v51
	v_mul_f32_e32 v52, v99, v101
	v_fma_f32 v54, v101, v99, -v52
	v_fmac_f32_e32 v54, v101, v49
	v_sub_f32_e32 v49, v53, v51
	v_add_f32_e32 v49, v50, v49
	v_add_f32_e32 v50, v52, v54
	v_sub_f32_e32 v53, v51, v50
	v_pk_add_f32 v[96:97], v[50:51], v[52:53] neg_lo:[0,1] neg_hi:[0,1]
	v_mov_b32_e32 v55, v50
	v_pk_add_f32 v[50:51], v[96:97], v[54:55] neg_lo:[0,1] neg_hi:[0,1]
	v_cvt_f32_i32_e32 v52, v98
	v_add_f32_e32 v49, v49, v51
	v_add_f32_e32 v49, v50, v49
	;; [unrolled: 1-line block ×4, first 2 shown]
	v_sub_f32_e32 v51, v50, v102
	v_mul_f32_e32 v49, v100, v49
	v_sub_f32_e32 v51, v101, v51
	v_add_f32_e32 v49, v51, v49
	v_add_f32_e32 v53, v50, v49
	v_mul_f32_e32 v54, v53, v53
	v_mov_b32_e32 v51, 0x3ecc95a3
	v_fmac_f32_e32 v51, 0x3e9b6dac, v54
	v_sub_f32_e32 v50, v53, v50
	v_fmaak_f32 v51, v54, v51, 0x3f2aaada
	v_sub_f32_e32 v49, v49, v50
	v_ldexp_f32 v55, v53, 1
	v_mul_f32_e32 v53, v53, v54
	v_mov_b32_e32 v50, 0x3f317218
	v_pk_mul_f32 v[50:51], v[52:53], v[50:51]
	v_ldexp_f32 v49, v49, 1
	v_fma_f32 v53, v52, s5, -v50
	v_fmamk_f32 v54, v52, 0xb102e308, v53
	v_pk_add_f32 v[52:53], v[50:51], v[54:55]
	v_mov_b32_e32 v96, v50
	v_sub_f32_e32 v55, v53, v55
	v_sub_f32_e32 v55, v51, v55
	v_add_f32_e32 v97, v49, v55
	v_pk_add_f32 v[50:51], v[52:53], v[50:51] neg_lo:[0,1] neg_hi:[0,1]
	v_pk_add_f32 v[98:99], v[52:53], v[96:97]
	v_mov_b32_e32 v55, v52
	v_mov_b32_e32 v51, v99
	v_pk_add_f32 v[100:101], v[54:55], v[50:51] neg_lo:[0,1] neg_hi:[0,1]
	v_pk_add_f32 v[50:51], v[54:55], v[50:51]
	v_mov_b32_e32 v96, v97
	v_mov_b32_e32 v54, v51
	v_pk_add_f32 v[102:103], v[54:55], v[52:53] neg_lo:[0,1] neg_hi:[0,1]
	v_mov_b32_e32 v50, v99
	v_mov_b32_e32 v49, v102
	v_pk_add_f32 v[112:113], v[98:99], v[48:49] neg_lo:[0,1] neg_hi:[0,1]
	v_mov_b32_e32 v98, v53
	v_mov_b32_e32 v99, v102
	;; [unrolled: 1-line block ×3, first 2 shown]
	v_pk_add_f32 v[50:51], v[50:51], v[98:99] neg_lo:[0,1] neg_hi:[0,1]
	v_mov_b32_e32 v97, v52
	v_pk_add_f32 v[50:51], v[96:97], v[50:51] neg_lo:[0,1] neg_hi:[0,1]
	v_mov_b32_e32 v112, v100
	v_pk_add_f32 v[52:53], v[112:113], v[50:51]
	s_mov_b32 s5, 0x33800000
	v_mov_b32_e32 v96, v53
	v_pk_add_f32 v[96:97], v[52:53], v[96:97]
	v_cmp_lt_f32_e64 s[6:7], |v114|, s5
	v_pk_add_f32 v[54:55], v[54:55], v[96:97]
	v_mov_b32_e32 v51, v96
	v_mov_b32_e32 v53, v54
	v_pk_add_f32 v[98:99], v[52:53], v[100:101] neg_lo:[0,1] neg_hi:[0,1]
	s_or_b64 vcc, vcc, s[6:7]
	v_sub_f32_e32 v49, v52, v98
	v_pk_add_f32 v[50:51], v[50:51], v[98:99] neg_lo:[0,1] neg_hi:[0,1]
	v_sub_f32_e32 v49, v100, v49
	v_add_f32_e32 v49, v50, v49
	v_add_f32_e32 v49, v49, v51
	;; [unrolled: 1-line block ×3, first 2 shown]
	v_cndmask_b32_e32 v49, v49, v114, vcc
	v_add_f32_e32 v39, v39, v49
	v_cvt_f16_f32_e32 v98, v39
	v_cvt_f32_f16_e32 v97, v98
	v_mov_b32_e32 v96, v98
.LBB408_236:
	s_or_b64 exec, exec, s[2:3]
	v_max_f32_e32 v39, v64, v64
	v_max_f32_e32 v49, v97, v97
	v_min_f32_e32 v50, v49, v39
	v_cmp_u_f16_e32 vcc, v98, v98
	v_max_f32_e32 v39, v49, v39
	s_nop 0
	v_cndmask_b32_e32 v50, v50, v97, vcc
	v_cndmask_b32_e32 v39, v39, v97, vcc
	v_cndmask_b32_e64 v50, v50, v64, s[18:19]
	v_cndmask_b32_e64 v49, v39, v64, s[18:19]
	v_cmp_neq_f32_e32 vcc, v50, v49
	v_cmp_class_f32_e64 s[2:3], v50, s4
	s_or_b64 s[4:5], vcc, s[2:3]
	v_mov_b32_e32 v39, v96
	s_and_saveexec_b64 s[2:3], s[4:5]
	s_cbranch_execz .LBB408_238
; %bb.237:
	v_sub_f32_e32 v39, v50, v49
	s_mov_b32 s4, 0x3fb8aa3b
	v_mul_f32_e32 v50, 0x3fb8aa3b, v39
	v_fma_f32 v51, v39, s4, -v50
	v_rndne_f32_e32 v52, v50
	v_fmamk_f32 v51, v39, 0x32a5705f, v51
	v_sub_f32_e32 v50, v50, v52
	v_add_f32_e32 v50, v50, v51
	v_exp_f32_e32 v50, v50
	v_cvt_i32_f32_e32 v51, v52
	s_mov_b32 s4, 0xc2ce8ed0
	v_cmp_ngt_f32_e32 vcc, s4, v39
	s_mov_b32 s4, 0x42b17218
	v_ldexp_f32 v50, v50, v51
	v_cndmask_b32_e32 v50, 0, v50, vcc
	v_mov_b32_e32 v51, 0x7f800000
	v_cmp_nlt_f32_e32 vcc, s4, v39
	s_mov_b32 s4, 0x3f2aaaab
	s_mov_b32 s5, 0x7f800000
	v_cndmask_b32_e32 v97, v51, v50, vcc
	v_add_f32_e32 v39, 1.0, v97
	v_add_f32_e32 v50, -1.0, v39
	v_sub_f32_e32 v51, v50, v39
	v_add_f32_e32 v51, 1.0, v51
	v_sub_f32_e32 v50, v97, v50
	v_add_f32_e32 v52, v50, v51
	v_frexp_mant_f32_e32 v53, v39
	v_cvt_f64_f32_e32 v[50:51], v39
	v_frexp_exp_i32_f64_e32 v50, v[50:51]
	v_cmp_gt_f32_e32 vcc, s4, v53
	s_mov_b32 s4, 0x3f317218
	s_nop 0
	v_subbrev_co_u32_e32 v64, vcc, 0, v50, vcc
	v_sub_u32_e32 v50, 0, v64
	v_ldexp_f32 v39, v39, v50
	v_ldexp_f32 v50, v52, v50
	v_add_f32_e32 v52, -1.0, v39
	v_add_f32_e32 v51, 1.0, v52
	v_sub_f32_e32 v51, v39, v51
	v_add_f32_e32 v53, v50, v51
	v_add_f32_e32 v51, 1.0, v39
	v_add_f32_e32 v54, -1.0, v51
	v_sub_f32_e32 v39, v39, v54
	v_add_f32_e32 v39, v50, v39
	v_add_f32_e32 v100, v51, v39
	v_rcp_f32_e32 v101, v100
	v_sub_f32_e32 v50, v51, v100
	v_add_f32_e32 v51, v52, v53
	v_add_f32_e32 v39, v39, v50
	v_mul_f32_e32 v103, v51, v101
	v_sub_f32_e32 v50, v52, v51
	v_mul_f32_e32 v52, v100, v103
	v_fma_f32 v54, v103, v100, -v52
	v_fmac_f32_e32 v54, v103, v39
	v_add_f32_e32 v102, v53, v50
	v_add_f32_e32 v50, v52, v54
	v_sub_f32_e32 v53, v51, v50
	v_pk_add_f32 v[98:99], v[50:51], v[52:53] neg_lo:[0,1] neg_hi:[0,1]
	v_mov_b32_e32 v55, v50
	v_pk_add_f32 v[50:51], v[98:99], v[54:55] neg_lo:[0,1] neg_hi:[0,1]
	v_cmp_eq_f32_e32 vcc, s5, v97
	v_add_f32_e32 v51, v102, v51
	v_add_f32_e32 v50, v50, v51
	;; [unrolled: 1-line block ×3, first 2 shown]
	v_mul_f32_e32 v102, v101, v51
	v_mul_f32_e32 v52, v100, v102
	v_fma_f32 v54, v102, v100, -v52
	v_fmac_f32_e32 v54, v102, v39
	v_sub_f32_e32 v39, v53, v51
	v_add_f32_e32 v39, v50, v39
	v_add_f32_e32 v50, v52, v54
	v_sub_f32_e32 v53, v51, v50
	v_pk_add_f32 v[98:99], v[50:51], v[52:53] neg_lo:[0,1] neg_hi:[0,1]
	v_mov_b32_e32 v55, v50
	v_pk_add_f32 v[50:51], v[98:99], v[54:55] neg_lo:[0,1] neg_hi:[0,1]
	v_cvt_f32_i32_e32 v52, v64
	v_add_f32_e32 v39, v39, v51
	v_add_f32_e32 v39, v50, v39
	;; [unrolled: 1-line block ×4, first 2 shown]
	v_sub_f32_e32 v51, v50, v103
	v_mul_f32_e32 v39, v101, v39
	v_sub_f32_e32 v51, v102, v51
	v_add_f32_e32 v39, v51, v39
	v_add_f32_e32 v53, v50, v39
	v_mul_f32_e32 v54, v53, v53
	v_mov_b32_e32 v51, 0x3ecc95a3
	v_fmac_f32_e32 v51, 0x3e9b6dac, v54
	v_sub_f32_e32 v50, v53, v50
	v_fmaak_f32 v51, v54, v51, 0x3f2aaada
	v_sub_f32_e32 v39, v39, v50
	v_ldexp_f32 v55, v53, 1
	v_mul_f32_e32 v53, v53, v54
	v_mov_b32_e32 v50, 0x3f317218
	v_pk_mul_f32 v[50:51], v[52:53], v[50:51]
	v_ldexp_f32 v39, v39, 1
	v_fma_f32 v53, v52, s4, -v50
	v_fmamk_f32 v54, v52, 0xb102e308, v53
	v_pk_add_f32 v[52:53], v[50:51], v[54:55]
	v_mov_b32_e32 v98, v50
	v_sub_f32_e32 v55, v53, v55
	v_sub_f32_e32 v55, v51, v55
	v_add_f32_e32 v99, v39, v55
	v_pk_add_f32 v[50:51], v[52:53], v[50:51] neg_lo:[0,1] neg_hi:[0,1]
	v_pk_add_f32 v[100:101], v[52:53], v[98:99]
	v_mov_b32_e32 v55, v52
	v_mov_b32_e32 v51, v101
	v_pk_add_f32 v[102:103], v[54:55], v[50:51] neg_lo:[0,1] neg_hi:[0,1]
	v_pk_add_f32 v[50:51], v[54:55], v[50:51]
	v_mov_b32_e32 v98, v99
	v_mov_b32_e32 v54, v51
	v_pk_add_f32 v[112:113], v[54:55], v[52:53] neg_lo:[0,1] neg_hi:[0,1]
	v_mov_b32_e32 v50, v101
	v_mov_b32_e32 v39, v112
	v_pk_add_f32 v[114:115], v[100:101], v[38:39] neg_lo:[0,1] neg_hi:[0,1]
	v_mov_b32_e32 v100, v53
	v_mov_b32_e32 v101, v112
	;; [unrolled: 1-line block ×3, first 2 shown]
	v_pk_add_f32 v[50:51], v[50:51], v[100:101] neg_lo:[0,1] neg_hi:[0,1]
	v_mov_b32_e32 v99, v52
	v_pk_add_f32 v[50:51], v[98:99], v[50:51] neg_lo:[0,1] neg_hi:[0,1]
	v_mov_b32_e32 v114, v102
	v_pk_add_f32 v[52:53], v[114:115], v[50:51]
	s_mov_b32 s4, 0x33800000
	v_mov_b32_e32 v64, v53
	v_pk_add_f32 v[98:99], v[52:53], v[64:65]
	v_cmp_lt_f32_e64 s[4:5], |v97|, s4
	v_pk_add_f32 v[54:55], v[54:55], v[98:99]
	v_mov_b32_e32 v51, v98
	v_mov_b32_e32 v53, v54
	v_pk_add_f32 v[100:101], v[52:53], v[102:103] neg_lo:[0,1] neg_hi:[0,1]
	s_or_b64 vcc, vcc, s[4:5]
	v_sub_f32_e32 v39, v52, v100
	v_pk_add_f32 v[50:51], v[50:51], v[100:101] neg_lo:[0,1] neg_hi:[0,1]
	v_sub_f32_e32 v39, v102, v39
	v_add_f32_e32 v39, v50, v39
	v_add_f32_e32 v39, v39, v51
	;; [unrolled: 1-line block ×3, first 2 shown]
	v_cndmask_b32_e32 v39, v39, v97, vcc
	v_add_f32_e32 v39, v49, v39
	v_cvt_f16_f32_e32 v98, v39
	v_cvt_f32_f16_e32 v97, v98
	v_mov_b32_e32 v39, v98
.LBB408_238:
	s_or_b64 exec, exec, s[2:3]
	v_max_f32_e32 v49, v65, v65
	v_max_f32_e32 v51, v97, v97
	v_min_f32_e32 v50, v51, v49
	v_cmp_u_f16_e32 vcc, v98, v98
	v_max_f32_e32 v49, v51, v49
	s_movk_i32 s4, 0x1f8
	v_cndmask_b32_e32 v50, v50, v97, vcc
	v_cndmask_b32_e32 v49, v49, v97, vcc
	v_cndmask_b32_e64 v50, v50, v65, s[20:21]
	v_cndmask_b32_e64 v49, v49, v65, s[20:21]
	v_cmp_neq_f32_e32 vcc, v50, v49
	v_cmp_class_f32_e64 s[2:3], v50, s4
	s_or_b64 s[6:7], vcc, s[2:3]
	v_mov_b32_e32 v64, v39
	s_and_saveexec_b64 s[2:3], s[6:7]
	s_cbranch_execz .LBB408_240
; %bb.239:
	v_sub_f32_e32 v50, v50, v49
	s_mov_b32 s5, 0x3fb8aa3b
	v_mul_f32_e32 v51, 0x3fb8aa3b, v50
	v_fma_f32 v52, v50, s5, -v51
	v_rndne_f32_e32 v53, v51
	v_fmamk_f32 v52, v50, 0x32a5705f, v52
	v_sub_f32_e32 v51, v51, v53
	v_add_f32_e32 v51, v51, v52
	v_exp_f32_e32 v51, v51
	v_cvt_i32_f32_e32 v52, v53
	s_mov_b32 s5, 0xc2ce8ed0
	v_cmp_ngt_f32_e32 vcc, s5, v50
	s_mov_b32 s5, 0x42b17218
	v_ldexp_f32 v51, v51, v52
	v_cndmask_b32_e32 v51, 0, v51, vcc
	v_mov_b32_e32 v52, 0x7f800000
	v_cmp_nlt_f32_e32 vcc, s5, v50
	s_mov_b32 s5, 0x3f2aaaab
	s_mov_b32 s6, 0x7f800000
	v_cndmask_b32_e32 v97, v52, v51, vcc
	v_add_f32_e32 v52, 1.0, v97
	v_add_f32_e32 v50, -1.0, v52
	v_sub_f32_e32 v51, v50, v52
	v_add_f32_e32 v51, 1.0, v51
	v_sub_f32_e32 v50, v97, v50
	v_add_f32_e32 v53, v50, v51
	v_frexp_mant_f32_e32 v54, v52
	v_cvt_f64_f32_e32 v[50:51], v52
	v_frexp_exp_i32_f64_e32 v50, v[50:51]
	v_cmp_gt_f32_e32 vcc, s5, v54
	s_mov_b32 s5, 0x3f317218
	s_nop 0
	v_subbrev_co_u32_e32 v98, vcc, 0, v50, vcc
	v_sub_u32_e32 v50, 0, v98
	v_ldexp_f32 v51, v52, v50
	v_add_f32_e32 v52, -1.0, v51
	v_add_f32_e32 v54, 1.0, v51
	v_ldexp_f32 v50, v53, v50
	v_add_f32_e32 v53, 1.0, v52
	v_add_f32_e32 v55, -1.0, v54
	v_sub_f32_e32 v53, v51, v53
	v_sub_f32_e32 v51, v51, v55
	v_add_f32_e32 v53, v50, v53
	v_add_f32_e32 v50, v50, v51
	;; [unrolled: 1-line block ×3, first 2 shown]
	v_rcp_f32_e32 v101, v99
	v_sub_f32_e32 v51, v54, v99
	v_add_f32_e32 v100, v50, v51
	v_add_f32_e32 v51, v52, v53
	v_mul_f32_e32 v103, v51, v101
	v_sub_f32_e32 v50, v52, v51
	v_mul_f32_e32 v52, v99, v103
	v_fma_f32 v54, v103, v99, -v52
	v_fmac_f32_e32 v54, v103, v100
	v_add_f32_e32 v102, v53, v50
	v_add_f32_e32 v50, v52, v54
	v_sub_f32_e32 v53, v51, v50
	v_pk_add_f32 v[64:65], v[50:51], v[52:53] neg_lo:[0,1] neg_hi:[0,1]
	v_mov_b32_e32 v55, v50
	v_pk_add_f32 v[50:51], v[64:65], v[54:55] neg_lo:[0,1] neg_hi:[0,1]
	v_cmp_eq_f32_e32 vcc, s6, v97
	v_add_f32_e32 v51, v102, v51
	v_add_f32_e32 v50, v50, v51
	;; [unrolled: 1-line block ×3, first 2 shown]
	v_mul_f32_e32 v102, v101, v51
	v_mul_f32_e32 v52, v99, v102
	v_fma_f32 v54, v102, v99, -v52
	v_fmac_f32_e32 v54, v102, v100
	v_sub_f32_e32 v53, v53, v51
	v_add_f32_e32 v99, v50, v53
	v_add_f32_e32 v50, v52, v54
	v_sub_f32_e32 v53, v51, v50
	v_pk_add_f32 v[64:65], v[50:51], v[52:53] neg_lo:[0,1] neg_hi:[0,1]
	v_mov_b32_e32 v55, v50
	v_pk_add_f32 v[50:51], v[64:65], v[54:55] neg_lo:[0,1] neg_hi:[0,1]
	v_cvt_f32_i32_e32 v52, v98
	v_add_f32_e32 v51, v99, v51
	v_add_f32_e32 v50, v50, v51
	;; [unrolled: 1-line block ×4, first 2 shown]
	v_sub_f32_e32 v51, v53, v103
	v_mul_f32_e32 v50, v101, v50
	v_sub_f32_e32 v51, v102, v51
	v_add_f32_e32 v50, v51, v50
	v_add_f32_e32 v54, v53, v50
	v_mul_f32_e32 v64, v54, v54
	v_mov_b32_e32 v51, 0x3ecc95a3
	v_sub_f32_e32 v53, v54, v53
	v_fmac_f32_e32 v51, 0x3e9b6dac, v64
	v_sub_f32_e32 v50, v50, v53
	v_fmaak_f32 v51, v64, v51, 0x3f2aaada
	v_ldexp_f32 v65, v50, 1
	v_mul_f32_e32 v53, v54, v64
	v_mov_b32_e32 v50, 0x3f317218
	v_pk_mul_f32 v[50:51], v[52:53], v[50:51]
	v_ldexp_f32 v55, v54, 1
	v_fma_f32 v53, v52, s5, -v50
	v_fmamk_f32 v54, v52, 0xb102e308, v53
	v_pk_add_f32 v[52:53], v[50:51], v[54:55]
	v_mov_b32_e32 v64, v50
	v_sub_f32_e32 v55, v53, v55
	v_sub_f32_e32 v55, v51, v55
	v_add_f32_e32 v65, v65, v55
	v_pk_add_f32 v[50:51], v[52:53], v[50:51] neg_lo:[0,1] neg_hi:[0,1]
	v_pk_add_f32 v[98:99], v[52:53], v[64:65]
	v_mov_b32_e32 v55, v52
	v_mov_b32_e32 v51, v99
	v_pk_add_f32 v[100:101], v[54:55], v[50:51] neg_lo:[0,1] neg_hi:[0,1]
	v_pk_add_f32 v[50:51], v[54:55], v[50:51]
	v_mov_b32_e32 v64, v65
	v_mov_b32_e32 v54, v51
	v_pk_add_f32 v[102:103], v[54:55], v[52:53] neg_lo:[0,1] neg_hi:[0,1]
	v_mov_b32_e32 v50, v99
	v_mov_b32_e32 v55, v102
	v_pk_add_f32 v[112:113], v[98:99], v[54:55] neg_lo:[0,1] neg_hi:[0,1]
	v_mov_b32_e32 v98, v53
	v_mov_b32_e32 v99, v102
	;; [unrolled: 1-line block ×3, first 2 shown]
	v_pk_add_f32 v[50:51], v[50:51], v[98:99] neg_lo:[0,1] neg_hi:[0,1]
	v_mov_b32_e32 v65, v52
	v_pk_add_f32 v[50:51], v[64:65], v[50:51] neg_lo:[0,1] neg_hi:[0,1]
	v_mov_b32_e32 v112, v100
	v_pk_add_f32 v[52:53], v[112:113], v[50:51]
	s_mov_b32 s5, 0x33800000
	v_mov_b32_e32 v64, v53
	v_pk_add_f32 v[64:65], v[52:53], v[64:65]
	v_cmp_lt_f32_e64 s[6:7], |v97|, s5
	v_pk_add_f32 v[54:55], v[54:55], v[64:65]
	v_mov_b32_e32 v51, v64
	v_mov_b32_e32 v53, v54
	v_pk_add_f32 v[98:99], v[52:53], v[100:101] neg_lo:[0,1] neg_hi:[0,1]
	s_or_b64 vcc, vcc, s[6:7]
	v_sub_f32_e32 v52, v52, v98
	v_pk_add_f32 v[50:51], v[50:51], v[98:99] neg_lo:[0,1] neg_hi:[0,1]
	v_sub_f32_e32 v52, v100, v52
	v_add_f32_e32 v50, v50, v52
	v_add_f32_e32 v50, v50, v51
	;; [unrolled: 1-line block ×3, first 2 shown]
	v_cndmask_b32_e32 v50, v50, v97, vcc
	v_add_f32_e32 v49, v49, v50
	v_cvt_f16_f32_e32 v98, v49
	v_cvt_f32_f16_e32 v97, v98
	v_mov_b32_e32 v64, v98
.LBB408_240:
	s_or_b64 exec, exec, s[2:3]
	v_max_f32_e32 v49, v66, v66
	v_max_f32_e32 v50, v97, v97
	v_min_f32_e32 v51, v50, v49
	v_cmp_u_f16_e32 vcc, v98, v98
	v_max_f32_e32 v49, v50, v49
	s_nop 0
	v_cndmask_b32_e32 v51, v51, v97, vcc
	v_cndmask_b32_e32 v49, v49, v97, vcc
	v_cndmask_b32_e64 v51, v51, v66, s[22:23]
	v_cndmask_b32_e64 v50, v49, v66, s[22:23]
	v_cmp_neq_f32_e32 vcc, v51, v50
	v_cmp_class_f32_e64 s[2:3], v51, s4
	s_or_b64 s[4:5], vcc, s[2:3]
	v_mov_b32_e32 v49, v64
	s_and_saveexec_b64 s[2:3], s[4:5]
	s_cbranch_execz .LBB408_242
; %bb.241:
	v_sub_f32_e32 v49, v51, v50
	s_mov_b32 s4, 0x3fb8aa3b
	v_mul_f32_e32 v51, 0x3fb8aa3b, v49
	v_fma_f32 v52, v49, s4, -v51
	v_rndne_f32_e32 v53, v51
	v_fmamk_f32 v52, v49, 0x32a5705f, v52
	v_sub_f32_e32 v51, v51, v53
	v_add_f32_e32 v51, v51, v52
	v_exp_f32_e32 v51, v51
	v_cvt_i32_f32_e32 v52, v53
	s_mov_b32 s4, 0xc2ce8ed0
	v_cmp_ngt_f32_e32 vcc, s4, v49
	s_mov_b32 s4, 0x42b17218
	v_ldexp_f32 v51, v51, v52
	v_cndmask_b32_e32 v51, 0, v51, vcc
	v_mov_b32_e32 v52, 0x7f800000
	v_cmp_nlt_f32_e32 vcc, s4, v49
	s_mov_b32 s4, 0x3f2aaaab
	s_mov_b32 s5, 0x7f800000
	v_cndmask_b32_e32 v51, v52, v51, vcc
	v_add_f32_e32 v49, 1.0, v51
	v_add_f32_e32 v52, -1.0, v49
	v_sub_f32_e32 v53, v52, v49
	v_add_f32_e32 v53, 1.0, v53
	v_sub_f32_e32 v52, v51, v52
	v_add_f32_e32 v54, v52, v53
	v_frexp_mant_f32_e32 v55, v49
	v_cvt_f64_f32_e32 v[52:53], v49
	v_frexp_exp_i32_f64_e32 v52, v[52:53]
	v_cmp_gt_f32_e32 vcc, s4, v55
	s_mov_b32 s4, 0x3f317218
	s_nop 0
	v_subbrev_co_u32_e32 v65, vcc, 0, v52, vcc
	v_sub_u32_e32 v52, 0, v65
	v_ldexp_f32 v49, v49, v52
	v_ldexp_f32 v52, v54, v52
	v_add_f32_e32 v54, -1.0, v49
	v_add_f32_e32 v53, 1.0, v54
	v_sub_f32_e32 v53, v49, v53
	v_add_f32_e32 v55, v52, v53
	v_add_f32_e32 v53, 1.0, v49
	v_add_f32_e32 v66, -1.0, v53
	v_sub_f32_e32 v49, v49, v66
	v_add_f32_e32 v49, v52, v49
	v_add_f32_e32 v66, v53, v49
	v_rcp_f32_e32 v97, v66
	v_sub_f32_e32 v52, v53, v66
	v_add_f32_e32 v53, v54, v55
	v_add_f32_e32 v49, v49, v52
	v_mul_f32_e32 v103, v53, v97
	v_sub_f32_e32 v52, v54, v53
	v_mul_f32_e32 v54, v66, v103
	v_fma_f32 v98, v103, v66, -v54
	v_fmac_f32_e32 v98, v103, v49
	v_add_f32_e32 v102, v55, v52
	v_add_f32_e32 v52, v54, v98
	v_sub_f32_e32 v55, v53, v52
	v_pk_add_f32 v[100:101], v[52:53], v[54:55] neg_lo:[0,1] neg_hi:[0,1]
	v_mov_b32_e32 v99, v52
	v_pk_add_f32 v[52:53], v[100:101], v[98:99] neg_lo:[0,1] neg_hi:[0,1]
	v_cmp_eq_f32_e32 vcc, s5, v51
	v_add_f32_e32 v53, v102, v53
	v_add_f32_e32 v52, v52, v53
	;; [unrolled: 1-line block ×3, first 2 shown]
	v_mul_f32_e32 v102, v97, v53
	v_mul_f32_e32 v54, v66, v102
	v_fma_f32 v98, v102, v66, -v54
	v_fmac_f32_e32 v98, v102, v49
	v_sub_f32_e32 v49, v55, v53
	v_add_f32_e32 v49, v52, v49
	v_add_f32_e32 v52, v54, v98
	v_sub_f32_e32 v55, v53, v52
	v_pk_add_f32 v[100:101], v[52:53], v[54:55] neg_lo:[0,1] neg_hi:[0,1]
	v_mov_b32_e32 v99, v52
	v_pk_add_f32 v[52:53], v[100:101], v[98:99] neg_lo:[0,1] neg_hi:[0,1]
	v_cvt_f32_i32_e32 v54, v65
	v_add_f32_e32 v49, v49, v53
	v_add_f32_e32 v49, v52, v49
	;; [unrolled: 1-line block ×4, first 2 shown]
	v_sub_f32_e32 v53, v52, v103
	v_mul_f32_e32 v49, v97, v49
	v_sub_f32_e32 v53, v102, v53
	v_add_f32_e32 v49, v53, v49
	v_add_f32_e32 v55, v52, v49
	v_mul_f32_e32 v66, v55, v55
	v_mov_b32_e32 v53, 0x3ecc95a3
	v_fmac_f32_e32 v53, 0x3e9b6dac, v66
	v_sub_f32_e32 v52, v55, v52
	v_fmaak_f32 v53, v66, v53, 0x3f2aaada
	v_sub_f32_e32 v49, v49, v52
	v_ldexp_f32 v99, v55, 1
	v_mul_f32_e32 v55, v55, v66
	v_mov_b32_e32 v52, 0x3f317218
	v_pk_mul_f32 v[52:53], v[54:55], v[52:53]
	v_ldexp_f32 v49, v49, 1
	v_fma_f32 v55, v54, s4, -v52
	v_fmamk_f32 v98, v54, 0xb102e308, v55
	v_pk_add_f32 v[54:55], v[52:53], v[98:99]
	v_mov_b32_e32 v100, v52
	v_sub_f32_e32 v65, v55, v99
	v_sub_f32_e32 v65, v53, v65
	v_add_f32_e32 v101, v49, v65
	v_pk_add_f32 v[52:53], v[54:55], v[52:53] neg_lo:[0,1] neg_hi:[0,1]
	v_pk_add_f32 v[102:103], v[54:55], v[100:101]
	v_mov_b32_e32 v99, v54
	v_mov_b32_e32 v53, v103
	v_pk_add_f32 v[112:113], v[98:99], v[52:53] neg_lo:[0,1] neg_hi:[0,1]
	v_pk_add_f32 v[52:53], v[98:99], v[52:53]
	s_mov_b32 s4, 0x33800000
	v_mov_b32_e32 v66, v53
	v_pk_add_f32 v[98:99], v[66:67], v[54:55] neg_lo:[0,1] neg_hi:[0,1]
	v_mov_b32_e32 v52, v103
	v_mov_b32_e32 v49, v98
	v_pk_add_f32 v[114:115], v[102:103], v[48:49] neg_lo:[0,1] neg_hi:[0,1]
	v_mov_b32_e32 v102, v55
	v_mov_b32_e32 v103, v98
	;; [unrolled: 1-line block ×3, first 2 shown]
	v_pk_add_f32 v[52:53], v[52:53], v[102:103] neg_lo:[0,1] neg_hi:[0,1]
	v_mov_b32_e32 v98, v101
	v_mov_b32_e32 v99, v54
	v_pk_add_f32 v[52:53], v[98:99], v[52:53] neg_lo:[0,1] neg_hi:[0,1]
	v_mov_b32_e32 v114, v112
	v_pk_add_f32 v[54:55], v[114:115], v[52:53]
	v_cmp_lt_f32_e64 s[4:5], |v51|, s4
	v_mov_b32_e32 v98, v55
	v_pk_add_f32 v[98:99], v[54:55], v[98:99]
	s_or_b64 vcc, vcc, s[4:5]
	v_pk_add_f32 v[100:101], v[66:67], v[98:99]
	v_mov_b32_e32 v53, v98
	v_mov_b32_e32 v55, v100
	v_pk_add_f32 v[102:103], v[54:55], v[112:113] neg_lo:[0,1] neg_hi:[0,1]
	s_nop 0
	v_sub_f32_e32 v49, v54, v102
	v_pk_add_f32 v[52:53], v[52:53], v[102:103] neg_lo:[0,1] neg_hi:[0,1]
	v_sub_f32_e32 v49, v112, v49
	v_add_f32_e32 v49, v52, v49
	v_add_f32_e32 v49, v49, v53
	;; [unrolled: 1-line block ×3, first 2 shown]
	v_cndmask_b32_e32 v49, v49, v51, vcc
	v_add_f32_e32 v49, v50, v49
	v_cvt_f16_f32_e32 v98, v49
	v_cvt_f32_f16_e32 v97, v98
	v_mov_b32_e32 v49, v98
.LBB408_242:
	s_or_b64 exec, exec, s[2:3]
	v_max_f32_e32 v50, v67, v67
	v_max_f32_e32 v52, v97, v97
	v_min_f32_e32 v51, v52, v50
	v_cmp_u_f16_e32 vcc, v98, v98
	v_max_f32_e32 v50, v52, v50
	s_movk_i32 s4, 0x1f8
	v_cndmask_b32_e32 v51, v51, v97, vcc
	v_cndmask_b32_e32 v50, v50, v97, vcc
	v_cndmask_b32_e64 v51, v51, v67, s[24:25]
	v_cndmask_b32_e64 v50, v50, v67, s[24:25]
	v_cmp_neq_f32_e32 vcc, v51, v50
	v_cmp_class_f32_e64 s[2:3], v51, s4
	s_or_b64 s[6:7], vcc, s[2:3]
	v_mov_b32_e32 v65, v49
	s_and_saveexec_b64 s[2:3], s[6:7]
	s_cbranch_execz .LBB408_244
; %bb.243:
	v_sub_f32_e32 v51, v51, v50
	s_mov_b32 s5, 0x3fb8aa3b
	v_mul_f32_e32 v52, 0x3fb8aa3b, v51
	v_fma_f32 v53, v51, s5, -v52
	v_rndne_f32_e32 v54, v52
	v_fmamk_f32 v53, v51, 0x32a5705f, v53
	v_sub_f32_e32 v52, v52, v54
	v_add_f32_e32 v52, v52, v53
	v_exp_f32_e32 v52, v52
	v_cvt_i32_f32_e32 v53, v54
	s_mov_b32 s5, 0xc2ce8ed0
	v_cmp_ngt_f32_e32 vcc, s5, v51
	s_mov_b32 s5, 0x42b17218
	v_ldexp_f32 v52, v52, v53
	v_cndmask_b32_e32 v52, 0, v52, vcc
	v_mov_b32_e32 v53, 0x7f800000
	v_cmp_nlt_f32_e32 vcc, s5, v51
	s_mov_b32 s5, 0x3f2aaaab
	s_mov_b32 s6, 0x7f800000
	v_cndmask_b32_e32 v65, v53, v52, vcc
	v_add_f32_e32 v51, 1.0, v65
	v_add_f32_e32 v52, -1.0, v51
	v_sub_f32_e32 v53, v52, v51
	v_add_f32_e32 v53, 1.0, v53
	v_sub_f32_e32 v52, v65, v52
	v_add_f32_e32 v54, v52, v53
	v_frexp_mant_f32_e32 v55, v51
	v_cvt_f64_f32_e32 v[52:53], v51
	v_frexp_exp_i32_f64_e32 v52, v[52:53]
	v_cmp_gt_f32_e32 vcc, s5, v55
	s_mov_b32 s5, 0x3f317218
	s_nop 0
	v_subbrev_co_u32_e32 v97, vcc, 0, v52, vcc
	v_sub_u32_e32 v52, 0, v97
	v_ldexp_f32 v51, v51, v52
	v_ldexp_f32 v52, v54, v52
	v_add_f32_e32 v54, -1.0, v51
	v_add_f32_e32 v53, 1.0, v54
	v_sub_f32_e32 v53, v51, v53
	v_add_f32_e32 v55, v52, v53
	v_add_f32_e32 v53, 1.0, v51
	v_add_f32_e32 v66, -1.0, v53
	v_sub_f32_e32 v51, v51, v66
	v_add_f32_e32 v51, v52, v51
	v_add_f32_e32 v100, v53, v51
	v_rcp_f32_e32 v101, v100
	v_sub_f32_e32 v52, v53, v100
	v_add_f32_e32 v53, v54, v55
	v_add_f32_e32 v51, v51, v52
	v_mul_f32_e32 v103, v53, v101
	v_sub_f32_e32 v52, v54, v53
	v_mul_f32_e32 v54, v100, v103
	v_fma_f32 v66, v103, v100, -v54
	v_fmac_f32_e32 v66, v103, v51
	v_add_f32_e32 v102, v55, v52
	v_add_f32_e32 v52, v54, v66
	v_sub_f32_e32 v55, v53, v52
	v_pk_add_f32 v[98:99], v[52:53], v[54:55] neg_lo:[0,1] neg_hi:[0,1]
	v_mov_b32_e32 v67, v52
	v_pk_add_f32 v[52:53], v[98:99], v[66:67] neg_lo:[0,1] neg_hi:[0,1]
	v_cmp_eq_f32_e32 vcc, s6, v65
	v_add_f32_e32 v53, v102, v53
	v_add_f32_e32 v52, v52, v53
	;; [unrolled: 1-line block ×3, first 2 shown]
	v_mul_f32_e32 v102, v101, v53
	v_mul_f32_e32 v54, v100, v102
	v_fma_f32 v66, v102, v100, -v54
	v_fmac_f32_e32 v66, v102, v51
	v_sub_f32_e32 v51, v55, v53
	v_add_f32_e32 v51, v52, v51
	v_add_f32_e32 v52, v54, v66
	v_sub_f32_e32 v55, v53, v52
	v_pk_add_f32 v[98:99], v[52:53], v[54:55] neg_lo:[0,1] neg_hi:[0,1]
	v_mov_b32_e32 v67, v52
	v_pk_add_f32 v[52:53], v[98:99], v[66:67] neg_lo:[0,1] neg_hi:[0,1]
	v_cvt_f32_i32_e32 v54, v97
	v_add_f32_e32 v51, v51, v53
	v_add_f32_e32 v51, v52, v51
	;; [unrolled: 1-line block ×4, first 2 shown]
	v_sub_f32_e32 v53, v52, v103
	v_mul_f32_e32 v51, v101, v51
	v_sub_f32_e32 v53, v102, v53
	v_add_f32_e32 v51, v53, v51
	v_add_f32_e32 v55, v52, v51
	v_mul_f32_e32 v66, v55, v55
	v_mov_b32_e32 v53, 0x3ecc95a3
	v_fmac_f32_e32 v53, 0x3e9b6dac, v66
	v_sub_f32_e32 v52, v55, v52
	v_fmaak_f32 v53, v66, v53, 0x3f2aaada
	v_sub_f32_e32 v51, v51, v52
	v_ldexp_f32 v67, v55, 1
	v_mul_f32_e32 v55, v55, v66
	v_mov_b32_e32 v52, 0x3f317218
	v_pk_mul_f32 v[52:53], v[54:55], v[52:53]
	v_ldexp_f32 v51, v51, 1
	v_fma_f32 v55, v54, s5, -v52
	v_fmamk_f32 v66, v54, 0xb102e308, v55
	v_pk_add_f32 v[54:55], v[52:53], v[66:67]
	v_mov_b32_e32 v98, v52
	v_sub_f32_e32 v67, v55, v67
	v_sub_f32_e32 v67, v53, v67
	v_add_f32_e32 v99, v51, v67
	v_pk_add_f32 v[52:53], v[54:55], v[52:53] neg_lo:[0,1] neg_hi:[0,1]
	v_pk_add_f32 v[100:101], v[54:55], v[98:99]
	v_mov_b32_e32 v67, v54
	v_mov_b32_e32 v53, v101
	v_pk_add_f32 v[102:103], v[66:67], v[52:53] neg_lo:[0,1] neg_hi:[0,1]
	v_pk_add_f32 v[52:53], v[66:67], v[52:53]
	v_mov_b32_e32 v98, v99
	v_mov_b32_e32 v66, v53
	v_pk_add_f32 v[112:113], v[66:67], v[54:55] neg_lo:[0,1] neg_hi:[0,1]
	v_mov_b32_e32 v52, v101
	v_mov_b32_e32 v51, v112
	v_pk_add_f32 v[114:115], v[100:101], v[50:51] neg_lo:[0,1] neg_hi:[0,1]
	v_mov_b32_e32 v100, v55
	v_mov_b32_e32 v101, v112
	;; [unrolled: 1-line block ×3, first 2 shown]
	v_pk_add_f32 v[52:53], v[52:53], v[100:101] neg_lo:[0,1] neg_hi:[0,1]
	v_mov_b32_e32 v99, v54
	v_pk_add_f32 v[52:53], v[98:99], v[52:53] neg_lo:[0,1] neg_hi:[0,1]
	v_mov_b32_e32 v114, v102
	v_pk_add_f32 v[54:55], v[114:115], v[52:53]
	s_mov_b32 s5, 0x33800000
	v_mov_b32_e32 v98, v55
	v_pk_add_f32 v[98:99], v[54:55], v[98:99]
	v_cmp_lt_f32_e64 s[6:7], |v65|, s5
	v_pk_add_f32 v[66:67], v[66:67], v[98:99]
	v_mov_b32_e32 v53, v98
	v_mov_b32_e32 v55, v66
	v_pk_add_f32 v[100:101], v[54:55], v[102:103] neg_lo:[0,1] neg_hi:[0,1]
	s_or_b64 vcc, vcc, s[6:7]
	v_sub_f32_e32 v51, v54, v100
	v_pk_add_f32 v[52:53], v[52:53], v[100:101] neg_lo:[0,1] neg_hi:[0,1]
	v_sub_f32_e32 v51, v102, v51
	v_add_f32_e32 v51, v52, v51
	v_add_f32_e32 v51, v51, v53
	;; [unrolled: 1-line block ×3, first 2 shown]
	v_cndmask_b32_e32 v51, v51, v65, vcc
	v_add_f32_e32 v50, v50, v51
	v_cvt_f16_f32_e32 v98, v50
	v_cvt_f32_f16_e32 v97, v98
	v_mov_b32_e32 v65, v98
.LBB408_244:
	s_or_b64 exec, exec, s[2:3]
	v_max_f32_e32 v50, v68, v68
	v_max_f32_e32 v51, v97, v97
	v_min_f32_e32 v52, v51, v50
	v_cmp_u_f16_e32 vcc, v98, v98
	v_max_f32_e32 v50, v51, v50
	s_nop 0
	v_cndmask_b32_e32 v52, v52, v97, vcc
	v_cndmask_b32_e32 v50, v50, v97, vcc
	v_cndmask_b32_e64 v52, v52, v68, s[26:27]
	v_cndmask_b32_e64 v51, v50, v68, s[26:27]
	v_cmp_neq_f32_e32 vcc, v52, v51
	v_cmp_class_f32_e64 s[2:3], v52, s4
	s_or_b64 s[4:5], vcc, s[2:3]
	v_mov_b32_e32 v50, v65
	s_and_saveexec_b64 s[2:3], s[4:5]
	s_cbranch_execz .LBB408_246
; %bb.245:
	v_sub_f32_e32 v50, v52, v51
	s_mov_b32 s4, 0x3fb8aa3b
	v_mul_f32_e32 v52, 0x3fb8aa3b, v50
	v_fma_f32 v53, v50, s4, -v52
	v_rndne_f32_e32 v54, v52
	v_fmamk_f32 v53, v50, 0x32a5705f, v53
	v_sub_f32_e32 v52, v52, v54
	v_add_f32_e32 v52, v52, v53
	v_exp_f32_e32 v52, v52
	v_cvt_i32_f32_e32 v53, v54
	s_mov_b32 s4, 0xc2ce8ed0
	v_cmp_ngt_f32_e32 vcc, s4, v50
	s_mov_b32 s4, 0x42b17218
	v_ldexp_f32 v52, v52, v53
	v_cndmask_b32_e32 v52, 0, v52, vcc
	v_mov_b32_e32 v53, 0x7f800000
	v_cmp_nlt_f32_e32 vcc, s4, v50
	s_mov_b32 s4, 0x3f2aaaab
	s_mov_b32 s5, 0x7f800000
	v_cndmask_b32_e32 v68, v53, v52, vcc
	v_add_f32_e32 v50, 1.0, v68
	v_add_f32_e32 v52, -1.0, v50
	v_sub_f32_e32 v53, v52, v50
	v_add_f32_e32 v53, 1.0, v53
	v_sub_f32_e32 v52, v68, v52
	v_add_f32_e32 v54, v52, v53
	v_frexp_mant_f32_e32 v55, v50
	v_cvt_f64_f32_e32 v[52:53], v50
	v_frexp_exp_i32_f64_e32 v52, v[52:53]
	v_cmp_gt_f32_e32 vcc, s4, v55
	s_mov_b32 s4, 0x3f317218
	s_nop 0
	v_subbrev_co_u32_e32 v97, vcc, 0, v52, vcc
	v_sub_u32_e32 v52, 0, v97
	v_ldexp_f32 v50, v50, v52
	v_ldexp_f32 v52, v54, v52
	v_add_f32_e32 v54, -1.0, v50
	v_add_f32_e32 v53, 1.0, v54
	v_sub_f32_e32 v53, v50, v53
	v_add_f32_e32 v55, v52, v53
	v_add_f32_e32 v53, 1.0, v50
	v_add_f32_e32 v66, -1.0, v53
	v_sub_f32_e32 v50, v50, v66
	v_add_f32_e32 v50, v52, v50
	v_add_f32_e32 v100, v53, v50
	v_rcp_f32_e32 v101, v100
	v_sub_f32_e32 v52, v53, v100
	v_add_f32_e32 v53, v54, v55
	v_add_f32_e32 v50, v50, v52
	v_mul_f32_e32 v103, v53, v101
	v_sub_f32_e32 v52, v54, v53
	v_mul_f32_e32 v54, v100, v103
	v_fma_f32 v66, v103, v100, -v54
	v_fmac_f32_e32 v66, v103, v50
	v_add_f32_e32 v102, v55, v52
	v_add_f32_e32 v52, v54, v66
	v_sub_f32_e32 v55, v53, v52
	v_pk_add_f32 v[98:99], v[52:53], v[54:55] neg_lo:[0,1] neg_hi:[0,1]
	v_mov_b32_e32 v67, v52
	v_pk_add_f32 v[52:53], v[98:99], v[66:67] neg_lo:[0,1] neg_hi:[0,1]
	v_cmp_eq_f32_e32 vcc, s5, v68
	v_add_f32_e32 v53, v102, v53
	v_add_f32_e32 v52, v52, v53
	;; [unrolled: 1-line block ×3, first 2 shown]
	v_mul_f32_e32 v102, v101, v53
	v_mul_f32_e32 v54, v100, v102
	v_fma_f32 v66, v102, v100, -v54
	v_fmac_f32_e32 v66, v102, v50
	v_sub_f32_e32 v50, v55, v53
	v_add_f32_e32 v50, v52, v50
	v_add_f32_e32 v52, v54, v66
	v_sub_f32_e32 v55, v53, v52
	v_pk_add_f32 v[98:99], v[52:53], v[54:55] neg_lo:[0,1] neg_hi:[0,1]
	v_mov_b32_e32 v67, v52
	v_pk_add_f32 v[52:53], v[98:99], v[66:67] neg_lo:[0,1] neg_hi:[0,1]
	v_cvt_f32_i32_e32 v54, v97
	v_add_f32_e32 v50, v50, v53
	v_add_f32_e32 v50, v52, v50
	v_add_f32_e32 v52, v103, v102
	v_add_f32_e32 v50, v55, v50
	v_sub_f32_e32 v53, v52, v103
	v_mul_f32_e32 v50, v101, v50
	v_sub_f32_e32 v53, v102, v53
	v_add_f32_e32 v50, v53, v50
	v_add_f32_e32 v55, v52, v50
	v_mul_f32_e32 v66, v55, v55
	v_mov_b32_e32 v53, 0x3ecc95a3
	v_fmac_f32_e32 v53, 0x3e9b6dac, v66
	v_sub_f32_e32 v52, v55, v52
	v_fmaak_f32 v53, v66, v53, 0x3f2aaada
	v_sub_f32_e32 v50, v50, v52
	v_ldexp_f32 v67, v55, 1
	v_mul_f32_e32 v55, v55, v66
	v_mov_b32_e32 v52, 0x3f317218
	v_pk_mul_f32 v[52:53], v[54:55], v[52:53]
	v_ldexp_f32 v50, v50, 1
	v_fma_f32 v55, v54, s4, -v52
	v_fmamk_f32 v66, v54, 0xb102e308, v55
	v_pk_add_f32 v[54:55], v[52:53], v[66:67]
	v_mov_b32_e32 v98, v52
	v_sub_f32_e32 v67, v55, v67
	v_sub_f32_e32 v67, v53, v67
	v_add_f32_e32 v99, v50, v67
	v_pk_add_f32 v[52:53], v[54:55], v[52:53] neg_lo:[0,1] neg_hi:[0,1]
	v_pk_add_f32 v[100:101], v[54:55], v[98:99]
	v_mov_b32_e32 v67, v54
	v_mov_b32_e32 v53, v101
	v_pk_add_f32 v[102:103], v[66:67], v[52:53] neg_lo:[0,1] neg_hi:[0,1]
	v_pk_add_f32 v[52:53], v[66:67], v[52:53]
	s_mov_b32 s4, 0x33800000
	v_mov_b32_e32 v50, v53
	v_pk_add_f32 v[66:67], v[50:51], v[54:55] neg_lo:[0,1] neg_hi:[0,1]
	v_mov_b32_e32 v52, v101
	v_mov_b32_e32 v67, v66
	v_pk_add_f32 v[112:113], v[100:101], v[66:67] neg_lo:[0,1] neg_hi:[0,1]
	v_mov_b32_e32 v100, v55
	v_mov_b32_e32 v101, v66
	;; [unrolled: 1-line block ×3, first 2 shown]
	v_pk_add_f32 v[52:53], v[52:53], v[100:101] neg_lo:[0,1] neg_hi:[0,1]
	v_mov_b32_e32 v66, v99
	v_mov_b32_e32 v67, v54
	v_pk_add_f32 v[52:53], v[66:67], v[52:53] neg_lo:[0,1] neg_hi:[0,1]
	v_mov_b32_e32 v112, v102
	v_pk_add_f32 v[54:55], v[112:113], v[52:53]
	v_cmp_lt_f32_e64 s[4:5], |v68|, s4
	v_mov_b32_e32 v66, v55
	v_pk_add_f32 v[66:67], v[54:55], v[66:67]
	s_or_b64 vcc, vcc, s[4:5]
	v_pk_add_f32 v[98:99], v[50:51], v[66:67]
	v_mov_b32_e32 v53, v66
	v_mov_b32_e32 v55, v98
	v_pk_add_f32 v[100:101], v[54:55], v[102:103] neg_lo:[0,1] neg_hi:[0,1]
	s_nop 0
	v_sub_f32_e32 v50, v54, v100
	v_pk_add_f32 v[52:53], v[52:53], v[100:101] neg_lo:[0,1] neg_hi:[0,1]
	v_sub_f32_e32 v50, v102, v50
	v_add_f32_e32 v50, v52, v50
	v_add_f32_e32 v50, v50, v53
	v_add_f32_e32 v50, v98, v50
	v_cndmask_b32_e32 v50, v50, v68, vcc
	v_add_f32_e32 v50, v51, v50
	v_cvt_f16_f32_e32 v98, v50
	v_cvt_f32_f16_e32 v97, v98
	v_mov_b32_e32 v50, v98
.LBB408_246:
	s_or_b64 exec, exec, s[2:3]
	v_max_f32_e32 v51, v69, v69
	v_max_f32_e32 v53, v97, v97
	v_min_f32_e32 v52, v53, v51
	v_cmp_u_f16_e32 vcc, v98, v98
	v_max_f32_e32 v51, v53, v51
	s_movk_i32 s4, 0x1f8
	v_cndmask_b32_e32 v52, v52, v97, vcc
	v_cndmask_b32_e32 v51, v51, v97, vcc
	v_cndmask_b32_e64 v52, v52, v69, s[28:29]
	v_cndmask_b32_e64 v51, v51, v69, s[28:29]
	v_cmp_neq_f32_e32 vcc, v52, v51
	v_cmp_class_f32_e64 s[2:3], v52, s4
	s_or_b64 s[6:7], vcc, s[2:3]
	v_mov_b32_e32 v66, v50
	s_and_saveexec_b64 s[2:3], s[6:7]
	s_cbranch_execz .LBB408_248
; %bb.247:
	v_sub_f32_e32 v52, v52, v51
	s_mov_b32 s5, 0x3fb8aa3b
	v_mul_f32_e32 v53, 0x3fb8aa3b, v52
	v_fma_f32 v54, v52, s5, -v53
	v_rndne_f32_e32 v55, v53
	v_fmamk_f32 v54, v52, 0x32a5705f, v54
	v_sub_f32_e32 v53, v53, v55
	v_add_f32_e32 v53, v53, v54
	v_exp_f32_e32 v53, v53
	v_cvt_i32_f32_e32 v54, v55
	s_mov_b32 s5, 0xc2ce8ed0
	v_cmp_ngt_f32_e32 vcc, s5, v52
	s_mov_b32 s5, 0x42b17218
	v_ldexp_f32 v53, v53, v54
	v_cndmask_b32_e32 v53, 0, v53, vcc
	v_mov_b32_e32 v54, 0x7f800000
	v_cmp_nlt_f32_e32 vcc, s5, v52
	s_mov_b32 s5, 0x3f2aaaab
	s_mov_b32 s6, 0x7f800000
	v_cndmask_b32_e32 v97, v54, v53, vcc
	v_add_f32_e32 v54, 1.0, v97
	v_add_f32_e32 v52, -1.0, v54
	v_sub_f32_e32 v53, v52, v54
	v_add_f32_e32 v53, 1.0, v53
	v_sub_f32_e32 v52, v97, v52
	v_add_f32_e32 v55, v52, v53
	v_frexp_mant_f32_e32 v66, v54
	v_cvt_f64_f32_e32 v[52:53], v54
	v_frexp_exp_i32_f64_e32 v52, v[52:53]
	v_cmp_gt_f32_e32 vcc, s5, v66
	s_mov_b32 s5, 0x3f317218
	s_nop 0
	v_subbrev_co_u32_e32 v98, vcc, 0, v52, vcc
	v_sub_u32_e32 v52, 0, v98
	v_ldexp_f32 v53, v54, v52
	v_add_f32_e32 v54, -1.0, v53
	v_add_f32_e32 v66, 1.0, v53
	v_ldexp_f32 v52, v55, v52
	v_add_f32_e32 v55, 1.0, v54
	v_add_f32_e32 v67, -1.0, v66
	v_sub_f32_e32 v55, v53, v55
	v_sub_f32_e32 v53, v53, v67
	v_add_f32_e32 v55, v52, v55
	v_add_f32_e32 v52, v52, v53
	;; [unrolled: 1-line block ×3, first 2 shown]
	v_rcp_f32_e32 v101, v99
	v_sub_f32_e32 v53, v66, v99
	v_add_f32_e32 v100, v52, v53
	v_add_f32_e32 v53, v54, v55
	v_mul_f32_e32 v103, v53, v101
	v_sub_f32_e32 v52, v54, v53
	v_mul_f32_e32 v54, v99, v103
	v_fma_f32 v66, v103, v99, -v54
	v_fmac_f32_e32 v66, v103, v100
	v_add_f32_e32 v102, v55, v52
	v_add_f32_e32 v52, v54, v66
	v_sub_f32_e32 v55, v53, v52
	v_pk_add_f32 v[68:69], v[52:53], v[54:55] neg_lo:[0,1] neg_hi:[0,1]
	v_mov_b32_e32 v67, v52
	v_pk_add_f32 v[52:53], v[68:69], v[66:67] neg_lo:[0,1] neg_hi:[0,1]
	v_cmp_eq_f32_e32 vcc, s6, v97
	v_add_f32_e32 v53, v102, v53
	v_add_f32_e32 v52, v52, v53
	;; [unrolled: 1-line block ×3, first 2 shown]
	v_mul_f32_e32 v102, v101, v53
	v_mul_f32_e32 v54, v99, v102
	v_fma_f32 v66, v102, v99, -v54
	v_fmac_f32_e32 v66, v102, v100
	v_sub_f32_e32 v55, v55, v53
	v_add_f32_e32 v99, v52, v55
	v_add_f32_e32 v52, v54, v66
	v_sub_f32_e32 v55, v53, v52
	v_pk_add_f32 v[68:69], v[52:53], v[54:55] neg_lo:[0,1] neg_hi:[0,1]
	v_mov_b32_e32 v67, v52
	v_pk_add_f32 v[52:53], v[68:69], v[66:67] neg_lo:[0,1] neg_hi:[0,1]
	v_cvt_f32_i32_e32 v54, v98
	v_add_f32_e32 v53, v99, v53
	v_add_f32_e32 v52, v52, v53
	;; [unrolled: 1-line block ×4, first 2 shown]
	v_sub_f32_e32 v53, v55, v103
	v_mul_f32_e32 v52, v101, v52
	v_sub_f32_e32 v53, v102, v53
	v_add_f32_e32 v52, v53, v52
	v_add_f32_e32 v66, v55, v52
	v_mul_f32_e32 v68, v66, v66
	v_mov_b32_e32 v53, 0x3ecc95a3
	v_sub_f32_e32 v55, v66, v55
	v_fmac_f32_e32 v53, 0x3e9b6dac, v68
	v_sub_f32_e32 v52, v52, v55
	v_fmaak_f32 v53, v68, v53, 0x3f2aaada
	v_ldexp_f32 v69, v52, 1
	v_mul_f32_e32 v55, v66, v68
	v_mov_b32_e32 v52, 0x3f317218
	v_pk_mul_f32 v[52:53], v[54:55], v[52:53]
	v_ldexp_f32 v67, v66, 1
	v_fma_f32 v55, v54, s5, -v52
	v_fmamk_f32 v66, v54, 0xb102e308, v55
	v_pk_add_f32 v[54:55], v[52:53], v[66:67]
	v_mov_b32_e32 v68, v52
	v_sub_f32_e32 v67, v55, v67
	v_sub_f32_e32 v67, v53, v67
	v_add_f32_e32 v69, v69, v67
	v_pk_add_f32 v[52:53], v[54:55], v[52:53] neg_lo:[0,1] neg_hi:[0,1]
	v_pk_add_f32 v[98:99], v[54:55], v[68:69]
	v_mov_b32_e32 v67, v54
	v_mov_b32_e32 v53, v99
	v_pk_add_f32 v[100:101], v[66:67], v[52:53] neg_lo:[0,1] neg_hi:[0,1]
	v_pk_add_f32 v[52:53], v[66:67], v[52:53]
	v_mov_b32_e32 v68, v69
	v_mov_b32_e32 v66, v53
	v_pk_add_f32 v[102:103], v[66:67], v[54:55] neg_lo:[0,1] neg_hi:[0,1]
	v_mov_b32_e32 v52, v99
	v_mov_b32_e32 v67, v102
	v_pk_add_f32 v[112:113], v[98:99], v[66:67] neg_lo:[0,1] neg_hi:[0,1]
	v_mov_b32_e32 v98, v55
	v_mov_b32_e32 v99, v102
	;; [unrolled: 1-line block ×3, first 2 shown]
	v_pk_add_f32 v[52:53], v[52:53], v[98:99] neg_lo:[0,1] neg_hi:[0,1]
	v_mov_b32_e32 v69, v54
	v_pk_add_f32 v[52:53], v[68:69], v[52:53] neg_lo:[0,1] neg_hi:[0,1]
	v_mov_b32_e32 v112, v100
	v_pk_add_f32 v[54:55], v[112:113], v[52:53]
	s_mov_b32 s5, 0x33800000
	v_mov_b32_e32 v68, v55
	v_pk_add_f32 v[68:69], v[54:55], v[68:69]
	v_cmp_lt_f32_e64 s[6:7], |v97|, s5
	v_pk_add_f32 v[66:67], v[66:67], v[68:69]
	v_mov_b32_e32 v53, v68
	v_mov_b32_e32 v55, v66
	v_pk_add_f32 v[98:99], v[54:55], v[100:101] neg_lo:[0,1] neg_hi:[0,1]
	s_or_b64 vcc, vcc, s[6:7]
	v_sub_f32_e32 v54, v54, v98
	v_pk_add_f32 v[52:53], v[52:53], v[98:99] neg_lo:[0,1] neg_hi:[0,1]
	v_sub_f32_e32 v54, v100, v54
	v_add_f32_e32 v52, v52, v54
	v_add_f32_e32 v52, v52, v53
	;; [unrolled: 1-line block ×3, first 2 shown]
	v_cndmask_b32_e32 v52, v52, v97, vcc
	v_add_f32_e32 v51, v51, v52
	v_cvt_f16_f32_e32 v98, v51
	v_cvt_f32_f16_e32 v97, v98
	v_mov_b32_e32 v66, v98
.LBB408_248:
	s_or_b64 exec, exec, s[2:3]
	v_max_f32_e32 v51, v70, v70
	v_max_f32_e32 v52, v97, v97
	v_min_f32_e32 v53, v52, v51
	v_cmp_u_f16_e32 vcc, v98, v98
	v_max_f32_e32 v51, v52, v51
	s_nop 0
	v_cndmask_b32_e32 v53, v53, v97, vcc
	v_cndmask_b32_e32 v51, v51, v97, vcc
	v_cndmask_b32_e64 v53, v53, v70, s[30:31]
	v_cndmask_b32_e64 v52, v51, v70, s[30:31]
	v_cmp_neq_f32_e32 vcc, v53, v52
	v_cmp_class_f32_e64 s[2:3], v53, s4
	s_or_b64 s[4:5], vcc, s[2:3]
	v_mov_b32_e32 v51, v66
	s_and_saveexec_b64 s[2:3], s[4:5]
	s_cbranch_execz .LBB408_250
; %bb.249:
	v_sub_f32_e32 v51, v53, v52
	s_mov_b32 s4, 0x3fb8aa3b
	v_mul_f32_e32 v53, 0x3fb8aa3b, v51
	v_fma_f32 v54, v51, s4, -v53
	v_rndne_f32_e32 v55, v53
	v_fmamk_f32 v54, v51, 0x32a5705f, v54
	v_sub_f32_e32 v53, v53, v55
	v_add_f32_e32 v53, v53, v54
	v_exp_f32_e32 v53, v53
	v_cvt_i32_f32_e32 v54, v55
	s_mov_b32 s4, 0xc2ce8ed0
	v_cmp_ngt_f32_e32 vcc, s4, v51
	s_mov_b32 s4, 0x42b17218
	v_ldexp_f32 v53, v53, v54
	v_cndmask_b32_e32 v53, 0, v53, vcc
	v_mov_b32_e32 v54, 0x7f800000
	v_cmp_nlt_f32_e32 vcc, s4, v51
	s_mov_b32 s4, 0x3f2aaaab
	s_mov_b32 s5, 0x7f800000
	v_cndmask_b32_e32 v53, v54, v53, vcc
	v_add_f32_e32 v51, 1.0, v53
	v_add_f32_e32 v54, -1.0, v51
	v_sub_f32_e32 v55, v54, v51
	v_add_f32_e32 v55, 1.0, v55
	v_sub_f32_e32 v54, v53, v54
	v_add_f32_e32 v67, v54, v55
	v_frexp_mant_f32_e32 v68, v51
	v_cvt_f64_f32_e32 v[54:55], v51
	v_frexp_exp_i32_f64_e32 v54, v[54:55]
	v_cmp_gt_f32_e32 vcc, s4, v68
	s_mov_b32 s4, 0x3f317218
	s_nop 0
	v_subbrev_co_u32_e32 v70, vcc, 0, v54, vcc
	v_sub_u32_e32 v54, 0, v70
	v_ldexp_f32 v51, v51, v54
	v_ldexp_f32 v54, v67, v54
	v_add_f32_e32 v67, -1.0, v51
	v_add_f32_e32 v55, 1.0, v67
	v_sub_f32_e32 v55, v51, v55
	v_add_f32_e32 v68, v54, v55
	v_add_f32_e32 v55, 1.0, v51
	v_add_f32_e32 v69, -1.0, v55
	v_sub_f32_e32 v51, v51, v69
	v_add_f32_e32 v51, v54, v51
	v_add_f32_e32 v97, v55, v51
	v_rcp_f32_e32 v102, v97
	v_sub_f32_e32 v54, v55, v97
	v_add_f32_e32 v55, v67, v68
	v_add_f32_e32 v51, v51, v54
	v_sub_f32_e32 v54, v67, v55
	v_mul_f32_e32 v103, v55, v102
	v_add_f32_e32 v67, v68, v54
	v_mul_f32_e32 v68, v97, v103
	v_fma_f32 v98, v103, v97, -v68
	v_fmac_f32_e32 v98, v103, v51
	v_add_f32_e32 v54, v68, v98
	v_sub_f32_e32 v69, v55, v54
	v_pk_add_f32 v[100:101], v[54:55], v[68:69] neg_lo:[0,1] neg_hi:[0,1]
	v_mov_b32_e32 v99, v54
	v_pk_add_f32 v[54:55], v[100:101], v[98:99] neg_lo:[0,1] neg_hi:[0,1]
	v_cmp_eq_f32_e32 vcc, s5, v53
	v_add_f32_e32 v55, v67, v55
	v_add_f32_e32 v54, v54, v55
	;; [unrolled: 1-line block ×3, first 2 shown]
	v_mul_f32_e32 v67, v102, v55
	v_mul_f32_e32 v68, v97, v67
	v_fma_f32 v98, v67, v97, -v68
	v_fmac_f32_e32 v98, v67, v51
	v_sub_f32_e32 v51, v69, v55
	v_add_f32_e32 v51, v54, v51
	v_add_f32_e32 v54, v68, v98
	v_sub_f32_e32 v69, v55, v54
	v_pk_add_f32 v[100:101], v[54:55], v[68:69] neg_lo:[0,1] neg_hi:[0,1]
	v_mov_b32_e32 v99, v54
	v_pk_add_f32 v[54:55], v[100:101], v[98:99] neg_lo:[0,1] neg_hi:[0,1]
	v_cvt_f32_i32_e32 v68, v70
	v_add_f32_e32 v51, v51, v55
	v_add_f32_e32 v51, v54, v51
	;; [unrolled: 1-line block ×4, first 2 shown]
	v_sub_f32_e32 v55, v54, v103
	v_mul_f32_e32 v51, v102, v51
	v_sub_f32_e32 v55, v67, v55
	v_add_f32_e32 v51, v55, v51
	v_add_f32_e32 v67, v54, v51
	v_mul_f32_e32 v69, v67, v67
	v_mov_b32_e32 v55, 0x3ecc95a3
	v_fmac_f32_e32 v55, 0x3e9b6dac, v69
	v_sub_f32_e32 v54, v67, v54
	v_fmaak_f32 v55, v69, v55, 0x3f2aaada
	v_sub_f32_e32 v51, v51, v54
	v_mul_f32_e32 v69, v67, v69
	v_mov_b32_e32 v54, 0x3f317218
	v_pk_mul_f32 v[54:55], v[68:69], v[54:55]
	v_ldexp_f32 v99, v67, 1
	v_fma_f32 v67, v68, s4, -v54
	v_fmamk_f32 v98, v68, 0xb102e308, v67
	v_pk_add_f32 v[68:69], v[54:55], v[98:99]
	v_ldexp_f32 v51, v51, 1
	v_sub_f32_e32 v67, v69, v99
	v_sub_f32_e32 v67, v55, v67
	v_add_f32_e32 v101, v51, v67
	v_mov_b32_e32 v100, v54
	v_pk_add_f32 v[54:55], v[68:69], v[54:55] neg_lo:[0,1] neg_hi:[0,1]
	v_pk_add_f32 v[102:103], v[68:69], v[100:101]
	v_mov_b32_e32 v99, v68
	v_mov_b32_e32 v55, v103
	v_pk_add_f32 v[112:113], v[98:99], v[54:55] neg_lo:[0,1] neg_hi:[0,1]
	v_pk_add_f32 v[54:55], v[98:99], v[54:55]
	s_mov_b32 s4, 0x33800000
	v_mov_b32_e32 v70, v55
	v_pk_add_f32 v[98:99], v[70:71], v[68:69] neg_lo:[0,1] neg_hi:[0,1]
	v_mov_b32_e32 v54, v103
	v_mov_b32_e32 v51, v98
	v_pk_add_f32 v[114:115], v[102:103], v[50:51] neg_lo:[0,1] neg_hi:[0,1]
	v_mov_b32_e32 v102, v69
	v_mov_b32_e32 v103, v98
	;; [unrolled: 1-line block ×3, first 2 shown]
	v_pk_add_f32 v[54:55], v[54:55], v[102:103] neg_lo:[0,1] neg_hi:[0,1]
	v_mov_b32_e32 v98, v101
	v_mov_b32_e32 v99, v68
	v_pk_add_f32 v[54:55], v[98:99], v[54:55] neg_lo:[0,1] neg_hi:[0,1]
	v_mov_b32_e32 v114, v112
	v_pk_add_f32 v[68:69], v[114:115], v[54:55]
	v_cmp_lt_f32_e64 s[4:5], |v53|, s4
	v_mov_b32_e32 v98, v69
	v_pk_add_f32 v[98:99], v[68:69], v[98:99]
	s_or_b64 vcc, vcc, s[4:5]
	v_pk_add_f32 v[100:101], v[70:71], v[98:99]
	v_mov_b32_e32 v55, v98
	v_mov_b32_e32 v69, v100
	v_pk_add_f32 v[102:103], v[68:69], v[112:113] neg_lo:[0,1] neg_hi:[0,1]
	s_nop 0
	v_sub_f32_e32 v51, v68, v102
	v_pk_add_f32 v[54:55], v[54:55], v[102:103] neg_lo:[0,1] neg_hi:[0,1]
	v_sub_f32_e32 v51, v112, v51
	v_add_f32_e32 v51, v54, v51
	v_add_f32_e32 v51, v51, v55
	;; [unrolled: 1-line block ×3, first 2 shown]
	v_cndmask_b32_e32 v51, v51, v53, vcc
	v_add_f32_e32 v51, v52, v51
	v_cvt_f16_f32_e32 v98, v51
	v_cvt_f32_f16_e32 v97, v98
	v_mov_b32_e32 v51, v98
.LBB408_250:
	s_or_b64 exec, exec, s[2:3]
	v_max_f32_e32 v52, v71, v71
	v_max_f32_e32 v54, v97, v97
	v_min_f32_e32 v53, v54, v52
	v_cmp_u_f16_e32 vcc, v98, v98
	v_max_f32_e32 v52, v54, v52
	s_movk_i32 s4, 0x1f8
	v_cndmask_b32_e32 v53, v53, v97, vcc
	v_cndmask_b32_e32 v52, v52, v97, vcc
	v_cndmask_b32_e64 v53, v53, v71, s[34:35]
	v_cndmask_b32_e64 v52, v52, v71, s[34:35]
	v_cmp_neq_f32_e32 vcc, v53, v52
	v_cmp_class_f32_e64 s[2:3], v53, s4
	s_or_b64 s[6:7], vcc, s[2:3]
	v_mov_b32_e32 v67, v51
	s_and_saveexec_b64 s[2:3], s[6:7]
	s_cbranch_execz .LBB408_252
; %bb.251:
	v_sub_f32_e32 v53, v53, v52
	s_mov_b32 s5, 0x3fb8aa3b
	v_mul_f32_e32 v54, 0x3fb8aa3b, v53
	v_fma_f32 v55, v53, s5, -v54
	v_rndne_f32_e32 v67, v54
	v_fmamk_f32 v55, v53, 0x32a5705f, v55
	v_sub_f32_e32 v54, v54, v67
	v_add_f32_e32 v54, v54, v55
	v_exp_f32_e32 v54, v54
	v_cvt_i32_f32_e32 v55, v67
	s_mov_b32 s5, 0xc2ce8ed0
	v_cmp_ngt_f32_e32 vcc, s5, v53
	s_mov_b32 s5, 0x42b17218
	v_ldexp_f32 v54, v54, v55
	v_cndmask_b32_e32 v54, 0, v54, vcc
	v_mov_b32_e32 v55, 0x7f800000
	v_cmp_nlt_f32_e32 vcc, s5, v53
	s_mov_b32 s5, 0x3f2aaaab
	s_mov_b32 s6, 0x7f800000
	v_cndmask_b32_e32 v67, v55, v54, vcc
	v_add_f32_e32 v53, 1.0, v67
	v_add_f32_e32 v54, -1.0, v53
	v_sub_f32_e32 v55, v54, v53
	v_add_f32_e32 v55, 1.0, v55
	v_sub_f32_e32 v54, v67, v54
	v_add_f32_e32 v68, v54, v55
	v_frexp_mant_f32_e32 v69, v53
	v_cvt_f64_f32_e32 v[54:55], v53
	v_frexp_exp_i32_f64_e32 v54, v[54:55]
	v_cmp_gt_f32_e32 vcc, s5, v69
	s_mov_b32 s5, 0x3f317218
	s_nop 0
	v_subbrev_co_u32_e32 v97, vcc, 0, v54, vcc
	v_sub_u32_e32 v54, 0, v97
	v_ldexp_f32 v53, v53, v54
	v_ldexp_f32 v54, v68, v54
	v_add_f32_e32 v68, -1.0, v53
	v_add_f32_e32 v55, 1.0, v68
	v_sub_f32_e32 v55, v53, v55
	v_add_f32_e32 v69, v54, v55
	v_add_f32_e32 v55, 1.0, v53
	v_add_f32_e32 v70, -1.0, v55
	v_sub_f32_e32 v53, v53, v70
	v_add_f32_e32 v53, v54, v53
	v_add_f32_e32 v100, v55, v53
	v_rcp_f32_e32 v101, v100
	v_sub_f32_e32 v54, v55, v100
	v_add_f32_e32 v55, v68, v69
	v_add_f32_e32 v53, v53, v54
	v_mul_f32_e32 v103, v55, v101
	v_sub_f32_e32 v54, v68, v55
	v_mul_f32_e32 v68, v100, v103
	v_fma_f32 v70, v103, v100, -v68
	v_fmac_f32_e32 v70, v103, v53
	v_add_f32_e32 v102, v69, v54
	v_add_f32_e32 v54, v68, v70
	v_sub_f32_e32 v69, v55, v54
	v_pk_add_f32 v[98:99], v[54:55], v[68:69] neg_lo:[0,1] neg_hi:[0,1]
	v_mov_b32_e32 v71, v54
	v_pk_add_f32 v[54:55], v[98:99], v[70:71] neg_lo:[0,1] neg_hi:[0,1]
	v_cmp_eq_f32_e32 vcc, s6, v67
	v_add_f32_e32 v55, v102, v55
	v_add_f32_e32 v54, v54, v55
	v_add_f32_e32 v55, v69, v54
	v_mul_f32_e32 v102, v101, v55
	v_mul_f32_e32 v68, v100, v102
	v_fma_f32 v70, v102, v100, -v68
	v_fmac_f32_e32 v70, v102, v53
	v_sub_f32_e32 v53, v69, v55
	v_add_f32_e32 v53, v54, v53
	v_add_f32_e32 v54, v68, v70
	v_sub_f32_e32 v69, v55, v54
	v_pk_add_f32 v[98:99], v[54:55], v[68:69] neg_lo:[0,1] neg_hi:[0,1]
	v_mov_b32_e32 v71, v54
	v_pk_add_f32 v[54:55], v[98:99], v[70:71] neg_lo:[0,1] neg_hi:[0,1]
	v_cvt_f32_i32_e32 v68, v97
	v_add_f32_e32 v53, v53, v55
	v_add_f32_e32 v53, v54, v53
	;; [unrolled: 1-line block ×4, first 2 shown]
	v_sub_f32_e32 v55, v54, v103
	v_mul_f32_e32 v53, v101, v53
	v_sub_f32_e32 v55, v102, v55
	v_add_f32_e32 v53, v55, v53
	v_add_f32_e32 v69, v54, v53
	v_mul_f32_e32 v70, v69, v69
	v_mov_b32_e32 v55, 0x3ecc95a3
	v_fmac_f32_e32 v55, 0x3e9b6dac, v70
	v_sub_f32_e32 v54, v69, v54
	v_fmaak_f32 v55, v70, v55, 0x3f2aaada
	v_sub_f32_e32 v53, v53, v54
	v_ldexp_f32 v71, v69, 1
	v_mul_f32_e32 v69, v69, v70
	v_mov_b32_e32 v54, 0x3f317218
	v_pk_mul_f32 v[54:55], v[68:69], v[54:55]
	v_ldexp_f32 v53, v53, 1
	v_fma_f32 v69, v68, s5, -v54
	v_fmamk_f32 v70, v68, 0xb102e308, v69
	v_pk_add_f32 v[68:69], v[54:55], v[70:71]
	v_mov_b32_e32 v98, v54
	v_sub_f32_e32 v71, v69, v71
	v_sub_f32_e32 v71, v55, v71
	v_add_f32_e32 v99, v53, v71
	v_pk_add_f32 v[54:55], v[68:69], v[54:55] neg_lo:[0,1] neg_hi:[0,1]
	v_pk_add_f32 v[100:101], v[68:69], v[98:99]
	v_mov_b32_e32 v71, v68
	v_mov_b32_e32 v55, v101
	v_pk_add_f32 v[102:103], v[70:71], v[54:55] neg_lo:[0,1] neg_hi:[0,1]
	v_pk_add_f32 v[54:55], v[70:71], v[54:55]
	v_mov_b32_e32 v98, v99
	v_mov_b32_e32 v70, v55
	v_pk_add_f32 v[112:113], v[70:71], v[68:69] neg_lo:[0,1] neg_hi:[0,1]
	v_mov_b32_e32 v54, v101
	v_mov_b32_e32 v53, v112
	v_pk_add_f32 v[114:115], v[100:101], v[52:53] neg_lo:[0,1] neg_hi:[0,1]
	v_mov_b32_e32 v100, v69
	v_mov_b32_e32 v101, v112
	;; [unrolled: 1-line block ×3, first 2 shown]
	v_pk_add_f32 v[54:55], v[54:55], v[100:101] neg_lo:[0,1] neg_hi:[0,1]
	v_mov_b32_e32 v99, v68
	v_pk_add_f32 v[54:55], v[98:99], v[54:55] neg_lo:[0,1] neg_hi:[0,1]
	v_mov_b32_e32 v114, v102
	v_pk_add_f32 v[68:69], v[114:115], v[54:55]
	s_mov_b32 s5, 0x33800000
	v_mov_b32_e32 v98, v69
	v_pk_add_f32 v[98:99], v[68:69], v[98:99]
	v_cmp_lt_f32_e64 s[6:7], |v67|, s5
	v_pk_add_f32 v[70:71], v[70:71], v[98:99]
	v_mov_b32_e32 v55, v98
	v_mov_b32_e32 v69, v70
	v_pk_add_f32 v[100:101], v[68:69], v[102:103] neg_lo:[0,1] neg_hi:[0,1]
	s_or_b64 vcc, vcc, s[6:7]
	v_sub_f32_e32 v53, v68, v100
	v_pk_add_f32 v[54:55], v[54:55], v[100:101] neg_lo:[0,1] neg_hi:[0,1]
	v_sub_f32_e32 v53, v102, v53
	v_add_f32_e32 v53, v54, v53
	v_add_f32_e32 v53, v53, v55
	;; [unrolled: 1-line block ×3, first 2 shown]
	v_cndmask_b32_e32 v53, v53, v67, vcc
	v_add_f32_e32 v52, v52, v53
	v_cvt_f16_f32_e32 v98, v52
	v_cvt_f32_f16_e32 v97, v98
	v_mov_b32_e32 v67, v98
.LBB408_252:
	s_or_b64 exec, exec, s[2:3]
	v_max_f32_e32 v52, v80, v80
	v_max_f32_e32 v53, v97, v97
	v_min_f32_e32 v54, v53, v52
	v_cmp_u_f16_e32 vcc, v98, v98
	v_max_f32_e32 v52, v53, v52
	s_nop 0
	v_cndmask_b32_e32 v54, v54, v97, vcc
	v_cndmask_b32_e32 v52, v52, v97, vcc
	v_cndmask_b32_e64 v54, v54, v80, s[36:37]
	v_cndmask_b32_e64 v53, v52, v80, s[36:37]
	v_cmp_neq_f32_e32 vcc, v54, v53
	v_cmp_class_f32_e64 s[2:3], v54, s4
	s_or_b64 s[4:5], vcc, s[2:3]
	v_mov_b32_e32 v52, v67
	s_and_saveexec_b64 s[2:3], s[4:5]
	s_cbranch_execz .LBB408_254
; %bb.253:
	v_sub_f32_e32 v52, v54, v53
	s_mov_b32 s4, 0x3fb8aa3b
	v_mul_f32_e32 v54, 0x3fb8aa3b, v52
	v_fma_f32 v55, v52, s4, -v54
	v_rndne_f32_e32 v68, v54
	v_fmamk_f32 v55, v52, 0x32a5705f, v55
	v_sub_f32_e32 v54, v54, v68
	v_add_f32_e32 v54, v54, v55
	v_exp_f32_e32 v54, v54
	v_cvt_i32_f32_e32 v55, v68
	s_mov_b32 s4, 0xc2ce8ed0
	v_cmp_ngt_f32_e32 vcc, s4, v52
	s_mov_b32 s4, 0x42b17218
	v_ldexp_f32 v54, v54, v55
	v_cndmask_b32_e32 v54, 0, v54, vcc
	v_mov_b32_e32 v55, 0x7f800000
	v_cmp_nlt_f32_e32 vcc, s4, v52
	s_mov_b32 s4, 0x3f2aaaab
	s_mov_b32 s5, 0x7f800000
	v_cndmask_b32_e32 v80, v55, v54, vcc
	v_add_f32_e32 v52, 1.0, v80
	v_add_f32_e32 v54, -1.0, v52
	v_sub_f32_e32 v55, v54, v52
	v_add_f32_e32 v55, 1.0, v55
	v_sub_f32_e32 v54, v80, v54
	v_add_f32_e32 v68, v54, v55
	v_frexp_mant_f32_e32 v69, v52
	v_cvt_f64_f32_e32 v[54:55], v52
	v_frexp_exp_i32_f64_e32 v54, v[54:55]
	v_cmp_gt_f32_e32 vcc, s4, v69
	s_mov_b32 s4, 0x3f317218
	s_nop 0
	v_subbrev_co_u32_e32 v97, vcc, 0, v54, vcc
	v_sub_u32_e32 v54, 0, v97
	v_ldexp_f32 v52, v52, v54
	v_ldexp_f32 v54, v68, v54
	v_add_f32_e32 v68, -1.0, v52
	v_add_f32_e32 v55, 1.0, v68
	v_sub_f32_e32 v55, v52, v55
	v_add_f32_e32 v69, v54, v55
	v_add_f32_e32 v55, 1.0, v52
	v_add_f32_e32 v70, -1.0, v55
	v_sub_f32_e32 v52, v52, v70
	v_add_f32_e32 v52, v54, v52
	v_add_f32_e32 v100, v55, v52
	v_rcp_f32_e32 v101, v100
	v_sub_f32_e32 v54, v55, v100
	v_add_f32_e32 v55, v68, v69
	v_add_f32_e32 v52, v52, v54
	v_mul_f32_e32 v103, v55, v101
	v_sub_f32_e32 v54, v68, v55
	v_mul_f32_e32 v68, v100, v103
	v_fma_f32 v70, v103, v100, -v68
	v_fmac_f32_e32 v70, v103, v52
	v_add_f32_e32 v102, v69, v54
	v_add_f32_e32 v54, v68, v70
	v_sub_f32_e32 v69, v55, v54
	v_pk_add_f32 v[98:99], v[54:55], v[68:69] neg_lo:[0,1] neg_hi:[0,1]
	v_mov_b32_e32 v71, v54
	v_pk_add_f32 v[54:55], v[98:99], v[70:71] neg_lo:[0,1] neg_hi:[0,1]
	v_cmp_eq_f32_e32 vcc, s5, v80
	v_add_f32_e32 v55, v102, v55
	v_add_f32_e32 v54, v54, v55
	;; [unrolled: 1-line block ×3, first 2 shown]
	v_mul_f32_e32 v102, v101, v55
	v_mul_f32_e32 v68, v100, v102
	v_fma_f32 v70, v102, v100, -v68
	v_fmac_f32_e32 v70, v102, v52
	v_sub_f32_e32 v52, v69, v55
	v_add_f32_e32 v52, v54, v52
	v_add_f32_e32 v54, v68, v70
	v_sub_f32_e32 v69, v55, v54
	v_pk_add_f32 v[98:99], v[54:55], v[68:69] neg_lo:[0,1] neg_hi:[0,1]
	v_mov_b32_e32 v71, v54
	v_pk_add_f32 v[54:55], v[98:99], v[70:71] neg_lo:[0,1] neg_hi:[0,1]
	v_cvt_f32_i32_e32 v68, v97
	v_add_f32_e32 v52, v52, v55
	v_add_f32_e32 v52, v54, v52
	;; [unrolled: 1-line block ×4, first 2 shown]
	v_sub_f32_e32 v55, v54, v103
	v_mul_f32_e32 v52, v101, v52
	v_sub_f32_e32 v55, v102, v55
	v_add_f32_e32 v52, v55, v52
	v_add_f32_e32 v69, v54, v52
	v_mul_f32_e32 v70, v69, v69
	v_mov_b32_e32 v55, 0x3ecc95a3
	v_fmac_f32_e32 v55, 0x3e9b6dac, v70
	v_sub_f32_e32 v54, v69, v54
	v_fmaak_f32 v55, v70, v55, 0x3f2aaada
	v_sub_f32_e32 v52, v52, v54
	v_ldexp_f32 v71, v69, 1
	v_mul_f32_e32 v69, v69, v70
	v_mov_b32_e32 v54, 0x3f317218
	v_pk_mul_f32 v[54:55], v[68:69], v[54:55]
	v_ldexp_f32 v52, v52, 1
	v_fma_f32 v69, v68, s4, -v54
	v_fmamk_f32 v70, v68, 0xb102e308, v69
	v_pk_add_f32 v[68:69], v[54:55], v[70:71]
	v_mov_b32_e32 v98, v54
	v_sub_f32_e32 v71, v69, v71
	v_sub_f32_e32 v71, v55, v71
	v_add_f32_e32 v99, v52, v71
	v_pk_add_f32 v[54:55], v[68:69], v[54:55] neg_lo:[0,1] neg_hi:[0,1]
	v_pk_add_f32 v[100:101], v[68:69], v[98:99]
	v_mov_b32_e32 v71, v68
	v_mov_b32_e32 v55, v101
	v_pk_add_f32 v[102:103], v[70:71], v[54:55] neg_lo:[0,1] neg_hi:[0,1]
	v_pk_add_f32 v[54:55], v[70:71], v[54:55]
	s_mov_b32 s4, 0x33800000
	v_mov_b32_e32 v52, v55
	v_pk_add_f32 v[70:71], v[52:53], v[68:69] neg_lo:[0,1] neg_hi:[0,1]
	v_mov_b32_e32 v54, v101
	v_mov_b32_e32 v71, v70
	v_pk_add_f32 v[112:113], v[100:101], v[70:71] neg_lo:[0,1] neg_hi:[0,1]
	v_mov_b32_e32 v100, v69
	v_mov_b32_e32 v101, v70
	;; [unrolled: 1-line block ×3, first 2 shown]
	v_pk_add_f32 v[54:55], v[54:55], v[100:101] neg_lo:[0,1] neg_hi:[0,1]
	v_mov_b32_e32 v70, v99
	v_mov_b32_e32 v71, v68
	v_pk_add_f32 v[54:55], v[70:71], v[54:55] neg_lo:[0,1] neg_hi:[0,1]
	v_mov_b32_e32 v112, v102
	v_pk_add_f32 v[68:69], v[112:113], v[54:55]
	v_cmp_lt_f32_e64 s[4:5], |v80|, s4
	v_mov_b32_e32 v70, v69
	v_pk_add_f32 v[70:71], v[68:69], v[70:71]
	s_or_b64 vcc, vcc, s[4:5]
	v_pk_add_f32 v[98:99], v[52:53], v[70:71]
	v_mov_b32_e32 v55, v70
	v_mov_b32_e32 v69, v98
	v_pk_add_f32 v[100:101], v[68:69], v[102:103] neg_lo:[0,1] neg_hi:[0,1]
	s_nop 0
	v_sub_f32_e32 v52, v68, v100
	v_pk_add_f32 v[54:55], v[54:55], v[100:101] neg_lo:[0,1] neg_hi:[0,1]
	v_sub_f32_e32 v52, v102, v52
	v_add_f32_e32 v52, v54, v52
	v_add_f32_e32 v52, v52, v55
	;; [unrolled: 1-line block ×3, first 2 shown]
	v_cndmask_b32_e32 v52, v52, v80, vcc
	v_add_f32_e32 v52, v53, v52
	v_cvt_f16_f32_e32 v98, v52
	v_cvt_f32_f16_e32 v97, v98
	v_mov_b32_e32 v52, v98
.LBB408_254:
	s_or_b64 exec, exec, s[2:3]
	v_max_f32_e32 v53, v81, v81
	v_max_f32_e32 v55, v97, v97
	v_min_f32_e32 v54, v55, v53
	v_cmp_u_f16_e32 vcc, v98, v98
	v_max_f32_e32 v53, v55, v53
	s_movk_i32 s4, 0x1f8
	v_cndmask_b32_e32 v54, v54, v97, vcc
	v_cndmask_b32_e32 v53, v53, v97, vcc
	v_cndmask_b32_e64 v54, v54, v81, s[38:39]
	v_cndmask_b32_e64 v53, v53, v81, s[38:39]
	v_cmp_neq_f32_e32 vcc, v54, v53
	v_cmp_class_f32_e64 s[2:3], v54, s4
	s_or_b64 s[6:7], vcc, s[2:3]
	v_mov_b32_e32 v68, v52
	s_and_saveexec_b64 s[2:3], s[6:7]
	s_cbranch_execz .LBB408_256
; %bb.255:
	v_sub_f32_e32 v54, v54, v53
	s_mov_b32 s5, 0x3fb8aa3b
	v_mul_f32_e32 v55, 0x3fb8aa3b, v54
	v_fma_f32 v68, v54, s5, -v55
	v_rndne_f32_e32 v69, v55
	v_fmamk_f32 v68, v54, 0x32a5705f, v68
	v_sub_f32_e32 v55, v55, v69
	v_add_f32_e32 v55, v55, v68
	v_exp_f32_e32 v55, v55
	v_cvt_i32_f32_e32 v68, v69
	s_mov_b32 s5, 0xc2ce8ed0
	v_cmp_ngt_f32_e32 vcc, s5, v54
	s_mov_b32 s5, 0x42b17218
	v_ldexp_f32 v55, v55, v68
	v_cndmask_b32_e32 v55, 0, v55, vcc
	v_mov_b32_e32 v68, 0x7f800000
	v_cmp_nlt_f32_e32 vcc, s5, v54
	s_mov_b32 s5, 0x3f2aaaab
	s_mov_b32 s6, 0x7f800000
	v_cndmask_b32_e32 v97, v68, v55, vcc
	v_add_f32_e32 v68, 1.0, v97
	v_add_f32_e32 v54, -1.0, v68
	v_sub_f32_e32 v55, v54, v68
	v_add_f32_e32 v55, 1.0, v55
	v_sub_f32_e32 v54, v97, v54
	v_add_f32_e32 v69, v54, v55
	v_frexp_mant_f32_e32 v70, v68
	v_cvt_f64_f32_e32 v[54:55], v68
	v_frexp_exp_i32_f64_e32 v54, v[54:55]
	v_cmp_gt_f32_e32 vcc, s5, v70
	s_mov_b32 s5, 0x3f317218
	s_nop 0
	v_subbrev_co_u32_e32 v98, vcc, 0, v54, vcc
	v_sub_u32_e32 v54, 0, v98
	v_ldexp_f32 v55, v68, v54
	v_add_f32_e32 v68, -1.0, v55
	v_add_f32_e32 v70, 1.0, v55
	v_ldexp_f32 v54, v69, v54
	v_add_f32_e32 v69, 1.0, v68
	v_add_f32_e32 v71, -1.0, v70
	v_sub_f32_e32 v69, v55, v69
	v_sub_f32_e32 v55, v55, v71
	v_add_f32_e32 v69, v54, v69
	v_add_f32_e32 v54, v54, v55
	;; [unrolled: 1-line block ×3, first 2 shown]
	v_rcp_f32_e32 v101, v99
	v_sub_f32_e32 v55, v70, v99
	v_add_f32_e32 v100, v54, v55
	v_add_f32_e32 v55, v68, v69
	v_mul_f32_e32 v103, v55, v101
	v_sub_f32_e32 v54, v68, v55
	v_mul_f32_e32 v68, v99, v103
	v_fma_f32 v70, v103, v99, -v68
	v_fmac_f32_e32 v70, v103, v100
	v_add_f32_e32 v102, v69, v54
	v_add_f32_e32 v54, v68, v70
	v_sub_f32_e32 v69, v55, v54
	v_pk_add_f32 v[80:81], v[54:55], v[68:69] neg_lo:[0,1] neg_hi:[0,1]
	v_mov_b32_e32 v71, v54
	v_pk_add_f32 v[54:55], v[80:81], v[70:71] neg_lo:[0,1] neg_hi:[0,1]
	v_cmp_eq_f32_e32 vcc, s6, v97
	v_add_f32_e32 v55, v102, v55
	v_add_f32_e32 v54, v54, v55
	;; [unrolled: 1-line block ×3, first 2 shown]
	v_mul_f32_e32 v102, v101, v55
	v_mul_f32_e32 v68, v99, v102
	v_fma_f32 v70, v102, v99, -v68
	v_fmac_f32_e32 v70, v102, v100
	v_sub_f32_e32 v69, v69, v55
	v_add_f32_e32 v99, v54, v69
	v_add_f32_e32 v54, v68, v70
	v_sub_f32_e32 v69, v55, v54
	v_pk_add_f32 v[80:81], v[54:55], v[68:69] neg_lo:[0,1] neg_hi:[0,1]
	v_mov_b32_e32 v71, v54
	v_pk_add_f32 v[54:55], v[80:81], v[70:71] neg_lo:[0,1] neg_hi:[0,1]
	v_cvt_f32_i32_e32 v68, v98
	v_add_f32_e32 v55, v99, v55
	v_add_f32_e32 v54, v54, v55
	;; [unrolled: 1-line block ×4, first 2 shown]
	v_sub_f32_e32 v55, v69, v103
	v_mul_f32_e32 v54, v101, v54
	v_sub_f32_e32 v55, v102, v55
	v_add_f32_e32 v54, v55, v54
	v_add_f32_e32 v70, v69, v54
	v_mul_f32_e32 v80, v70, v70
	v_mov_b32_e32 v55, 0x3ecc95a3
	v_sub_f32_e32 v69, v70, v69
	v_fmac_f32_e32 v55, 0x3e9b6dac, v80
	v_sub_f32_e32 v54, v54, v69
	v_fmaak_f32 v55, v80, v55, 0x3f2aaada
	v_ldexp_f32 v81, v54, 1
	v_mul_f32_e32 v69, v70, v80
	v_mov_b32_e32 v54, 0x3f317218
	v_pk_mul_f32 v[54:55], v[68:69], v[54:55]
	v_ldexp_f32 v71, v70, 1
	v_fma_f32 v69, v68, s5, -v54
	v_fmamk_f32 v70, v68, 0xb102e308, v69
	v_pk_add_f32 v[68:69], v[54:55], v[70:71]
	v_mov_b32_e32 v80, v54
	v_sub_f32_e32 v71, v69, v71
	v_sub_f32_e32 v71, v55, v71
	v_add_f32_e32 v81, v81, v71
	v_pk_add_f32 v[54:55], v[68:69], v[54:55] neg_lo:[0,1] neg_hi:[0,1]
	v_pk_add_f32 v[98:99], v[68:69], v[80:81]
	v_mov_b32_e32 v71, v68
	v_mov_b32_e32 v55, v99
	v_pk_add_f32 v[100:101], v[70:71], v[54:55] neg_lo:[0,1] neg_hi:[0,1]
	v_pk_add_f32 v[54:55], v[70:71], v[54:55]
	v_mov_b32_e32 v80, v81
	v_mov_b32_e32 v70, v55
	v_pk_add_f32 v[102:103], v[70:71], v[68:69] neg_lo:[0,1] neg_hi:[0,1]
	v_mov_b32_e32 v54, v99
	v_mov_b32_e32 v71, v102
	v_pk_add_f32 v[112:113], v[98:99], v[70:71] neg_lo:[0,1] neg_hi:[0,1]
	v_mov_b32_e32 v98, v69
	v_mov_b32_e32 v99, v102
	;; [unrolled: 1-line block ×3, first 2 shown]
	v_pk_add_f32 v[54:55], v[54:55], v[98:99] neg_lo:[0,1] neg_hi:[0,1]
	v_mov_b32_e32 v81, v68
	v_pk_add_f32 v[54:55], v[80:81], v[54:55] neg_lo:[0,1] neg_hi:[0,1]
	v_mov_b32_e32 v112, v100
	v_pk_add_f32 v[68:69], v[112:113], v[54:55]
	s_mov_b32 s5, 0x33800000
	v_mov_b32_e32 v80, v69
	v_pk_add_f32 v[80:81], v[68:69], v[80:81]
	v_cmp_lt_f32_e64 s[6:7], |v97|, s5
	v_pk_add_f32 v[70:71], v[70:71], v[80:81]
	v_mov_b32_e32 v55, v80
	v_mov_b32_e32 v69, v70
	v_pk_add_f32 v[98:99], v[68:69], v[100:101] neg_lo:[0,1] neg_hi:[0,1]
	s_or_b64 vcc, vcc, s[6:7]
	v_sub_f32_e32 v68, v68, v98
	v_pk_add_f32 v[54:55], v[54:55], v[98:99] neg_lo:[0,1] neg_hi:[0,1]
	v_sub_f32_e32 v68, v100, v68
	v_add_f32_e32 v54, v54, v68
	v_add_f32_e32 v54, v54, v55
	;; [unrolled: 1-line block ×3, first 2 shown]
	v_cndmask_b32_e32 v54, v54, v97, vcc
	v_add_f32_e32 v53, v53, v54
	v_cvt_f16_f32_e32 v98, v53
	v_cvt_f32_f16_e32 v97, v98
	v_mov_b32_e32 v68, v98
.LBB408_256:
	s_or_b64 exec, exec, s[2:3]
	v_max_f32_e32 v53, v82, v82
	v_max_f32_e32 v54, v97, v97
	v_min_f32_e32 v55, v54, v53
	v_cmp_u_f16_e32 vcc, v98, v98
	v_max_f32_e32 v53, v54, v53
	s_nop 0
	v_cndmask_b32_e32 v55, v55, v97, vcc
	v_cndmask_b32_e32 v53, v53, v97, vcc
	v_cndmask_b32_e64 v55, v55, v82, s[40:41]
	v_cndmask_b32_e64 v54, v53, v82, s[40:41]
	v_cmp_neq_f32_e32 vcc, v55, v54
	v_cmp_class_f32_e64 s[2:3], v55, s4
	s_or_b64 s[4:5], vcc, s[2:3]
	v_mov_b32_e32 v53, v68
	s_and_saveexec_b64 s[2:3], s[4:5]
	s_cbranch_execz .LBB408_258
; %bb.257:
	v_sub_f32_e32 v53, v55, v54
	s_mov_b32 s4, 0x3fb8aa3b
	v_mul_f32_e32 v55, 0x3fb8aa3b, v53
	v_fma_f32 v69, v53, s4, -v55
	v_rndne_f32_e32 v70, v55
	v_fmamk_f32 v69, v53, 0x32a5705f, v69
	v_sub_f32_e32 v55, v55, v70
	v_add_f32_e32 v55, v55, v69
	v_exp_f32_e32 v55, v55
	v_cvt_i32_f32_e32 v69, v70
	s_mov_b32 s4, 0xc2ce8ed0
	v_cmp_ngt_f32_e32 vcc, s4, v53
	s_mov_b32 s4, 0x42b17218
	v_ldexp_f32 v55, v55, v69
	v_cndmask_b32_e32 v55, 0, v55, vcc
	v_mov_b32_e32 v69, 0x7f800000
	v_cmp_nlt_f32_e32 vcc, s4, v53
	s_mov_b32 s4, 0x3f2aaaab
	s_mov_b32 s5, 0x7f800000
	v_cndmask_b32_e32 v55, v69, v55, vcc
	v_add_f32_e32 v53, 1.0, v55
	v_add_f32_e32 v69, -1.0, v53
	v_sub_f32_e32 v70, v69, v53
	v_add_f32_e32 v70, 1.0, v70
	v_sub_f32_e32 v69, v55, v69
	v_add_f32_e32 v69, v69, v70
	v_frexp_mant_f32_e32 v80, v53
	v_cvt_f64_f32_e32 v[70:71], v53
	v_frexp_exp_i32_f64_e32 v70, v[70:71]
	v_cmp_gt_f32_e32 vcc, s4, v80
	s_mov_b32 s4, 0x3f317218
	s_nop 0
	v_subbrev_co_u32_e32 v82, vcc, 0, v70, vcc
	v_sub_u32_e32 v70, 0, v82
	v_ldexp_f32 v53, v53, v70
	v_ldexp_f32 v69, v69, v70
	v_add_f32_e32 v70, -1.0, v53
	v_add_f32_e32 v71, 1.0, v70
	v_sub_f32_e32 v71, v53, v71
	v_add_f32_e32 v80, v69, v71
	v_add_f32_e32 v71, 1.0, v53
	v_add_f32_e32 v81, -1.0, v71
	v_sub_f32_e32 v53, v53, v81
	v_add_f32_e32 v53, v69, v53
	v_add_f32_e32 v69, v71, v53
	v_rcp_f32_e32 v97, v69
	v_sub_f32_e32 v71, v71, v69
	v_add_f32_e32 v53, v53, v71
	v_add_f32_e32 v71, v70, v80
	v_sub_f32_e32 v70, v70, v71
	v_mul_f32_e32 v103, v71, v97
	v_add_f32_e32 v102, v80, v70
	v_mul_f32_e32 v80, v69, v103
	v_fma_f32 v98, v103, v69, -v80
	v_fmac_f32_e32 v98, v103, v53
	v_add_f32_e32 v70, v80, v98
	v_sub_f32_e32 v81, v71, v70
	v_pk_add_f32 v[100:101], v[70:71], v[80:81] neg_lo:[0,1] neg_hi:[0,1]
	v_mov_b32_e32 v99, v70
	v_pk_add_f32 v[70:71], v[100:101], v[98:99] neg_lo:[0,1] neg_hi:[0,1]
	v_cmp_eq_f32_e32 vcc, s5, v55
	v_add_f32_e32 v71, v102, v71
	v_add_f32_e32 v70, v70, v71
	;; [unrolled: 1-line block ×3, first 2 shown]
	v_mul_f32_e32 v102, v97, v71
	v_mul_f32_e32 v80, v69, v102
	v_fma_f32 v98, v102, v69, -v80
	v_fmac_f32_e32 v98, v102, v53
	v_sub_f32_e32 v53, v81, v71
	v_add_f32_e32 v53, v70, v53
	v_add_f32_e32 v70, v80, v98
	v_sub_f32_e32 v81, v71, v70
	v_pk_add_f32 v[100:101], v[70:71], v[80:81] neg_lo:[0,1] neg_hi:[0,1]
	v_mov_b32_e32 v99, v70
	v_pk_add_f32 v[70:71], v[100:101], v[98:99] neg_lo:[0,1] neg_hi:[0,1]
	v_add_f32_e32 v69, v103, v102
	v_add_f32_e32 v53, v53, v71
	;; [unrolled: 1-line block ×4, first 2 shown]
	v_sub_f32_e32 v70, v69, v103
	v_mul_f32_e32 v53, v97, v53
	v_sub_f32_e32 v70, v102, v70
	v_add_f32_e32 v53, v70, v53
	v_add_f32_e32 v70, v69, v53
	v_cvt_f32_i32_e32 v80, v82
	v_mul_f32_e32 v81, v70, v70
	v_mov_b32_e32 v71, 0x3ecc95a3
	v_fmac_f32_e32 v71, 0x3e9b6dac, v81
	v_fmaak_f32 v71, v81, v71, 0x3f2aaada
	v_sub_f32_e32 v69, v70, v69
	v_ldexp_f32 v99, v70, 1
	v_mul_f32_e32 v81, v70, v81
	v_mov_b32_e32 v70, 0x3f317218
	v_pk_mul_f32 v[70:71], v[80:81], v[70:71]
	v_sub_f32_e32 v53, v53, v69
	v_fma_f32 v69, v80, s4, -v70
	v_fmamk_f32 v98, v80, 0xb102e308, v69
	v_pk_add_f32 v[80:81], v[70:71], v[98:99]
	v_ldexp_f32 v53, v53, 1
	v_sub_f32_e32 v69, v81, v99
	v_sub_f32_e32 v69, v71, v69
	v_add_f32_e32 v101, v53, v69
	v_mov_b32_e32 v100, v70
	v_pk_add_f32 v[70:71], v[80:81], v[70:71] neg_lo:[0,1] neg_hi:[0,1]
	v_pk_add_f32 v[102:103], v[80:81], v[100:101]
	v_mov_b32_e32 v99, v80
	v_mov_b32_e32 v71, v103
	v_pk_add_f32 v[112:113], v[98:99], v[70:71] neg_lo:[0,1] neg_hi:[0,1]
	v_pk_add_f32 v[70:71], v[98:99], v[70:71]
	s_mov_b32 s4, 0x33800000
	v_mov_b32_e32 v82, v71
	v_pk_add_f32 v[98:99], v[82:83], v[80:81] neg_lo:[0,1] neg_hi:[0,1]
	v_mov_b32_e32 v70, v103
	v_mov_b32_e32 v53, v98
	v_pk_add_f32 v[114:115], v[102:103], v[52:53] neg_lo:[0,1] neg_hi:[0,1]
	v_mov_b32_e32 v102, v81
	v_mov_b32_e32 v103, v98
	;; [unrolled: 1-line block ×3, first 2 shown]
	v_pk_add_f32 v[70:71], v[70:71], v[102:103] neg_lo:[0,1] neg_hi:[0,1]
	v_mov_b32_e32 v98, v101
	v_mov_b32_e32 v99, v80
	v_pk_add_f32 v[70:71], v[98:99], v[70:71] neg_lo:[0,1] neg_hi:[0,1]
	v_mov_b32_e32 v114, v112
	v_pk_add_f32 v[80:81], v[114:115], v[70:71]
	v_cmp_lt_f32_e64 s[4:5], |v55|, s4
	v_mov_b32_e32 v98, v81
	v_pk_add_f32 v[98:99], v[80:81], v[98:99]
	s_or_b64 vcc, vcc, s[4:5]
	v_pk_add_f32 v[100:101], v[82:83], v[98:99]
	v_mov_b32_e32 v71, v98
	v_mov_b32_e32 v81, v100
	v_pk_add_f32 v[102:103], v[80:81], v[112:113] neg_lo:[0,1] neg_hi:[0,1]
	s_nop 0
	v_sub_f32_e32 v53, v80, v102
	v_pk_add_f32 v[70:71], v[70:71], v[102:103] neg_lo:[0,1] neg_hi:[0,1]
	v_sub_f32_e32 v53, v112, v53
	v_add_f32_e32 v53, v70, v53
	v_add_f32_e32 v53, v53, v71
	;; [unrolled: 1-line block ×3, first 2 shown]
	v_cndmask_b32_e32 v53, v53, v55, vcc
	v_add_f32_e32 v53, v54, v53
	v_cvt_f16_f32_e32 v98, v53
	v_cvt_f32_f16_e32 v97, v98
	v_mov_b32_e32 v53, v98
.LBB408_258:
	s_or_b64 exec, exec, s[2:3]
	v_max_f32_e32 v54, v83, v83
	v_max_f32_e32 v69, v97, v97
	v_min_f32_e32 v55, v69, v54
	v_cmp_u_f16_e32 vcc, v98, v98
	v_max_f32_e32 v54, v69, v54
	s_movk_i32 s4, 0x1f8
	v_cndmask_b32_e32 v55, v55, v97, vcc
	v_cndmask_b32_e32 v54, v54, v97, vcc
	v_cndmask_b32_e64 v55, v55, v83, s[42:43]
	v_cndmask_b32_e64 v54, v54, v83, s[42:43]
	v_cmp_neq_f32_e32 vcc, v55, v54
	v_cmp_class_f32_e64 s[2:3], v55, s4
	s_or_b64 s[6:7], vcc, s[2:3]
	v_mov_b32_e32 v69, v53
	s_and_saveexec_b64 s[2:3], s[6:7]
	s_cbranch_execz .LBB408_260
; %bb.259:
	v_sub_f32_e32 v55, v55, v54
	s_mov_b32 s5, 0x3fb8aa3b
	v_mul_f32_e32 v69, 0x3fb8aa3b, v55
	v_fma_f32 v70, v55, s5, -v69
	v_rndne_f32_e32 v71, v69
	v_fmamk_f32 v70, v55, 0x32a5705f, v70
	v_sub_f32_e32 v69, v69, v71
	v_add_f32_e32 v69, v69, v70
	v_exp_f32_e32 v69, v69
	v_cvt_i32_f32_e32 v70, v71
	s_mov_b32 s5, 0xc2ce8ed0
	v_cmp_ngt_f32_e32 vcc, s5, v55
	s_mov_b32 s5, 0x42b17218
	v_ldexp_f32 v69, v69, v70
	v_cndmask_b32_e32 v69, 0, v69, vcc
	v_mov_b32_e32 v70, 0x7f800000
	v_cmp_nlt_f32_e32 vcc, s5, v55
	s_mov_b32 s5, 0x3f2aaaab
	s_mov_b32 s6, 0x7f800000
	v_cndmask_b32_e32 v69, v70, v69, vcc
	v_add_f32_e32 v55, 1.0, v69
	v_add_f32_e32 v70, -1.0, v55
	v_sub_f32_e32 v71, v70, v55
	v_add_f32_e32 v71, 1.0, v71
	v_sub_f32_e32 v70, v69, v70
	v_add_f32_e32 v80, v70, v71
	v_frexp_mant_f32_e32 v81, v55
	v_cvt_f64_f32_e32 v[70:71], v55
	v_frexp_exp_i32_f64_e32 v70, v[70:71]
	v_cmp_gt_f32_e32 vcc, s5, v81
	s_mov_b32 s5, 0x3f317218
	s_nop 0
	v_subbrev_co_u32_e32 v97, vcc, 0, v70, vcc
	v_sub_u32_e32 v70, 0, v97
	v_ldexp_f32 v55, v55, v70
	v_ldexp_f32 v70, v80, v70
	v_add_f32_e32 v80, -1.0, v55
	v_add_f32_e32 v71, 1.0, v80
	v_sub_f32_e32 v71, v55, v71
	v_add_f32_e32 v81, v70, v71
	v_add_f32_e32 v71, 1.0, v55
	v_add_f32_e32 v82, -1.0, v71
	v_sub_f32_e32 v55, v55, v82
	v_add_f32_e32 v55, v70, v55
	v_add_f32_e32 v100, v71, v55
	v_rcp_f32_e32 v101, v100
	v_sub_f32_e32 v70, v71, v100
	v_add_f32_e32 v71, v80, v81
	v_add_f32_e32 v55, v55, v70
	v_mul_f32_e32 v103, v71, v101
	v_sub_f32_e32 v70, v80, v71
	v_mul_f32_e32 v80, v100, v103
	v_fma_f32 v82, v103, v100, -v80
	v_fmac_f32_e32 v82, v103, v55
	v_add_f32_e32 v102, v81, v70
	v_add_f32_e32 v70, v80, v82
	v_sub_f32_e32 v81, v71, v70
	v_pk_add_f32 v[98:99], v[70:71], v[80:81] neg_lo:[0,1] neg_hi:[0,1]
	v_mov_b32_e32 v83, v70
	v_pk_add_f32 v[70:71], v[98:99], v[82:83] neg_lo:[0,1] neg_hi:[0,1]
	v_cmp_eq_f32_e32 vcc, s6, v69
	v_add_f32_e32 v71, v102, v71
	v_add_f32_e32 v70, v70, v71
	;; [unrolled: 1-line block ×3, first 2 shown]
	v_mul_f32_e32 v102, v101, v71
	v_mul_f32_e32 v80, v100, v102
	v_fma_f32 v82, v102, v100, -v80
	v_fmac_f32_e32 v82, v102, v55
	v_sub_f32_e32 v55, v81, v71
	v_add_f32_e32 v55, v70, v55
	v_add_f32_e32 v70, v80, v82
	v_sub_f32_e32 v81, v71, v70
	v_pk_add_f32 v[98:99], v[70:71], v[80:81] neg_lo:[0,1] neg_hi:[0,1]
	v_mov_b32_e32 v83, v70
	v_pk_add_f32 v[70:71], v[98:99], v[82:83] neg_lo:[0,1] neg_hi:[0,1]
	v_cvt_f32_i32_e32 v80, v97
	v_add_f32_e32 v55, v55, v71
	v_add_f32_e32 v55, v70, v55
	;; [unrolled: 1-line block ×4, first 2 shown]
	v_sub_f32_e32 v71, v70, v103
	v_mul_f32_e32 v55, v101, v55
	v_sub_f32_e32 v71, v102, v71
	v_add_f32_e32 v55, v71, v55
	v_add_f32_e32 v81, v70, v55
	v_mul_f32_e32 v82, v81, v81
	v_mov_b32_e32 v71, 0x3ecc95a3
	v_fmac_f32_e32 v71, 0x3e9b6dac, v82
	v_sub_f32_e32 v70, v81, v70
	v_fmaak_f32 v71, v82, v71, 0x3f2aaada
	v_sub_f32_e32 v55, v55, v70
	v_ldexp_f32 v83, v81, 1
	v_mul_f32_e32 v81, v81, v82
	v_mov_b32_e32 v70, 0x3f317218
	v_pk_mul_f32 v[70:71], v[80:81], v[70:71]
	v_ldexp_f32 v55, v55, 1
	v_fma_f32 v81, v80, s5, -v70
	v_fmamk_f32 v82, v80, 0xb102e308, v81
	v_pk_add_f32 v[80:81], v[70:71], v[82:83]
	v_mov_b32_e32 v98, v70
	v_sub_f32_e32 v83, v81, v83
	v_sub_f32_e32 v83, v71, v83
	v_add_f32_e32 v99, v55, v83
	v_pk_add_f32 v[70:71], v[80:81], v[70:71] neg_lo:[0,1] neg_hi:[0,1]
	v_pk_add_f32 v[100:101], v[80:81], v[98:99]
	v_mov_b32_e32 v83, v80
	v_mov_b32_e32 v71, v101
	v_pk_add_f32 v[102:103], v[82:83], v[70:71] neg_lo:[0,1] neg_hi:[0,1]
	v_pk_add_f32 v[70:71], v[82:83], v[70:71]
	v_mov_b32_e32 v98, v99
	v_mov_b32_e32 v82, v71
	v_pk_add_f32 v[112:113], v[82:83], v[80:81] neg_lo:[0,1] neg_hi:[0,1]
	v_mov_b32_e32 v70, v101
	v_mov_b32_e32 v55, v112
	v_pk_add_f32 v[114:115], v[100:101], v[54:55] neg_lo:[0,1] neg_hi:[0,1]
	v_mov_b32_e32 v100, v81
	v_mov_b32_e32 v101, v112
	;; [unrolled: 1-line block ×3, first 2 shown]
	v_pk_add_f32 v[70:71], v[70:71], v[100:101] neg_lo:[0,1] neg_hi:[0,1]
	v_mov_b32_e32 v99, v80
	v_pk_add_f32 v[70:71], v[98:99], v[70:71] neg_lo:[0,1] neg_hi:[0,1]
	v_mov_b32_e32 v114, v102
	v_pk_add_f32 v[80:81], v[114:115], v[70:71]
	s_mov_b32 s5, 0x33800000
	v_mov_b32_e32 v98, v81
	v_pk_add_f32 v[98:99], v[80:81], v[98:99]
	v_cmp_lt_f32_e64 s[6:7], |v69|, s5
	v_pk_add_f32 v[82:83], v[82:83], v[98:99]
	v_mov_b32_e32 v71, v98
	v_mov_b32_e32 v81, v82
	v_pk_add_f32 v[100:101], v[80:81], v[102:103] neg_lo:[0,1] neg_hi:[0,1]
	s_or_b64 vcc, vcc, s[6:7]
	v_sub_f32_e32 v55, v80, v100
	v_pk_add_f32 v[70:71], v[70:71], v[100:101] neg_lo:[0,1] neg_hi:[0,1]
	v_sub_f32_e32 v55, v102, v55
	v_add_f32_e32 v55, v70, v55
	v_add_f32_e32 v55, v55, v71
	;; [unrolled: 1-line block ×3, first 2 shown]
	v_cndmask_b32_e32 v55, v55, v69, vcc
	v_add_f32_e32 v54, v54, v55
	v_cvt_f16_f32_e32 v98, v54
	v_cvt_f32_f16_e32 v97, v98
	v_mov_b32_e32 v69, v98
.LBB408_260:
	s_or_b64 exec, exec, s[2:3]
	v_max_f32_e32 v54, v84, v84
	v_max_f32_e32 v55, v97, v97
	v_min_f32_e32 v70, v55, v54
	v_cmp_u_f16_e32 vcc, v98, v98
	v_max_f32_e32 v54, v55, v54
	s_nop 0
	v_cndmask_b32_e32 v70, v70, v97, vcc
	v_cndmask_b32_e32 v54, v54, v97, vcc
	v_cndmask_b32_e64 v70, v70, v84, s[44:45]
	v_cndmask_b32_e64 v55, v54, v84, s[44:45]
	v_cmp_neq_f32_e32 vcc, v70, v55
	v_cmp_class_f32_e64 s[2:3], v70, s4
	s_or_b64 s[4:5], vcc, s[2:3]
	v_mov_b32_e32 v54, v69
	s_and_saveexec_b64 s[2:3], s[4:5]
	s_cbranch_execz .LBB408_262
; %bb.261:
	v_sub_f32_e32 v54, v70, v55
	s_mov_b32 s4, 0x3fb8aa3b
	v_mul_f32_e32 v70, 0x3fb8aa3b, v54
	v_fma_f32 v71, v54, s4, -v70
	v_rndne_f32_e32 v80, v70
	v_fmamk_f32 v71, v54, 0x32a5705f, v71
	v_sub_f32_e32 v70, v70, v80
	v_add_f32_e32 v70, v70, v71
	v_exp_f32_e32 v70, v70
	v_cvt_i32_f32_e32 v71, v80
	s_mov_b32 s4, 0xc2ce8ed0
	v_cmp_ngt_f32_e32 vcc, s4, v54
	s_mov_b32 s4, 0x42b17218
	v_ldexp_f32 v70, v70, v71
	v_cndmask_b32_e32 v70, 0, v70, vcc
	v_mov_b32_e32 v71, 0x7f800000
	v_cmp_nlt_f32_e32 vcc, s4, v54
	s_mov_b32 s4, 0x3f2aaaab
	s_mov_b32 s5, 0x7f800000
	v_cndmask_b32_e32 v84, v71, v70, vcc
	v_add_f32_e32 v54, 1.0, v84
	v_add_f32_e32 v70, -1.0, v54
	v_sub_f32_e32 v71, v70, v54
	v_add_f32_e32 v71, 1.0, v71
	v_sub_f32_e32 v70, v84, v70
	v_add_f32_e32 v80, v70, v71
	v_frexp_mant_f32_e32 v81, v54
	v_cvt_f64_f32_e32 v[70:71], v54
	v_frexp_exp_i32_f64_e32 v70, v[70:71]
	v_cmp_gt_f32_e32 vcc, s4, v81
	s_mov_b32 s4, 0x3f317218
	s_nop 0
	v_subbrev_co_u32_e32 v97, vcc, 0, v70, vcc
	v_sub_u32_e32 v70, 0, v97
	v_ldexp_f32 v54, v54, v70
	v_ldexp_f32 v70, v80, v70
	v_add_f32_e32 v80, -1.0, v54
	v_add_f32_e32 v71, 1.0, v80
	v_sub_f32_e32 v71, v54, v71
	v_add_f32_e32 v81, v70, v71
	v_add_f32_e32 v71, 1.0, v54
	v_add_f32_e32 v82, -1.0, v71
	v_sub_f32_e32 v54, v54, v82
	v_add_f32_e32 v54, v70, v54
	v_add_f32_e32 v100, v71, v54
	v_rcp_f32_e32 v101, v100
	v_sub_f32_e32 v70, v71, v100
	v_add_f32_e32 v71, v80, v81
	v_add_f32_e32 v54, v54, v70
	v_mul_f32_e32 v103, v71, v101
	v_sub_f32_e32 v70, v80, v71
	v_mul_f32_e32 v80, v100, v103
	v_fma_f32 v82, v103, v100, -v80
	v_fmac_f32_e32 v82, v103, v54
	v_add_f32_e32 v102, v81, v70
	v_add_f32_e32 v70, v80, v82
	v_sub_f32_e32 v81, v71, v70
	v_pk_add_f32 v[98:99], v[70:71], v[80:81] neg_lo:[0,1] neg_hi:[0,1]
	v_mov_b32_e32 v83, v70
	v_pk_add_f32 v[70:71], v[98:99], v[82:83] neg_lo:[0,1] neg_hi:[0,1]
	v_cmp_eq_f32_e32 vcc, s5, v84
	v_add_f32_e32 v71, v102, v71
	v_add_f32_e32 v70, v70, v71
	;; [unrolled: 1-line block ×3, first 2 shown]
	v_mul_f32_e32 v102, v101, v71
	v_mul_f32_e32 v80, v100, v102
	v_fma_f32 v82, v102, v100, -v80
	v_fmac_f32_e32 v82, v102, v54
	v_sub_f32_e32 v54, v81, v71
	v_add_f32_e32 v54, v70, v54
	v_add_f32_e32 v70, v80, v82
	v_sub_f32_e32 v81, v71, v70
	v_pk_add_f32 v[98:99], v[70:71], v[80:81] neg_lo:[0,1] neg_hi:[0,1]
	v_mov_b32_e32 v83, v70
	v_pk_add_f32 v[70:71], v[98:99], v[82:83] neg_lo:[0,1] neg_hi:[0,1]
	v_cvt_f32_i32_e32 v80, v97
	v_add_f32_e32 v54, v54, v71
	v_add_f32_e32 v54, v70, v54
	;; [unrolled: 1-line block ×4, first 2 shown]
	v_sub_f32_e32 v71, v70, v103
	v_mul_f32_e32 v54, v101, v54
	v_sub_f32_e32 v71, v102, v71
	v_add_f32_e32 v54, v71, v54
	v_add_f32_e32 v81, v70, v54
	v_mul_f32_e32 v82, v81, v81
	v_mov_b32_e32 v71, 0x3ecc95a3
	v_fmac_f32_e32 v71, 0x3e9b6dac, v82
	v_sub_f32_e32 v70, v81, v70
	v_fmaak_f32 v71, v82, v71, 0x3f2aaada
	v_sub_f32_e32 v54, v54, v70
	v_ldexp_f32 v83, v81, 1
	v_mul_f32_e32 v81, v81, v82
	v_mov_b32_e32 v70, 0x3f317218
	v_pk_mul_f32 v[70:71], v[80:81], v[70:71]
	v_ldexp_f32 v54, v54, 1
	v_fma_f32 v81, v80, s4, -v70
	v_fmamk_f32 v82, v80, 0xb102e308, v81
	v_pk_add_f32 v[80:81], v[70:71], v[82:83]
	v_mov_b32_e32 v98, v70
	v_sub_f32_e32 v83, v81, v83
	v_sub_f32_e32 v83, v71, v83
	v_add_f32_e32 v99, v54, v83
	v_pk_add_f32 v[70:71], v[80:81], v[70:71] neg_lo:[0,1] neg_hi:[0,1]
	v_pk_add_f32 v[100:101], v[80:81], v[98:99]
	v_mov_b32_e32 v83, v80
	v_mov_b32_e32 v71, v101
	v_pk_add_f32 v[102:103], v[82:83], v[70:71] neg_lo:[0,1] neg_hi:[0,1]
	v_pk_add_f32 v[70:71], v[82:83], v[70:71]
	s_mov_b32 s4, 0x33800000
	v_mov_b32_e32 v54, v71
	v_pk_add_f32 v[82:83], v[54:55], v[80:81] neg_lo:[0,1] neg_hi:[0,1]
	v_mov_b32_e32 v70, v101
	v_mov_b32_e32 v83, v82
	v_pk_add_f32 v[112:113], v[100:101], v[82:83] neg_lo:[0,1] neg_hi:[0,1]
	v_mov_b32_e32 v100, v81
	v_mov_b32_e32 v101, v82
	;; [unrolled: 1-line block ×3, first 2 shown]
	v_pk_add_f32 v[70:71], v[70:71], v[100:101] neg_lo:[0,1] neg_hi:[0,1]
	v_mov_b32_e32 v82, v99
	v_mov_b32_e32 v83, v80
	v_pk_add_f32 v[70:71], v[82:83], v[70:71] neg_lo:[0,1] neg_hi:[0,1]
	v_mov_b32_e32 v112, v102
	v_pk_add_f32 v[80:81], v[112:113], v[70:71]
	v_cmp_lt_f32_e64 s[4:5], |v84|, s4
	v_mov_b32_e32 v82, v81
	v_pk_add_f32 v[82:83], v[80:81], v[82:83]
	s_or_b64 vcc, vcc, s[4:5]
	v_pk_add_f32 v[98:99], v[54:55], v[82:83]
	v_mov_b32_e32 v71, v82
	v_mov_b32_e32 v81, v98
	v_pk_add_f32 v[100:101], v[80:81], v[102:103] neg_lo:[0,1] neg_hi:[0,1]
	s_nop 0
	v_sub_f32_e32 v54, v80, v100
	v_pk_add_f32 v[70:71], v[70:71], v[100:101] neg_lo:[0,1] neg_hi:[0,1]
	v_sub_f32_e32 v54, v102, v54
	v_add_f32_e32 v54, v70, v54
	v_add_f32_e32 v54, v54, v71
	;; [unrolled: 1-line block ×3, first 2 shown]
	v_cndmask_b32_e32 v54, v54, v84, vcc
	v_add_f32_e32 v54, v55, v54
	v_cvt_f16_f32_e32 v98, v54
	v_cvt_f32_f16_e32 v97, v98
	v_mov_b32_e32 v54, v98
.LBB408_262:
	s_or_b64 exec, exec, s[2:3]
	v_max_f32_e32 v55, v85, v85
	v_max_f32_e32 v71, v97, v97
	v_min_f32_e32 v70, v71, v55
	v_cmp_u_f16_e32 vcc, v98, v98
	v_max_f32_e32 v55, v71, v55
	s_movk_i32 s4, 0x1f8
	v_cndmask_b32_e32 v70, v70, v97, vcc
	v_cndmask_b32_e32 v55, v55, v97, vcc
	v_cndmask_b32_e64 v70, v70, v85, s[46:47]
	v_cndmask_b32_e64 v55, v55, v85, s[46:47]
	v_cmp_neq_f32_e32 vcc, v70, v55
	v_cmp_class_f32_e64 s[2:3], v70, s4
	s_or_b64 s[6:7], vcc, s[2:3]
	v_mov_b32_e32 v71, v54
	s_and_saveexec_b64 s[2:3], s[6:7]
	s_cbranch_execz .LBB408_264
; %bb.263:
	v_sub_f32_e32 v70, v70, v55
	s_mov_b32 s5, 0x3fb8aa3b
	v_mul_f32_e32 v71, 0x3fb8aa3b, v70
	v_fma_f32 v80, v70, s5, -v71
	v_rndne_f32_e32 v81, v71
	v_fmamk_f32 v80, v70, 0x32a5705f, v80
	v_sub_f32_e32 v71, v71, v81
	v_add_f32_e32 v71, v71, v80
	v_exp_f32_e32 v71, v71
	v_cvt_i32_f32_e32 v80, v81
	s_mov_b32 s5, 0xc2ce8ed0
	v_cmp_ngt_f32_e32 vcc, s5, v70
	s_mov_b32 s5, 0x42b17218
	v_ldexp_f32 v71, v71, v80
	v_cndmask_b32_e32 v71, 0, v71, vcc
	v_mov_b32_e32 v80, 0x7f800000
	v_cmp_nlt_f32_e32 vcc, s5, v70
	s_mov_b32 s5, 0x3f2aaaab
	s_mov_b32 s6, 0x7f800000
	v_cndmask_b32_e32 v97, v80, v71, vcc
	v_add_f32_e32 v80, 1.0, v97
	v_add_f32_e32 v70, -1.0, v80
	v_sub_f32_e32 v71, v70, v80
	v_add_f32_e32 v71, 1.0, v71
	v_sub_f32_e32 v70, v97, v70
	v_add_f32_e32 v81, v70, v71
	v_frexp_mant_f32_e32 v82, v80
	v_cvt_f64_f32_e32 v[70:71], v80
	v_frexp_exp_i32_f64_e32 v70, v[70:71]
	v_cmp_gt_f32_e32 vcc, s5, v82
	s_mov_b32 s5, 0x3f317218
	s_nop 0
	v_subbrev_co_u32_e32 v98, vcc, 0, v70, vcc
	v_sub_u32_e32 v70, 0, v98
	v_ldexp_f32 v71, v80, v70
	v_add_f32_e32 v80, -1.0, v71
	v_add_f32_e32 v82, 1.0, v71
	v_ldexp_f32 v70, v81, v70
	v_add_f32_e32 v81, 1.0, v80
	v_add_f32_e32 v83, -1.0, v82
	v_sub_f32_e32 v81, v71, v81
	v_sub_f32_e32 v71, v71, v83
	v_add_f32_e32 v81, v70, v81
	v_add_f32_e32 v70, v70, v71
	;; [unrolled: 1-line block ×3, first 2 shown]
	v_rcp_f32_e32 v101, v99
	v_sub_f32_e32 v71, v82, v99
	v_add_f32_e32 v100, v70, v71
	v_add_f32_e32 v71, v80, v81
	v_mul_f32_e32 v103, v71, v101
	v_sub_f32_e32 v70, v80, v71
	v_mul_f32_e32 v80, v99, v103
	v_fma_f32 v82, v103, v99, -v80
	v_fmac_f32_e32 v82, v103, v100
	v_add_f32_e32 v102, v81, v70
	v_add_f32_e32 v70, v80, v82
	v_sub_f32_e32 v81, v71, v70
	v_pk_add_f32 v[84:85], v[70:71], v[80:81] neg_lo:[0,1] neg_hi:[0,1]
	v_mov_b32_e32 v83, v70
	v_pk_add_f32 v[70:71], v[84:85], v[82:83] neg_lo:[0,1] neg_hi:[0,1]
	v_cmp_eq_f32_e32 vcc, s6, v97
	v_add_f32_e32 v71, v102, v71
	v_add_f32_e32 v70, v70, v71
	;; [unrolled: 1-line block ×3, first 2 shown]
	v_mul_f32_e32 v102, v101, v71
	v_mul_f32_e32 v80, v99, v102
	v_fma_f32 v82, v102, v99, -v80
	v_fmac_f32_e32 v82, v102, v100
	v_sub_f32_e32 v81, v81, v71
	v_add_f32_e32 v99, v70, v81
	v_add_f32_e32 v70, v80, v82
	v_sub_f32_e32 v81, v71, v70
	v_pk_add_f32 v[84:85], v[70:71], v[80:81] neg_lo:[0,1] neg_hi:[0,1]
	v_mov_b32_e32 v83, v70
	v_pk_add_f32 v[70:71], v[84:85], v[82:83] neg_lo:[0,1] neg_hi:[0,1]
	v_cvt_f32_i32_e32 v80, v98
	v_add_f32_e32 v71, v99, v71
	v_add_f32_e32 v70, v70, v71
	;; [unrolled: 1-line block ×4, first 2 shown]
	v_sub_f32_e32 v71, v81, v103
	v_mul_f32_e32 v70, v101, v70
	v_sub_f32_e32 v71, v102, v71
	v_add_f32_e32 v70, v71, v70
	v_add_f32_e32 v82, v81, v70
	v_mul_f32_e32 v84, v82, v82
	v_mov_b32_e32 v71, 0x3ecc95a3
	v_sub_f32_e32 v81, v82, v81
	v_fmac_f32_e32 v71, 0x3e9b6dac, v84
	v_sub_f32_e32 v70, v70, v81
	v_fmaak_f32 v71, v84, v71, 0x3f2aaada
	v_ldexp_f32 v85, v70, 1
	v_mul_f32_e32 v81, v82, v84
	v_mov_b32_e32 v70, 0x3f317218
	v_pk_mul_f32 v[70:71], v[80:81], v[70:71]
	v_ldexp_f32 v83, v82, 1
	v_fma_f32 v81, v80, s5, -v70
	v_fmamk_f32 v82, v80, 0xb102e308, v81
	v_pk_add_f32 v[80:81], v[70:71], v[82:83]
	v_mov_b32_e32 v84, v70
	v_sub_f32_e32 v83, v81, v83
	v_sub_f32_e32 v83, v71, v83
	v_add_f32_e32 v85, v85, v83
	v_pk_add_f32 v[70:71], v[80:81], v[70:71] neg_lo:[0,1] neg_hi:[0,1]
	v_pk_add_f32 v[98:99], v[80:81], v[84:85]
	v_mov_b32_e32 v83, v80
	v_mov_b32_e32 v71, v99
	v_pk_add_f32 v[100:101], v[82:83], v[70:71] neg_lo:[0,1] neg_hi:[0,1]
	v_pk_add_f32 v[70:71], v[82:83], v[70:71]
	v_mov_b32_e32 v84, v85
	v_mov_b32_e32 v82, v71
	v_pk_add_f32 v[102:103], v[82:83], v[80:81] neg_lo:[0,1] neg_hi:[0,1]
	v_mov_b32_e32 v70, v99
	v_mov_b32_e32 v83, v102
	v_pk_add_f32 v[112:113], v[98:99], v[82:83] neg_lo:[0,1] neg_hi:[0,1]
	v_mov_b32_e32 v98, v81
	v_mov_b32_e32 v99, v102
	;; [unrolled: 1-line block ×3, first 2 shown]
	v_pk_add_f32 v[70:71], v[70:71], v[98:99] neg_lo:[0,1] neg_hi:[0,1]
	v_mov_b32_e32 v85, v80
	v_pk_add_f32 v[70:71], v[84:85], v[70:71] neg_lo:[0,1] neg_hi:[0,1]
	v_mov_b32_e32 v112, v100
	v_pk_add_f32 v[80:81], v[112:113], v[70:71]
	s_mov_b32 s5, 0x33800000
	v_mov_b32_e32 v84, v81
	v_pk_add_f32 v[84:85], v[80:81], v[84:85]
	v_cmp_lt_f32_e64 s[6:7], |v97|, s5
	v_pk_add_f32 v[82:83], v[82:83], v[84:85]
	v_mov_b32_e32 v71, v84
	v_mov_b32_e32 v81, v82
	v_pk_add_f32 v[98:99], v[80:81], v[100:101] neg_lo:[0,1] neg_hi:[0,1]
	s_or_b64 vcc, vcc, s[6:7]
	v_sub_f32_e32 v80, v80, v98
	v_pk_add_f32 v[70:71], v[70:71], v[98:99] neg_lo:[0,1] neg_hi:[0,1]
	v_sub_f32_e32 v80, v100, v80
	v_add_f32_e32 v70, v70, v80
	v_add_f32_e32 v70, v70, v71
	v_add_f32_e32 v70, v82, v70
	v_cndmask_b32_e32 v70, v70, v97, vcc
	v_add_f32_e32 v55, v55, v70
	v_cvt_f16_f32_e32 v98, v55
	v_cvt_f32_f16_e32 v97, v98
	v_mov_b32_e32 v71, v98
.LBB408_264:
	s_or_b64 exec, exec, s[2:3]
	v_max_f32_e32 v55, v86, v86
	v_max_f32_e32 v70, v97, v97
	v_min_f32_e32 v80, v70, v55
	v_cmp_u_f16_e32 vcc, v98, v98
	v_max_f32_e32 v55, v70, v55
	s_nop 0
	v_cndmask_b32_e32 v80, v80, v97, vcc
	v_cndmask_b32_e32 v55, v55, v97, vcc
	v_cndmask_b32_e64 v80, v80, v86, s[48:49]
	v_cndmask_b32_e64 v70, v55, v86, s[48:49]
	v_cmp_neq_f32_e32 vcc, v80, v70
	v_cmp_class_f32_e64 s[2:3], v80, s4
	s_or_b64 s[4:5], vcc, s[2:3]
	v_mov_b32_e32 v55, v71
	s_and_saveexec_b64 s[2:3], s[4:5]
	s_cbranch_execz .LBB408_266
; %bb.265:
	v_sub_f32_e32 v55, v80, v70
	s_mov_b32 s4, 0x3fb8aa3b
	v_mul_f32_e32 v80, 0x3fb8aa3b, v55
	v_fma_f32 v81, v55, s4, -v80
	v_rndne_f32_e32 v82, v80
	v_fmamk_f32 v81, v55, 0x32a5705f, v81
	v_sub_f32_e32 v80, v80, v82
	v_add_f32_e32 v80, v80, v81
	v_exp_f32_e32 v80, v80
	v_cvt_i32_f32_e32 v81, v82
	s_mov_b32 s4, 0xc2ce8ed0
	v_cmp_ngt_f32_e32 vcc, s4, v55
	s_mov_b32 s4, 0x42b17218
	v_ldexp_f32 v80, v80, v81
	v_cndmask_b32_e32 v80, 0, v80, vcc
	v_mov_b32_e32 v81, 0x7f800000
	v_cmp_nlt_f32_e32 vcc, s4, v55
	s_mov_b32 s4, 0x3f2aaaab
	s_mov_b32 s5, 0x7f800000
	v_cndmask_b32_e32 v97, v81, v80, vcc
	v_add_f32_e32 v55, 1.0, v97
	v_add_f32_e32 v80, -1.0, v55
	v_sub_f32_e32 v81, v80, v55
	v_add_f32_e32 v81, 1.0, v81
	v_sub_f32_e32 v80, v97, v80
	v_add_f32_e32 v82, v80, v81
	v_frexp_mant_f32_e32 v83, v55
	v_cvt_f64_f32_e32 v[80:81], v55
	v_frexp_exp_i32_f64_e32 v80, v[80:81]
	v_cmp_gt_f32_e32 vcc, s4, v83
	s_mov_b32 s4, 0x3f317218
	s_nop 0
	v_subbrev_co_u32_e32 v86, vcc, 0, v80, vcc
	v_sub_u32_e32 v80, 0, v86
	v_ldexp_f32 v55, v55, v80
	v_ldexp_f32 v80, v82, v80
	v_add_f32_e32 v82, -1.0, v55
	v_add_f32_e32 v81, 1.0, v82
	v_sub_f32_e32 v81, v55, v81
	v_add_f32_e32 v83, v80, v81
	v_add_f32_e32 v81, 1.0, v55
	v_add_f32_e32 v84, -1.0, v81
	v_sub_f32_e32 v55, v55, v84
	v_add_f32_e32 v55, v80, v55
	v_add_f32_e32 v100, v81, v55
	v_rcp_f32_e32 v101, v100
	v_sub_f32_e32 v80, v81, v100
	v_add_f32_e32 v81, v82, v83
	v_add_f32_e32 v55, v55, v80
	v_mul_f32_e32 v103, v81, v101
	v_sub_f32_e32 v80, v82, v81
	v_mul_f32_e32 v82, v100, v103
	v_fma_f32 v84, v103, v100, -v82
	v_fmac_f32_e32 v84, v103, v55
	v_add_f32_e32 v102, v83, v80
	v_add_f32_e32 v80, v82, v84
	v_sub_f32_e32 v83, v81, v80
	v_pk_add_f32 v[98:99], v[80:81], v[82:83] neg_lo:[0,1] neg_hi:[0,1]
	v_mov_b32_e32 v85, v80
	v_pk_add_f32 v[80:81], v[98:99], v[84:85] neg_lo:[0,1] neg_hi:[0,1]
	v_cmp_eq_f32_e32 vcc, s5, v97
	v_add_f32_e32 v81, v102, v81
	v_add_f32_e32 v80, v80, v81
	;; [unrolled: 1-line block ×3, first 2 shown]
	v_mul_f32_e32 v102, v101, v81
	v_mul_f32_e32 v82, v100, v102
	v_fma_f32 v84, v102, v100, -v82
	v_fmac_f32_e32 v84, v102, v55
	v_sub_f32_e32 v55, v83, v81
	v_add_f32_e32 v55, v80, v55
	v_add_f32_e32 v80, v82, v84
	v_sub_f32_e32 v83, v81, v80
	v_pk_add_f32 v[98:99], v[80:81], v[82:83] neg_lo:[0,1] neg_hi:[0,1]
	v_mov_b32_e32 v85, v80
	v_pk_add_f32 v[80:81], v[98:99], v[84:85] neg_lo:[0,1] neg_hi:[0,1]
	v_cvt_f32_i32_e32 v82, v86
	v_add_f32_e32 v55, v55, v81
	v_add_f32_e32 v55, v80, v55
	;; [unrolled: 1-line block ×4, first 2 shown]
	v_sub_f32_e32 v81, v80, v103
	v_mul_f32_e32 v55, v101, v55
	v_sub_f32_e32 v81, v102, v81
	v_add_f32_e32 v55, v81, v55
	v_add_f32_e32 v83, v80, v55
	v_mul_f32_e32 v84, v83, v83
	v_mov_b32_e32 v81, 0x3ecc95a3
	v_fmac_f32_e32 v81, 0x3e9b6dac, v84
	v_sub_f32_e32 v80, v83, v80
	v_fmaak_f32 v81, v84, v81, 0x3f2aaada
	v_sub_f32_e32 v55, v55, v80
	v_ldexp_f32 v85, v83, 1
	v_mul_f32_e32 v83, v83, v84
	v_mov_b32_e32 v80, 0x3f317218
	v_pk_mul_f32 v[80:81], v[82:83], v[80:81]
	v_ldexp_f32 v55, v55, 1
	v_fma_f32 v83, v82, s4, -v80
	v_fmamk_f32 v84, v82, 0xb102e308, v83
	v_pk_add_f32 v[82:83], v[80:81], v[84:85]
	v_mov_b32_e32 v98, v80
	v_sub_f32_e32 v85, v83, v85
	v_sub_f32_e32 v85, v81, v85
	v_add_f32_e32 v99, v55, v85
	v_pk_add_f32 v[80:81], v[82:83], v[80:81] neg_lo:[0,1] neg_hi:[0,1]
	v_pk_add_f32 v[100:101], v[82:83], v[98:99]
	v_mov_b32_e32 v85, v82
	v_mov_b32_e32 v81, v101
	v_pk_add_f32 v[102:103], v[84:85], v[80:81] neg_lo:[0,1] neg_hi:[0,1]
	v_pk_add_f32 v[80:81], v[84:85], v[80:81]
	v_mov_b32_e32 v98, v99
	v_mov_b32_e32 v84, v81
	v_pk_add_f32 v[112:113], v[84:85], v[82:83] neg_lo:[0,1] neg_hi:[0,1]
	v_mov_b32_e32 v80, v101
	v_mov_b32_e32 v55, v112
	v_pk_add_f32 v[114:115], v[100:101], v[54:55] neg_lo:[0,1] neg_hi:[0,1]
	v_mov_b32_e32 v100, v83
	v_mov_b32_e32 v101, v112
	;; [unrolled: 1-line block ×3, first 2 shown]
	v_pk_add_f32 v[80:81], v[80:81], v[100:101] neg_lo:[0,1] neg_hi:[0,1]
	v_mov_b32_e32 v99, v82
	v_pk_add_f32 v[80:81], v[98:99], v[80:81] neg_lo:[0,1] neg_hi:[0,1]
	v_mov_b32_e32 v114, v102
	v_pk_add_f32 v[82:83], v[114:115], v[80:81]
	s_mov_b32 s4, 0x33800000
	v_mov_b32_e32 v86, v83
	v_pk_add_f32 v[98:99], v[82:83], v[86:87]
	v_cmp_lt_f32_e64 s[4:5], |v97|, s4
	v_pk_add_f32 v[84:85], v[84:85], v[98:99]
	v_mov_b32_e32 v81, v98
	v_mov_b32_e32 v83, v84
	v_pk_add_f32 v[100:101], v[82:83], v[102:103] neg_lo:[0,1] neg_hi:[0,1]
	s_or_b64 vcc, vcc, s[4:5]
	v_sub_f32_e32 v55, v82, v100
	v_pk_add_f32 v[80:81], v[80:81], v[100:101] neg_lo:[0,1] neg_hi:[0,1]
	v_sub_f32_e32 v55, v102, v55
	v_add_f32_e32 v55, v80, v55
	v_add_f32_e32 v55, v55, v81
	;; [unrolled: 1-line block ×3, first 2 shown]
	v_cndmask_b32_e32 v55, v55, v97, vcc
	v_add_f32_e32 v55, v70, v55
	v_cvt_f16_f32_e32 v55, v55
.LBB408_266:
	s_or_b64 exec, exec, s[2:3]
	s_branch .LBB408_411
.LBB408_267:
                                        ; implicit-def: $vgpr32
                                        ; implicit-def: $vgpr33
                                        ; implicit-def: $vgpr34
                                        ; implicit-def: $vgpr35
                                        ; implicit-def: $vgpr36
                                        ; implicit-def: $vgpr37
                                        ; implicit-def: $vgpr38
                                        ; implicit-def: $vgpr87
                                        ; implicit-def: $vgpr96
                                        ; implicit-def: $vgpr39
                                        ; implicit-def: $vgpr64
                                        ; implicit-def: $vgpr49
                                        ; implicit-def: $vgpr65
                                        ; implicit-def: $vgpr50
                                        ; implicit-def: $vgpr66
                                        ; implicit-def: $vgpr51
                                        ; implicit-def: $vgpr67
                                        ; implicit-def: $vgpr52
                                        ; implicit-def: $vgpr68
                                        ; implicit-def: $vgpr53
                                        ; implicit-def: $vgpr69
                                        ; implicit-def: $vgpr54
                                        ; implicit-def: $vgpr71
                                        ; implicit-def: $vgpr55
	s_cbranch_execz .LBB408_411
; %bb.268:
	v_cmp_ne_u64_e32 vcc, 0, v[6:7]
	v_cmp_eq_u32_e64 s[4:5], 0, v0
	v_cmp_ne_u32_e64 s[2:3], 0, v0
	s_and_b64 s[6:7], s[4:5], vcc
	v_mov_b32_e32 v32, v24
	s_and_saveexec_b64 s[4:5], s[6:7]
	s_cbranch_execz .LBB408_272
; %bb.269:
	flat_load_ushort v32, v[2:3]
	v_cvt_f32_f16_e32 v2, v24
	s_movk_i32 s6, 0x1f8
	s_waitcnt vmcnt(0) lgkmcnt(0)
	v_cvt_f32_f16_e32 v3, v32
	v_cmp_u_f16_e32 vcc, v32, v32
	v_min_f32_e32 v6, v3, v2
	v_max_f32_e32 v7, v3, v2
	v_cndmask_b32_e32 v6, v6, v3, vcc
	v_cndmask_b32_e32 v7, v7, v3, vcc
	v_cmp_u_f16_e32 vcc, v24, v24
	s_nop 1
	v_cndmask_b32_e32 v3, v6, v2, vcc
	v_cndmask_b32_e32 v2, v7, v2, vcc
	v_cmp_neq_f32_e32 vcc, v3, v2
	v_cmp_class_f32_e64 s[6:7], v3, s6
	s_or_b64 s[8:9], vcc, s[6:7]
	s_and_saveexec_b64 s[6:7], s[8:9]
	s_cbranch_execz .LBB408_271
; %bb.270:
	v_sub_f32_e32 v3, v3, v2
	s_mov_b32 s8, 0x3fb8aa3b
	v_mul_f32_e32 v6, 0x3fb8aa3b, v3
	v_fma_f32 v7, v3, s8, -v6
	v_rndne_f32_e32 v32, v6
	v_fmamk_f32 v7, v3, 0x32a5705f, v7
	v_sub_f32_e32 v6, v6, v32
	v_add_f32_e32 v6, v6, v7
	v_exp_f32_e32 v6, v6
	v_cvt_i32_f32_e32 v7, v32
	s_mov_b32 s8, 0xc2ce8ed0
	v_cmp_ngt_f32_e32 vcc, s8, v3
	s_mov_b32 s8, 0x42b17218
	v_ldexp_f32 v6, v6, v7
	v_cndmask_b32_e32 v6, 0, v6, vcc
	v_mov_b32_e32 v7, 0x7f800000
	v_cmp_nlt_f32_e32 vcc, s8, v3
	s_mov_b32 s8, 0x3f2aaaab
	s_mov_b32 s9, 0x7f800000
	v_cndmask_b32_e32 v49, v7, v6, vcc
	v_add_f32_e32 v3, 1.0, v49
	v_add_f32_e32 v6, -1.0, v3
	v_sub_f32_e32 v7, v6, v3
	v_add_f32_e32 v7, 1.0, v7
	v_sub_f32_e32 v6, v49, v6
	v_add_f32_e32 v32, v6, v7
	v_frexp_mant_f32_e32 v33, v3
	v_cvt_f64_f32_e32 v[6:7], v3
	v_frexp_exp_i32_f64_e32 v6, v[6:7]
	v_cmp_gt_f32_e32 vcc, s8, v33
	s_mov_b32 s8, 0x3f317218
	s_nop 0
	v_subbrev_co_u32_e32 v38, vcc, 0, v6, vcc
	v_sub_u32_e32 v6, 0, v38
	v_ldexp_f32 v3, v3, v6
	v_ldexp_f32 v6, v32, v6
	v_add_f32_e32 v32, -1.0, v3
	v_add_f32_e32 v7, 1.0, v32
	v_sub_f32_e32 v7, v3, v7
	v_add_f32_e32 v33, v6, v7
	v_add_f32_e32 v7, 1.0, v3
	v_add_f32_e32 v34, -1.0, v7
	v_sub_f32_e32 v3, v3, v34
	v_add_f32_e32 v3, v6, v3
	v_add_f32_e32 v39, v7, v3
	v_rcp_f32_e32 v50, v39
	v_sub_f32_e32 v6, v7, v39
	v_add_f32_e32 v7, v32, v33
	v_add_f32_e32 v3, v3, v6
	v_mul_f32_e32 v52, v7, v50
	v_sub_f32_e32 v6, v32, v7
	v_mul_f32_e32 v32, v39, v52
	v_fma_f32 v34, v52, v39, -v32
	v_fmac_f32_e32 v34, v52, v3
	v_add_f32_e32 v51, v33, v6
	v_add_f32_e32 v6, v32, v34
	v_sub_f32_e32 v33, v7, v6
	v_pk_add_f32 v[36:37], v[6:7], v[32:33] neg_lo:[0,1] neg_hi:[0,1]
	v_mov_b32_e32 v35, v6
	v_pk_add_f32 v[6:7], v[36:37], v[34:35] neg_lo:[0,1] neg_hi:[0,1]
	v_cmp_eq_f32_e32 vcc, s9, v49
	v_add_f32_e32 v7, v51, v7
	v_add_f32_e32 v6, v6, v7
	;; [unrolled: 1-line block ×3, first 2 shown]
	v_mul_f32_e32 v51, v50, v7
	v_mul_f32_e32 v32, v39, v51
	v_fma_f32 v34, v51, v39, -v32
	v_fmac_f32_e32 v34, v51, v3
	v_sub_f32_e32 v3, v33, v7
	v_add_f32_e32 v3, v6, v3
	v_add_f32_e32 v6, v32, v34
	v_sub_f32_e32 v33, v7, v6
	v_pk_add_f32 v[36:37], v[6:7], v[32:33] neg_lo:[0,1] neg_hi:[0,1]
	v_mov_b32_e32 v35, v6
	v_pk_add_f32 v[6:7], v[36:37], v[34:35] neg_lo:[0,1] neg_hi:[0,1]
	v_cvt_f32_i32_e32 v32, v38
	v_add_f32_e32 v3, v3, v7
	v_add_f32_e32 v3, v6, v3
	;; [unrolled: 1-line block ×4, first 2 shown]
	v_sub_f32_e32 v7, v6, v52
	v_mul_f32_e32 v3, v50, v3
	v_sub_f32_e32 v7, v51, v7
	v_add_f32_e32 v3, v7, v3
	v_add_f32_e32 v33, v6, v3
	v_mul_f32_e32 v34, v33, v33
	v_mov_b32_e32 v7, 0x3ecc95a3
	v_fmac_f32_e32 v7, 0x3e9b6dac, v34
	v_sub_f32_e32 v6, v33, v6
	v_fmaak_f32 v7, v34, v7, 0x3f2aaada
	v_sub_f32_e32 v3, v3, v6
	v_ldexp_f32 v35, v33, 1
	v_mul_f32_e32 v33, v33, v34
	v_mov_b32_e32 v6, 0x3f317218
	v_pk_mul_f32 v[6:7], v[32:33], v[6:7]
	v_ldexp_f32 v3, v3, 1
	v_fma_f32 v33, v32, s8, -v6
	v_fmamk_f32 v34, v32, 0xb102e308, v33
	v_pk_add_f32 v[32:33], v[6:7], v[34:35]
	v_mov_b32_e32 v36, v6
	v_sub_f32_e32 v35, v33, v35
	v_sub_f32_e32 v35, v7, v35
	v_add_f32_e32 v37, v3, v35
	v_pk_add_f32 v[6:7], v[32:33], v[6:7] neg_lo:[0,1] neg_hi:[0,1]
	v_pk_add_f32 v[38:39], v[32:33], v[36:37]
	v_mov_b32_e32 v35, v32
	v_mov_b32_e32 v7, v39
	v_pk_add_f32 v[50:51], v[34:35], v[6:7] neg_lo:[0,1] neg_hi:[0,1]
	v_pk_add_f32 v[6:7], v[34:35], v[6:7]
	v_mov_b32_e32 v36, v37
	v_mov_b32_e32 v34, v7
	v_pk_add_f32 v[52:53], v[34:35], v[32:33] neg_lo:[0,1] neg_hi:[0,1]
	v_mov_b32_e32 v6, v39
	v_mov_b32_e32 v3, v52
	v_pk_add_f32 v[54:55], v[38:39], v[2:3] neg_lo:[0,1] neg_hi:[0,1]
	v_mov_b32_e32 v38, v33
	v_mov_b32_e32 v39, v52
	v_mov_b32_e32 v51, v7
	v_pk_add_f32 v[6:7], v[6:7], v[38:39] neg_lo:[0,1] neg_hi:[0,1]
	v_mov_b32_e32 v37, v32
	v_pk_add_f32 v[6:7], v[36:37], v[6:7] neg_lo:[0,1] neg_hi:[0,1]
	v_mov_b32_e32 v54, v50
	v_pk_add_f32 v[32:33], v[54:55], v[6:7]
	s_mov_b32 s8, 0x33800000
	v_mov_b32_e32 v36, v33
	v_pk_add_f32 v[36:37], v[32:33], v[36:37]
	v_cmp_lt_f32_e64 s[8:9], |v49|, s8
	v_pk_add_f32 v[34:35], v[34:35], v[36:37]
	v_mov_b32_e32 v7, v36
	v_mov_b32_e32 v33, v34
	v_pk_add_f32 v[38:39], v[32:33], v[50:51] neg_lo:[0,1] neg_hi:[0,1]
	s_or_b64 vcc, vcc, s[8:9]
	v_sub_f32_e32 v3, v32, v38
	v_pk_add_f32 v[6:7], v[6:7], v[38:39] neg_lo:[0,1] neg_hi:[0,1]
	v_sub_f32_e32 v3, v50, v3
	v_add_f32_e32 v3, v6, v3
	v_add_f32_e32 v3, v3, v7
	;; [unrolled: 1-line block ×3, first 2 shown]
	v_cndmask_b32_e32 v3, v3, v49, vcc
	v_add_f32_e32 v2, v2, v3
	v_cvt_f16_f32_e32 v32, v2
.LBB408_271:
	s_or_b64 exec, exec, s[6:7]
.LBB408_272:
	s_or_b64 exec, exec, s[4:5]
	v_cvt_f32_f16_e32 v2, v32
	v_cmp_u_f16_e64 s[50:51], v32, v32
	v_cmp_u_f16_sdwa vcc, v24, v24 src0_sel:WORD_1 src1_sel:WORD_1
	s_movk_i32 s8, 0x1f8
	v_min_f32_e32 v33, v2, v11
	v_max_f32_e32 v34, v2, v11
	v_cndmask_b32_e64 v3, v33, v2, s[50:51]
	v_cndmask_b32_e32 v6, v3, v11, vcc
	v_cndmask_b32_e64 v3, v34, v2, s[50:51]
	v_cndmask_b32_e32 v3, v3, v11, vcc
	v_cmp_neq_f32_e64 s[4:5], v6, v3
	v_cmp_class_f32_e64 s[6:7], v6, s8
	s_or_b64 s[4:5], s[4:5], s[6:7]
	v_mov_b32_e32 v36, v2
	v_mov_b32_e32 v35, v32
	s_and_saveexec_b64 s[6:7], s[4:5]
	s_cbranch_execz .LBB408_274
; %bb.273:
	v_sub_f32_e32 v6, v6, v3
	s_mov_b32 s4, 0x3fb8aa3b
	v_mul_f32_e32 v7, 0x3fb8aa3b, v6
	v_fma_f32 v24, v6, s4, -v7
	v_rndne_f32_e32 v35, v7
	v_fmamk_f32 v24, v6, 0x32a5705f, v24
	v_sub_f32_e32 v7, v7, v35
	v_add_f32_e32 v7, v7, v24
	v_exp_f32_e32 v7, v7
	v_cvt_i32_f32_e32 v24, v35
	s_mov_b32 s4, 0xc2ce8ed0
	v_cmp_ngt_f32_e64 s[4:5], s4, v6
	s_mov_b32 s9, 0x7f800000
	v_ldexp_f32 v7, v7, v24
	v_cndmask_b32_e64 v7, 0, v7, s[4:5]
	s_mov_b32 s4, 0x42b17218
	v_mov_b32_e32 v24, 0x7f800000
	v_cmp_nlt_f32_e64 s[4:5], s4, v6
	s_nop 1
	v_cndmask_b32_e64 v49, v24, v7, s[4:5]
	v_add_f32_e32 v24, 1.0, v49
	v_add_f32_e32 v6, -1.0, v24
	v_sub_f32_e32 v7, v6, v24
	v_add_f32_e32 v7, 1.0, v7
	v_sub_f32_e32 v6, v49, v6
	v_add_f32_e32 v35, v6, v7
	v_frexp_mant_f32_e32 v36, v24
	s_mov_b32 s4, 0x3f2aaaab
	v_cvt_f64_f32_e32 v[6:7], v24
	v_frexp_exp_i32_f64_e32 v6, v[6:7]
	v_cmp_gt_f32_e64 s[4:5], s4, v36
	s_nop 1
	v_subbrev_co_u32_e64 v52, s[4:5], 0, v6, s[4:5]
	v_sub_u32_e32 v6, 0, v52
	v_ldexp_f32 v7, v24, v6
	v_add_f32_e32 v24, -1.0, v7
	v_add_f32_e32 v36, 1.0, v7
	v_ldexp_f32 v6, v35, v6
	v_add_f32_e32 v35, 1.0, v24
	v_add_f32_e32 v37, -1.0, v36
	v_sub_f32_e32 v35, v7, v35
	v_sub_f32_e32 v7, v7, v37
	v_add_f32_e32 v35, v6, v35
	v_add_f32_e32 v6, v6, v7
	;; [unrolled: 1-line block ×3, first 2 shown]
	v_rcp_f32_e32 v55, v53
	v_sub_f32_e32 v7, v36, v53
	v_add_f32_e32 v54, v6, v7
	v_add_f32_e32 v7, v24, v35
	v_sub_f32_e32 v6, v24, v7
	v_add_f32_e32 v24, v35, v6
	v_mul_f32_e32 v35, v7, v55
	v_mul_f32_e32 v36, v53, v35
	v_fma_f32 v38, v35, v53, -v36
	v_fmac_f32_e32 v38, v35, v54
	v_add_f32_e32 v6, v36, v38
	v_sub_f32_e32 v37, v7, v6
	v_pk_add_f32 v[50:51], v[6:7], v[36:37] neg_lo:[0,1] neg_hi:[0,1]
	v_mov_b32_e32 v39, v6
	v_pk_add_f32 v[6:7], v[50:51], v[38:39] neg_lo:[0,1] neg_hi:[0,1]
	s_mov_b32 s4, 0x3f317218
	v_add_f32_e32 v7, v24, v7
	v_add_f32_e32 v6, v6, v7
	;; [unrolled: 1-line block ×3, first 2 shown]
	v_mul_f32_e32 v24, v55, v7
	v_mul_f32_e32 v36, v53, v24
	v_fma_f32 v38, v24, v53, -v36
	v_fmac_f32_e32 v38, v24, v54
	v_sub_f32_e32 v37, v37, v7
	v_add_f32_e32 v53, v6, v37
	v_add_f32_e32 v6, v36, v38
	v_sub_f32_e32 v37, v7, v6
	v_pk_add_f32 v[50:51], v[6:7], v[36:37] neg_lo:[0,1] neg_hi:[0,1]
	v_mov_b32_e32 v39, v6
	v_pk_add_f32 v[6:7], v[50:51], v[38:39] neg_lo:[0,1] neg_hi:[0,1]
	v_cvt_f32_i32_e32 v36, v52
	v_add_f32_e32 v7, v53, v7
	v_add_f32_e32 v6, v6, v7
	;; [unrolled: 1-line block ×4, first 2 shown]
	v_sub_f32_e32 v7, v37, v35
	v_mul_f32_e32 v6, v55, v6
	v_sub_f32_e32 v7, v24, v7
	v_add_f32_e32 v6, v7, v6
	v_add_f32_e32 v24, v37, v6
	v_mul_f32_e32 v35, v24, v24
	v_mov_b32_e32 v7, 0x3ecc95a3
	v_sub_f32_e32 v37, v24, v37
	v_fmac_f32_e32 v7, 0x3e9b6dac, v35
	v_sub_f32_e32 v6, v6, v37
	v_fmaak_f32 v7, v35, v7, 0x3f2aaada
	v_ldexp_f32 v50, v6, 1
	v_mul_f32_e32 v37, v24, v35
	v_mov_b32_e32 v6, 0x3f317218
	v_pk_mul_f32 v[6:7], v[36:37], v[6:7]
	v_ldexp_f32 v39, v24, 1
	v_fma_f32 v24, v36, s4, -v6
	v_fmamk_f32 v38, v36, 0xb102e308, v24
	v_pk_add_f32 v[36:37], v[6:7], v[38:39]
	v_cmp_eq_f32_e64 s[4:5], s9, v49
	v_sub_f32_e32 v24, v37, v39
	v_sub_f32_e32 v24, v7, v24
	v_add_f32_e32 v51, v50, v24
	v_mov_b32_e32 v50, v6
	v_pk_add_f32 v[6:7], v[36:37], v[6:7] neg_lo:[0,1] neg_hi:[0,1]
	v_pk_add_f32 v[52:53], v[36:37], v[50:51]
	v_mov_b32_e32 v39, v36
	v_mov_b32_e32 v7, v53
	v_pk_add_f32 v[54:55], v[38:39], v[6:7] neg_lo:[0,1] neg_hi:[0,1]
	v_pk_add_f32 v[6:7], v[38:39], v[6:7]
	s_mov_b32 s9, 0x33800000
	v_mov_b32_e32 v24, v7
	v_pk_add_f32 v[38:39], v[24:25], v[36:37] neg_lo:[0,1] neg_hi:[0,1]
	v_mov_b32_e32 v6, v53
	v_mov_b32_e32 v35, v38
	v_pk_add_f32 v[64:65], v[52:53], v[34:35] neg_lo:[0,1] neg_hi:[0,1]
	v_mov_b32_e32 v52, v37
	v_mov_b32_e32 v53, v38
	;; [unrolled: 1-line block ×3, first 2 shown]
	v_pk_add_f32 v[6:7], v[6:7], v[52:53] neg_lo:[0,1] neg_hi:[0,1]
	v_mov_b32_e32 v38, v51
	v_mov_b32_e32 v39, v36
	v_pk_add_f32 v[6:7], v[38:39], v[6:7] neg_lo:[0,1] neg_hi:[0,1]
	v_mov_b32_e32 v64, v54
	v_pk_add_f32 v[36:37], v[64:65], v[6:7]
	v_cmp_lt_f32_e64 s[10:11], |v49|, s9
	v_mov_b32_e32 v38, v37
	v_pk_add_f32 v[38:39], v[36:37], v[38:39]
	s_or_b64 s[4:5], s[4:5], s[10:11]
	v_pk_add_f32 v[50:51], v[24:25], v[38:39]
	v_mov_b32_e32 v7, v38
	v_mov_b32_e32 v37, v50
	v_pk_add_f32 v[52:53], v[36:37], v[54:55] neg_lo:[0,1] neg_hi:[0,1]
	s_nop 0
	v_sub_f32_e32 v24, v36, v52
	v_pk_add_f32 v[6:7], v[6:7], v[52:53] neg_lo:[0,1] neg_hi:[0,1]
	v_sub_f32_e32 v24, v54, v24
	v_add_f32_e32 v6, v6, v24
	v_add_f32_e32 v6, v6, v7
	v_add_f32_e32 v6, v50, v6
	v_cndmask_b32_e64 v6, v6, v49, s[4:5]
	v_add_f32_e32 v3, v3, v6
	v_cvt_f16_f32_e32 v35, v3
	v_cvt_f32_f16_e32 v36, v35
.LBB408_274:
	s_or_b64 exec, exec, s[6:7]
	v_cvt_f32_f16_e32 v3, v25
	v_max_f32_e32 v6, v36, v36
	v_cmp_u_f16_e64 s[6:7], v35, v35
	v_cmp_u_f16_e64 s[4:5], v25, v25
	v_min_f32_e32 v7, v6, v3
	v_max_f32_e32 v6, v6, v3
	v_cndmask_b32_e64 v7, v7, v36, s[6:7]
	v_cndmask_b32_e64 v6, v6, v36, s[6:7]
	;; [unrolled: 1-line block ×4, first 2 shown]
	v_cmp_neq_f32_e64 s[6:7], v7, v6
	v_cmp_class_f32_e64 s[8:9], v7, s8
	s_or_b64 s[6:7], s[6:7], s[8:9]
	s_and_saveexec_b64 s[8:9], s[6:7]
	s_cbranch_execz .LBB408_276
; %bb.275:
	v_sub_f32_e32 v7, v7, v6
	s_mov_b32 s6, 0x3fb8aa3b
	v_mul_f32_e32 v24, 0x3fb8aa3b, v7
	v_fma_f32 v35, v7, s6, -v24
	v_rndne_f32_e32 v36, v24
	v_fmamk_f32 v35, v7, 0x32a5705f, v35
	v_sub_f32_e32 v24, v24, v36
	v_add_f32_e32 v24, v24, v35
	v_exp_f32_e32 v24, v24
	v_cvt_i32_f32_e32 v35, v36
	s_mov_b32 s6, 0xc2ce8ed0
	v_cmp_ngt_f32_e64 s[6:7], s6, v7
	s_mov_b32 s10, 0x7f800000
	v_ldexp_f32 v24, v24, v35
	v_cndmask_b32_e64 v24, 0, v24, s[6:7]
	s_mov_b32 s6, 0x42b17218
	v_mov_b32_e32 v35, 0x7f800000
	v_cmp_nlt_f32_e64 s[6:7], s6, v7
	s_nop 1
	v_cndmask_b32_e64 v35, v35, v24, s[6:7]
	v_add_f32_e32 v7, 1.0, v35
	v_add_f32_e32 v24, -1.0, v7
	v_sub_f32_e32 v36, v24, v7
	v_add_f32_e32 v36, 1.0, v36
	v_sub_f32_e32 v24, v35, v24
	v_add_f32_e32 v24, v24, v36
	v_frexp_mant_f32_e32 v38, v7
	s_mov_b32 s6, 0x3f2aaaab
	v_cvt_f64_f32_e32 v[36:37], v7
	v_frexp_exp_i32_f64_e32 v36, v[36:37]
	v_cmp_gt_f32_e64 s[6:7], s6, v38
	s_nop 1
	v_subbrev_co_u32_e64 v49, s[6:7], 0, v36, s[6:7]
	v_sub_u32_e32 v36, 0, v49
	v_ldexp_f32 v7, v7, v36
	v_ldexp_f32 v24, v24, v36
	v_add_f32_e32 v36, -1.0, v7
	v_add_f32_e32 v37, 1.0, v36
	v_sub_f32_e32 v37, v7, v37
	v_add_f32_e32 v38, v24, v37
	v_add_f32_e32 v37, 1.0, v7
	v_add_f32_e32 v39, -1.0, v37
	v_sub_f32_e32 v7, v7, v39
	v_add_f32_e32 v7, v24, v7
	v_add_f32_e32 v24, v37, v7
	v_rcp_f32_e32 v54, v24
	v_sub_f32_e32 v37, v37, v24
	v_add_f32_e32 v7, v7, v37
	v_add_f32_e32 v37, v36, v38
	v_sub_f32_e32 v36, v36, v37
	v_mul_f32_e32 v64, v37, v54
	v_add_f32_e32 v55, v38, v36
	v_mul_f32_e32 v38, v24, v64
	v_fma_f32 v50, v64, v24, -v38
	v_fmac_f32_e32 v50, v64, v7
	v_add_f32_e32 v36, v38, v50
	v_sub_f32_e32 v39, v37, v36
	v_pk_add_f32 v[52:53], v[36:37], v[38:39] neg_lo:[0,1] neg_hi:[0,1]
	v_mov_b32_e32 v51, v36
	v_pk_add_f32 v[36:37], v[52:53], v[50:51] neg_lo:[0,1] neg_hi:[0,1]
	s_mov_b32 s6, 0x3f317218
	v_add_f32_e32 v37, v55, v37
	v_add_f32_e32 v36, v36, v37
	;; [unrolled: 1-line block ×3, first 2 shown]
	v_mul_f32_e32 v55, v54, v37
	v_mul_f32_e32 v38, v24, v55
	v_fma_f32 v50, v55, v24, -v38
	v_fmac_f32_e32 v50, v55, v7
	v_sub_f32_e32 v7, v39, v37
	v_add_f32_e32 v7, v36, v7
	v_add_f32_e32 v36, v38, v50
	v_sub_f32_e32 v39, v37, v36
	v_pk_add_f32 v[52:53], v[36:37], v[38:39] neg_lo:[0,1] neg_hi:[0,1]
	v_mov_b32_e32 v51, v36
	v_pk_add_f32 v[36:37], v[52:53], v[50:51] neg_lo:[0,1] neg_hi:[0,1]
	v_add_f32_e32 v24, v64, v55
	v_add_f32_e32 v7, v7, v37
	;; [unrolled: 1-line block ×4, first 2 shown]
	v_sub_f32_e32 v36, v24, v64
	v_mul_f32_e32 v7, v54, v7
	v_sub_f32_e32 v36, v55, v36
	v_add_f32_e32 v7, v36, v7
	v_add_f32_e32 v36, v24, v7
	v_cvt_f32_i32_e32 v38, v49
	v_mul_f32_e32 v39, v36, v36
	v_mov_b32_e32 v37, 0x3ecc95a3
	v_fmac_f32_e32 v37, 0x3e9b6dac, v39
	v_fmaak_f32 v37, v39, v37, 0x3f2aaada
	v_sub_f32_e32 v24, v36, v24
	v_ldexp_f32 v51, v36, 1
	v_mul_f32_e32 v39, v36, v39
	v_mov_b32_e32 v36, 0x3f317218
	v_pk_mul_f32 v[36:37], v[38:39], v[36:37]
	v_sub_f32_e32 v7, v7, v24
	v_fma_f32 v24, v38, s6, -v36
	v_fmamk_f32 v50, v38, 0xb102e308, v24
	v_pk_add_f32 v[38:39], v[36:37], v[50:51]
	v_ldexp_f32 v7, v7, 1
	v_sub_f32_e32 v24, v39, v51
	v_sub_f32_e32 v24, v37, v24
	v_add_f32_e32 v53, v7, v24
	v_mov_b32_e32 v52, v36
	v_pk_add_f32 v[36:37], v[38:39], v[36:37] neg_lo:[0,1] neg_hi:[0,1]
	v_pk_add_f32 v[54:55], v[38:39], v[52:53]
	v_mov_b32_e32 v51, v38
	v_mov_b32_e32 v37, v55
	v_pk_add_f32 v[64:65], v[50:51], v[36:37] neg_lo:[0,1] neg_hi:[0,1]
	v_pk_add_f32 v[36:37], v[50:51], v[36:37]
	v_cmp_eq_f32_e64 s[6:7], s10, v35
	v_mov_b32_e32 v24, v37
	v_pk_add_f32 v[50:51], v[24:25], v[38:39] neg_lo:[0,1] neg_hi:[0,1]
	v_mov_b32_e32 v36, v55
	v_mov_b32_e32 v7, v50
	v_pk_add_f32 v[66:67], v[54:55], v[6:7] neg_lo:[0,1] neg_hi:[0,1]
	v_mov_b32_e32 v54, v39
	v_mov_b32_e32 v55, v50
	;; [unrolled: 1-line block ×3, first 2 shown]
	v_pk_add_f32 v[36:37], v[36:37], v[54:55] neg_lo:[0,1] neg_hi:[0,1]
	v_mov_b32_e32 v50, v53
	v_mov_b32_e32 v51, v38
	v_pk_add_f32 v[36:37], v[50:51], v[36:37] neg_lo:[0,1] neg_hi:[0,1]
	v_mov_b32_e32 v66, v64
	v_pk_add_f32 v[38:39], v[66:67], v[36:37]
	s_mov_b32 s10, 0x33800000
	v_mov_b32_e32 v50, v39
	v_pk_add_f32 v[50:51], v[38:39], v[50:51]
	v_cmp_lt_f32_e64 s[10:11], |v35|, s10
	v_pk_add_f32 v[52:53], v[24:25], v[50:51]
	v_mov_b32_e32 v37, v50
	v_mov_b32_e32 v39, v52
	v_pk_add_f32 v[54:55], v[38:39], v[64:65] neg_lo:[0,1] neg_hi:[0,1]
	s_or_b64 s[6:7], s[6:7], s[10:11]
	v_sub_f32_e32 v7, v38, v54
	v_pk_add_f32 v[36:37], v[36:37], v[54:55] neg_lo:[0,1] neg_hi:[0,1]
	v_sub_f32_e32 v7, v64, v7
	v_add_f32_e32 v7, v36, v7
	v_add_f32_e32 v7, v7, v37
	;; [unrolled: 1-line block ×3, first 2 shown]
	v_cndmask_b32_e64 v7, v7, v35, s[6:7]
	v_add_f32_e32 v6, v6, v7
	v_cvt_f16_f32_e32 v35, v6
	v_cvt_f32_f16_e32 v36, v35
.LBB408_276:
	s_or_b64 exec, exec, s[8:9]
	v_cvt_f32_f16_sdwa v6, v25 dst_sel:DWORD dst_unused:UNUSED_PAD src0_sel:WORD_1
	v_max_f32_e32 v7, v36, v36
	v_cmp_u_f16_e64 s[8:9], v35, v35
	v_cmp_u_f16_sdwa s[6:7], v25, v25 src0_sel:WORD_1 src1_sel:WORD_1
	v_min_f32_e32 v24, v7, v6
	v_max_f32_e32 v7, v7, v6
	v_cndmask_b32_e64 v24, v24, v36, s[8:9]
	v_cndmask_b32_e64 v7, v7, v36, s[8:9]
	;; [unrolled: 1-line block ×4, first 2 shown]
	s_movk_i32 s12, 0x1f8
	v_cmp_neq_f32_e64 s[8:9], v24, v7
	v_cmp_class_f32_e64 s[10:11], v24, s12
	s_or_b64 s[8:9], s[8:9], s[10:11]
	s_and_saveexec_b64 s[10:11], s[8:9]
	s_cbranch_execz .LBB408_278
; %bb.277:
	v_sub_f32_e32 v24, v24, v7
	s_mov_b32 s8, 0x3fb8aa3b
	v_mul_f32_e32 v25, 0x3fb8aa3b, v24
	v_fma_f32 v35, v24, s8, -v25
	v_rndne_f32_e32 v36, v25
	v_fmamk_f32 v35, v24, 0x32a5705f, v35
	v_sub_f32_e32 v25, v25, v36
	v_add_f32_e32 v25, v25, v35
	v_exp_f32_e32 v25, v25
	v_cvt_i32_f32_e32 v35, v36
	s_mov_b32 s8, 0xc2ce8ed0
	v_cmp_ngt_f32_e64 s[8:9], s8, v24
	s_mov_b32 s13, 0x7f800000
	v_ldexp_f32 v25, v25, v35
	v_cndmask_b32_e64 v25, 0, v25, s[8:9]
	s_mov_b32 s8, 0x42b17218
	v_mov_b32_e32 v35, 0x7f800000
	v_cmp_nlt_f32_e64 s[8:9], s8, v24
	s_nop 1
	v_cndmask_b32_e64 v49, v35, v25, s[8:9]
	v_add_f32_e32 v35, 1.0, v49
	v_add_f32_e32 v24, -1.0, v35
	v_sub_f32_e32 v25, v24, v35
	v_add_f32_e32 v25, 1.0, v25
	v_sub_f32_e32 v24, v49, v24
	v_add_f32_e32 v36, v24, v25
	v_frexp_mant_f32_e32 v37, v35
	s_mov_b32 s8, 0x3f2aaaab
	v_cvt_f64_f32_e32 v[24:25], v35
	v_frexp_exp_i32_f64_e32 v24, v[24:25]
	v_cmp_gt_f32_e64 s[8:9], s8, v37
	s_nop 1
	v_subbrev_co_u32_e64 v52, s[8:9], 0, v24, s[8:9]
	v_sub_u32_e32 v24, 0, v52
	v_ldexp_f32 v25, v35, v24
	v_add_f32_e32 v35, -1.0, v25
	v_add_f32_e32 v37, 1.0, v25
	v_ldexp_f32 v24, v36, v24
	v_add_f32_e32 v36, 1.0, v35
	v_add_f32_e32 v38, -1.0, v37
	v_sub_f32_e32 v36, v25, v36
	v_sub_f32_e32 v25, v25, v38
	v_add_f32_e32 v36, v24, v36
	v_add_f32_e32 v24, v24, v25
	;; [unrolled: 1-line block ×3, first 2 shown]
	v_rcp_f32_e32 v55, v53
	v_sub_f32_e32 v25, v37, v53
	v_add_f32_e32 v54, v24, v25
	v_add_f32_e32 v25, v35, v36
	v_sub_f32_e32 v24, v35, v25
	v_mul_f32_e32 v64, v25, v55
	v_add_f32_e32 v35, v36, v24
	v_mul_f32_e32 v36, v53, v64
	v_fma_f32 v38, v64, v53, -v36
	v_fmac_f32_e32 v38, v64, v54
	v_add_f32_e32 v24, v36, v38
	v_sub_f32_e32 v37, v25, v24
	v_pk_add_f32 v[50:51], v[24:25], v[36:37] neg_lo:[0,1] neg_hi:[0,1]
	v_mov_b32_e32 v39, v24
	v_pk_add_f32 v[24:25], v[50:51], v[38:39] neg_lo:[0,1] neg_hi:[0,1]
	s_mov_b32 s8, 0x3f317218
	v_add_f32_e32 v25, v35, v25
	v_add_f32_e32 v24, v24, v25
	;; [unrolled: 1-line block ×3, first 2 shown]
	v_mul_f32_e32 v35, v55, v25
	v_mul_f32_e32 v36, v53, v35
	v_fma_f32 v38, v35, v53, -v36
	v_fmac_f32_e32 v38, v35, v54
	v_sub_f32_e32 v37, v37, v25
	v_add_f32_e32 v53, v24, v37
	v_add_f32_e32 v24, v36, v38
	v_sub_f32_e32 v37, v25, v24
	v_pk_add_f32 v[50:51], v[24:25], v[36:37] neg_lo:[0,1] neg_hi:[0,1]
	v_mov_b32_e32 v39, v24
	v_pk_add_f32 v[24:25], v[50:51], v[38:39] neg_lo:[0,1] neg_hi:[0,1]
	v_cvt_f32_i32_e32 v36, v52
	v_add_f32_e32 v25, v53, v25
	v_add_f32_e32 v24, v24, v25
	;; [unrolled: 1-line block ×4, first 2 shown]
	v_sub_f32_e32 v25, v37, v64
	v_mul_f32_e32 v24, v55, v24
	v_sub_f32_e32 v25, v35, v25
	v_add_f32_e32 v24, v25, v24
	v_add_f32_e32 v35, v37, v24
	v_mul_f32_e32 v38, v35, v35
	v_mov_b32_e32 v25, 0x3ecc95a3
	v_sub_f32_e32 v37, v35, v37
	v_fmac_f32_e32 v25, 0x3e9b6dac, v38
	v_sub_f32_e32 v24, v24, v37
	v_fmaak_f32 v25, v38, v25, 0x3f2aaada
	v_ldexp_f32 v50, v24, 1
	v_mul_f32_e32 v37, v35, v38
	v_mov_b32_e32 v24, 0x3f317218
	v_pk_mul_f32 v[24:25], v[36:37], v[24:25]
	v_ldexp_f32 v39, v35, 1
	v_fma_f32 v35, v36, s8, -v24
	v_fmamk_f32 v38, v36, 0xb102e308, v35
	v_pk_add_f32 v[36:37], v[24:25], v[38:39]
	v_cmp_eq_f32_e64 s[8:9], s13, v49
	v_sub_f32_e32 v35, v37, v39
	v_sub_f32_e32 v35, v25, v35
	v_add_f32_e32 v51, v50, v35
	v_mov_b32_e32 v50, v24
	v_pk_add_f32 v[24:25], v[36:37], v[24:25] neg_lo:[0,1] neg_hi:[0,1]
	v_pk_add_f32 v[52:53], v[36:37], v[50:51]
	v_mov_b32_e32 v39, v36
	v_mov_b32_e32 v25, v53
	v_pk_add_f32 v[54:55], v[38:39], v[24:25] neg_lo:[0,1] neg_hi:[0,1]
	v_pk_add_f32 v[24:25], v[38:39], v[24:25]
	v_mov_b32_e32 v50, v51
	v_mov_b32_e32 v38, v25
	v_pk_add_f32 v[64:65], v[38:39], v[36:37] neg_lo:[0,1] neg_hi:[0,1]
	v_mov_b32_e32 v24, v53
	v_mov_b32_e32 v35, v64
	v_pk_add_f32 v[66:67], v[52:53], v[34:35] neg_lo:[0,1] neg_hi:[0,1]
	v_mov_b32_e32 v52, v37
	v_mov_b32_e32 v53, v64
	;; [unrolled: 1-line block ×3, first 2 shown]
	v_pk_add_f32 v[24:25], v[24:25], v[52:53] neg_lo:[0,1] neg_hi:[0,1]
	v_mov_b32_e32 v51, v36
	v_pk_add_f32 v[24:25], v[50:51], v[24:25] neg_lo:[0,1] neg_hi:[0,1]
	v_mov_b32_e32 v66, v54
	v_pk_add_f32 v[36:37], v[66:67], v[24:25]
	s_mov_b32 s13, 0x33800000
	v_mov_b32_e32 v50, v37
	v_pk_add_f32 v[50:51], v[36:37], v[50:51]
	v_cmp_lt_f32_e64 s[14:15], |v49|, s13
	v_pk_add_f32 v[38:39], v[38:39], v[50:51]
	v_mov_b32_e32 v25, v50
	v_mov_b32_e32 v37, v38
	v_pk_add_f32 v[52:53], v[36:37], v[54:55] neg_lo:[0,1] neg_hi:[0,1]
	s_or_b64 s[8:9], s[8:9], s[14:15]
	v_sub_f32_e32 v35, v36, v52
	v_pk_add_f32 v[24:25], v[24:25], v[52:53] neg_lo:[0,1] neg_hi:[0,1]
	v_sub_f32_e32 v35, v54, v35
	v_add_f32_e32 v24, v24, v35
	v_add_f32_e32 v24, v24, v25
	;; [unrolled: 1-line block ×3, first 2 shown]
	v_cndmask_b32_e64 v24, v24, v49, s[8:9]
	v_add_f32_e32 v7, v7, v24
	v_cvt_f16_f32_e32 v35, v7
	v_cvt_f32_f16_e32 v36, v35
.LBB408_278:
	s_or_b64 exec, exec, s[10:11]
	v_cvt_f32_f16_e32 v7, v26
	v_max_f32_e32 v24, v36, v36
	v_cmp_u_f16_e64 s[10:11], v35, v35
	v_cmp_u_f16_e64 s[8:9], v26, v26
	v_min_f32_e32 v25, v24, v7
	v_max_f32_e32 v24, v24, v7
	v_cndmask_b32_e64 v25, v25, v36, s[10:11]
	v_cndmask_b32_e64 v24, v24, v36, s[10:11]
	;; [unrolled: 1-line block ×4, first 2 shown]
	v_cmp_neq_f32_e64 s[10:11], v25, v24
	v_cmp_class_f32_e64 s[12:13], v25, s12
	s_or_b64 s[10:11], s[10:11], s[12:13]
	s_and_saveexec_b64 s[12:13], s[10:11]
	s_cbranch_execz .LBB408_280
; %bb.279:
	v_sub_f32_e32 v25, v25, v24
	s_mov_b32 s10, 0x3fb8aa3b
	v_mul_f32_e32 v35, 0x3fb8aa3b, v25
	v_fma_f32 v36, v25, s10, -v35
	v_rndne_f32_e32 v37, v35
	v_fmamk_f32 v36, v25, 0x32a5705f, v36
	v_sub_f32_e32 v35, v35, v37
	v_add_f32_e32 v35, v35, v36
	v_exp_f32_e32 v35, v35
	v_cvt_i32_f32_e32 v36, v37
	s_mov_b32 s10, 0xc2ce8ed0
	v_cmp_ngt_f32_e64 s[10:11], s10, v25
	s_mov_b32 s14, 0x7f800000
	v_ldexp_f32 v35, v35, v36
	v_cndmask_b32_e64 v35, 0, v35, s[10:11]
	s_mov_b32 s10, 0x42b17218
	v_mov_b32_e32 v36, 0x7f800000
	v_cmp_nlt_f32_e64 s[10:11], s10, v25
	s_nop 1
	v_cndmask_b32_e64 v35, v36, v35, s[10:11]
	v_add_f32_e32 v25, 1.0, v35
	v_add_f32_e32 v36, -1.0, v25
	v_sub_f32_e32 v37, v36, v25
	v_add_f32_e32 v37, 1.0, v37
	v_sub_f32_e32 v36, v35, v36
	v_add_f32_e32 v38, v36, v37
	v_frexp_mant_f32_e32 v39, v25
	s_mov_b32 s10, 0x3f2aaaab
	v_cvt_f64_f32_e32 v[36:37], v25
	v_frexp_exp_i32_f64_e32 v36, v[36:37]
	v_cmp_gt_f32_e64 s[10:11], s10, v39
	s_nop 1
	v_subbrev_co_u32_e64 v49, s[10:11], 0, v36, s[10:11]
	v_sub_u32_e32 v36, 0, v49
	v_ldexp_f32 v25, v25, v36
	v_ldexp_f32 v36, v38, v36
	v_add_f32_e32 v38, -1.0, v25
	v_add_f32_e32 v37, 1.0, v38
	v_sub_f32_e32 v37, v25, v37
	v_add_f32_e32 v39, v36, v37
	v_add_f32_e32 v37, 1.0, v25
	v_add_f32_e32 v50, -1.0, v37
	v_sub_f32_e32 v25, v25, v50
	v_add_f32_e32 v25, v36, v25
	v_add_f32_e32 v54, v37, v25
	v_rcp_f32_e32 v55, v54
	v_sub_f32_e32 v36, v37, v54
	v_add_f32_e32 v37, v38, v39
	v_add_f32_e32 v25, v25, v36
	v_mul_f32_e32 v65, v37, v55
	v_sub_f32_e32 v36, v38, v37
	v_mul_f32_e32 v38, v54, v65
	v_fma_f32 v50, v65, v54, -v38
	v_fmac_f32_e32 v50, v65, v25
	v_add_f32_e32 v64, v39, v36
	v_add_f32_e32 v36, v38, v50
	v_sub_f32_e32 v39, v37, v36
	v_pk_add_f32 v[52:53], v[36:37], v[38:39] neg_lo:[0,1] neg_hi:[0,1]
	v_mov_b32_e32 v51, v36
	v_pk_add_f32 v[36:37], v[52:53], v[50:51] neg_lo:[0,1] neg_hi:[0,1]
	s_mov_b32 s10, 0x3f317218
	v_add_f32_e32 v37, v64, v37
	v_add_f32_e32 v36, v36, v37
	;; [unrolled: 1-line block ×3, first 2 shown]
	v_mul_f32_e32 v64, v55, v37
	v_mul_f32_e32 v38, v54, v64
	v_fma_f32 v50, v64, v54, -v38
	v_fmac_f32_e32 v50, v64, v25
	v_sub_f32_e32 v25, v39, v37
	v_add_f32_e32 v25, v36, v25
	v_add_f32_e32 v36, v38, v50
	v_sub_f32_e32 v39, v37, v36
	v_pk_add_f32 v[52:53], v[36:37], v[38:39] neg_lo:[0,1] neg_hi:[0,1]
	v_mov_b32_e32 v51, v36
	v_pk_add_f32 v[36:37], v[52:53], v[50:51] neg_lo:[0,1] neg_hi:[0,1]
	v_cvt_f32_i32_e32 v38, v49
	v_add_f32_e32 v25, v25, v37
	v_add_f32_e32 v25, v36, v25
	;; [unrolled: 1-line block ×4, first 2 shown]
	v_sub_f32_e32 v37, v36, v65
	v_mul_f32_e32 v25, v55, v25
	v_sub_f32_e32 v37, v64, v37
	v_add_f32_e32 v25, v37, v25
	v_add_f32_e32 v39, v36, v25
	v_mul_f32_e32 v50, v39, v39
	v_mov_b32_e32 v37, 0x3ecc95a3
	v_fmac_f32_e32 v37, 0x3e9b6dac, v50
	v_sub_f32_e32 v36, v39, v36
	v_fmaak_f32 v37, v50, v37, 0x3f2aaada
	v_sub_f32_e32 v25, v25, v36
	v_ldexp_f32 v51, v39, 1
	v_mul_f32_e32 v39, v39, v50
	v_mov_b32_e32 v36, 0x3f317218
	v_pk_mul_f32 v[36:37], v[38:39], v[36:37]
	v_ldexp_f32 v25, v25, 1
	v_fma_f32 v39, v38, s10, -v36
	v_fmamk_f32 v50, v38, 0xb102e308, v39
	v_pk_add_f32 v[38:39], v[36:37], v[50:51]
	v_mov_b32_e32 v52, v36
	v_sub_f32_e32 v49, v39, v51
	v_sub_f32_e32 v49, v37, v49
	v_add_f32_e32 v53, v25, v49
	v_pk_add_f32 v[36:37], v[38:39], v[36:37] neg_lo:[0,1] neg_hi:[0,1]
	v_pk_add_f32 v[54:55], v[38:39], v[52:53]
	v_mov_b32_e32 v51, v38
	v_mov_b32_e32 v37, v55
	v_pk_add_f32 v[64:65], v[50:51], v[36:37] neg_lo:[0,1] neg_hi:[0,1]
	v_pk_add_f32 v[36:37], v[50:51], v[36:37]
	v_mov_b32_e32 v52, v53
	v_mov_b32_e32 v50, v37
	v_pk_add_f32 v[66:67], v[50:51], v[38:39] neg_lo:[0,1] neg_hi:[0,1]
	v_mov_b32_e32 v36, v55
	v_mov_b32_e32 v25, v66
	v_pk_add_f32 v[68:69], v[54:55], v[24:25] neg_lo:[0,1] neg_hi:[0,1]
	v_mov_b32_e32 v54, v39
	v_mov_b32_e32 v55, v66
	;; [unrolled: 1-line block ×3, first 2 shown]
	v_pk_add_f32 v[36:37], v[36:37], v[54:55] neg_lo:[0,1] neg_hi:[0,1]
	v_mov_b32_e32 v53, v38
	v_pk_add_f32 v[36:37], v[52:53], v[36:37] neg_lo:[0,1] neg_hi:[0,1]
	v_mov_b32_e32 v68, v64
	v_pk_add_f32 v[38:39], v[68:69], v[36:37]
	v_cmp_eq_f32_e64 s[10:11], s14, v35
	v_mov_b32_e32 v52, v39
	v_pk_add_f32 v[52:53], v[38:39], v[52:53]
	s_mov_b32 s14, 0x33800000
	v_pk_add_f32 v[50:51], v[50:51], v[52:53]
	v_mov_b32_e32 v37, v52
	v_mov_b32_e32 v39, v50
	v_pk_add_f32 v[54:55], v[38:39], v[64:65] neg_lo:[0,1] neg_hi:[0,1]
	v_cmp_lt_f32_e64 s[14:15], |v35|, s14
	v_sub_f32_e32 v25, v38, v54
	v_pk_add_f32 v[36:37], v[36:37], v[54:55] neg_lo:[0,1] neg_hi:[0,1]
	v_sub_f32_e32 v25, v64, v25
	v_add_f32_e32 v25, v36, v25
	v_add_f32_e32 v25, v25, v37
	;; [unrolled: 1-line block ×3, first 2 shown]
	s_or_b64 s[10:11], s[10:11], s[14:15]
	v_cndmask_b32_e64 v25, v25, v35, s[10:11]
	v_add_f32_e32 v24, v24, v25
	v_cvt_f16_f32_e32 v35, v24
	v_cvt_f32_f16_e32 v36, v35
.LBB408_280:
	s_or_b64 exec, exec, s[12:13]
	v_cvt_f32_f16_sdwa v24, v26 dst_sel:DWORD dst_unused:UNUSED_PAD src0_sel:WORD_1
	v_max_f32_e32 v25, v36, v36
	v_cmp_u_f16_e64 s[12:13], v35, v35
	v_cmp_u_f16_sdwa s[10:11], v26, v26 src0_sel:WORD_1 src1_sel:WORD_1
	v_min_f32_e32 v37, v25, v24
	v_max_f32_e32 v25, v25, v24
	v_cndmask_b32_e64 v37, v37, v36, s[12:13]
	v_cndmask_b32_e64 v25, v25, v36, s[12:13]
	;; [unrolled: 1-line block ×4, first 2 shown]
	s_movk_i32 s16, 0x1f8
	v_cmp_neq_f32_e64 s[12:13], v26, v25
	v_cmp_class_f32_e64 s[14:15], v26, s16
	s_or_b64 s[12:13], s[12:13], s[14:15]
	s_and_saveexec_b64 s[14:15], s[12:13]
	s_cbranch_execz .LBB408_282
; %bb.281:
	v_sub_f32_e32 v26, v26, v25
	s_mov_b32 s12, 0x3fb8aa3b
	v_mul_f32_e32 v35, 0x3fb8aa3b, v26
	v_fma_f32 v36, v26, s12, -v35
	v_rndne_f32_e32 v37, v35
	v_fmamk_f32 v36, v26, 0x32a5705f, v36
	v_sub_f32_e32 v35, v35, v37
	v_add_f32_e32 v35, v35, v36
	v_exp_f32_e32 v35, v35
	v_cvt_i32_f32_e32 v36, v37
	s_mov_b32 s12, 0xc2ce8ed0
	v_cmp_ngt_f32_e64 s[12:13], s12, v26
	s_mov_b32 s17, 0x7f800000
	v_ldexp_f32 v35, v35, v36
	v_cndmask_b32_e64 v35, 0, v35, s[12:13]
	s_mov_b32 s12, 0x42b17218
	v_mov_b32_e32 v36, 0x7f800000
	v_cmp_nlt_f32_e64 s[12:13], s12, v26
	s_nop 1
	v_cndmask_b32_e64 v49, v36, v35, s[12:13]
	v_add_f32_e32 v26, 1.0, v49
	v_add_f32_e32 v35, -1.0, v26
	v_sub_f32_e32 v36, v35, v26
	v_add_f32_e32 v36, 1.0, v36
	v_sub_f32_e32 v35, v49, v35
	v_add_f32_e32 v35, v35, v36
	v_frexp_mant_f32_e32 v38, v26
	s_mov_b32 s12, 0x3f2aaaab
	v_cvt_f64_f32_e32 v[36:37], v26
	v_frexp_exp_i32_f64_e32 v36, v[36:37]
	v_cmp_gt_f32_e64 s[12:13], s12, v38
	s_nop 1
	v_subbrev_co_u32_e64 v54, s[12:13], 0, v36, s[12:13]
	v_sub_u32_e32 v36, 0, v54
	v_ldexp_f32 v26, v26, v36
	v_ldexp_f32 v35, v35, v36
	v_add_f32_e32 v36, -1.0, v26
	v_add_f32_e32 v37, 1.0, v36
	v_sub_f32_e32 v37, v26, v37
	v_add_f32_e32 v38, v35, v37
	v_add_f32_e32 v37, 1.0, v26
	v_add_f32_e32 v39, -1.0, v37
	v_sub_f32_e32 v26, v26, v39
	v_add_f32_e32 v26, v35, v26
	v_add_f32_e32 v35, v37, v26
	v_rcp_f32_e32 v55, v35
	v_sub_f32_e32 v37, v37, v35
	v_add_f32_e32 v26, v26, v37
	v_add_f32_e32 v37, v36, v38
	v_sub_f32_e32 v36, v36, v37
	v_mul_f32_e32 v65, v37, v55
	v_add_f32_e32 v64, v38, v36
	v_mul_f32_e32 v38, v35, v65
	v_fma_f32 v50, v65, v35, -v38
	v_fmac_f32_e32 v50, v65, v26
	v_add_f32_e32 v36, v38, v50
	v_sub_f32_e32 v39, v37, v36
	v_pk_add_f32 v[52:53], v[36:37], v[38:39] neg_lo:[0,1] neg_hi:[0,1]
	v_mov_b32_e32 v51, v36
	v_pk_add_f32 v[36:37], v[52:53], v[50:51] neg_lo:[0,1] neg_hi:[0,1]
	s_mov_b32 s12, 0x3f317218
	v_add_f32_e32 v37, v64, v37
	v_add_f32_e32 v36, v36, v37
	;; [unrolled: 1-line block ×3, first 2 shown]
	v_mul_f32_e32 v64, v55, v37
	v_mul_f32_e32 v38, v35, v64
	v_fma_f32 v50, v64, v35, -v38
	v_fmac_f32_e32 v50, v64, v26
	v_sub_f32_e32 v26, v39, v37
	v_add_f32_e32 v26, v36, v26
	v_add_f32_e32 v36, v38, v50
	v_sub_f32_e32 v39, v37, v36
	v_pk_add_f32 v[52:53], v[36:37], v[38:39] neg_lo:[0,1] neg_hi:[0,1]
	v_mov_b32_e32 v51, v36
	v_pk_add_f32 v[36:37], v[52:53], v[50:51] neg_lo:[0,1] neg_hi:[0,1]
	v_add_f32_e32 v35, v65, v64
	v_add_f32_e32 v26, v26, v37
	;; [unrolled: 1-line block ×4, first 2 shown]
	v_sub_f32_e32 v36, v35, v65
	v_mul_f32_e32 v26, v55, v26
	v_sub_f32_e32 v36, v64, v36
	v_add_f32_e32 v26, v36, v26
	v_add_f32_e32 v36, v35, v26
	v_cvt_f32_i32_e32 v38, v54
	v_mul_f32_e32 v39, v36, v36
	v_mov_b32_e32 v37, 0x3ecc95a3
	v_fmac_f32_e32 v37, 0x3e9b6dac, v39
	v_fmaak_f32 v37, v39, v37, 0x3f2aaada
	v_sub_f32_e32 v35, v36, v35
	v_ldexp_f32 v51, v36, 1
	v_mul_f32_e32 v39, v36, v39
	v_mov_b32_e32 v36, 0x3f317218
	v_pk_mul_f32 v[36:37], v[38:39], v[36:37]
	v_sub_f32_e32 v26, v26, v35
	v_fma_f32 v35, v38, s12, -v36
	v_fmamk_f32 v50, v38, 0xb102e308, v35
	v_pk_add_f32 v[38:39], v[36:37], v[50:51]
	v_ldexp_f32 v26, v26, 1
	v_sub_f32_e32 v35, v39, v51
	v_sub_f32_e32 v35, v37, v35
	v_add_f32_e32 v53, v26, v35
	v_mov_b32_e32 v52, v36
	v_pk_add_f32 v[36:37], v[38:39], v[36:37] neg_lo:[0,1] neg_hi:[0,1]
	v_pk_add_f32 v[54:55], v[38:39], v[52:53]
	v_mov_b32_e32 v51, v38
	v_mov_b32_e32 v37, v55
	v_pk_add_f32 v[64:65], v[50:51], v[36:37] neg_lo:[0,1] neg_hi:[0,1]
	v_pk_add_f32 v[36:37], v[50:51], v[36:37]
	v_cmp_eq_f32_e64 s[12:13], s17, v49
	v_mov_b32_e32 v26, v37
	v_pk_add_f32 v[50:51], v[26:27], v[38:39] neg_lo:[0,1] neg_hi:[0,1]
	v_mov_b32_e32 v36, v55
	v_mov_b32_e32 v35, v50
	v_pk_add_f32 v[66:67], v[54:55], v[34:35] neg_lo:[0,1] neg_hi:[0,1]
	v_mov_b32_e32 v54, v39
	v_mov_b32_e32 v55, v50
	;; [unrolled: 1-line block ×3, first 2 shown]
	v_pk_add_f32 v[36:37], v[36:37], v[54:55] neg_lo:[0,1] neg_hi:[0,1]
	v_mov_b32_e32 v50, v53
	v_mov_b32_e32 v51, v38
	v_pk_add_f32 v[36:37], v[50:51], v[36:37] neg_lo:[0,1] neg_hi:[0,1]
	v_mov_b32_e32 v66, v64
	v_pk_add_f32 v[38:39], v[66:67], v[36:37]
	s_mov_b32 s17, 0x33800000
	v_mov_b32_e32 v50, v39
	v_pk_add_f32 v[50:51], v[38:39], v[50:51]
	v_cmp_lt_f32_e64 s[18:19], |v49|, s17
	v_pk_add_f32 v[52:53], v[26:27], v[50:51]
	v_mov_b32_e32 v37, v50
	v_mov_b32_e32 v39, v52
	v_pk_add_f32 v[54:55], v[38:39], v[64:65] neg_lo:[0,1] neg_hi:[0,1]
	s_or_b64 s[12:13], s[12:13], s[18:19]
	v_sub_f32_e32 v26, v38, v54
	v_pk_add_f32 v[36:37], v[36:37], v[54:55] neg_lo:[0,1] neg_hi:[0,1]
	v_sub_f32_e32 v26, v64, v26
	v_add_f32_e32 v26, v36, v26
	v_add_f32_e32 v26, v26, v37
	;; [unrolled: 1-line block ×3, first 2 shown]
	v_cndmask_b32_e64 v26, v26, v49, s[12:13]
	v_add_f32_e32 v25, v25, v26
	v_cvt_f16_f32_e32 v35, v25
	v_cvt_f32_f16_e32 v36, v35
.LBB408_282:
	s_or_b64 exec, exec, s[14:15]
	v_cvt_f32_f16_e32 v25, v27
	v_max_f32_e32 v26, v36, v36
	v_cmp_u_f16_e64 s[14:15], v35, v35
	v_cmp_u_f16_e64 s[12:13], v27, v27
	v_min_f32_e32 v37, v26, v25
	v_max_f32_e32 v26, v26, v25
	v_cndmask_b32_e64 v37, v37, v36, s[14:15]
	v_cndmask_b32_e64 v26, v26, v36, s[14:15]
	;; [unrolled: 1-line block ×4, first 2 shown]
	v_cmp_neq_f32_e64 s[14:15], v37, v26
	v_cmp_class_f32_e64 s[16:17], v37, s16
	s_or_b64 s[14:15], s[14:15], s[16:17]
	s_and_saveexec_b64 s[16:17], s[14:15]
	s_cbranch_execz .LBB408_284
; %bb.283:
	v_sub_f32_e32 v35, v37, v26
	s_mov_b32 s14, 0x3fb8aa3b
	v_mul_f32_e32 v36, 0x3fb8aa3b, v35
	v_fma_f32 v37, v35, s14, -v36
	v_rndne_f32_e32 v38, v36
	v_fmamk_f32 v37, v35, 0x32a5705f, v37
	v_sub_f32_e32 v36, v36, v38
	v_add_f32_e32 v36, v36, v37
	v_exp_f32_e32 v36, v36
	v_cvt_i32_f32_e32 v37, v38
	s_mov_b32 s14, 0xc2ce8ed0
	v_cmp_ngt_f32_e64 s[14:15], s14, v35
	s_mov_b32 s18, 0x7f800000
	v_ldexp_f32 v36, v36, v37
	v_cndmask_b32_e64 v36, 0, v36, s[14:15]
	s_mov_b32 s14, 0x42b17218
	v_mov_b32_e32 v37, 0x7f800000
	v_cmp_nlt_f32_e64 s[14:15], s14, v35
	s_nop 1
	v_cndmask_b32_e64 v49, v37, v36, s[14:15]
	v_add_f32_e32 v35, 1.0, v49
	v_add_f32_e32 v36, -1.0, v35
	v_sub_f32_e32 v37, v36, v35
	v_add_f32_e32 v37, 1.0, v37
	v_sub_f32_e32 v36, v49, v36
	v_add_f32_e32 v38, v36, v37
	v_frexp_mant_f32_e32 v39, v35
	s_mov_b32 s14, 0x3f2aaaab
	v_cvt_f64_f32_e32 v[36:37], v35
	v_frexp_exp_i32_f64_e32 v36, v[36:37]
	v_cmp_gt_f32_e64 s[14:15], s14, v39
	s_nop 1
	v_subbrev_co_u32_e64 v54, s[14:15], 0, v36, s[14:15]
	v_sub_u32_e32 v36, 0, v54
	v_ldexp_f32 v35, v35, v36
	v_ldexp_f32 v36, v38, v36
	v_add_f32_e32 v38, -1.0, v35
	v_add_f32_e32 v37, 1.0, v38
	v_sub_f32_e32 v37, v35, v37
	v_add_f32_e32 v39, v36, v37
	v_add_f32_e32 v37, 1.0, v35
	v_add_f32_e32 v50, -1.0, v37
	v_sub_f32_e32 v35, v35, v50
	v_add_f32_e32 v35, v36, v35
	v_add_f32_e32 v55, v37, v35
	v_rcp_f32_e32 v64, v55
	v_sub_f32_e32 v36, v37, v55
	v_add_f32_e32 v37, v38, v39
	v_add_f32_e32 v35, v35, v36
	v_mul_f32_e32 v66, v37, v64
	v_sub_f32_e32 v36, v38, v37
	v_mul_f32_e32 v38, v55, v66
	v_fma_f32 v50, v66, v55, -v38
	v_fmac_f32_e32 v50, v66, v35
	v_add_f32_e32 v65, v39, v36
	v_add_f32_e32 v36, v38, v50
	v_sub_f32_e32 v39, v37, v36
	v_pk_add_f32 v[52:53], v[36:37], v[38:39] neg_lo:[0,1] neg_hi:[0,1]
	v_mov_b32_e32 v51, v36
	v_pk_add_f32 v[36:37], v[52:53], v[50:51] neg_lo:[0,1] neg_hi:[0,1]
	s_mov_b32 s14, 0x3f317218
	v_add_f32_e32 v37, v65, v37
	v_add_f32_e32 v36, v36, v37
	v_add_f32_e32 v37, v39, v36
	v_mul_f32_e32 v65, v64, v37
	v_mul_f32_e32 v38, v55, v65
	v_fma_f32 v50, v65, v55, -v38
	v_fmac_f32_e32 v50, v65, v35
	v_sub_f32_e32 v35, v39, v37
	v_add_f32_e32 v35, v36, v35
	v_add_f32_e32 v36, v38, v50
	v_sub_f32_e32 v39, v37, v36
	v_pk_add_f32 v[52:53], v[36:37], v[38:39] neg_lo:[0,1] neg_hi:[0,1]
	v_mov_b32_e32 v51, v36
	v_pk_add_f32 v[36:37], v[52:53], v[50:51] neg_lo:[0,1] neg_hi:[0,1]
	v_cvt_f32_i32_e32 v38, v54
	v_add_f32_e32 v35, v35, v37
	v_add_f32_e32 v35, v36, v35
	;; [unrolled: 1-line block ×4, first 2 shown]
	v_sub_f32_e32 v37, v36, v66
	v_mul_f32_e32 v35, v64, v35
	v_sub_f32_e32 v37, v65, v37
	v_add_f32_e32 v35, v37, v35
	v_add_f32_e32 v39, v36, v35
	v_mul_f32_e32 v50, v39, v39
	v_mov_b32_e32 v37, 0x3ecc95a3
	v_fmac_f32_e32 v37, 0x3e9b6dac, v50
	v_sub_f32_e32 v36, v39, v36
	v_fmaak_f32 v37, v50, v37, 0x3f2aaada
	v_sub_f32_e32 v35, v35, v36
	v_ldexp_f32 v51, v39, 1
	v_mul_f32_e32 v39, v39, v50
	v_mov_b32_e32 v36, 0x3f317218
	v_pk_mul_f32 v[36:37], v[38:39], v[36:37]
	v_ldexp_f32 v35, v35, 1
	v_fma_f32 v39, v38, s14, -v36
	v_fmamk_f32 v50, v38, 0xb102e308, v39
	v_pk_add_f32 v[38:39], v[36:37], v[50:51]
	v_mov_b32_e32 v52, v36
	v_sub_f32_e32 v51, v39, v51
	v_sub_f32_e32 v51, v37, v51
	v_add_f32_e32 v53, v35, v51
	v_pk_add_f32 v[36:37], v[38:39], v[36:37] neg_lo:[0,1] neg_hi:[0,1]
	v_pk_add_f32 v[54:55], v[38:39], v[52:53]
	v_mov_b32_e32 v51, v38
	v_mov_b32_e32 v37, v55
	v_pk_add_f32 v[64:65], v[50:51], v[36:37] neg_lo:[0,1] neg_hi:[0,1]
	v_pk_add_f32 v[36:37], v[50:51], v[36:37]
	v_mov_b32_e32 v52, v53
	v_mov_b32_e32 v50, v37
	v_pk_add_f32 v[66:67], v[50:51], v[38:39] neg_lo:[0,1] neg_hi:[0,1]
	v_mov_b32_e32 v36, v55
	v_mov_b32_e32 v35, v66
	v_pk_add_f32 v[68:69], v[54:55], v[34:35] neg_lo:[0,1] neg_hi:[0,1]
	v_mov_b32_e32 v54, v39
	v_mov_b32_e32 v55, v66
	;; [unrolled: 1-line block ×3, first 2 shown]
	v_pk_add_f32 v[36:37], v[36:37], v[54:55] neg_lo:[0,1] neg_hi:[0,1]
	v_mov_b32_e32 v53, v38
	v_pk_add_f32 v[36:37], v[52:53], v[36:37] neg_lo:[0,1] neg_hi:[0,1]
	v_mov_b32_e32 v68, v64
	v_pk_add_f32 v[38:39], v[68:69], v[36:37]
	v_cmp_eq_f32_e64 s[14:15], s18, v49
	v_mov_b32_e32 v52, v39
	v_pk_add_f32 v[52:53], v[38:39], v[52:53]
	s_mov_b32 s18, 0x33800000
	v_pk_add_f32 v[50:51], v[50:51], v[52:53]
	v_mov_b32_e32 v37, v52
	v_mov_b32_e32 v39, v50
	v_pk_add_f32 v[54:55], v[38:39], v[64:65] neg_lo:[0,1] neg_hi:[0,1]
	v_cmp_lt_f32_e64 s[18:19], |v49|, s18
	v_sub_f32_e32 v35, v38, v54
	v_pk_add_f32 v[36:37], v[36:37], v[54:55] neg_lo:[0,1] neg_hi:[0,1]
	v_sub_f32_e32 v35, v64, v35
	v_add_f32_e32 v35, v36, v35
	v_add_f32_e32 v35, v35, v37
	;; [unrolled: 1-line block ×3, first 2 shown]
	s_or_b64 s[14:15], s[14:15], s[18:19]
	v_cndmask_b32_e64 v35, v35, v49, s[14:15]
	v_add_f32_e32 v26, v26, v35
	v_cvt_f16_f32_e32 v35, v26
	v_cvt_f32_f16_e32 v36, v35
.LBB408_284:
	s_or_b64 exec, exec, s[16:17]
	v_cvt_f32_f16_sdwa v26, v27 dst_sel:DWORD dst_unused:UNUSED_PAD src0_sel:WORD_1
	v_max_f32_e32 v38, v36, v36
	v_cmp_u_f16_e64 s[16:17], v35, v35
	v_cmp_u_f16_sdwa s[14:15], v27, v27 src0_sel:WORD_1 src1_sel:WORD_1
	v_min_f32_e32 v37, v38, v26
	v_max_f32_e32 v27, v38, v26
	v_cndmask_b32_e64 v37, v37, v36, s[16:17]
	v_cndmask_b32_e64 v27, v27, v36, s[16:17]
	;; [unrolled: 1-line block ×4, first 2 shown]
	s_movk_i32 s20, 0x1f8
	v_cmp_neq_f32_e64 s[16:17], v37, v27
	v_cmp_class_f32_e64 s[18:19], v37, s20
	s_or_b64 s[16:17], s[16:17], s[18:19]
	s_and_saveexec_b64 s[18:19], s[16:17]
	s_cbranch_execz .LBB408_286
; %bb.285:
	v_sub_f32_e32 v35, v37, v27
	s_mov_b32 s16, 0x3fb8aa3b
	v_mul_f32_e32 v36, 0x3fb8aa3b, v35
	v_fma_f32 v37, v35, s16, -v36
	v_rndne_f32_e32 v38, v36
	v_fmamk_f32 v37, v35, 0x32a5705f, v37
	v_sub_f32_e32 v36, v36, v38
	v_add_f32_e32 v36, v36, v37
	v_exp_f32_e32 v36, v36
	v_cvt_i32_f32_e32 v37, v38
	s_mov_b32 s16, 0xc2ce8ed0
	v_cmp_ngt_f32_e64 s[16:17], s16, v35
	s_mov_b32 s21, 0x7f800000
	v_ldexp_f32 v36, v36, v37
	v_cndmask_b32_e64 v36, 0, v36, s[16:17]
	s_mov_b32 s16, 0x42b17218
	v_mov_b32_e32 v37, 0x7f800000
	v_cmp_nlt_f32_e64 s[16:17], s16, v35
	s_nop 1
	v_cndmask_b32_e64 v49, v37, v36, s[16:17]
	v_add_f32_e32 v35, 1.0, v49
	v_add_f32_e32 v36, -1.0, v35
	v_sub_f32_e32 v37, v36, v35
	v_add_f32_e32 v37, 1.0, v37
	v_sub_f32_e32 v36, v49, v36
	v_add_f32_e32 v38, v36, v37
	v_frexp_mant_f32_e32 v39, v35
	s_mov_b32 s16, 0x3f2aaaab
	v_cvt_f64_f32_e32 v[36:37], v35
	v_frexp_exp_i32_f64_e32 v36, v[36:37]
	v_cmp_gt_f32_e64 s[16:17], s16, v39
	s_nop 1
	v_subbrev_co_u32_e64 v54, s[16:17], 0, v36, s[16:17]
	v_sub_u32_e32 v36, 0, v54
	v_ldexp_f32 v35, v35, v36
	v_ldexp_f32 v36, v38, v36
	v_add_f32_e32 v38, -1.0, v35
	v_add_f32_e32 v37, 1.0, v38
	v_sub_f32_e32 v37, v35, v37
	v_add_f32_e32 v39, v36, v37
	v_add_f32_e32 v37, 1.0, v35
	v_add_f32_e32 v50, -1.0, v37
	v_sub_f32_e32 v35, v35, v50
	v_add_f32_e32 v35, v36, v35
	v_add_f32_e32 v55, v37, v35
	v_rcp_f32_e32 v64, v55
	v_sub_f32_e32 v36, v37, v55
	v_add_f32_e32 v37, v38, v39
	v_add_f32_e32 v35, v35, v36
	v_mul_f32_e32 v66, v37, v64
	v_sub_f32_e32 v36, v38, v37
	v_mul_f32_e32 v38, v55, v66
	v_fma_f32 v50, v66, v55, -v38
	v_fmac_f32_e32 v50, v66, v35
	v_add_f32_e32 v65, v39, v36
	v_add_f32_e32 v36, v38, v50
	v_sub_f32_e32 v39, v37, v36
	v_pk_add_f32 v[52:53], v[36:37], v[38:39] neg_lo:[0,1] neg_hi:[0,1]
	v_mov_b32_e32 v51, v36
	v_pk_add_f32 v[36:37], v[52:53], v[50:51] neg_lo:[0,1] neg_hi:[0,1]
	s_mov_b32 s16, 0x3f317218
	v_add_f32_e32 v37, v65, v37
	v_add_f32_e32 v36, v36, v37
	;; [unrolled: 1-line block ×3, first 2 shown]
	v_mul_f32_e32 v65, v64, v37
	v_mul_f32_e32 v38, v55, v65
	v_fma_f32 v50, v65, v55, -v38
	v_fmac_f32_e32 v50, v65, v35
	v_sub_f32_e32 v35, v39, v37
	v_add_f32_e32 v35, v36, v35
	v_add_f32_e32 v36, v38, v50
	v_sub_f32_e32 v39, v37, v36
	v_pk_add_f32 v[52:53], v[36:37], v[38:39] neg_lo:[0,1] neg_hi:[0,1]
	v_mov_b32_e32 v51, v36
	v_pk_add_f32 v[36:37], v[52:53], v[50:51] neg_lo:[0,1] neg_hi:[0,1]
	v_cvt_f32_i32_e32 v38, v54
	v_add_f32_e32 v35, v35, v37
	v_add_f32_e32 v35, v36, v35
	;; [unrolled: 1-line block ×4, first 2 shown]
	v_sub_f32_e32 v37, v36, v66
	v_mul_f32_e32 v35, v64, v35
	v_sub_f32_e32 v37, v65, v37
	v_add_f32_e32 v35, v37, v35
	v_add_f32_e32 v39, v36, v35
	v_mul_f32_e32 v50, v39, v39
	v_mov_b32_e32 v37, 0x3ecc95a3
	v_fmac_f32_e32 v37, 0x3e9b6dac, v50
	v_sub_f32_e32 v36, v39, v36
	v_fmaak_f32 v37, v50, v37, 0x3f2aaada
	v_sub_f32_e32 v35, v35, v36
	v_ldexp_f32 v51, v39, 1
	v_mul_f32_e32 v39, v39, v50
	v_mov_b32_e32 v36, 0x3f317218
	v_pk_mul_f32 v[36:37], v[38:39], v[36:37]
	v_ldexp_f32 v35, v35, 1
	v_fma_f32 v39, v38, s16, -v36
	v_fmamk_f32 v50, v38, 0xb102e308, v39
	v_pk_add_f32 v[38:39], v[36:37], v[50:51]
	v_mov_b32_e32 v52, v36
	v_sub_f32_e32 v51, v39, v51
	v_sub_f32_e32 v51, v37, v51
	v_add_f32_e32 v53, v35, v51
	v_pk_add_f32 v[36:37], v[38:39], v[36:37] neg_lo:[0,1] neg_hi:[0,1]
	v_pk_add_f32 v[54:55], v[38:39], v[52:53]
	v_mov_b32_e32 v51, v38
	v_mov_b32_e32 v37, v55
	v_pk_add_f32 v[64:65], v[50:51], v[36:37] neg_lo:[0,1] neg_hi:[0,1]
	v_pk_add_f32 v[36:37], v[50:51], v[36:37]
	v_mov_b32_e32 v52, v53
	v_mov_b32_e32 v50, v37
	v_pk_add_f32 v[66:67], v[50:51], v[38:39] neg_lo:[0,1] neg_hi:[0,1]
	v_mov_b32_e32 v36, v55
	v_mov_b32_e32 v35, v66
	v_pk_add_f32 v[68:69], v[54:55], v[34:35] neg_lo:[0,1] neg_hi:[0,1]
	v_mov_b32_e32 v54, v39
	v_mov_b32_e32 v55, v66
	;; [unrolled: 1-line block ×3, first 2 shown]
	v_pk_add_f32 v[36:37], v[36:37], v[54:55] neg_lo:[0,1] neg_hi:[0,1]
	v_mov_b32_e32 v53, v38
	v_pk_add_f32 v[36:37], v[52:53], v[36:37] neg_lo:[0,1] neg_hi:[0,1]
	v_mov_b32_e32 v68, v64
	v_pk_add_f32 v[38:39], v[68:69], v[36:37]
	v_cmp_eq_f32_e64 s[16:17], s21, v49
	v_mov_b32_e32 v52, v39
	v_pk_add_f32 v[52:53], v[38:39], v[52:53]
	s_mov_b32 s21, 0x33800000
	v_pk_add_f32 v[50:51], v[50:51], v[52:53]
	v_mov_b32_e32 v37, v52
	v_mov_b32_e32 v39, v50
	v_pk_add_f32 v[54:55], v[38:39], v[64:65] neg_lo:[0,1] neg_hi:[0,1]
	v_cmp_lt_f32_e64 s[22:23], |v49|, s21
	v_sub_f32_e32 v35, v38, v54
	v_pk_add_f32 v[36:37], v[36:37], v[54:55] neg_lo:[0,1] neg_hi:[0,1]
	v_sub_f32_e32 v35, v64, v35
	v_add_f32_e32 v35, v36, v35
	v_add_f32_e32 v35, v35, v37
	;; [unrolled: 1-line block ×3, first 2 shown]
	s_or_b64 s[16:17], s[16:17], s[22:23]
	v_cndmask_b32_e64 v35, v35, v49, s[16:17]
	v_add_f32_e32 v27, v27, v35
	v_cvt_f16_f32_e32 v35, v27
	v_cvt_f32_f16_e32 v36, v35
.LBB408_286:
	s_or_b64 exec, exec, s[18:19]
	v_cvt_f32_f16_e32 v27, v20
	v_max_f32_e32 v37, v36, v36
	v_cmp_u_f16_e64 s[18:19], v35, v35
	v_cmp_u_f16_e64 s[16:17], v20, v20
	v_min_f32_e32 v38, v37, v27
	v_max_f32_e32 v37, v37, v27
	v_cndmask_b32_e64 v38, v38, v36, s[18:19]
	v_cndmask_b32_e64 v37, v37, v36, s[18:19]
	;; [unrolled: 1-line block ×4, first 2 shown]
	v_cmp_neq_f32_e64 s[18:19], v38, v37
	v_cmp_class_f32_e64 s[20:21], v38, s20
	s_or_b64 s[18:19], s[18:19], s[20:21]
	s_and_saveexec_b64 s[20:21], s[18:19]
	s_cbranch_execz .LBB408_288
; %bb.287:
	v_sub_f32_e32 v35, v38, v37
	s_mov_b32 s18, 0x3fb8aa3b
	v_mul_f32_e32 v36, 0x3fb8aa3b, v35
	v_fma_f32 v38, v35, s18, -v36
	v_rndne_f32_e32 v39, v36
	v_fmamk_f32 v38, v35, 0x32a5705f, v38
	v_sub_f32_e32 v36, v36, v39
	v_add_f32_e32 v36, v36, v38
	v_exp_f32_e32 v36, v36
	v_cvt_i32_f32_e32 v38, v39
	s_mov_b32 s18, 0xc2ce8ed0
	v_cmp_ngt_f32_e64 s[18:19], s18, v35
	s_mov_b32 s22, 0x7f800000
	v_ldexp_f32 v36, v36, v38
	v_cndmask_b32_e64 v36, 0, v36, s[18:19]
	s_mov_b32 s18, 0x42b17218
	v_mov_b32_e32 v38, 0x7f800000
	v_cmp_nlt_f32_e64 s[18:19], s18, v35
	s_nop 1
	v_cndmask_b32_e64 v49, v38, v36, s[18:19]
	v_add_f32_e32 v35, 1.0, v49
	v_add_f32_e32 v36, -1.0, v35
	v_sub_f32_e32 v38, v36, v35
	v_add_f32_e32 v38, 1.0, v38
	v_sub_f32_e32 v36, v49, v36
	v_add_f32_e32 v36, v36, v38
	v_frexp_mant_f32_e32 v50, v35
	s_mov_b32 s18, 0x3f2aaaab
	v_cvt_f64_f32_e32 v[38:39], v35
	v_frexp_exp_i32_f64_e32 v38, v[38:39]
	v_cmp_gt_f32_e64 s[18:19], s18, v50
	s_nop 1
	v_subbrev_co_u32_e64 v64, s[18:19], 0, v38, s[18:19]
	v_sub_u32_e32 v38, 0, v64
	v_ldexp_f32 v35, v35, v38
	v_ldexp_f32 v36, v36, v38
	v_add_f32_e32 v38, -1.0, v35
	v_add_f32_e32 v39, 1.0, v38
	v_sub_f32_e32 v39, v35, v39
	v_add_f32_e32 v50, v36, v39
	v_add_f32_e32 v39, 1.0, v35
	v_add_f32_e32 v51, -1.0, v39
	v_sub_f32_e32 v35, v35, v51
	v_add_f32_e32 v35, v36, v35
	v_add_f32_e32 v36, v39, v35
	v_rcp_f32_e32 v65, v36
	v_sub_f32_e32 v39, v39, v36
	v_add_f32_e32 v35, v35, v39
	v_add_f32_e32 v39, v38, v50
	v_sub_f32_e32 v38, v38, v39
	v_mul_f32_e32 v67, v39, v65
	v_add_f32_e32 v66, v50, v38
	v_mul_f32_e32 v50, v36, v67
	v_fma_f32 v52, v67, v36, -v50
	v_fmac_f32_e32 v52, v67, v35
	v_add_f32_e32 v38, v50, v52
	v_sub_f32_e32 v51, v39, v38
	v_pk_add_f32 v[54:55], v[38:39], v[50:51] neg_lo:[0,1] neg_hi:[0,1]
	v_mov_b32_e32 v53, v38
	v_pk_add_f32 v[38:39], v[54:55], v[52:53] neg_lo:[0,1] neg_hi:[0,1]
	s_mov_b32 s18, 0x3f317218
	v_add_f32_e32 v39, v66, v39
	v_add_f32_e32 v38, v38, v39
	;; [unrolled: 1-line block ×3, first 2 shown]
	v_mul_f32_e32 v66, v65, v39
	v_mul_f32_e32 v50, v36, v66
	v_fma_f32 v52, v66, v36, -v50
	v_fmac_f32_e32 v52, v66, v35
	v_sub_f32_e32 v35, v51, v39
	v_add_f32_e32 v35, v38, v35
	v_add_f32_e32 v38, v50, v52
	v_sub_f32_e32 v51, v39, v38
	v_pk_add_f32 v[54:55], v[38:39], v[50:51] neg_lo:[0,1] neg_hi:[0,1]
	v_mov_b32_e32 v53, v38
	v_pk_add_f32 v[38:39], v[54:55], v[52:53] neg_lo:[0,1] neg_hi:[0,1]
	v_add_f32_e32 v36, v67, v66
	v_add_f32_e32 v35, v35, v39
	;; [unrolled: 1-line block ×4, first 2 shown]
	v_sub_f32_e32 v38, v36, v67
	v_mul_f32_e32 v35, v65, v35
	v_sub_f32_e32 v38, v66, v38
	v_add_f32_e32 v35, v38, v35
	v_add_f32_e32 v38, v36, v35
	v_cvt_f32_i32_e32 v50, v64
	v_mul_f32_e32 v51, v38, v38
	v_mov_b32_e32 v39, 0x3ecc95a3
	v_fmac_f32_e32 v39, 0x3e9b6dac, v51
	v_fmaak_f32 v39, v51, v39, 0x3f2aaada
	v_sub_f32_e32 v36, v38, v36
	v_ldexp_f32 v53, v38, 1
	v_mul_f32_e32 v51, v38, v51
	v_mov_b32_e32 v38, 0x3f317218
	v_pk_mul_f32 v[38:39], v[50:51], v[38:39]
	v_sub_f32_e32 v35, v35, v36
	v_fma_f32 v36, v50, s18, -v38
	v_fmamk_f32 v52, v50, 0xb102e308, v36
	v_pk_add_f32 v[50:51], v[38:39], v[52:53]
	v_ldexp_f32 v35, v35, 1
	v_sub_f32_e32 v36, v51, v53
	v_sub_f32_e32 v36, v39, v36
	v_add_f32_e32 v55, v35, v36
	v_mov_b32_e32 v54, v38
	v_pk_add_f32 v[38:39], v[50:51], v[38:39] neg_lo:[0,1] neg_hi:[0,1]
	v_pk_add_f32 v[64:65], v[50:51], v[54:55]
	v_mov_b32_e32 v53, v50
	v_mov_b32_e32 v39, v65
	v_pk_add_f32 v[66:67], v[52:53], v[38:39] neg_lo:[0,1] neg_hi:[0,1]
	v_pk_add_f32 v[38:39], v[52:53], v[38:39]
	v_cmp_eq_f32_e64 s[18:19], s22, v49
	v_mov_b32_e32 v36, v39
	v_pk_add_f32 v[52:53], v[36:37], v[50:51] neg_lo:[0,1] neg_hi:[0,1]
	v_mov_b32_e32 v38, v65
	v_mov_b32_e32 v35, v52
	v_pk_add_f32 v[68:69], v[64:65], v[34:35] neg_lo:[0,1] neg_hi:[0,1]
	v_mov_b32_e32 v64, v51
	v_mov_b32_e32 v65, v52
	v_mov_b32_e32 v67, v39
	v_pk_add_f32 v[38:39], v[38:39], v[64:65] neg_lo:[0,1] neg_hi:[0,1]
	v_mov_b32_e32 v52, v55
	v_mov_b32_e32 v53, v50
	v_pk_add_f32 v[38:39], v[52:53], v[38:39] neg_lo:[0,1] neg_hi:[0,1]
	v_mov_b32_e32 v68, v66
	v_pk_add_f32 v[50:51], v[68:69], v[38:39]
	s_mov_b32 s22, 0x33800000
	v_mov_b32_e32 v52, v51
	v_pk_add_f32 v[52:53], v[50:51], v[52:53]
	v_cmp_lt_f32_e64 s[22:23], |v49|, s22
	v_pk_add_f32 v[54:55], v[36:37], v[52:53]
	v_mov_b32_e32 v39, v52
	v_mov_b32_e32 v51, v54
	v_pk_add_f32 v[64:65], v[50:51], v[66:67] neg_lo:[0,1] neg_hi:[0,1]
	s_or_b64 s[18:19], s[18:19], s[22:23]
	v_sub_f32_e32 v35, v50, v64
	v_pk_add_f32 v[38:39], v[38:39], v[64:65] neg_lo:[0,1] neg_hi:[0,1]
	v_sub_f32_e32 v35, v66, v35
	v_add_f32_e32 v35, v38, v35
	v_add_f32_e32 v35, v35, v39
	;; [unrolled: 1-line block ×3, first 2 shown]
	v_cndmask_b32_e64 v35, v35, v49, s[18:19]
	v_add_f32_e32 v35, v37, v35
	v_cvt_f16_f32_e32 v35, v35
	v_cvt_f32_f16_e32 v36, v35
.LBB408_288:
	s_or_b64 exec, exec, s[20:21]
	v_cvt_f32_f16_sdwa v39, v20 dst_sel:DWORD dst_unused:UNUSED_PAD src0_sel:WORD_1
	v_max_f32_e32 v38, v36, v36
	v_cmp_u_f16_e64 s[20:21], v35, v35
	v_cmp_u_f16_sdwa s[18:19], v20, v20 src0_sel:WORD_1 src1_sel:WORD_1
	v_min_f32_e32 v37, v38, v39
	v_max_f32_e32 v20, v38, v39
	v_cndmask_b32_e64 v37, v37, v36, s[20:21]
	v_cndmask_b32_e64 v20, v20, v36, s[20:21]
	;; [unrolled: 1-line block ×4, first 2 shown]
	s_movk_i32 s24, 0x1f8
	v_cmp_neq_f32_e64 s[20:21], v37, v20
	v_cmp_class_f32_e64 s[22:23], v37, s24
	s_or_b64 s[20:21], s[20:21], s[22:23]
	s_and_saveexec_b64 s[22:23], s[20:21]
	s_cbranch_execz .LBB408_290
; %bb.289:
	v_sub_f32_e32 v35, v37, v20
	s_mov_b32 s20, 0x3fb8aa3b
	v_mul_f32_e32 v36, 0x3fb8aa3b, v35
	v_fma_f32 v37, v35, s20, -v36
	v_rndne_f32_e32 v38, v36
	v_fmamk_f32 v37, v35, 0x32a5705f, v37
	v_sub_f32_e32 v36, v36, v38
	v_add_f32_e32 v36, v36, v37
	v_exp_f32_e32 v36, v36
	v_cvt_i32_f32_e32 v37, v38
	s_mov_b32 s20, 0xc2ce8ed0
	v_cmp_ngt_f32_e64 s[20:21], s20, v35
	s_mov_b32 s25, 0x7f800000
	v_ldexp_f32 v36, v36, v37
	v_cndmask_b32_e64 v36, 0, v36, s[20:21]
	s_mov_b32 s20, 0x42b17218
	v_mov_b32_e32 v37, 0x7f800000
	v_cmp_nlt_f32_e64 s[20:21], s20, v35
	s_nop 1
	v_cndmask_b32_e64 v49, v37, v36, s[20:21]
	v_add_f32_e32 v35, 1.0, v49
	v_add_f32_e32 v36, -1.0, v35
	v_sub_f32_e32 v37, v36, v35
	v_add_f32_e32 v37, 1.0, v37
	v_sub_f32_e32 v36, v49, v36
	v_add_f32_e32 v38, v36, v37
	v_frexp_mant_f32_e32 v50, v35
	s_mov_b32 s20, 0x3f2aaaab
	v_cvt_f64_f32_e32 v[36:37], v35
	v_frexp_exp_i32_f64_e32 v36, v[36:37]
	v_cmp_gt_f32_e64 s[20:21], s20, v50
	s_nop 1
	v_subbrev_co_u32_e64 v64, s[20:21], 0, v36, s[20:21]
	v_sub_u32_e32 v36, 0, v64
	v_ldexp_f32 v35, v35, v36
	v_ldexp_f32 v36, v38, v36
	v_add_f32_e32 v38, -1.0, v35
	v_add_f32_e32 v37, 1.0, v38
	v_sub_f32_e32 v37, v35, v37
	v_add_f32_e32 v50, v36, v37
	v_add_f32_e32 v37, 1.0, v35
	v_add_f32_e32 v51, -1.0, v37
	v_sub_f32_e32 v35, v35, v51
	v_add_f32_e32 v35, v36, v35
	v_add_f32_e32 v65, v37, v35
	v_rcp_f32_e32 v66, v65
	v_sub_f32_e32 v36, v37, v65
	v_add_f32_e32 v37, v38, v50
	v_add_f32_e32 v35, v35, v36
	v_sub_f32_e32 v36, v38, v37
	v_mul_f32_e32 v67, v37, v66
	v_add_f32_e32 v38, v50, v36
	v_mul_f32_e32 v50, v65, v67
	v_fma_f32 v52, v67, v65, -v50
	v_fmac_f32_e32 v52, v67, v35
	v_add_f32_e32 v36, v50, v52
	v_sub_f32_e32 v51, v37, v36
	v_pk_add_f32 v[54:55], v[36:37], v[50:51] neg_lo:[0,1] neg_hi:[0,1]
	v_mov_b32_e32 v53, v36
	v_pk_add_f32 v[36:37], v[54:55], v[52:53] neg_lo:[0,1] neg_hi:[0,1]
	s_mov_b32 s20, 0x3f317218
	v_add_f32_e32 v37, v38, v37
	v_add_f32_e32 v36, v36, v37
	;; [unrolled: 1-line block ×3, first 2 shown]
	v_mul_f32_e32 v38, v66, v37
	v_mul_f32_e32 v50, v65, v38
	v_fma_f32 v52, v38, v65, -v50
	v_fmac_f32_e32 v52, v38, v35
	v_sub_f32_e32 v35, v51, v37
	v_add_f32_e32 v35, v36, v35
	v_add_f32_e32 v36, v50, v52
	v_sub_f32_e32 v51, v37, v36
	v_pk_add_f32 v[54:55], v[36:37], v[50:51] neg_lo:[0,1] neg_hi:[0,1]
	v_mov_b32_e32 v53, v36
	v_pk_add_f32 v[36:37], v[54:55], v[52:53] neg_lo:[0,1] neg_hi:[0,1]
	v_cvt_f32_i32_e32 v50, v64
	v_add_f32_e32 v35, v35, v37
	v_add_f32_e32 v35, v36, v35
	;; [unrolled: 1-line block ×4, first 2 shown]
	v_sub_f32_e32 v37, v36, v67
	v_mul_f32_e32 v35, v66, v35
	v_sub_f32_e32 v37, v38, v37
	v_add_f32_e32 v35, v37, v35
	v_add_f32_e32 v38, v36, v35
	v_mul_f32_e32 v51, v38, v38
	v_mov_b32_e32 v37, 0x3ecc95a3
	v_fmac_f32_e32 v37, 0x3e9b6dac, v51
	v_sub_f32_e32 v36, v38, v36
	v_fmaak_f32 v37, v51, v37, 0x3f2aaada
	v_sub_f32_e32 v35, v35, v36
	v_mul_f32_e32 v51, v38, v51
	v_mov_b32_e32 v36, 0x3f317218
	v_pk_mul_f32 v[36:37], v[50:51], v[36:37]
	v_ldexp_f32 v53, v38, 1
	v_fma_f32 v38, v50, s20, -v36
	v_fmamk_f32 v52, v50, 0xb102e308, v38
	v_pk_add_f32 v[50:51], v[36:37], v[52:53]
	v_ldexp_f32 v35, v35, 1
	v_sub_f32_e32 v38, v51, v53
	v_sub_f32_e32 v38, v37, v38
	v_add_f32_e32 v55, v35, v38
	v_mov_b32_e32 v54, v36
	v_pk_add_f32 v[36:37], v[50:51], v[36:37] neg_lo:[0,1] neg_hi:[0,1]
	v_pk_add_f32 v[64:65], v[50:51], v[54:55]
	v_mov_b32_e32 v53, v50
	v_mov_b32_e32 v37, v65
	v_pk_add_f32 v[66:67], v[52:53], v[36:37] neg_lo:[0,1] neg_hi:[0,1]
	v_pk_add_f32 v[36:37], v[52:53], v[36:37]
	v_cmp_eq_f32_e64 s[20:21], s25, v49
	v_mov_b32_e32 v38, v37
	v_pk_add_f32 v[52:53], v[38:39], v[50:51] neg_lo:[0,1] neg_hi:[0,1]
	v_mov_b32_e32 v36, v65
	v_mov_b32_e32 v35, v52
	v_pk_add_f32 v[68:69], v[64:65], v[34:35] neg_lo:[0,1] neg_hi:[0,1]
	v_mov_b32_e32 v64, v51
	v_mov_b32_e32 v65, v52
	;; [unrolled: 1-line block ×3, first 2 shown]
	v_pk_add_f32 v[36:37], v[36:37], v[64:65] neg_lo:[0,1] neg_hi:[0,1]
	v_mov_b32_e32 v52, v55
	v_mov_b32_e32 v53, v50
	v_pk_add_f32 v[36:37], v[52:53], v[36:37] neg_lo:[0,1] neg_hi:[0,1]
	v_mov_b32_e32 v68, v66
	v_pk_add_f32 v[50:51], v[68:69], v[36:37]
	s_mov_b32 s25, 0x33800000
	v_mov_b32_e32 v52, v51
	v_pk_add_f32 v[52:53], v[50:51], v[52:53]
	v_cmp_lt_f32_e64 s[26:27], |v49|, s25
	v_pk_add_f32 v[54:55], v[38:39], v[52:53]
	v_mov_b32_e32 v37, v52
	v_mov_b32_e32 v51, v54
	v_pk_add_f32 v[64:65], v[50:51], v[66:67] neg_lo:[0,1] neg_hi:[0,1]
	s_or_b64 s[20:21], s[20:21], s[26:27]
	v_sub_f32_e32 v35, v50, v64
	v_pk_add_f32 v[36:37], v[36:37], v[64:65] neg_lo:[0,1] neg_hi:[0,1]
	v_sub_f32_e32 v35, v66, v35
	v_add_f32_e32 v35, v36, v35
	v_add_f32_e32 v35, v35, v37
	v_add_f32_e32 v35, v54, v35
	v_cndmask_b32_e64 v35, v35, v49, s[20:21]
	v_add_f32_e32 v20, v20, v35
	v_cvt_f16_f32_e32 v35, v20
	v_cvt_f32_f16_e32 v36, v35
.LBB408_290:
	s_or_b64 exec, exec, s[22:23]
	v_cvt_f32_f16_e32 v20, v21
	v_max_f32_e32 v37, v36, v36
	v_cmp_u_f16_e64 s[22:23], v35, v35
	v_cmp_u_f16_e64 s[20:21], v21, v21
	v_min_f32_e32 v38, v37, v20
	v_max_f32_e32 v37, v37, v20
	v_cndmask_b32_e64 v38, v38, v36, s[22:23]
	v_cndmask_b32_e64 v37, v37, v36, s[22:23]
	;; [unrolled: 1-line block ×4, first 2 shown]
	v_cmp_neq_f32_e64 s[22:23], v38, v37
	v_cmp_class_f32_e64 s[24:25], v38, s24
	s_or_b64 s[22:23], s[22:23], s[24:25]
	s_and_saveexec_b64 s[24:25], s[22:23]
	s_cbranch_execz .LBB408_292
; %bb.291:
	v_sub_f32_e32 v35, v38, v37
	s_mov_b32 s22, 0x3fb8aa3b
	v_mul_f32_e32 v36, 0x3fb8aa3b, v35
	v_fma_f32 v38, v35, s22, -v36
	v_rndne_f32_e32 v49, v36
	v_fmamk_f32 v38, v35, 0x32a5705f, v38
	v_sub_f32_e32 v36, v36, v49
	v_add_f32_e32 v36, v36, v38
	v_exp_f32_e32 v36, v36
	v_cvt_i32_f32_e32 v38, v49
	s_mov_b32 s22, 0xc2ce8ed0
	v_cmp_ngt_f32_e64 s[22:23], s22, v35
	s_mov_b32 s26, 0x7f800000
	v_ldexp_f32 v36, v36, v38
	v_cndmask_b32_e64 v36, 0, v36, s[22:23]
	s_mov_b32 s22, 0x42b17218
	v_mov_b32_e32 v38, 0x7f800000
	v_cmp_nlt_f32_e64 s[22:23], s22, v35
	s_nop 1
	v_cndmask_b32_e64 v49, v38, v36, s[22:23]
	v_add_f32_e32 v35, 1.0, v49
	v_add_f32_e32 v36, -1.0, v35
	v_sub_f32_e32 v38, v36, v35
	v_add_f32_e32 v38, 1.0, v38
	v_sub_f32_e32 v36, v49, v36
	v_add_f32_e32 v36, v36, v38
	v_frexp_mant_f32_e32 v38, v35
	s_mov_b32 s22, 0x3f2aaaab
	v_cvt_f64_f32_e32 v[50:51], v35
	v_frexp_exp_i32_f64_e32 v50, v[50:51]
	v_cmp_gt_f32_e64 s[22:23], s22, v38
	s_nop 1
	v_subbrev_co_u32_e64 v38, s[22:23], 0, v50, s[22:23]
	v_sub_u32_e32 v50, 0, v38
	v_ldexp_f32 v35, v35, v50
	v_ldexp_f32 v36, v36, v50
	v_add_f32_e32 v50, -1.0, v35
	v_add_f32_e32 v51, 1.0, v50
	v_sub_f32_e32 v51, v35, v51
	v_add_f32_e32 v52, v36, v51
	v_add_f32_e32 v51, 1.0, v35
	v_add_f32_e32 v53, -1.0, v51
	v_sub_f32_e32 v35, v35, v53
	v_add_f32_e32 v35, v36, v35
	v_add_f32_e32 v36, v51, v35
	v_rcp_f32_e32 v66, v36
	v_sub_f32_e32 v51, v51, v36
	v_add_f32_e32 v35, v35, v51
	v_add_f32_e32 v51, v50, v52
	v_sub_f32_e32 v50, v50, v51
	v_mul_f32_e32 v68, v51, v66
	v_add_f32_e32 v67, v52, v50
	v_mul_f32_e32 v52, v36, v68
	v_fma_f32 v54, v68, v36, -v52
	v_fmac_f32_e32 v54, v68, v35
	v_add_f32_e32 v50, v52, v54
	v_sub_f32_e32 v53, v51, v50
	v_pk_add_f32 v[64:65], v[50:51], v[52:53] neg_lo:[0,1] neg_hi:[0,1]
	v_mov_b32_e32 v55, v50
	v_pk_add_f32 v[50:51], v[64:65], v[54:55] neg_lo:[0,1] neg_hi:[0,1]
	s_mov_b32 s22, 0x3f317218
	v_add_f32_e32 v51, v67, v51
	v_add_f32_e32 v50, v50, v51
	;; [unrolled: 1-line block ×3, first 2 shown]
	v_mul_f32_e32 v67, v66, v51
	v_mul_f32_e32 v52, v36, v67
	v_fma_f32 v54, v67, v36, -v52
	v_fmac_f32_e32 v54, v67, v35
	v_sub_f32_e32 v35, v53, v51
	v_add_f32_e32 v35, v50, v35
	v_add_f32_e32 v50, v52, v54
	v_sub_f32_e32 v53, v51, v50
	v_pk_add_f32 v[64:65], v[50:51], v[52:53] neg_lo:[0,1] neg_hi:[0,1]
	v_mov_b32_e32 v55, v50
	v_pk_add_f32 v[50:51], v[64:65], v[54:55] neg_lo:[0,1] neg_hi:[0,1]
	v_add_f32_e32 v36, v68, v67
	v_add_f32_e32 v35, v35, v51
	v_add_f32_e32 v35, v50, v35
	v_add_f32_e32 v35, v53, v35
	v_sub_f32_e32 v50, v36, v68
	v_mul_f32_e32 v35, v66, v35
	v_sub_f32_e32 v50, v67, v50
	v_add_f32_e32 v35, v50, v35
	v_add_f32_e32 v50, v36, v35
	v_cvt_f32_i32_e32 v52, v38
	v_mul_f32_e32 v53, v50, v50
	v_mov_b32_e32 v51, 0x3ecc95a3
	v_fmac_f32_e32 v51, 0x3e9b6dac, v53
	v_fmaak_f32 v51, v53, v51, 0x3f2aaada
	v_sub_f32_e32 v36, v50, v36
	v_ldexp_f32 v55, v50, 1
	v_mul_f32_e32 v53, v50, v53
	v_mov_b32_e32 v50, 0x3f317218
	v_pk_mul_f32 v[50:51], v[52:53], v[50:51]
	v_sub_f32_e32 v35, v35, v36
	v_fma_f32 v36, v52, s22, -v50
	v_fmamk_f32 v54, v52, 0xb102e308, v36
	v_pk_add_f32 v[52:53], v[50:51], v[54:55]
	v_ldexp_f32 v35, v35, 1
	v_sub_f32_e32 v36, v53, v55
	v_sub_f32_e32 v36, v51, v36
	v_add_f32_e32 v65, v35, v36
	v_mov_b32_e32 v64, v50
	v_pk_add_f32 v[50:51], v[52:53], v[50:51] neg_lo:[0,1] neg_hi:[0,1]
	v_pk_add_f32 v[66:67], v[52:53], v[64:65]
	v_mov_b32_e32 v55, v52
	v_mov_b32_e32 v51, v67
	v_pk_add_f32 v[68:69], v[54:55], v[50:51] neg_lo:[0,1] neg_hi:[0,1]
	v_pk_add_f32 v[50:51], v[54:55], v[50:51]
	v_cmp_eq_f32_e64 s[22:23], s26, v49
	v_mov_b32_e32 v36, v51
	v_pk_add_f32 v[54:55], v[36:37], v[52:53] neg_lo:[0,1] neg_hi:[0,1]
	v_mov_b32_e32 v50, v67
	v_mov_b32_e32 v35, v54
	v_pk_add_f32 v[70:71], v[66:67], v[34:35] neg_lo:[0,1] neg_hi:[0,1]
	v_mov_b32_e32 v66, v53
	v_mov_b32_e32 v67, v54
	;; [unrolled: 1-line block ×3, first 2 shown]
	v_pk_add_f32 v[50:51], v[50:51], v[66:67] neg_lo:[0,1] neg_hi:[0,1]
	v_mov_b32_e32 v54, v65
	v_mov_b32_e32 v55, v52
	v_pk_add_f32 v[50:51], v[54:55], v[50:51] neg_lo:[0,1] neg_hi:[0,1]
	v_mov_b32_e32 v70, v68
	v_pk_add_f32 v[52:53], v[70:71], v[50:51]
	s_mov_b32 s26, 0x33800000
	v_mov_b32_e32 v38, v53
	v_pk_add_f32 v[54:55], v[52:53], v[38:39]
	v_cmp_lt_f32_e64 s[26:27], |v49|, s26
	v_pk_add_f32 v[64:65], v[36:37], v[54:55]
	v_mov_b32_e32 v51, v54
	v_mov_b32_e32 v53, v64
	v_pk_add_f32 v[66:67], v[52:53], v[68:69] neg_lo:[0,1] neg_hi:[0,1]
	s_or_b64 s[22:23], s[22:23], s[26:27]
	v_sub_f32_e32 v35, v52, v66
	v_pk_add_f32 v[50:51], v[50:51], v[66:67] neg_lo:[0,1] neg_hi:[0,1]
	v_sub_f32_e32 v35, v68, v35
	v_add_f32_e32 v35, v50, v35
	v_add_f32_e32 v35, v35, v51
	;; [unrolled: 1-line block ×3, first 2 shown]
	v_cndmask_b32_e64 v35, v35, v49, s[22:23]
	v_add_f32_e32 v35, v37, v35
	v_cvt_f16_f32_e32 v35, v35
	v_cvt_f32_f16_e32 v36, v35
.LBB408_292:
	s_or_b64 exec, exec, s[24:25]
	v_cvt_f32_f16_sdwa v49, v21 dst_sel:DWORD dst_unused:UNUSED_PAD src0_sel:WORD_1
	v_max_f32_e32 v38, v36, v36
	v_cmp_u_f16_e64 s[24:25], v35, v35
	v_cmp_u_f16_sdwa s[22:23], v21, v21 src0_sel:WORD_1 src1_sel:WORD_1
	v_min_f32_e32 v37, v38, v49
	v_max_f32_e32 v21, v38, v49
	v_cndmask_b32_e64 v37, v37, v36, s[24:25]
	v_cndmask_b32_e64 v21, v21, v36, s[24:25]
	;; [unrolled: 1-line block ×4, first 2 shown]
	s_movk_i32 s28, 0x1f8
	v_cmp_neq_f32_e64 s[24:25], v37, v21
	v_cmp_class_f32_e64 s[26:27], v37, s28
	s_or_b64 s[24:25], s[24:25], s[26:27]
	s_and_saveexec_b64 s[26:27], s[24:25]
	s_cbranch_execz .LBB408_294
; %bb.293:
	v_sub_f32_e32 v35, v37, v21
	s_mov_b32 s24, 0x3fb8aa3b
	v_mul_f32_e32 v36, 0x3fb8aa3b, v35
	v_fma_f32 v37, v35, s24, -v36
	v_rndne_f32_e32 v38, v36
	v_fmamk_f32 v37, v35, 0x32a5705f, v37
	v_sub_f32_e32 v36, v36, v38
	v_add_f32_e32 v36, v36, v37
	v_exp_f32_e32 v36, v36
	v_cvt_i32_f32_e32 v37, v38
	s_mov_b32 s24, 0xc2ce8ed0
	v_cmp_ngt_f32_e64 s[24:25], s24, v35
	s_mov_b32 s29, 0x7f800000
	v_ldexp_f32 v36, v36, v37
	v_cndmask_b32_e64 v36, 0, v36, s[24:25]
	s_mov_b32 s24, 0x42b17218
	v_mov_b32_e32 v37, 0x7f800000
	v_cmp_nlt_f32_e64 s[24:25], s24, v35
	s_nop 1
	v_cndmask_b32_e64 v70, v37, v36, s[24:25]
	v_add_f32_e32 v35, 1.0, v70
	v_add_f32_e32 v36, -1.0, v35
	v_sub_f32_e32 v37, v36, v35
	v_add_f32_e32 v37, 1.0, v37
	v_sub_f32_e32 v36, v70, v36
	v_add_f32_e32 v38, v36, v37
	v_frexp_mant_f32_e32 v50, v35
	s_mov_b32 s24, 0x3f2aaaab
	v_cvt_f64_f32_e32 v[36:37], v35
	v_frexp_exp_i32_f64_e32 v36, v[36:37]
	v_cmp_gt_f32_e64 s[24:25], s24, v50
	s_nop 1
	v_subbrev_co_u32_e64 v64, s[24:25], 0, v36, s[24:25]
	v_sub_u32_e32 v36, 0, v64
	v_ldexp_f32 v35, v35, v36
	v_ldexp_f32 v36, v38, v36
	v_add_f32_e32 v38, -1.0, v35
	v_add_f32_e32 v37, 1.0, v38
	v_sub_f32_e32 v37, v35, v37
	v_add_f32_e32 v50, v36, v37
	v_add_f32_e32 v37, 1.0, v35
	v_add_f32_e32 v51, -1.0, v37
	v_sub_f32_e32 v35, v35, v51
	v_add_f32_e32 v35, v36, v35
	v_add_f32_e32 v65, v37, v35
	v_rcp_f32_e32 v66, v65
	v_sub_f32_e32 v36, v37, v65
	v_add_f32_e32 v37, v38, v50
	v_add_f32_e32 v35, v35, v36
	v_sub_f32_e32 v36, v38, v37
	v_mul_f32_e32 v67, v37, v66
	v_add_f32_e32 v38, v50, v36
	v_mul_f32_e32 v50, v65, v67
	v_fma_f32 v52, v67, v65, -v50
	v_fmac_f32_e32 v52, v67, v35
	v_add_f32_e32 v36, v50, v52
	v_sub_f32_e32 v51, v37, v36
	v_pk_add_f32 v[54:55], v[36:37], v[50:51] neg_lo:[0,1] neg_hi:[0,1]
	v_mov_b32_e32 v53, v36
	v_pk_add_f32 v[36:37], v[54:55], v[52:53] neg_lo:[0,1] neg_hi:[0,1]
	s_mov_b32 s24, 0x3f317218
	v_add_f32_e32 v37, v38, v37
	v_add_f32_e32 v36, v36, v37
	;; [unrolled: 1-line block ×3, first 2 shown]
	v_mul_f32_e32 v38, v66, v37
	v_mul_f32_e32 v50, v65, v38
	v_fma_f32 v52, v38, v65, -v50
	v_fmac_f32_e32 v52, v38, v35
	v_sub_f32_e32 v35, v51, v37
	v_add_f32_e32 v35, v36, v35
	v_add_f32_e32 v36, v50, v52
	v_sub_f32_e32 v51, v37, v36
	v_pk_add_f32 v[54:55], v[36:37], v[50:51] neg_lo:[0,1] neg_hi:[0,1]
	v_mov_b32_e32 v53, v36
	v_pk_add_f32 v[36:37], v[54:55], v[52:53] neg_lo:[0,1] neg_hi:[0,1]
	v_cvt_f32_i32_e32 v50, v64
	v_add_f32_e32 v35, v35, v37
	v_add_f32_e32 v35, v36, v35
	v_add_f32_e32 v36, v67, v38
	v_add_f32_e32 v35, v51, v35
	v_sub_f32_e32 v37, v36, v67
	v_mul_f32_e32 v35, v66, v35
	v_sub_f32_e32 v37, v38, v37
	v_add_f32_e32 v35, v37, v35
	v_add_f32_e32 v38, v36, v35
	v_mul_f32_e32 v51, v38, v38
	v_mov_b32_e32 v37, 0x3ecc95a3
	v_fmac_f32_e32 v37, 0x3e9b6dac, v51
	v_sub_f32_e32 v36, v38, v36
	v_fmaak_f32 v37, v51, v37, 0x3f2aaada
	v_sub_f32_e32 v35, v35, v36
	v_mul_f32_e32 v51, v38, v51
	v_mov_b32_e32 v36, 0x3f317218
	v_pk_mul_f32 v[36:37], v[50:51], v[36:37]
	v_ldexp_f32 v53, v38, 1
	v_fma_f32 v38, v50, s24, -v36
	v_fmamk_f32 v52, v50, 0xb102e308, v38
	v_pk_add_f32 v[50:51], v[36:37], v[52:53]
	v_ldexp_f32 v35, v35, 1
	v_sub_f32_e32 v38, v51, v53
	v_sub_f32_e32 v38, v37, v38
	v_add_f32_e32 v55, v35, v38
	v_mov_b32_e32 v54, v36
	v_pk_add_f32 v[36:37], v[50:51], v[36:37] neg_lo:[0,1] neg_hi:[0,1]
	v_pk_add_f32 v[64:65], v[50:51], v[54:55]
	v_mov_b32_e32 v53, v50
	v_mov_b32_e32 v37, v65
	v_pk_add_f32 v[66:67], v[52:53], v[36:37] neg_lo:[0,1] neg_hi:[0,1]
	v_pk_add_f32 v[36:37], v[52:53], v[36:37]
	v_cmp_eq_f32_e64 s[24:25], s29, v70
	v_mov_b32_e32 v38, v37
	v_pk_add_f32 v[52:53], v[38:39], v[50:51] neg_lo:[0,1] neg_hi:[0,1]
	v_mov_b32_e32 v36, v65
	v_mov_b32_e32 v35, v52
	v_pk_add_f32 v[68:69], v[64:65], v[34:35] neg_lo:[0,1] neg_hi:[0,1]
	v_mov_b32_e32 v64, v51
	v_mov_b32_e32 v65, v52
	;; [unrolled: 1-line block ×3, first 2 shown]
	v_pk_add_f32 v[36:37], v[36:37], v[64:65] neg_lo:[0,1] neg_hi:[0,1]
	v_mov_b32_e32 v52, v55
	v_mov_b32_e32 v53, v50
	v_pk_add_f32 v[36:37], v[52:53], v[36:37] neg_lo:[0,1] neg_hi:[0,1]
	v_mov_b32_e32 v68, v66
	v_pk_add_f32 v[50:51], v[68:69], v[36:37]
	s_mov_b32 s29, 0x33800000
	v_mov_b32_e32 v52, v51
	v_pk_add_f32 v[52:53], v[50:51], v[52:53]
	v_cmp_lt_f32_e64 s[30:31], |v70|, s29
	v_pk_add_f32 v[54:55], v[38:39], v[52:53]
	v_mov_b32_e32 v37, v52
	v_mov_b32_e32 v51, v54
	v_pk_add_f32 v[64:65], v[50:51], v[66:67] neg_lo:[0,1] neg_hi:[0,1]
	s_or_b64 s[24:25], s[24:25], s[30:31]
	v_sub_f32_e32 v35, v50, v64
	v_pk_add_f32 v[36:37], v[36:37], v[64:65] neg_lo:[0,1] neg_hi:[0,1]
	v_sub_f32_e32 v35, v66, v35
	v_add_f32_e32 v35, v36, v35
	v_add_f32_e32 v35, v35, v37
	;; [unrolled: 1-line block ×3, first 2 shown]
	v_cndmask_b32_e64 v35, v35, v70, s[24:25]
	v_add_f32_e32 v21, v21, v35
	v_cvt_f16_f32_e32 v35, v21
	v_cvt_f32_f16_e32 v36, v35
.LBB408_294:
	s_or_b64 exec, exec, s[26:27]
	v_cvt_f32_f16_e32 v21, v22
	v_max_f32_e32 v37, v36, v36
	v_cmp_u_f16_e64 s[26:27], v35, v35
	v_cmp_u_f16_e64 s[24:25], v22, v22
	v_min_f32_e32 v38, v37, v21
	v_max_f32_e32 v37, v37, v21
	v_cndmask_b32_e64 v38, v38, v36, s[26:27]
	v_cndmask_b32_e64 v37, v37, v36, s[26:27]
	;; [unrolled: 1-line block ×4, first 2 shown]
	v_cmp_neq_f32_e64 s[26:27], v38, v37
	v_cmp_class_f32_e64 s[28:29], v38, s28
	s_or_b64 s[26:27], s[26:27], s[28:29]
	s_and_saveexec_b64 s[28:29], s[26:27]
	s_cbranch_execz .LBB408_296
; %bb.295:
	v_sub_f32_e32 v35, v38, v37
	s_mov_b32 s26, 0x3fb8aa3b
	v_mul_f32_e32 v36, 0x3fb8aa3b, v35
	v_fma_f32 v38, v35, s26, -v36
	v_rndne_f32_e32 v50, v36
	v_fmamk_f32 v38, v35, 0x32a5705f, v38
	v_sub_f32_e32 v36, v36, v50
	v_add_f32_e32 v36, v36, v38
	v_exp_f32_e32 v36, v36
	v_cvt_i32_f32_e32 v38, v50
	s_mov_b32 s26, 0xc2ce8ed0
	v_cmp_ngt_f32_e64 s[26:27], s26, v35
	s_mov_b32 s30, 0x7f800000
	v_ldexp_f32 v36, v36, v38
	v_cndmask_b32_e64 v36, 0, v36, s[26:27]
	s_mov_b32 s26, 0x42b17218
	v_mov_b32_e32 v38, 0x7f800000
	v_cmp_nlt_f32_e64 s[26:27], s26, v35
	s_nop 1
	v_cndmask_b32_e64 v80, v38, v36, s[26:27]
	v_add_f32_e32 v35, 1.0, v80
	v_add_f32_e32 v36, -1.0, v35
	v_sub_f32_e32 v38, v36, v35
	v_add_f32_e32 v38, 1.0, v38
	v_sub_f32_e32 v36, v80, v36
	v_add_f32_e32 v36, v36, v38
	v_frexp_mant_f32_e32 v38, v35
	s_mov_b32 s26, 0x3f2aaaab
	v_cvt_f64_f32_e32 v[50:51], v35
	v_frexp_exp_i32_f64_e32 v50, v[50:51]
	v_cmp_gt_f32_e64 s[26:27], s26, v38
	s_nop 1
	v_subbrev_co_u32_e64 v38, s[26:27], 0, v50, s[26:27]
	v_sub_u32_e32 v50, 0, v38
	v_ldexp_f32 v35, v35, v50
	v_ldexp_f32 v36, v36, v50
	v_add_f32_e32 v50, -1.0, v35
	v_add_f32_e32 v51, 1.0, v50
	v_sub_f32_e32 v51, v35, v51
	v_add_f32_e32 v52, v36, v51
	v_add_f32_e32 v51, 1.0, v35
	v_add_f32_e32 v53, -1.0, v51
	v_sub_f32_e32 v35, v35, v53
	v_add_f32_e32 v35, v36, v35
	v_add_f32_e32 v36, v51, v35
	v_rcp_f32_e32 v66, v36
	v_sub_f32_e32 v51, v51, v36
	v_add_f32_e32 v35, v35, v51
	v_add_f32_e32 v51, v50, v52
	v_sub_f32_e32 v50, v50, v51
	v_mul_f32_e32 v68, v51, v66
	v_add_f32_e32 v67, v52, v50
	v_mul_f32_e32 v52, v36, v68
	v_fma_f32 v54, v68, v36, -v52
	v_fmac_f32_e32 v54, v68, v35
	v_add_f32_e32 v50, v52, v54
	v_sub_f32_e32 v53, v51, v50
	v_pk_add_f32 v[64:65], v[50:51], v[52:53] neg_lo:[0,1] neg_hi:[0,1]
	v_mov_b32_e32 v55, v50
	v_pk_add_f32 v[50:51], v[64:65], v[54:55] neg_lo:[0,1] neg_hi:[0,1]
	s_mov_b32 s26, 0x3f317218
	v_add_f32_e32 v51, v67, v51
	v_add_f32_e32 v50, v50, v51
	;; [unrolled: 1-line block ×3, first 2 shown]
	v_mul_f32_e32 v67, v66, v51
	v_mul_f32_e32 v52, v36, v67
	v_fma_f32 v54, v67, v36, -v52
	v_fmac_f32_e32 v54, v67, v35
	v_sub_f32_e32 v35, v53, v51
	v_add_f32_e32 v35, v50, v35
	v_add_f32_e32 v50, v52, v54
	v_sub_f32_e32 v53, v51, v50
	v_pk_add_f32 v[64:65], v[50:51], v[52:53] neg_lo:[0,1] neg_hi:[0,1]
	v_mov_b32_e32 v55, v50
	v_pk_add_f32 v[50:51], v[64:65], v[54:55] neg_lo:[0,1] neg_hi:[0,1]
	v_add_f32_e32 v36, v68, v67
	v_add_f32_e32 v35, v35, v51
	;; [unrolled: 1-line block ×4, first 2 shown]
	v_sub_f32_e32 v50, v36, v68
	v_mul_f32_e32 v35, v66, v35
	v_sub_f32_e32 v50, v67, v50
	v_add_f32_e32 v35, v50, v35
	v_add_f32_e32 v50, v36, v35
	v_cvt_f32_i32_e32 v52, v38
	v_mul_f32_e32 v53, v50, v50
	v_mov_b32_e32 v51, 0x3ecc95a3
	v_fmac_f32_e32 v51, 0x3e9b6dac, v53
	v_fmaak_f32 v51, v53, v51, 0x3f2aaada
	v_sub_f32_e32 v36, v50, v36
	v_ldexp_f32 v55, v50, 1
	v_mul_f32_e32 v53, v50, v53
	v_mov_b32_e32 v50, 0x3f317218
	v_pk_mul_f32 v[50:51], v[52:53], v[50:51]
	v_sub_f32_e32 v35, v35, v36
	v_fma_f32 v36, v52, s26, -v50
	v_fmamk_f32 v54, v52, 0xb102e308, v36
	v_pk_add_f32 v[52:53], v[50:51], v[54:55]
	v_ldexp_f32 v35, v35, 1
	v_sub_f32_e32 v36, v53, v55
	v_sub_f32_e32 v36, v51, v36
	v_add_f32_e32 v65, v35, v36
	v_mov_b32_e32 v64, v50
	v_pk_add_f32 v[50:51], v[52:53], v[50:51] neg_lo:[0,1] neg_hi:[0,1]
	v_pk_add_f32 v[66:67], v[52:53], v[64:65]
	v_mov_b32_e32 v55, v52
	v_mov_b32_e32 v51, v67
	v_pk_add_f32 v[68:69], v[54:55], v[50:51] neg_lo:[0,1] neg_hi:[0,1]
	v_pk_add_f32 v[50:51], v[54:55], v[50:51]
	v_cmp_eq_f32_e64 s[26:27], s30, v80
	v_mov_b32_e32 v36, v51
	v_pk_add_f32 v[54:55], v[36:37], v[52:53] neg_lo:[0,1] neg_hi:[0,1]
	v_mov_b32_e32 v50, v67
	v_mov_b32_e32 v35, v54
	v_pk_add_f32 v[70:71], v[66:67], v[34:35] neg_lo:[0,1] neg_hi:[0,1]
	v_mov_b32_e32 v66, v53
	v_mov_b32_e32 v67, v54
	;; [unrolled: 1-line block ×3, first 2 shown]
	v_pk_add_f32 v[50:51], v[50:51], v[66:67] neg_lo:[0,1] neg_hi:[0,1]
	v_mov_b32_e32 v54, v65
	v_mov_b32_e32 v55, v52
	v_pk_add_f32 v[50:51], v[54:55], v[50:51] neg_lo:[0,1] neg_hi:[0,1]
	v_mov_b32_e32 v70, v68
	v_pk_add_f32 v[52:53], v[70:71], v[50:51]
	s_mov_b32 s30, 0x33800000
	v_mov_b32_e32 v38, v53
	v_pk_add_f32 v[54:55], v[52:53], v[38:39]
	v_cmp_lt_f32_e64 s[30:31], |v80|, s30
	v_pk_add_f32 v[64:65], v[36:37], v[54:55]
	v_mov_b32_e32 v51, v54
	v_mov_b32_e32 v53, v64
	v_pk_add_f32 v[66:67], v[52:53], v[68:69] neg_lo:[0,1] neg_hi:[0,1]
	s_or_b64 s[26:27], s[26:27], s[30:31]
	v_sub_f32_e32 v35, v52, v66
	v_pk_add_f32 v[50:51], v[50:51], v[66:67] neg_lo:[0,1] neg_hi:[0,1]
	v_sub_f32_e32 v35, v68, v35
	v_add_f32_e32 v35, v50, v35
	v_add_f32_e32 v35, v35, v51
	;; [unrolled: 1-line block ×3, first 2 shown]
	v_cndmask_b32_e64 v35, v35, v80, s[26:27]
	v_add_f32_e32 v35, v37, v35
	v_cvt_f16_f32_e32 v35, v35
	v_cvt_f32_f16_e32 v36, v35
.LBB408_296:
	s_or_b64 exec, exec, s[28:29]
	v_cvt_f32_f16_sdwa v50, v22 dst_sel:DWORD dst_unused:UNUSED_PAD src0_sel:WORD_1
	v_max_f32_e32 v38, v36, v36
	v_cmp_u_f16_e64 s[28:29], v35, v35
	v_cmp_u_f16_sdwa s[26:27], v22, v22 src0_sel:WORD_1 src1_sel:WORD_1
	v_min_f32_e32 v37, v38, v50
	v_max_f32_e32 v22, v38, v50
	v_cndmask_b32_e64 v37, v37, v36, s[28:29]
	v_cndmask_b32_e64 v22, v22, v36, s[28:29]
	;; [unrolled: 1-line block ×4, first 2 shown]
	s_movk_i32 s34, 0x1f8
	v_cmp_neq_f32_e64 s[28:29], v37, v22
	v_cmp_class_f32_e64 s[30:31], v37, s34
	s_or_b64 s[28:29], s[28:29], s[30:31]
	s_and_saveexec_b64 s[30:31], s[28:29]
	s_cbranch_execz .LBB408_298
; %bb.297:
	v_sub_f32_e32 v35, v37, v22
	s_mov_b32 s28, 0x3fb8aa3b
	v_mul_f32_e32 v36, 0x3fb8aa3b, v35
	v_fma_f32 v37, v35, s28, -v36
	v_rndne_f32_e32 v38, v36
	v_fmamk_f32 v37, v35, 0x32a5705f, v37
	v_sub_f32_e32 v36, v36, v38
	v_add_f32_e32 v36, v36, v37
	v_exp_f32_e32 v36, v36
	v_cvt_i32_f32_e32 v37, v38
	s_mov_b32 s28, 0xc2ce8ed0
	v_cmp_ngt_f32_e64 s[28:29], s28, v35
	s_mov_b32 s35, 0x7f800000
	v_ldexp_f32 v36, v36, v37
	v_cndmask_b32_e64 v36, 0, v36, s[28:29]
	s_mov_b32 s28, 0x42b17218
	v_mov_b32_e32 v37, 0x7f800000
	v_cmp_nlt_f32_e64 s[28:29], s28, v35
	s_nop 1
	v_cndmask_b32_e64 v51, v37, v36, s[28:29]
	v_add_f32_e32 v35, 1.0, v51
	v_add_f32_e32 v36, -1.0, v35
	v_sub_f32_e32 v37, v36, v35
	v_add_f32_e32 v37, 1.0, v37
	v_sub_f32_e32 v36, v51, v36
	v_add_f32_e32 v38, v36, v37
	v_frexp_mant_f32_e32 v52, v35
	s_mov_b32 s28, 0x3f2aaaab
	v_cvt_f64_f32_e32 v[36:37], v35
	v_frexp_exp_i32_f64_e32 v36, v[36:37]
	v_cmp_gt_f32_e64 s[28:29], s28, v52
	s_nop 1
	v_subbrev_co_u32_e64 v66, s[28:29], 0, v36, s[28:29]
	v_sub_u32_e32 v36, 0, v66
	v_ldexp_f32 v35, v35, v36
	v_ldexp_f32 v36, v38, v36
	v_add_f32_e32 v38, -1.0, v35
	v_add_f32_e32 v37, 1.0, v38
	v_sub_f32_e32 v37, v35, v37
	v_add_f32_e32 v52, v36, v37
	v_add_f32_e32 v37, 1.0, v35
	v_add_f32_e32 v53, -1.0, v37
	v_sub_f32_e32 v35, v35, v53
	v_add_f32_e32 v35, v36, v35
	v_add_f32_e32 v67, v37, v35
	v_rcp_f32_e32 v68, v67
	v_sub_f32_e32 v36, v37, v67
	v_add_f32_e32 v37, v38, v52
	v_add_f32_e32 v35, v35, v36
	v_sub_f32_e32 v36, v38, v37
	v_mul_f32_e32 v69, v37, v68
	v_add_f32_e32 v38, v52, v36
	v_mul_f32_e32 v52, v67, v69
	v_fma_f32 v54, v69, v67, -v52
	v_fmac_f32_e32 v54, v69, v35
	v_add_f32_e32 v36, v52, v54
	v_sub_f32_e32 v53, v37, v36
	v_pk_add_f32 v[64:65], v[36:37], v[52:53] neg_lo:[0,1] neg_hi:[0,1]
	v_mov_b32_e32 v55, v36
	v_pk_add_f32 v[36:37], v[64:65], v[54:55] neg_lo:[0,1] neg_hi:[0,1]
	s_mov_b32 s28, 0x3f317218
	v_add_f32_e32 v37, v38, v37
	v_add_f32_e32 v36, v36, v37
	;; [unrolled: 1-line block ×3, first 2 shown]
	v_mul_f32_e32 v38, v68, v37
	v_mul_f32_e32 v52, v67, v38
	v_fma_f32 v54, v38, v67, -v52
	v_fmac_f32_e32 v54, v38, v35
	v_sub_f32_e32 v35, v53, v37
	v_add_f32_e32 v35, v36, v35
	v_add_f32_e32 v36, v52, v54
	v_sub_f32_e32 v53, v37, v36
	v_pk_add_f32 v[64:65], v[36:37], v[52:53] neg_lo:[0,1] neg_hi:[0,1]
	v_mov_b32_e32 v55, v36
	v_pk_add_f32 v[36:37], v[64:65], v[54:55] neg_lo:[0,1] neg_hi:[0,1]
	v_cvt_f32_i32_e32 v52, v66
	v_add_f32_e32 v35, v35, v37
	v_add_f32_e32 v35, v36, v35
	v_add_f32_e32 v36, v69, v38
	v_add_f32_e32 v35, v53, v35
	v_sub_f32_e32 v37, v36, v69
	v_mul_f32_e32 v35, v68, v35
	v_sub_f32_e32 v37, v38, v37
	v_add_f32_e32 v35, v37, v35
	v_add_f32_e32 v38, v36, v35
	v_mul_f32_e32 v53, v38, v38
	v_mov_b32_e32 v37, 0x3ecc95a3
	v_fmac_f32_e32 v37, 0x3e9b6dac, v53
	v_sub_f32_e32 v36, v38, v36
	v_fmaak_f32 v37, v53, v37, 0x3f2aaada
	v_sub_f32_e32 v35, v35, v36
	v_mul_f32_e32 v53, v38, v53
	v_mov_b32_e32 v36, 0x3f317218
	v_pk_mul_f32 v[36:37], v[52:53], v[36:37]
	v_ldexp_f32 v55, v38, 1
	v_fma_f32 v38, v52, s28, -v36
	v_fmamk_f32 v54, v52, 0xb102e308, v38
	v_pk_add_f32 v[52:53], v[36:37], v[54:55]
	v_ldexp_f32 v35, v35, 1
	v_sub_f32_e32 v38, v53, v55
	v_sub_f32_e32 v38, v37, v38
	v_add_f32_e32 v65, v35, v38
	v_mov_b32_e32 v64, v36
	v_pk_add_f32 v[36:37], v[52:53], v[36:37] neg_lo:[0,1] neg_hi:[0,1]
	v_pk_add_f32 v[66:67], v[52:53], v[64:65]
	v_mov_b32_e32 v55, v52
	v_mov_b32_e32 v37, v67
	v_pk_add_f32 v[68:69], v[54:55], v[36:37] neg_lo:[0,1] neg_hi:[0,1]
	v_pk_add_f32 v[36:37], v[54:55], v[36:37]
	v_cmp_eq_f32_e64 s[28:29], s35, v51
	v_mov_b32_e32 v38, v37
	v_pk_add_f32 v[54:55], v[38:39], v[52:53] neg_lo:[0,1] neg_hi:[0,1]
	v_mov_b32_e32 v36, v67
	v_mov_b32_e32 v35, v54
	v_pk_add_f32 v[70:71], v[66:67], v[34:35] neg_lo:[0,1] neg_hi:[0,1]
	v_mov_b32_e32 v66, v53
	v_mov_b32_e32 v67, v54
	;; [unrolled: 1-line block ×3, first 2 shown]
	v_pk_add_f32 v[36:37], v[36:37], v[66:67] neg_lo:[0,1] neg_hi:[0,1]
	v_mov_b32_e32 v54, v65
	v_mov_b32_e32 v55, v52
	v_pk_add_f32 v[36:37], v[54:55], v[36:37] neg_lo:[0,1] neg_hi:[0,1]
	v_mov_b32_e32 v70, v68
	v_pk_add_f32 v[52:53], v[70:71], v[36:37]
	s_mov_b32 s35, 0x33800000
	v_mov_b32_e32 v54, v53
	v_pk_add_f32 v[54:55], v[52:53], v[54:55]
	v_cmp_lt_f32_e64 s[36:37], |v51|, s35
	v_pk_add_f32 v[64:65], v[38:39], v[54:55]
	v_mov_b32_e32 v37, v54
	v_mov_b32_e32 v53, v64
	v_pk_add_f32 v[66:67], v[52:53], v[68:69] neg_lo:[0,1] neg_hi:[0,1]
	s_or_b64 s[28:29], s[28:29], s[36:37]
	v_sub_f32_e32 v35, v52, v66
	v_pk_add_f32 v[36:37], v[36:37], v[66:67] neg_lo:[0,1] neg_hi:[0,1]
	v_sub_f32_e32 v35, v68, v35
	v_add_f32_e32 v35, v36, v35
	v_add_f32_e32 v35, v35, v37
	;; [unrolled: 1-line block ×3, first 2 shown]
	v_cndmask_b32_e64 v35, v35, v51, s[28:29]
	v_add_f32_e32 v22, v22, v35
	v_cvt_f16_f32_e32 v35, v22
	v_cvt_f32_f16_e32 v36, v35
.LBB408_298:
	s_or_b64 exec, exec, s[30:31]
	v_cvt_f32_f16_e32 v22, v23
	v_max_f32_e32 v37, v36, v36
	v_cmp_u_f16_e64 s[30:31], v35, v35
	v_cmp_u_f16_e64 s[28:29], v23, v23
	v_min_f32_e32 v38, v37, v22
	v_max_f32_e32 v37, v37, v22
	v_cndmask_b32_e64 v38, v38, v36, s[30:31]
	v_cndmask_b32_e64 v37, v37, v36, s[30:31]
	;; [unrolled: 1-line block ×4, first 2 shown]
	v_cmp_neq_f32_e64 s[30:31], v38, v37
	v_cmp_class_f32_e64 s[34:35], v38, s34
	s_or_b64 s[30:31], s[30:31], s[34:35]
	s_and_saveexec_b64 s[34:35], s[30:31]
	s_cbranch_execz .LBB408_300
; %bb.299:
	v_sub_f32_e32 v35, v38, v37
	s_mov_b32 s30, 0x3fb8aa3b
	v_mul_f32_e32 v36, 0x3fb8aa3b, v35
	v_fma_f32 v38, v35, s30, -v36
	v_rndne_f32_e32 v51, v36
	v_fmamk_f32 v38, v35, 0x32a5705f, v38
	v_sub_f32_e32 v36, v36, v51
	v_add_f32_e32 v36, v36, v38
	v_exp_f32_e32 v36, v36
	v_cvt_i32_f32_e32 v38, v51
	s_mov_b32 s30, 0xc2ce8ed0
	v_cmp_ngt_f32_e64 s[30:31], s30, v35
	s_mov_b32 s36, 0x7f800000
	v_ldexp_f32 v36, v36, v38
	v_cndmask_b32_e64 v36, 0, v36, s[30:31]
	s_mov_b32 s30, 0x42b17218
	v_mov_b32_e32 v38, 0x7f800000
	v_cmp_nlt_f32_e64 s[30:31], s30, v35
	s_nop 1
	v_cndmask_b32_e64 v51, v38, v36, s[30:31]
	v_add_f32_e32 v35, 1.0, v51
	v_add_f32_e32 v36, -1.0, v35
	v_sub_f32_e32 v38, v36, v35
	v_add_f32_e32 v38, 1.0, v38
	v_sub_f32_e32 v36, v51, v36
	v_add_f32_e32 v36, v36, v38
	v_frexp_mant_f32_e32 v38, v35
	s_mov_b32 s30, 0x3f2aaaab
	v_cvt_f64_f32_e32 v[52:53], v35
	v_frexp_exp_i32_f64_e32 v52, v[52:53]
	v_cmp_gt_f32_e64 s[30:31], s30, v38
	s_nop 1
	v_subbrev_co_u32_e64 v38, s[30:31], 0, v52, s[30:31]
	v_sub_u32_e32 v52, 0, v38
	v_ldexp_f32 v35, v35, v52
	v_ldexp_f32 v36, v36, v52
	v_add_f32_e32 v52, -1.0, v35
	v_add_f32_e32 v53, 1.0, v52
	v_sub_f32_e32 v53, v35, v53
	v_add_f32_e32 v54, v36, v53
	v_add_f32_e32 v53, 1.0, v35
	v_add_f32_e32 v55, -1.0, v53
	v_sub_f32_e32 v35, v35, v55
	v_add_f32_e32 v35, v36, v35
	v_add_f32_e32 v36, v53, v35
	v_rcp_f32_e32 v68, v36
	v_sub_f32_e32 v53, v53, v36
	v_add_f32_e32 v35, v35, v53
	v_add_f32_e32 v53, v52, v54
	v_sub_f32_e32 v52, v52, v53
	v_mul_f32_e32 v70, v53, v68
	v_add_f32_e32 v69, v54, v52
	v_mul_f32_e32 v54, v36, v70
	v_fma_f32 v64, v70, v36, -v54
	v_fmac_f32_e32 v64, v70, v35
	v_add_f32_e32 v52, v54, v64
	v_sub_f32_e32 v55, v53, v52
	v_pk_add_f32 v[66:67], v[52:53], v[54:55] neg_lo:[0,1] neg_hi:[0,1]
	v_mov_b32_e32 v65, v52
	v_pk_add_f32 v[52:53], v[66:67], v[64:65] neg_lo:[0,1] neg_hi:[0,1]
	s_mov_b32 s30, 0x3f317218
	v_add_f32_e32 v53, v69, v53
	v_add_f32_e32 v52, v52, v53
	;; [unrolled: 1-line block ×3, first 2 shown]
	v_mul_f32_e32 v69, v68, v53
	v_mul_f32_e32 v54, v36, v69
	v_fma_f32 v64, v69, v36, -v54
	v_fmac_f32_e32 v64, v69, v35
	v_sub_f32_e32 v35, v55, v53
	v_add_f32_e32 v35, v52, v35
	v_add_f32_e32 v52, v54, v64
	v_sub_f32_e32 v55, v53, v52
	v_pk_add_f32 v[66:67], v[52:53], v[54:55] neg_lo:[0,1] neg_hi:[0,1]
	v_mov_b32_e32 v65, v52
	v_pk_add_f32 v[52:53], v[66:67], v[64:65] neg_lo:[0,1] neg_hi:[0,1]
	v_add_f32_e32 v36, v70, v69
	v_add_f32_e32 v35, v35, v53
	;; [unrolled: 1-line block ×4, first 2 shown]
	v_sub_f32_e32 v52, v36, v70
	v_mul_f32_e32 v35, v68, v35
	v_sub_f32_e32 v52, v69, v52
	v_add_f32_e32 v35, v52, v35
	v_add_f32_e32 v52, v36, v35
	v_cvt_f32_i32_e32 v54, v38
	v_mul_f32_e32 v55, v52, v52
	v_mov_b32_e32 v53, 0x3ecc95a3
	v_fmac_f32_e32 v53, 0x3e9b6dac, v55
	v_fmaak_f32 v53, v55, v53, 0x3f2aaada
	v_sub_f32_e32 v36, v52, v36
	v_ldexp_f32 v65, v52, 1
	v_mul_f32_e32 v55, v52, v55
	v_mov_b32_e32 v52, 0x3f317218
	v_pk_mul_f32 v[52:53], v[54:55], v[52:53]
	v_sub_f32_e32 v35, v35, v36
	v_fma_f32 v36, v54, s30, -v52
	v_fmamk_f32 v64, v54, 0xb102e308, v36
	v_pk_add_f32 v[54:55], v[52:53], v[64:65]
	v_ldexp_f32 v35, v35, 1
	v_sub_f32_e32 v36, v55, v65
	v_sub_f32_e32 v36, v53, v36
	v_add_f32_e32 v67, v35, v36
	v_mov_b32_e32 v66, v52
	v_pk_add_f32 v[52:53], v[54:55], v[52:53] neg_lo:[0,1] neg_hi:[0,1]
	v_pk_add_f32 v[68:69], v[54:55], v[66:67]
	v_mov_b32_e32 v65, v54
	v_mov_b32_e32 v53, v69
	v_pk_add_f32 v[70:71], v[64:65], v[52:53] neg_lo:[0,1] neg_hi:[0,1]
	v_pk_add_f32 v[52:53], v[64:65], v[52:53]
	v_cmp_eq_f32_e64 s[30:31], s36, v51
	v_mov_b32_e32 v36, v53
	v_pk_add_f32 v[64:65], v[36:37], v[54:55] neg_lo:[0,1] neg_hi:[0,1]
	v_mov_b32_e32 v52, v69
	v_mov_b32_e32 v35, v64
	v_pk_add_f32 v[80:81], v[68:69], v[34:35] neg_lo:[0,1] neg_hi:[0,1]
	v_mov_b32_e32 v68, v55
	v_mov_b32_e32 v69, v64
	;; [unrolled: 1-line block ×3, first 2 shown]
	v_pk_add_f32 v[52:53], v[52:53], v[68:69] neg_lo:[0,1] neg_hi:[0,1]
	v_mov_b32_e32 v64, v67
	v_mov_b32_e32 v65, v54
	v_pk_add_f32 v[52:53], v[64:65], v[52:53] neg_lo:[0,1] neg_hi:[0,1]
	v_mov_b32_e32 v80, v70
	v_pk_add_f32 v[54:55], v[80:81], v[52:53]
	s_mov_b32 s36, 0x33800000
	v_mov_b32_e32 v38, v55
	v_pk_add_f32 v[64:65], v[54:55], v[38:39]
	v_cmp_lt_f32_e64 s[36:37], |v51|, s36
	v_pk_add_f32 v[66:67], v[36:37], v[64:65]
	v_mov_b32_e32 v53, v64
	v_mov_b32_e32 v55, v66
	v_pk_add_f32 v[68:69], v[54:55], v[70:71] neg_lo:[0,1] neg_hi:[0,1]
	s_or_b64 s[30:31], s[30:31], s[36:37]
	v_sub_f32_e32 v35, v54, v68
	v_pk_add_f32 v[52:53], v[52:53], v[68:69] neg_lo:[0,1] neg_hi:[0,1]
	v_sub_f32_e32 v35, v70, v35
	v_add_f32_e32 v35, v52, v35
	v_add_f32_e32 v35, v35, v53
	;; [unrolled: 1-line block ×3, first 2 shown]
	v_cndmask_b32_e64 v35, v35, v51, s[30:31]
	v_add_f32_e32 v35, v37, v35
	v_cvt_f16_f32_e32 v35, v35
	v_cvt_f32_f16_e32 v36, v35
.LBB408_300:
	s_or_b64 exec, exec, s[34:35]
	v_cvt_f32_f16_sdwa v51, v23 dst_sel:DWORD dst_unused:UNUSED_PAD src0_sel:WORD_1
	v_max_f32_e32 v38, v36, v36
	v_cmp_u_f16_e64 s[34:35], v35, v35
	v_cmp_u_f16_sdwa s[30:31], v23, v23 src0_sel:WORD_1 src1_sel:WORD_1
	v_min_f32_e32 v37, v38, v51
	v_max_f32_e32 v23, v38, v51
	v_cndmask_b32_e64 v37, v37, v36, s[34:35]
	v_cndmask_b32_e64 v23, v23, v36, s[34:35]
	;; [unrolled: 1-line block ×4, first 2 shown]
	s_movk_i32 s38, 0x1f8
	v_cmp_neq_f32_e64 s[34:35], v37, v23
	v_cmp_class_f32_e64 s[36:37], v37, s38
	s_or_b64 s[34:35], s[34:35], s[36:37]
	s_and_saveexec_b64 s[36:37], s[34:35]
	s_cbranch_execz .LBB408_302
; %bb.301:
	v_sub_f32_e32 v35, v37, v23
	s_mov_b32 s34, 0x3fb8aa3b
	v_mul_f32_e32 v36, 0x3fb8aa3b, v35
	v_fma_f32 v37, v35, s34, -v36
	v_rndne_f32_e32 v38, v36
	v_fmamk_f32 v37, v35, 0x32a5705f, v37
	v_sub_f32_e32 v36, v36, v38
	v_add_f32_e32 v36, v36, v37
	v_exp_f32_e32 v36, v36
	v_cvt_i32_f32_e32 v37, v38
	s_mov_b32 s34, 0xc2ce8ed0
	v_cmp_ngt_f32_e64 s[34:35], s34, v35
	s_mov_b32 s39, 0x7f800000
	v_ldexp_f32 v36, v36, v37
	v_cndmask_b32_e64 v36, 0, v36, s[34:35]
	s_mov_b32 s34, 0x42b17218
	v_mov_b32_e32 v37, 0x7f800000
	v_cmp_nlt_f32_e64 s[34:35], s34, v35
	s_nop 1
	v_cndmask_b32_e64 v80, v37, v36, s[34:35]
	v_add_f32_e32 v35, 1.0, v80
	v_add_f32_e32 v36, -1.0, v35
	v_sub_f32_e32 v37, v36, v35
	v_add_f32_e32 v37, 1.0, v37
	v_sub_f32_e32 v36, v80, v36
	v_add_f32_e32 v38, v36, v37
	v_frexp_mant_f32_e32 v52, v35
	s_mov_b32 s34, 0x3f2aaaab
	v_cvt_f64_f32_e32 v[36:37], v35
	v_frexp_exp_i32_f64_e32 v36, v[36:37]
	v_cmp_gt_f32_e64 s[34:35], s34, v52
	s_nop 1
	v_subbrev_co_u32_e64 v66, s[34:35], 0, v36, s[34:35]
	v_sub_u32_e32 v36, 0, v66
	v_ldexp_f32 v35, v35, v36
	v_ldexp_f32 v36, v38, v36
	v_add_f32_e32 v38, -1.0, v35
	v_add_f32_e32 v37, 1.0, v38
	v_sub_f32_e32 v37, v35, v37
	v_add_f32_e32 v52, v36, v37
	v_add_f32_e32 v37, 1.0, v35
	v_add_f32_e32 v53, -1.0, v37
	v_sub_f32_e32 v35, v35, v53
	v_add_f32_e32 v35, v36, v35
	v_add_f32_e32 v67, v37, v35
	v_rcp_f32_e32 v68, v67
	v_sub_f32_e32 v36, v37, v67
	v_add_f32_e32 v37, v38, v52
	v_add_f32_e32 v35, v35, v36
	v_sub_f32_e32 v36, v38, v37
	v_mul_f32_e32 v69, v37, v68
	v_add_f32_e32 v38, v52, v36
	v_mul_f32_e32 v52, v67, v69
	v_fma_f32 v54, v69, v67, -v52
	v_fmac_f32_e32 v54, v69, v35
	v_add_f32_e32 v36, v52, v54
	v_sub_f32_e32 v53, v37, v36
	v_pk_add_f32 v[64:65], v[36:37], v[52:53] neg_lo:[0,1] neg_hi:[0,1]
	v_mov_b32_e32 v55, v36
	v_pk_add_f32 v[36:37], v[64:65], v[54:55] neg_lo:[0,1] neg_hi:[0,1]
	s_mov_b32 s34, 0x3f317218
	v_add_f32_e32 v37, v38, v37
	v_add_f32_e32 v36, v36, v37
	;; [unrolled: 1-line block ×3, first 2 shown]
	v_mul_f32_e32 v38, v68, v37
	v_mul_f32_e32 v52, v67, v38
	v_fma_f32 v54, v38, v67, -v52
	v_fmac_f32_e32 v54, v38, v35
	v_sub_f32_e32 v35, v53, v37
	v_add_f32_e32 v35, v36, v35
	v_add_f32_e32 v36, v52, v54
	v_sub_f32_e32 v53, v37, v36
	v_pk_add_f32 v[64:65], v[36:37], v[52:53] neg_lo:[0,1] neg_hi:[0,1]
	v_mov_b32_e32 v55, v36
	v_pk_add_f32 v[36:37], v[64:65], v[54:55] neg_lo:[0,1] neg_hi:[0,1]
	v_cvt_f32_i32_e32 v52, v66
	v_add_f32_e32 v35, v35, v37
	v_add_f32_e32 v35, v36, v35
	;; [unrolled: 1-line block ×4, first 2 shown]
	v_sub_f32_e32 v37, v36, v69
	v_mul_f32_e32 v35, v68, v35
	v_sub_f32_e32 v37, v38, v37
	v_add_f32_e32 v35, v37, v35
	v_add_f32_e32 v38, v36, v35
	v_mul_f32_e32 v53, v38, v38
	v_mov_b32_e32 v37, 0x3ecc95a3
	v_fmac_f32_e32 v37, 0x3e9b6dac, v53
	v_sub_f32_e32 v36, v38, v36
	v_fmaak_f32 v37, v53, v37, 0x3f2aaada
	v_sub_f32_e32 v35, v35, v36
	v_mul_f32_e32 v53, v38, v53
	v_mov_b32_e32 v36, 0x3f317218
	v_pk_mul_f32 v[36:37], v[52:53], v[36:37]
	v_ldexp_f32 v55, v38, 1
	v_fma_f32 v38, v52, s34, -v36
	v_fmamk_f32 v54, v52, 0xb102e308, v38
	v_pk_add_f32 v[52:53], v[36:37], v[54:55]
	v_ldexp_f32 v35, v35, 1
	v_sub_f32_e32 v38, v53, v55
	v_sub_f32_e32 v38, v37, v38
	v_add_f32_e32 v65, v35, v38
	v_mov_b32_e32 v64, v36
	v_pk_add_f32 v[36:37], v[52:53], v[36:37] neg_lo:[0,1] neg_hi:[0,1]
	v_pk_add_f32 v[66:67], v[52:53], v[64:65]
	v_mov_b32_e32 v55, v52
	v_mov_b32_e32 v37, v67
	v_pk_add_f32 v[68:69], v[54:55], v[36:37] neg_lo:[0,1] neg_hi:[0,1]
	v_pk_add_f32 v[36:37], v[54:55], v[36:37]
	v_cmp_eq_f32_e64 s[34:35], s39, v80
	v_mov_b32_e32 v38, v37
	v_pk_add_f32 v[54:55], v[38:39], v[52:53] neg_lo:[0,1] neg_hi:[0,1]
	v_mov_b32_e32 v36, v67
	v_mov_b32_e32 v35, v54
	v_pk_add_f32 v[70:71], v[66:67], v[34:35] neg_lo:[0,1] neg_hi:[0,1]
	v_mov_b32_e32 v66, v53
	v_mov_b32_e32 v67, v54
	;; [unrolled: 1-line block ×3, first 2 shown]
	v_pk_add_f32 v[36:37], v[36:37], v[66:67] neg_lo:[0,1] neg_hi:[0,1]
	v_mov_b32_e32 v54, v65
	v_mov_b32_e32 v55, v52
	v_pk_add_f32 v[36:37], v[54:55], v[36:37] neg_lo:[0,1] neg_hi:[0,1]
	v_mov_b32_e32 v70, v68
	v_pk_add_f32 v[52:53], v[70:71], v[36:37]
	s_mov_b32 s39, 0x33800000
	v_mov_b32_e32 v54, v53
	v_pk_add_f32 v[54:55], v[52:53], v[54:55]
	v_cmp_lt_f32_e64 s[40:41], |v80|, s39
	v_pk_add_f32 v[64:65], v[38:39], v[54:55]
	v_mov_b32_e32 v37, v54
	v_mov_b32_e32 v53, v64
	v_pk_add_f32 v[66:67], v[52:53], v[68:69] neg_lo:[0,1] neg_hi:[0,1]
	s_or_b64 s[34:35], s[34:35], s[40:41]
	v_sub_f32_e32 v35, v52, v66
	v_pk_add_f32 v[36:37], v[36:37], v[66:67] neg_lo:[0,1] neg_hi:[0,1]
	v_sub_f32_e32 v35, v68, v35
	v_add_f32_e32 v35, v36, v35
	v_add_f32_e32 v35, v35, v37
	;; [unrolled: 1-line block ×3, first 2 shown]
	v_cndmask_b32_e64 v35, v35, v80, s[34:35]
	v_add_f32_e32 v23, v23, v35
	v_cvt_f16_f32_e32 v35, v23
	v_cvt_f32_f16_e32 v36, v35
.LBB408_302:
	s_or_b64 exec, exec, s[36:37]
	v_cvt_f32_f16_e32 v23, v16
	v_max_f32_e32 v37, v36, v36
	v_cmp_u_f16_e64 s[36:37], v35, v35
	v_cmp_u_f16_e64 s[34:35], v16, v16
	v_min_f32_e32 v38, v37, v23
	v_max_f32_e32 v37, v37, v23
	v_cndmask_b32_e64 v38, v38, v36, s[36:37]
	v_cndmask_b32_e64 v37, v37, v36, s[36:37]
	;; [unrolled: 1-line block ×4, first 2 shown]
	v_cmp_neq_f32_e64 s[36:37], v38, v37
	v_cmp_class_f32_e64 s[38:39], v38, s38
	s_or_b64 s[36:37], s[36:37], s[38:39]
	s_and_saveexec_b64 s[38:39], s[36:37]
	s_cbranch_execz .LBB408_304
; %bb.303:
	v_sub_f32_e32 v35, v38, v37
	s_mov_b32 s36, 0x3fb8aa3b
	v_mul_f32_e32 v36, 0x3fb8aa3b, v35
	v_fma_f32 v38, v35, s36, -v36
	v_rndne_f32_e32 v52, v36
	v_fmamk_f32 v38, v35, 0x32a5705f, v38
	v_sub_f32_e32 v36, v36, v52
	v_add_f32_e32 v36, v36, v38
	v_exp_f32_e32 v36, v36
	v_cvt_i32_f32_e32 v38, v52
	s_mov_b32 s36, 0xc2ce8ed0
	v_cmp_ngt_f32_e64 s[36:37], s36, v35
	s_mov_b32 s40, 0x7f800000
	v_ldexp_f32 v36, v36, v38
	v_cndmask_b32_e64 v36, 0, v36, s[36:37]
	s_mov_b32 s36, 0x42b17218
	v_mov_b32_e32 v38, 0x7f800000
	v_cmp_nlt_f32_e64 s[36:37], s36, v35
	s_nop 1
	v_cndmask_b32_e64 v82, v38, v36, s[36:37]
	v_add_f32_e32 v35, 1.0, v82
	v_add_f32_e32 v36, -1.0, v35
	v_sub_f32_e32 v38, v36, v35
	v_add_f32_e32 v38, 1.0, v38
	v_sub_f32_e32 v36, v82, v36
	v_add_f32_e32 v36, v36, v38
	v_frexp_mant_f32_e32 v38, v35
	s_mov_b32 s36, 0x3f2aaaab
	v_cvt_f64_f32_e32 v[52:53], v35
	v_frexp_exp_i32_f64_e32 v52, v[52:53]
	v_cmp_gt_f32_e64 s[36:37], s36, v38
	s_nop 1
	v_subbrev_co_u32_e64 v38, s[36:37], 0, v52, s[36:37]
	v_sub_u32_e32 v52, 0, v38
	v_ldexp_f32 v35, v35, v52
	v_ldexp_f32 v36, v36, v52
	v_add_f32_e32 v52, -1.0, v35
	v_add_f32_e32 v53, 1.0, v52
	v_sub_f32_e32 v53, v35, v53
	v_add_f32_e32 v54, v36, v53
	v_add_f32_e32 v53, 1.0, v35
	v_add_f32_e32 v55, -1.0, v53
	v_sub_f32_e32 v35, v35, v55
	v_add_f32_e32 v35, v36, v35
	v_add_f32_e32 v36, v53, v35
	v_rcp_f32_e32 v68, v36
	v_sub_f32_e32 v53, v53, v36
	v_add_f32_e32 v35, v35, v53
	v_add_f32_e32 v53, v52, v54
	v_sub_f32_e32 v52, v52, v53
	v_mul_f32_e32 v70, v53, v68
	v_add_f32_e32 v69, v54, v52
	v_mul_f32_e32 v54, v36, v70
	v_fma_f32 v64, v70, v36, -v54
	v_fmac_f32_e32 v64, v70, v35
	v_add_f32_e32 v52, v54, v64
	v_sub_f32_e32 v55, v53, v52
	v_pk_add_f32 v[66:67], v[52:53], v[54:55] neg_lo:[0,1] neg_hi:[0,1]
	v_mov_b32_e32 v65, v52
	v_pk_add_f32 v[52:53], v[66:67], v[64:65] neg_lo:[0,1] neg_hi:[0,1]
	s_mov_b32 s36, 0x3f317218
	v_add_f32_e32 v53, v69, v53
	v_add_f32_e32 v52, v52, v53
	;; [unrolled: 1-line block ×3, first 2 shown]
	v_mul_f32_e32 v69, v68, v53
	v_mul_f32_e32 v54, v36, v69
	v_fma_f32 v64, v69, v36, -v54
	v_fmac_f32_e32 v64, v69, v35
	v_sub_f32_e32 v35, v55, v53
	v_add_f32_e32 v35, v52, v35
	v_add_f32_e32 v52, v54, v64
	v_sub_f32_e32 v55, v53, v52
	v_pk_add_f32 v[66:67], v[52:53], v[54:55] neg_lo:[0,1] neg_hi:[0,1]
	v_mov_b32_e32 v65, v52
	v_pk_add_f32 v[52:53], v[66:67], v[64:65] neg_lo:[0,1] neg_hi:[0,1]
	v_add_f32_e32 v36, v70, v69
	v_add_f32_e32 v35, v35, v53
	;; [unrolled: 1-line block ×4, first 2 shown]
	v_sub_f32_e32 v52, v36, v70
	v_mul_f32_e32 v35, v68, v35
	v_sub_f32_e32 v52, v69, v52
	v_add_f32_e32 v35, v52, v35
	v_add_f32_e32 v52, v36, v35
	v_cvt_f32_i32_e32 v54, v38
	v_mul_f32_e32 v55, v52, v52
	v_mov_b32_e32 v53, 0x3ecc95a3
	v_fmac_f32_e32 v53, 0x3e9b6dac, v55
	v_fmaak_f32 v53, v55, v53, 0x3f2aaada
	v_sub_f32_e32 v36, v52, v36
	v_ldexp_f32 v65, v52, 1
	v_mul_f32_e32 v55, v52, v55
	v_mov_b32_e32 v52, 0x3f317218
	v_pk_mul_f32 v[52:53], v[54:55], v[52:53]
	v_sub_f32_e32 v35, v35, v36
	v_fma_f32 v36, v54, s36, -v52
	v_fmamk_f32 v64, v54, 0xb102e308, v36
	v_pk_add_f32 v[54:55], v[52:53], v[64:65]
	v_ldexp_f32 v35, v35, 1
	v_sub_f32_e32 v36, v55, v65
	v_sub_f32_e32 v36, v53, v36
	v_add_f32_e32 v67, v35, v36
	v_mov_b32_e32 v66, v52
	v_pk_add_f32 v[52:53], v[54:55], v[52:53] neg_lo:[0,1] neg_hi:[0,1]
	v_pk_add_f32 v[68:69], v[54:55], v[66:67]
	v_mov_b32_e32 v65, v54
	v_mov_b32_e32 v53, v69
	v_pk_add_f32 v[70:71], v[64:65], v[52:53] neg_lo:[0,1] neg_hi:[0,1]
	v_pk_add_f32 v[52:53], v[64:65], v[52:53]
	v_cmp_eq_f32_e64 s[36:37], s40, v82
	v_mov_b32_e32 v36, v53
	v_pk_add_f32 v[64:65], v[36:37], v[54:55] neg_lo:[0,1] neg_hi:[0,1]
	v_mov_b32_e32 v52, v69
	v_mov_b32_e32 v35, v64
	v_pk_add_f32 v[80:81], v[68:69], v[34:35] neg_lo:[0,1] neg_hi:[0,1]
	v_mov_b32_e32 v68, v55
	v_mov_b32_e32 v69, v64
	v_mov_b32_e32 v71, v53
	v_pk_add_f32 v[52:53], v[52:53], v[68:69] neg_lo:[0,1] neg_hi:[0,1]
	v_mov_b32_e32 v64, v67
	v_mov_b32_e32 v65, v54
	v_pk_add_f32 v[52:53], v[64:65], v[52:53] neg_lo:[0,1] neg_hi:[0,1]
	v_mov_b32_e32 v80, v70
	v_pk_add_f32 v[54:55], v[80:81], v[52:53]
	s_mov_b32 s40, 0x33800000
	v_mov_b32_e32 v38, v55
	v_pk_add_f32 v[64:65], v[54:55], v[38:39]
	v_cmp_lt_f32_e64 s[40:41], |v82|, s40
	v_pk_add_f32 v[66:67], v[36:37], v[64:65]
	v_mov_b32_e32 v53, v64
	v_mov_b32_e32 v55, v66
	v_pk_add_f32 v[68:69], v[54:55], v[70:71] neg_lo:[0,1] neg_hi:[0,1]
	s_or_b64 s[36:37], s[36:37], s[40:41]
	v_sub_f32_e32 v35, v54, v68
	v_pk_add_f32 v[52:53], v[52:53], v[68:69] neg_lo:[0,1] neg_hi:[0,1]
	v_sub_f32_e32 v35, v70, v35
	v_add_f32_e32 v35, v52, v35
	v_add_f32_e32 v35, v35, v53
	;; [unrolled: 1-line block ×3, first 2 shown]
	v_cndmask_b32_e64 v35, v35, v82, s[36:37]
	v_add_f32_e32 v35, v37, v35
	v_cvt_f16_f32_e32 v35, v35
	v_cvt_f32_f16_e32 v36, v35
.LBB408_304:
	s_or_b64 exec, exec, s[38:39]
	v_cvt_f32_f16_sdwa v52, v16 dst_sel:DWORD dst_unused:UNUSED_PAD src0_sel:WORD_1
	v_max_f32_e32 v38, v36, v36
	v_cmp_u_f16_e64 s[38:39], v35, v35
	v_cmp_u_f16_sdwa s[36:37], v16, v16 src0_sel:WORD_1 src1_sel:WORD_1
	v_min_f32_e32 v37, v38, v52
	v_max_f32_e32 v16, v38, v52
	v_cndmask_b32_e64 v37, v37, v36, s[38:39]
	v_cndmask_b32_e64 v16, v16, v36, s[38:39]
	v_cndmask_b32_e64 v37, v37, v52, s[36:37]
	v_cndmask_b32_e64 v16, v16, v52, s[36:37]
	s_movk_i32 s42, 0x1f8
	v_cmp_neq_f32_e64 s[38:39], v37, v16
	v_cmp_class_f32_e64 s[40:41], v37, s42
	s_or_b64 s[38:39], s[38:39], s[40:41]
	s_and_saveexec_b64 s[40:41], s[38:39]
	s_cbranch_execz .LBB408_306
; %bb.305:
	v_sub_f32_e32 v35, v37, v16
	s_mov_b32 s38, 0x3fb8aa3b
	v_mul_f32_e32 v36, 0x3fb8aa3b, v35
	v_fma_f32 v37, v35, s38, -v36
	v_rndne_f32_e32 v38, v36
	v_fmamk_f32 v37, v35, 0x32a5705f, v37
	v_sub_f32_e32 v36, v36, v38
	v_add_f32_e32 v36, v36, v37
	v_exp_f32_e32 v36, v36
	v_cvt_i32_f32_e32 v37, v38
	s_mov_b32 s38, 0xc2ce8ed0
	v_cmp_ngt_f32_e64 s[38:39], s38, v35
	s_mov_b32 s43, 0x7f800000
	v_ldexp_f32 v36, v36, v37
	v_cndmask_b32_e64 v36, 0, v36, s[38:39]
	s_mov_b32 s38, 0x42b17218
	v_mov_b32_e32 v37, 0x7f800000
	v_cmp_nlt_f32_e64 s[38:39], s38, v35
	s_nop 1
	v_cndmask_b32_e64 v53, v37, v36, s[38:39]
	v_add_f32_e32 v35, 1.0, v53
	v_add_f32_e32 v36, -1.0, v35
	v_sub_f32_e32 v37, v36, v35
	v_add_f32_e32 v37, 1.0, v37
	v_sub_f32_e32 v36, v53, v36
	v_add_f32_e32 v38, v36, v37
	v_frexp_mant_f32_e32 v54, v35
	s_mov_b32 s38, 0x3f2aaaab
	v_cvt_f64_f32_e32 v[36:37], v35
	v_frexp_exp_i32_f64_e32 v36, v[36:37]
	v_cmp_gt_f32_e64 s[38:39], s38, v54
	s_nop 1
	v_subbrev_co_u32_e64 v68, s[38:39], 0, v36, s[38:39]
	v_sub_u32_e32 v36, 0, v68
	v_ldexp_f32 v35, v35, v36
	v_ldexp_f32 v36, v38, v36
	v_add_f32_e32 v38, -1.0, v35
	v_add_f32_e32 v37, 1.0, v38
	v_sub_f32_e32 v37, v35, v37
	v_add_f32_e32 v54, v36, v37
	v_add_f32_e32 v37, 1.0, v35
	v_add_f32_e32 v55, -1.0, v37
	v_sub_f32_e32 v35, v35, v55
	v_add_f32_e32 v35, v36, v35
	v_add_f32_e32 v69, v37, v35
	v_rcp_f32_e32 v70, v69
	v_sub_f32_e32 v36, v37, v69
	v_add_f32_e32 v37, v38, v54
	v_add_f32_e32 v35, v35, v36
	v_sub_f32_e32 v36, v38, v37
	v_mul_f32_e32 v71, v37, v70
	v_add_f32_e32 v38, v54, v36
	v_mul_f32_e32 v54, v69, v71
	v_fma_f32 v64, v71, v69, -v54
	v_fmac_f32_e32 v64, v71, v35
	v_add_f32_e32 v36, v54, v64
	v_sub_f32_e32 v55, v37, v36
	v_pk_add_f32 v[66:67], v[36:37], v[54:55] neg_lo:[0,1] neg_hi:[0,1]
	v_mov_b32_e32 v65, v36
	v_pk_add_f32 v[36:37], v[66:67], v[64:65] neg_lo:[0,1] neg_hi:[0,1]
	s_mov_b32 s38, 0x3f317218
	v_add_f32_e32 v37, v38, v37
	v_add_f32_e32 v36, v36, v37
	;; [unrolled: 1-line block ×3, first 2 shown]
	v_mul_f32_e32 v38, v70, v37
	v_mul_f32_e32 v54, v69, v38
	v_fma_f32 v64, v38, v69, -v54
	v_fmac_f32_e32 v64, v38, v35
	v_sub_f32_e32 v35, v55, v37
	v_add_f32_e32 v35, v36, v35
	v_add_f32_e32 v36, v54, v64
	v_sub_f32_e32 v55, v37, v36
	v_pk_add_f32 v[66:67], v[36:37], v[54:55] neg_lo:[0,1] neg_hi:[0,1]
	v_mov_b32_e32 v65, v36
	v_pk_add_f32 v[36:37], v[66:67], v[64:65] neg_lo:[0,1] neg_hi:[0,1]
	v_cvt_f32_i32_e32 v54, v68
	v_add_f32_e32 v35, v35, v37
	v_add_f32_e32 v35, v36, v35
	;; [unrolled: 1-line block ×4, first 2 shown]
	v_sub_f32_e32 v37, v36, v71
	v_mul_f32_e32 v35, v70, v35
	v_sub_f32_e32 v37, v38, v37
	v_add_f32_e32 v35, v37, v35
	v_add_f32_e32 v38, v36, v35
	v_mul_f32_e32 v55, v38, v38
	v_mov_b32_e32 v37, 0x3ecc95a3
	v_fmac_f32_e32 v37, 0x3e9b6dac, v55
	v_sub_f32_e32 v36, v38, v36
	v_fmaak_f32 v37, v55, v37, 0x3f2aaada
	v_sub_f32_e32 v35, v35, v36
	v_mul_f32_e32 v55, v38, v55
	v_mov_b32_e32 v36, 0x3f317218
	v_pk_mul_f32 v[36:37], v[54:55], v[36:37]
	v_ldexp_f32 v65, v38, 1
	v_fma_f32 v38, v54, s38, -v36
	v_fmamk_f32 v64, v54, 0xb102e308, v38
	v_pk_add_f32 v[54:55], v[36:37], v[64:65]
	v_ldexp_f32 v35, v35, 1
	v_sub_f32_e32 v38, v55, v65
	v_sub_f32_e32 v38, v37, v38
	v_add_f32_e32 v67, v35, v38
	v_mov_b32_e32 v66, v36
	v_pk_add_f32 v[36:37], v[54:55], v[36:37] neg_lo:[0,1] neg_hi:[0,1]
	v_pk_add_f32 v[68:69], v[54:55], v[66:67]
	v_mov_b32_e32 v65, v54
	v_mov_b32_e32 v37, v69
	v_pk_add_f32 v[70:71], v[64:65], v[36:37] neg_lo:[0,1] neg_hi:[0,1]
	v_pk_add_f32 v[36:37], v[64:65], v[36:37]
	v_cmp_eq_f32_e64 s[38:39], s43, v53
	v_mov_b32_e32 v38, v37
	v_pk_add_f32 v[64:65], v[38:39], v[54:55] neg_lo:[0,1] neg_hi:[0,1]
	v_mov_b32_e32 v36, v69
	v_mov_b32_e32 v35, v64
	v_pk_add_f32 v[80:81], v[68:69], v[34:35] neg_lo:[0,1] neg_hi:[0,1]
	v_mov_b32_e32 v68, v55
	v_mov_b32_e32 v69, v64
	;; [unrolled: 1-line block ×3, first 2 shown]
	v_pk_add_f32 v[36:37], v[36:37], v[68:69] neg_lo:[0,1] neg_hi:[0,1]
	v_mov_b32_e32 v64, v67
	v_mov_b32_e32 v65, v54
	v_pk_add_f32 v[36:37], v[64:65], v[36:37] neg_lo:[0,1] neg_hi:[0,1]
	v_mov_b32_e32 v80, v70
	v_pk_add_f32 v[54:55], v[80:81], v[36:37]
	s_mov_b32 s43, 0x33800000
	v_mov_b32_e32 v64, v55
	v_pk_add_f32 v[64:65], v[54:55], v[64:65]
	v_cmp_lt_f32_e64 s[44:45], |v53|, s43
	v_pk_add_f32 v[66:67], v[38:39], v[64:65]
	v_mov_b32_e32 v37, v64
	v_mov_b32_e32 v55, v66
	v_pk_add_f32 v[68:69], v[54:55], v[70:71] neg_lo:[0,1] neg_hi:[0,1]
	s_or_b64 s[38:39], s[38:39], s[44:45]
	v_sub_f32_e32 v35, v54, v68
	v_pk_add_f32 v[36:37], v[36:37], v[68:69] neg_lo:[0,1] neg_hi:[0,1]
	v_sub_f32_e32 v35, v70, v35
	v_add_f32_e32 v35, v36, v35
	v_add_f32_e32 v35, v35, v37
	;; [unrolled: 1-line block ×3, first 2 shown]
	v_cndmask_b32_e64 v35, v35, v53, s[38:39]
	v_add_f32_e32 v16, v16, v35
	v_cvt_f16_f32_e32 v35, v16
	v_cvt_f32_f16_e32 v36, v35
.LBB408_306:
	s_or_b64 exec, exec, s[40:41]
	v_cvt_f32_f16_e32 v16, v17
	v_max_f32_e32 v37, v36, v36
	v_cmp_u_f16_e64 s[40:41], v35, v35
	v_cmp_u_f16_e64 s[38:39], v17, v17
	v_min_f32_e32 v38, v37, v16
	v_max_f32_e32 v37, v37, v16
	v_cndmask_b32_e64 v38, v38, v36, s[40:41]
	v_cndmask_b32_e64 v37, v37, v36, s[40:41]
	;; [unrolled: 1-line block ×4, first 2 shown]
	v_cmp_neq_f32_e64 s[40:41], v38, v37
	v_cmp_class_f32_e64 s[42:43], v38, s42
	s_or_b64 s[40:41], s[40:41], s[42:43]
	s_and_saveexec_b64 s[42:43], s[40:41]
	s_cbranch_execz .LBB408_308
; %bb.307:
	v_sub_f32_e32 v35, v38, v37
	s_mov_b32 s40, 0x3fb8aa3b
	v_mul_f32_e32 v36, 0x3fb8aa3b, v35
	v_fma_f32 v38, v35, s40, -v36
	v_rndne_f32_e32 v53, v36
	v_fmamk_f32 v38, v35, 0x32a5705f, v38
	v_sub_f32_e32 v36, v36, v53
	v_add_f32_e32 v36, v36, v38
	v_exp_f32_e32 v36, v36
	v_cvt_i32_f32_e32 v38, v53
	s_mov_b32 s40, 0xc2ce8ed0
	v_cmp_ngt_f32_e64 s[40:41], s40, v35
	s_mov_b32 s44, 0x7f800000
	v_ldexp_f32 v36, v36, v38
	v_cndmask_b32_e64 v36, 0, v36, s[40:41]
	s_mov_b32 s40, 0x42b17218
	v_mov_b32_e32 v38, 0x7f800000
	v_cmp_nlt_f32_e64 s[40:41], s40, v35
	s_nop 1
	v_cndmask_b32_e64 v53, v38, v36, s[40:41]
	v_add_f32_e32 v35, 1.0, v53
	v_add_f32_e32 v36, -1.0, v35
	v_sub_f32_e32 v38, v36, v35
	v_add_f32_e32 v38, 1.0, v38
	v_sub_f32_e32 v36, v53, v36
	v_add_f32_e32 v36, v36, v38
	v_frexp_mant_f32_e32 v38, v35
	s_mov_b32 s40, 0x3f2aaaab
	v_cvt_f64_f32_e32 v[54:55], v35
	v_frexp_exp_i32_f64_e32 v54, v[54:55]
	v_cmp_gt_f32_e64 s[40:41], s40, v38
	s_nop 1
	v_subbrev_co_u32_e64 v38, s[40:41], 0, v54, s[40:41]
	v_sub_u32_e32 v54, 0, v38
	v_ldexp_f32 v35, v35, v54
	v_ldexp_f32 v36, v36, v54
	v_add_f32_e32 v54, -1.0, v35
	v_add_f32_e32 v55, 1.0, v54
	v_sub_f32_e32 v55, v35, v55
	v_add_f32_e32 v64, v36, v55
	v_add_f32_e32 v55, 1.0, v35
	v_add_f32_e32 v65, -1.0, v55
	v_sub_f32_e32 v35, v35, v65
	v_add_f32_e32 v35, v36, v35
	v_add_f32_e32 v36, v55, v35
	v_rcp_f32_e32 v70, v36
	v_sub_f32_e32 v55, v55, v36
	v_add_f32_e32 v35, v35, v55
	v_add_f32_e32 v55, v54, v64
	v_sub_f32_e32 v54, v54, v55
	v_mul_f32_e32 v80, v55, v70
	v_add_f32_e32 v71, v64, v54
	v_mul_f32_e32 v64, v36, v80
	v_fma_f32 v66, v80, v36, -v64
	v_fmac_f32_e32 v66, v80, v35
	v_add_f32_e32 v54, v64, v66
	v_sub_f32_e32 v65, v55, v54
	v_pk_add_f32 v[68:69], v[54:55], v[64:65] neg_lo:[0,1] neg_hi:[0,1]
	v_mov_b32_e32 v67, v54
	v_pk_add_f32 v[54:55], v[68:69], v[66:67] neg_lo:[0,1] neg_hi:[0,1]
	s_mov_b32 s40, 0x3f317218
	v_add_f32_e32 v55, v71, v55
	v_add_f32_e32 v54, v54, v55
	;; [unrolled: 1-line block ×3, first 2 shown]
	v_mul_f32_e32 v71, v70, v55
	v_mul_f32_e32 v64, v36, v71
	v_fma_f32 v66, v71, v36, -v64
	v_fmac_f32_e32 v66, v71, v35
	v_sub_f32_e32 v35, v65, v55
	v_add_f32_e32 v35, v54, v35
	v_add_f32_e32 v54, v64, v66
	v_sub_f32_e32 v65, v55, v54
	v_pk_add_f32 v[68:69], v[54:55], v[64:65] neg_lo:[0,1] neg_hi:[0,1]
	v_mov_b32_e32 v67, v54
	v_pk_add_f32 v[54:55], v[68:69], v[66:67] neg_lo:[0,1] neg_hi:[0,1]
	v_add_f32_e32 v36, v80, v71
	v_add_f32_e32 v35, v35, v55
	;; [unrolled: 1-line block ×4, first 2 shown]
	v_sub_f32_e32 v54, v36, v80
	v_mul_f32_e32 v35, v70, v35
	v_sub_f32_e32 v54, v71, v54
	v_add_f32_e32 v35, v54, v35
	v_add_f32_e32 v54, v36, v35
	v_cvt_f32_i32_e32 v64, v38
	v_mul_f32_e32 v65, v54, v54
	v_mov_b32_e32 v55, 0x3ecc95a3
	v_fmac_f32_e32 v55, 0x3e9b6dac, v65
	v_fmaak_f32 v55, v65, v55, 0x3f2aaada
	v_sub_f32_e32 v36, v54, v36
	v_ldexp_f32 v67, v54, 1
	v_mul_f32_e32 v65, v54, v65
	v_mov_b32_e32 v54, 0x3f317218
	v_pk_mul_f32 v[54:55], v[64:65], v[54:55]
	v_sub_f32_e32 v35, v35, v36
	v_fma_f32 v36, v64, s40, -v54
	v_fmamk_f32 v66, v64, 0xb102e308, v36
	v_pk_add_f32 v[64:65], v[54:55], v[66:67]
	v_ldexp_f32 v35, v35, 1
	v_sub_f32_e32 v36, v65, v67
	v_sub_f32_e32 v36, v55, v36
	v_add_f32_e32 v69, v35, v36
	v_mov_b32_e32 v68, v54
	v_pk_add_f32 v[54:55], v[64:65], v[54:55] neg_lo:[0,1] neg_hi:[0,1]
	v_pk_add_f32 v[70:71], v[64:65], v[68:69]
	v_mov_b32_e32 v67, v64
	v_mov_b32_e32 v55, v71
	v_pk_add_f32 v[80:81], v[66:67], v[54:55] neg_lo:[0,1] neg_hi:[0,1]
	v_pk_add_f32 v[54:55], v[66:67], v[54:55]
	v_cmp_eq_f32_e64 s[40:41], s44, v53
	v_mov_b32_e32 v36, v55
	v_pk_add_f32 v[66:67], v[36:37], v[64:65] neg_lo:[0,1] neg_hi:[0,1]
	v_mov_b32_e32 v54, v71
	v_mov_b32_e32 v35, v66
	v_pk_add_f32 v[82:83], v[70:71], v[34:35] neg_lo:[0,1] neg_hi:[0,1]
	v_mov_b32_e32 v70, v65
	v_mov_b32_e32 v71, v66
	v_mov_b32_e32 v81, v55
	v_pk_add_f32 v[54:55], v[54:55], v[70:71] neg_lo:[0,1] neg_hi:[0,1]
	v_mov_b32_e32 v66, v69
	v_mov_b32_e32 v67, v64
	v_pk_add_f32 v[54:55], v[66:67], v[54:55] neg_lo:[0,1] neg_hi:[0,1]
	v_mov_b32_e32 v82, v80
	v_pk_add_f32 v[64:65], v[82:83], v[54:55]
	s_mov_b32 s44, 0x33800000
	v_mov_b32_e32 v38, v65
	v_pk_add_f32 v[66:67], v[64:65], v[38:39]
	v_cmp_lt_f32_e64 s[44:45], |v53|, s44
	v_pk_add_f32 v[68:69], v[36:37], v[66:67]
	v_mov_b32_e32 v55, v66
	v_mov_b32_e32 v65, v68
	v_pk_add_f32 v[70:71], v[64:65], v[80:81] neg_lo:[0,1] neg_hi:[0,1]
	s_or_b64 s[40:41], s[40:41], s[44:45]
	v_sub_f32_e32 v35, v64, v70
	v_pk_add_f32 v[54:55], v[54:55], v[70:71] neg_lo:[0,1] neg_hi:[0,1]
	v_sub_f32_e32 v35, v80, v35
	v_add_f32_e32 v35, v54, v35
	v_add_f32_e32 v35, v35, v55
	;; [unrolled: 1-line block ×3, first 2 shown]
	v_cndmask_b32_e64 v35, v35, v53, s[40:41]
	v_add_f32_e32 v35, v37, v35
	v_cvt_f16_f32_e32 v35, v35
	v_cvt_f32_f16_e32 v36, v35
.LBB408_308:
	s_or_b64 exec, exec, s[42:43]
	v_cvt_f32_f16_sdwa v53, v17 dst_sel:DWORD dst_unused:UNUSED_PAD src0_sel:WORD_1
	v_max_f32_e32 v38, v36, v36
	v_cmp_u_f16_e64 s[42:43], v35, v35
	v_cmp_u_f16_sdwa s[40:41], v17, v17 src0_sel:WORD_1 src1_sel:WORD_1
	v_min_f32_e32 v37, v38, v53
	v_max_f32_e32 v17, v38, v53
	v_cndmask_b32_e64 v37, v37, v36, s[42:43]
	v_cndmask_b32_e64 v17, v17, v36, s[42:43]
	;; [unrolled: 1-line block ×4, first 2 shown]
	s_movk_i32 s46, 0x1f8
	v_cmp_neq_f32_e64 s[42:43], v37, v17
	v_cmp_class_f32_e64 s[44:45], v37, s46
	s_or_b64 s[42:43], s[42:43], s[44:45]
	s_and_saveexec_b64 s[44:45], s[42:43]
	s_cbranch_execz .LBB408_310
; %bb.309:
	v_sub_f32_e32 v35, v37, v17
	s_mov_b32 s42, 0x3fb8aa3b
	v_mul_f32_e32 v36, 0x3fb8aa3b, v35
	v_fma_f32 v37, v35, s42, -v36
	v_rndne_f32_e32 v38, v36
	v_fmamk_f32 v37, v35, 0x32a5705f, v37
	v_sub_f32_e32 v36, v36, v38
	v_add_f32_e32 v36, v36, v37
	v_exp_f32_e32 v36, v36
	v_cvt_i32_f32_e32 v37, v38
	s_mov_b32 s42, 0xc2ce8ed0
	v_cmp_ngt_f32_e64 s[42:43], s42, v35
	s_mov_b32 s47, 0x7f800000
	v_ldexp_f32 v36, v36, v37
	v_cndmask_b32_e64 v36, 0, v36, s[42:43]
	s_mov_b32 s42, 0x42b17218
	v_mov_b32_e32 v37, 0x7f800000
	v_cmp_nlt_f32_e64 s[42:43], s42, v35
	s_nop 1
	v_cndmask_b32_e64 v82, v37, v36, s[42:43]
	v_add_f32_e32 v35, 1.0, v82
	v_add_f32_e32 v36, -1.0, v35
	v_sub_f32_e32 v37, v36, v35
	v_add_f32_e32 v37, 1.0, v37
	v_sub_f32_e32 v36, v82, v36
	v_add_f32_e32 v38, v36, v37
	v_frexp_mant_f32_e32 v54, v35
	s_mov_b32 s42, 0x3f2aaaab
	v_cvt_f64_f32_e32 v[36:37], v35
	v_frexp_exp_i32_f64_e32 v36, v[36:37]
	v_cmp_gt_f32_e64 s[42:43], s42, v54
	s_nop 1
	v_subbrev_co_u32_e64 v68, s[42:43], 0, v36, s[42:43]
	v_sub_u32_e32 v36, 0, v68
	v_ldexp_f32 v35, v35, v36
	v_ldexp_f32 v36, v38, v36
	v_add_f32_e32 v38, -1.0, v35
	v_add_f32_e32 v37, 1.0, v38
	v_sub_f32_e32 v37, v35, v37
	v_add_f32_e32 v54, v36, v37
	v_add_f32_e32 v37, 1.0, v35
	v_add_f32_e32 v55, -1.0, v37
	v_sub_f32_e32 v35, v35, v55
	v_add_f32_e32 v35, v36, v35
	v_add_f32_e32 v69, v37, v35
	v_rcp_f32_e32 v70, v69
	v_sub_f32_e32 v36, v37, v69
	v_add_f32_e32 v37, v38, v54
	v_add_f32_e32 v35, v35, v36
	v_sub_f32_e32 v36, v38, v37
	v_mul_f32_e32 v71, v37, v70
	v_add_f32_e32 v38, v54, v36
	v_mul_f32_e32 v54, v69, v71
	v_fma_f32 v64, v71, v69, -v54
	v_fmac_f32_e32 v64, v71, v35
	v_add_f32_e32 v36, v54, v64
	v_sub_f32_e32 v55, v37, v36
	v_pk_add_f32 v[66:67], v[36:37], v[54:55] neg_lo:[0,1] neg_hi:[0,1]
	v_mov_b32_e32 v65, v36
	v_pk_add_f32 v[36:37], v[66:67], v[64:65] neg_lo:[0,1] neg_hi:[0,1]
	s_mov_b32 s42, 0x3f317218
	v_add_f32_e32 v37, v38, v37
	v_add_f32_e32 v36, v36, v37
	v_add_f32_e32 v37, v55, v36
	v_mul_f32_e32 v38, v70, v37
	v_mul_f32_e32 v54, v69, v38
	v_fma_f32 v64, v38, v69, -v54
	v_fmac_f32_e32 v64, v38, v35
	v_sub_f32_e32 v35, v55, v37
	v_add_f32_e32 v35, v36, v35
	v_add_f32_e32 v36, v54, v64
	v_sub_f32_e32 v55, v37, v36
	v_pk_add_f32 v[66:67], v[36:37], v[54:55] neg_lo:[0,1] neg_hi:[0,1]
	v_mov_b32_e32 v65, v36
	v_pk_add_f32 v[36:37], v[66:67], v[64:65] neg_lo:[0,1] neg_hi:[0,1]
	v_cvt_f32_i32_e32 v54, v68
	v_add_f32_e32 v35, v35, v37
	v_add_f32_e32 v35, v36, v35
	;; [unrolled: 1-line block ×4, first 2 shown]
	v_sub_f32_e32 v37, v36, v71
	v_mul_f32_e32 v35, v70, v35
	v_sub_f32_e32 v37, v38, v37
	v_add_f32_e32 v35, v37, v35
	v_add_f32_e32 v38, v36, v35
	v_mul_f32_e32 v55, v38, v38
	v_mov_b32_e32 v37, 0x3ecc95a3
	v_fmac_f32_e32 v37, 0x3e9b6dac, v55
	v_sub_f32_e32 v36, v38, v36
	v_fmaak_f32 v37, v55, v37, 0x3f2aaada
	v_sub_f32_e32 v35, v35, v36
	v_mul_f32_e32 v55, v38, v55
	v_mov_b32_e32 v36, 0x3f317218
	v_pk_mul_f32 v[36:37], v[54:55], v[36:37]
	v_ldexp_f32 v65, v38, 1
	v_fma_f32 v38, v54, s42, -v36
	v_fmamk_f32 v64, v54, 0xb102e308, v38
	v_pk_add_f32 v[54:55], v[36:37], v[64:65]
	v_ldexp_f32 v35, v35, 1
	v_sub_f32_e32 v38, v55, v65
	v_sub_f32_e32 v38, v37, v38
	v_add_f32_e32 v67, v35, v38
	v_mov_b32_e32 v66, v36
	v_pk_add_f32 v[36:37], v[54:55], v[36:37] neg_lo:[0,1] neg_hi:[0,1]
	v_pk_add_f32 v[68:69], v[54:55], v[66:67]
	v_mov_b32_e32 v65, v54
	v_mov_b32_e32 v37, v69
	v_pk_add_f32 v[70:71], v[64:65], v[36:37] neg_lo:[0,1] neg_hi:[0,1]
	v_pk_add_f32 v[36:37], v[64:65], v[36:37]
	v_cmp_eq_f32_e64 s[42:43], s47, v82
	v_mov_b32_e32 v38, v37
	v_pk_add_f32 v[64:65], v[38:39], v[54:55] neg_lo:[0,1] neg_hi:[0,1]
	v_mov_b32_e32 v36, v69
	v_mov_b32_e32 v35, v64
	v_pk_add_f32 v[80:81], v[68:69], v[34:35] neg_lo:[0,1] neg_hi:[0,1]
	v_mov_b32_e32 v68, v55
	v_mov_b32_e32 v69, v64
	;; [unrolled: 1-line block ×3, first 2 shown]
	v_pk_add_f32 v[36:37], v[36:37], v[68:69] neg_lo:[0,1] neg_hi:[0,1]
	v_mov_b32_e32 v64, v67
	v_mov_b32_e32 v65, v54
	v_pk_add_f32 v[36:37], v[64:65], v[36:37] neg_lo:[0,1] neg_hi:[0,1]
	v_mov_b32_e32 v80, v70
	v_pk_add_f32 v[54:55], v[80:81], v[36:37]
	s_mov_b32 s47, 0x33800000
	v_mov_b32_e32 v64, v55
	v_pk_add_f32 v[64:65], v[54:55], v[64:65]
	v_cmp_lt_f32_e64 s[48:49], |v82|, s47
	v_pk_add_f32 v[66:67], v[38:39], v[64:65]
	v_mov_b32_e32 v37, v64
	v_mov_b32_e32 v55, v66
	v_pk_add_f32 v[68:69], v[54:55], v[70:71] neg_lo:[0,1] neg_hi:[0,1]
	s_or_b64 s[42:43], s[42:43], s[48:49]
	v_sub_f32_e32 v35, v54, v68
	v_pk_add_f32 v[36:37], v[36:37], v[68:69] neg_lo:[0,1] neg_hi:[0,1]
	v_sub_f32_e32 v35, v70, v35
	v_add_f32_e32 v35, v36, v35
	v_add_f32_e32 v35, v35, v37
	v_add_f32_e32 v35, v66, v35
	v_cndmask_b32_e64 v35, v35, v82, s[42:43]
	v_add_f32_e32 v17, v17, v35
	v_cvt_f16_f32_e32 v35, v17
	v_cvt_f32_f16_e32 v36, v35
.LBB408_310:
	s_or_b64 exec, exec, s[44:45]
	v_cvt_f32_f16_e32 v17, v18
	v_max_f32_e32 v37, v36, v36
	v_cmp_u_f16_e64 s[44:45], v35, v35
	v_cmp_u_f16_e64 s[42:43], v18, v18
	v_min_f32_e32 v38, v37, v17
	v_max_f32_e32 v37, v37, v17
	v_cndmask_b32_e64 v38, v38, v36, s[44:45]
	v_cndmask_b32_e64 v37, v37, v36, s[44:45]
	;; [unrolled: 1-line block ×4, first 2 shown]
	v_cmp_neq_f32_e64 s[44:45], v38, v37
	v_cmp_class_f32_e64 s[46:47], v38, s46
	s_or_b64 s[44:45], s[44:45], s[46:47]
	s_and_saveexec_b64 s[46:47], s[44:45]
	s_cbranch_execz .LBB408_312
; %bb.311:
	v_sub_f32_e32 v35, v38, v37
	s_mov_b32 s44, 0x3fb8aa3b
	v_mul_f32_e32 v36, 0x3fb8aa3b, v35
	v_fma_f32 v38, v35, s44, -v36
	v_rndne_f32_e32 v54, v36
	v_fmamk_f32 v38, v35, 0x32a5705f, v38
	v_sub_f32_e32 v36, v36, v54
	v_add_f32_e32 v36, v36, v38
	v_exp_f32_e32 v36, v36
	v_cvt_i32_f32_e32 v38, v54
	s_mov_b32 s44, 0xc2ce8ed0
	v_cmp_ngt_f32_e64 s[44:45], s44, v35
	s_mov_b32 s48, 0x7f800000
	v_ldexp_f32 v36, v36, v38
	v_cndmask_b32_e64 v36, 0, v36, s[44:45]
	s_mov_b32 s44, 0x42b17218
	v_mov_b32_e32 v38, 0x7f800000
	v_cmp_nlt_f32_e64 s[44:45], s44, v35
	s_nop 1
	v_cndmask_b32_e64 v84, v38, v36, s[44:45]
	v_add_f32_e32 v35, 1.0, v84
	v_add_f32_e32 v36, -1.0, v35
	v_sub_f32_e32 v38, v36, v35
	v_add_f32_e32 v38, 1.0, v38
	v_sub_f32_e32 v36, v84, v36
	v_add_f32_e32 v36, v36, v38
	v_frexp_mant_f32_e32 v38, v35
	s_mov_b32 s44, 0x3f2aaaab
	v_cvt_f64_f32_e32 v[54:55], v35
	v_frexp_exp_i32_f64_e32 v54, v[54:55]
	v_cmp_gt_f32_e64 s[44:45], s44, v38
	s_nop 1
	v_subbrev_co_u32_e64 v38, s[44:45], 0, v54, s[44:45]
	v_sub_u32_e32 v54, 0, v38
	v_ldexp_f32 v35, v35, v54
	v_ldexp_f32 v36, v36, v54
	v_add_f32_e32 v54, -1.0, v35
	v_add_f32_e32 v55, 1.0, v54
	v_sub_f32_e32 v55, v35, v55
	v_add_f32_e32 v64, v36, v55
	v_add_f32_e32 v55, 1.0, v35
	v_add_f32_e32 v65, -1.0, v55
	v_sub_f32_e32 v35, v35, v65
	v_add_f32_e32 v35, v36, v35
	v_add_f32_e32 v36, v55, v35
	v_rcp_f32_e32 v70, v36
	v_sub_f32_e32 v55, v55, v36
	v_add_f32_e32 v35, v35, v55
	v_add_f32_e32 v55, v54, v64
	v_sub_f32_e32 v54, v54, v55
	v_mul_f32_e32 v80, v55, v70
	v_add_f32_e32 v71, v64, v54
	v_mul_f32_e32 v64, v36, v80
	v_fma_f32 v66, v80, v36, -v64
	v_fmac_f32_e32 v66, v80, v35
	v_add_f32_e32 v54, v64, v66
	v_sub_f32_e32 v65, v55, v54
	v_pk_add_f32 v[68:69], v[54:55], v[64:65] neg_lo:[0,1] neg_hi:[0,1]
	v_mov_b32_e32 v67, v54
	v_pk_add_f32 v[54:55], v[68:69], v[66:67] neg_lo:[0,1] neg_hi:[0,1]
	s_mov_b32 s44, 0x3f317218
	v_add_f32_e32 v55, v71, v55
	v_add_f32_e32 v54, v54, v55
	;; [unrolled: 1-line block ×3, first 2 shown]
	v_mul_f32_e32 v71, v70, v55
	v_mul_f32_e32 v64, v36, v71
	v_fma_f32 v66, v71, v36, -v64
	v_fmac_f32_e32 v66, v71, v35
	v_sub_f32_e32 v35, v65, v55
	v_add_f32_e32 v35, v54, v35
	v_add_f32_e32 v54, v64, v66
	v_sub_f32_e32 v65, v55, v54
	v_pk_add_f32 v[68:69], v[54:55], v[64:65] neg_lo:[0,1] neg_hi:[0,1]
	v_mov_b32_e32 v67, v54
	v_pk_add_f32 v[54:55], v[68:69], v[66:67] neg_lo:[0,1] neg_hi:[0,1]
	v_add_f32_e32 v36, v80, v71
	v_add_f32_e32 v35, v35, v55
	;; [unrolled: 1-line block ×4, first 2 shown]
	v_sub_f32_e32 v54, v36, v80
	v_mul_f32_e32 v35, v70, v35
	v_sub_f32_e32 v54, v71, v54
	v_add_f32_e32 v35, v54, v35
	v_add_f32_e32 v54, v36, v35
	v_cvt_f32_i32_e32 v64, v38
	v_mul_f32_e32 v65, v54, v54
	v_mov_b32_e32 v55, 0x3ecc95a3
	v_fmac_f32_e32 v55, 0x3e9b6dac, v65
	v_fmaak_f32 v55, v65, v55, 0x3f2aaada
	v_sub_f32_e32 v36, v54, v36
	v_ldexp_f32 v67, v54, 1
	v_mul_f32_e32 v65, v54, v65
	v_mov_b32_e32 v54, 0x3f317218
	v_pk_mul_f32 v[54:55], v[64:65], v[54:55]
	v_sub_f32_e32 v35, v35, v36
	v_fma_f32 v36, v64, s44, -v54
	v_fmamk_f32 v66, v64, 0xb102e308, v36
	v_pk_add_f32 v[64:65], v[54:55], v[66:67]
	v_ldexp_f32 v35, v35, 1
	v_sub_f32_e32 v36, v65, v67
	v_sub_f32_e32 v36, v55, v36
	v_add_f32_e32 v69, v35, v36
	v_mov_b32_e32 v68, v54
	v_pk_add_f32 v[54:55], v[64:65], v[54:55] neg_lo:[0,1] neg_hi:[0,1]
	v_pk_add_f32 v[70:71], v[64:65], v[68:69]
	v_mov_b32_e32 v67, v64
	v_mov_b32_e32 v55, v71
	v_pk_add_f32 v[80:81], v[66:67], v[54:55] neg_lo:[0,1] neg_hi:[0,1]
	v_pk_add_f32 v[54:55], v[66:67], v[54:55]
	v_cmp_eq_f32_e64 s[44:45], s48, v84
	v_mov_b32_e32 v36, v55
	v_pk_add_f32 v[66:67], v[36:37], v[64:65] neg_lo:[0,1] neg_hi:[0,1]
	v_mov_b32_e32 v54, v71
	v_mov_b32_e32 v35, v66
	v_pk_add_f32 v[82:83], v[70:71], v[34:35] neg_lo:[0,1] neg_hi:[0,1]
	v_mov_b32_e32 v70, v65
	v_mov_b32_e32 v71, v66
	;; [unrolled: 1-line block ×3, first 2 shown]
	v_pk_add_f32 v[54:55], v[54:55], v[70:71] neg_lo:[0,1] neg_hi:[0,1]
	v_mov_b32_e32 v66, v69
	v_mov_b32_e32 v67, v64
	v_pk_add_f32 v[54:55], v[66:67], v[54:55] neg_lo:[0,1] neg_hi:[0,1]
	v_mov_b32_e32 v82, v80
	v_pk_add_f32 v[64:65], v[82:83], v[54:55]
	s_mov_b32 s48, 0x33800000
	v_mov_b32_e32 v38, v65
	v_pk_add_f32 v[66:67], v[64:65], v[38:39]
	v_cmp_lt_f32_e64 s[48:49], |v84|, s48
	v_pk_add_f32 v[68:69], v[36:37], v[66:67]
	v_mov_b32_e32 v55, v66
	v_mov_b32_e32 v65, v68
	v_pk_add_f32 v[70:71], v[64:65], v[80:81] neg_lo:[0,1] neg_hi:[0,1]
	s_or_b64 s[44:45], s[44:45], s[48:49]
	v_sub_f32_e32 v35, v64, v70
	v_pk_add_f32 v[54:55], v[54:55], v[70:71] neg_lo:[0,1] neg_hi:[0,1]
	v_sub_f32_e32 v35, v80, v35
	v_add_f32_e32 v35, v54, v35
	v_add_f32_e32 v35, v35, v55
	;; [unrolled: 1-line block ×3, first 2 shown]
	v_cndmask_b32_e64 v35, v35, v84, s[44:45]
	v_add_f32_e32 v35, v37, v35
	v_cvt_f16_f32_e32 v35, v35
	v_cvt_f32_f16_e32 v36, v35
.LBB408_312:
	s_or_b64 exec, exec, s[46:47]
	v_cvt_f32_f16_sdwa v54, v18 dst_sel:DWORD dst_unused:UNUSED_PAD src0_sel:WORD_1
	v_max_f32_e32 v38, v36, v36
	v_cmp_u_f16_e64 s[46:47], v35, v35
	v_cmp_u_f16_sdwa s[44:45], v18, v18 src0_sel:WORD_1 src1_sel:WORD_1
	v_min_f32_e32 v37, v38, v54
	v_max_f32_e32 v18, v38, v54
	v_cndmask_b32_e64 v37, v37, v36, s[46:47]
	v_cndmask_b32_e64 v18, v18, v36, s[46:47]
	;; [unrolled: 1-line block ×4, first 2 shown]
	s_movk_i32 s52, 0x1f8
	v_cmp_neq_f32_e64 s[46:47], v37, v18
	v_cmp_class_f32_e64 s[48:49], v37, s52
	s_or_b64 s[46:47], s[46:47], s[48:49]
	s_and_saveexec_b64 s[48:49], s[46:47]
	s_cbranch_execz .LBB408_314
; %bb.313:
	v_sub_f32_e32 v35, v37, v18
	s_mov_b32 s46, 0x3fb8aa3b
	v_mul_f32_e32 v36, 0x3fb8aa3b, v35
	v_fma_f32 v37, v35, s46, -v36
	v_rndne_f32_e32 v38, v36
	v_fmamk_f32 v37, v35, 0x32a5705f, v37
	v_sub_f32_e32 v36, v36, v38
	v_add_f32_e32 v36, v36, v37
	v_exp_f32_e32 v36, v36
	v_cvt_i32_f32_e32 v37, v38
	s_mov_b32 s46, 0xc2ce8ed0
	v_cmp_ngt_f32_e64 s[46:47], s46, v35
	s_mov_b32 s53, 0x7f800000
	v_ldexp_f32 v36, v36, v37
	v_cndmask_b32_e64 v36, 0, v36, s[46:47]
	s_mov_b32 s46, 0x42b17218
	v_mov_b32_e32 v37, 0x7f800000
	v_cmp_nlt_f32_e64 s[46:47], s46, v35
	s_nop 1
	v_cndmask_b32_e64 v55, v37, v36, s[46:47]
	v_add_f32_e32 v35, 1.0, v55
	v_add_f32_e32 v36, -1.0, v35
	v_sub_f32_e32 v37, v36, v35
	v_add_f32_e32 v37, 1.0, v37
	v_sub_f32_e32 v36, v55, v36
	v_add_f32_e32 v38, v36, v37
	v_frexp_mant_f32_e32 v64, v35
	s_mov_b32 s46, 0x3f2aaaab
	v_cvt_f64_f32_e32 v[36:37], v35
	v_frexp_exp_i32_f64_e32 v36, v[36:37]
	v_cmp_gt_f32_e64 s[46:47], s46, v64
	s_nop 1
	v_subbrev_co_u32_e64 v70, s[46:47], 0, v36, s[46:47]
	v_sub_u32_e32 v36, 0, v70
	v_ldexp_f32 v35, v35, v36
	v_ldexp_f32 v36, v38, v36
	v_add_f32_e32 v38, -1.0, v35
	v_add_f32_e32 v37, 1.0, v38
	v_sub_f32_e32 v37, v35, v37
	v_add_f32_e32 v64, v36, v37
	v_add_f32_e32 v37, 1.0, v35
	v_add_f32_e32 v65, -1.0, v37
	v_sub_f32_e32 v35, v35, v65
	v_add_f32_e32 v35, v36, v35
	v_add_f32_e32 v71, v37, v35
	v_rcp_f32_e32 v80, v71
	v_sub_f32_e32 v36, v37, v71
	v_add_f32_e32 v37, v38, v64
	v_add_f32_e32 v35, v35, v36
	v_sub_f32_e32 v36, v38, v37
	v_mul_f32_e32 v81, v37, v80
	v_add_f32_e32 v38, v64, v36
	v_mul_f32_e32 v64, v71, v81
	v_fma_f32 v66, v81, v71, -v64
	v_fmac_f32_e32 v66, v81, v35
	v_add_f32_e32 v36, v64, v66
	v_sub_f32_e32 v65, v37, v36
	v_pk_add_f32 v[68:69], v[36:37], v[64:65] neg_lo:[0,1] neg_hi:[0,1]
	v_mov_b32_e32 v67, v36
	v_pk_add_f32 v[36:37], v[68:69], v[66:67] neg_lo:[0,1] neg_hi:[0,1]
	s_mov_b32 s46, 0x3f317218
	v_add_f32_e32 v37, v38, v37
	v_add_f32_e32 v36, v36, v37
	;; [unrolled: 1-line block ×3, first 2 shown]
	v_mul_f32_e32 v38, v80, v37
	v_mul_f32_e32 v64, v71, v38
	v_fma_f32 v66, v38, v71, -v64
	v_fmac_f32_e32 v66, v38, v35
	v_sub_f32_e32 v35, v65, v37
	v_add_f32_e32 v35, v36, v35
	v_add_f32_e32 v36, v64, v66
	v_sub_f32_e32 v65, v37, v36
	v_pk_add_f32 v[68:69], v[36:37], v[64:65] neg_lo:[0,1] neg_hi:[0,1]
	v_mov_b32_e32 v67, v36
	v_pk_add_f32 v[36:37], v[68:69], v[66:67] neg_lo:[0,1] neg_hi:[0,1]
	v_cvt_f32_i32_e32 v64, v70
	v_add_f32_e32 v35, v35, v37
	v_add_f32_e32 v35, v36, v35
	;; [unrolled: 1-line block ×4, first 2 shown]
	v_sub_f32_e32 v37, v36, v81
	v_mul_f32_e32 v35, v80, v35
	v_sub_f32_e32 v37, v38, v37
	v_add_f32_e32 v35, v37, v35
	v_add_f32_e32 v38, v36, v35
	v_mul_f32_e32 v65, v38, v38
	v_mov_b32_e32 v37, 0x3ecc95a3
	v_fmac_f32_e32 v37, 0x3e9b6dac, v65
	v_sub_f32_e32 v36, v38, v36
	v_fmaak_f32 v37, v65, v37, 0x3f2aaada
	v_sub_f32_e32 v35, v35, v36
	v_mul_f32_e32 v65, v38, v65
	v_mov_b32_e32 v36, 0x3f317218
	v_pk_mul_f32 v[36:37], v[64:65], v[36:37]
	v_ldexp_f32 v67, v38, 1
	v_fma_f32 v38, v64, s46, -v36
	v_fmamk_f32 v66, v64, 0xb102e308, v38
	v_pk_add_f32 v[64:65], v[36:37], v[66:67]
	v_ldexp_f32 v35, v35, 1
	v_sub_f32_e32 v38, v65, v67
	v_sub_f32_e32 v38, v37, v38
	v_add_f32_e32 v69, v35, v38
	v_mov_b32_e32 v68, v36
	v_pk_add_f32 v[36:37], v[64:65], v[36:37] neg_lo:[0,1] neg_hi:[0,1]
	v_pk_add_f32 v[70:71], v[64:65], v[68:69]
	v_mov_b32_e32 v67, v64
	v_mov_b32_e32 v37, v71
	v_pk_add_f32 v[80:81], v[66:67], v[36:37] neg_lo:[0,1] neg_hi:[0,1]
	v_pk_add_f32 v[36:37], v[66:67], v[36:37]
	v_cmp_eq_f32_e64 s[46:47], s53, v55
	v_mov_b32_e32 v38, v37
	v_pk_add_f32 v[66:67], v[38:39], v[64:65] neg_lo:[0,1] neg_hi:[0,1]
	v_mov_b32_e32 v36, v71
	v_mov_b32_e32 v35, v66
	v_pk_add_f32 v[82:83], v[70:71], v[34:35] neg_lo:[0,1] neg_hi:[0,1]
	v_mov_b32_e32 v70, v65
	v_mov_b32_e32 v71, v66
	;; [unrolled: 1-line block ×3, first 2 shown]
	v_pk_add_f32 v[36:37], v[36:37], v[70:71] neg_lo:[0,1] neg_hi:[0,1]
	v_mov_b32_e32 v66, v69
	v_mov_b32_e32 v67, v64
	v_pk_add_f32 v[36:37], v[66:67], v[36:37] neg_lo:[0,1] neg_hi:[0,1]
	v_mov_b32_e32 v82, v80
	v_pk_add_f32 v[64:65], v[82:83], v[36:37]
	s_mov_b32 s53, 0x33800000
	v_mov_b32_e32 v66, v65
	v_pk_add_f32 v[66:67], v[64:65], v[66:67]
	v_cmp_lt_f32_e64 s[54:55], |v55|, s53
	v_pk_add_f32 v[68:69], v[38:39], v[66:67]
	v_mov_b32_e32 v37, v66
	v_mov_b32_e32 v65, v68
	v_pk_add_f32 v[70:71], v[64:65], v[80:81] neg_lo:[0,1] neg_hi:[0,1]
	s_or_b64 s[46:47], s[46:47], s[54:55]
	v_sub_f32_e32 v35, v64, v70
	v_pk_add_f32 v[36:37], v[36:37], v[70:71] neg_lo:[0,1] neg_hi:[0,1]
	v_sub_f32_e32 v35, v80, v35
	v_add_f32_e32 v35, v36, v35
	v_add_f32_e32 v35, v35, v37
	;; [unrolled: 1-line block ×3, first 2 shown]
	v_cndmask_b32_e64 v35, v35, v55, s[46:47]
	v_add_f32_e32 v18, v18, v35
	v_cvt_f16_f32_e32 v35, v18
	v_cvt_f32_f16_e32 v36, v35
.LBB408_314:
	s_or_b64 exec, exec, s[48:49]
	v_cvt_f32_f16_e32 v18, v19
	v_max_f32_e32 v37, v36, v36
	v_cmp_u_f16_e64 s[48:49], v35, v35
	v_cmp_u_f16_e64 s[46:47], v19, v19
	v_min_f32_e32 v38, v37, v18
	v_max_f32_e32 v37, v37, v18
	v_cndmask_b32_e64 v38, v38, v36, s[48:49]
	v_cndmask_b32_e64 v37, v37, v36, s[48:49]
	v_cndmask_b32_e64 v38, v38, v18, s[46:47]
	v_cndmask_b32_e64 v37, v37, v18, s[46:47]
	v_cmp_neq_f32_e64 s[48:49], v38, v37
	v_cmp_class_f32_e64 s[52:53], v38, s52
	s_or_b64 s[48:49], s[48:49], s[52:53]
	s_and_saveexec_b64 s[52:53], s[48:49]
	s_cbranch_execz .LBB408_316
; %bb.315:
	v_sub_f32_e32 v35, v38, v37
	s_mov_b32 s48, 0x3fb8aa3b
	v_mul_f32_e32 v36, 0x3fb8aa3b, v35
	v_fma_f32 v38, v35, s48, -v36
	v_rndne_f32_e32 v55, v36
	v_fmamk_f32 v38, v35, 0x32a5705f, v38
	v_sub_f32_e32 v36, v36, v55
	v_add_f32_e32 v36, v36, v38
	v_exp_f32_e32 v36, v36
	v_cvt_i32_f32_e32 v38, v55
	s_mov_b32 s48, 0xc2ce8ed0
	v_cmp_ngt_f32_e64 s[48:49], s48, v35
	s_mov_b32 s54, 0x7f800000
	v_ldexp_f32 v36, v36, v38
	v_cndmask_b32_e64 v36, 0, v36, s[48:49]
	s_mov_b32 s48, 0x42b17218
	v_mov_b32_e32 v38, 0x7f800000
	v_cmp_nlt_f32_e64 s[48:49], s48, v35
	s_nop 1
	v_cndmask_b32_e64 v55, v38, v36, s[48:49]
	v_add_f32_e32 v35, 1.0, v55
	v_add_f32_e32 v36, -1.0, v35
	v_sub_f32_e32 v38, v36, v35
	v_add_f32_e32 v38, 1.0, v38
	v_sub_f32_e32 v36, v55, v36
	v_add_f32_e32 v36, v36, v38
	v_frexp_mant_f32_e32 v38, v35
	s_mov_b32 s48, 0x3f2aaaab
	v_cvt_f64_f32_e32 v[64:65], v35
	v_frexp_exp_i32_f64_e32 v64, v[64:65]
	v_cmp_gt_f32_e64 s[48:49], s48, v38
	s_nop 1
	v_subbrev_co_u32_e64 v38, s[48:49], 0, v64, s[48:49]
	v_sub_u32_e32 v64, 0, v38
	v_ldexp_f32 v35, v35, v64
	v_ldexp_f32 v36, v36, v64
	v_add_f32_e32 v64, -1.0, v35
	v_add_f32_e32 v65, 1.0, v64
	v_sub_f32_e32 v65, v35, v65
	v_add_f32_e32 v66, v36, v65
	v_add_f32_e32 v65, 1.0, v35
	v_add_f32_e32 v67, -1.0, v65
	v_sub_f32_e32 v35, v35, v67
	v_add_f32_e32 v35, v36, v35
	v_add_f32_e32 v36, v65, v35
	v_rcp_f32_e32 v80, v36
	v_sub_f32_e32 v65, v65, v36
	v_add_f32_e32 v35, v35, v65
	v_add_f32_e32 v65, v64, v66
	v_sub_f32_e32 v64, v64, v65
	v_mul_f32_e32 v82, v65, v80
	v_add_f32_e32 v81, v66, v64
	v_mul_f32_e32 v66, v36, v82
	v_fma_f32 v68, v82, v36, -v66
	v_fmac_f32_e32 v68, v82, v35
	v_add_f32_e32 v64, v66, v68
	v_sub_f32_e32 v67, v65, v64
	v_pk_add_f32 v[70:71], v[64:65], v[66:67] neg_lo:[0,1] neg_hi:[0,1]
	v_mov_b32_e32 v69, v64
	v_pk_add_f32 v[64:65], v[70:71], v[68:69] neg_lo:[0,1] neg_hi:[0,1]
	s_mov_b32 s48, 0x3f317218
	v_add_f32_e32 v65, v81, v65
	v_add_f32_e32 v64, v64, v65
	;; [unrolled: 1-line block ×3, first 2 shown]
	v_mul_f32_e32 v81, v80, v65
	v_mul_f32_e32 v66, v36, v81
	v_fma_f32 v68, v81, v36, -v66
	v_fmac_f32_e32 v68, v81, v35
	v_sub_f32_e32 v35, v67, v65
	v_add_f32_e32 v35, v64, v35
	v_add_f32_e32 v64, v66, v68
	v_sub_f32_e32 v67, v65, v64
	v_pk_add_f32 v[70:71], v[64:65], v[66:67] neg_lo:[0,1] neg_hi:[0,1]
	v_mov_b32_e32 v69, v64
	v_pk_add_f32 v[64:65], v[70:71], v[68:69] neg_lo:[0,1] neg_hi:[0,1]
	v_add_f32_e32 v36, v82, v81
	v_add_f32_e32 v35, v35, v65
	;; [unrolled: 1-line block ×4, first 2 shown]
	v_sub_f32_e32 v64, v36, v82
	v_mul_f32_e32 v35, v80, v35
	v_sub_f32_e32 v64, v81, v64
	v_add_f32_e32 v35, v64, v35
	v_add_f32_e32 v64, v36, v35
	v_cvt_f32_i32_e32 v66, v38
	v_mul_f32_e32 v67, v64, v64
	v_mov_b32_e32 v65, 0x3ecc95a3
	v_fmac_f32_e32 v65, 0x3e9b6dac, v67
	v_fmaak_f32 v65, v67, v65, 0x3f2aaada
	v_sub_f32_e32 v36, v64, v36
	v_ldexp_f32 v69, v64, 1
	v_mul_f32_e32 v67, v64, v67
	v_mov_b32_e32 v64, 0x3f317218
	v_pk_mul_f32 v[64:65], v[66:67], v[64:65]
	v_sub_f32_e32 v35, v35, v36
	v_fma_f32 v36, v66, s48, -v64
	v_fmamk_f32 v68, v66, 0xb102e308, v36
	v_pk_add_f32 v[66:67], v[64:65], v[68:69]
	v_ldexp_f32 v35, v35, 1
	v_sub_f32_e32 v36, v67, v69
	v_sub_f32_e32 v36, v65, v36
	v_add_f32_e32 v71, v35, v36
	v_mov_b32_e32 v70, v64
	v_pk_add_f32 v[64:65], v[66:67], v[64:65] neg_lo:[0,1] neg_hi:[0,1]
	v_pk_add_f32 v[80:81], v[66:67], v[70:71]
	v_mov_b32_e32 v69, v66
	v_mov_b32_e32 v65, v81
	v_pk_add_f32 v[82:83], v[68:69], v[64:65] neg_lo:[0,1] neg_hi:[0,1]
	v_pk_add_f32 v[64:65], v[68:69], v[64:65]
	v_cmp_eq_f32_e64 s[48:49], s54, v55
	v_mov_b32_e32 v36, v65
	v_pk_add_f32 v[68:69], v[36:37], v[66:67] neg_lo:[0,1] neg_hi:[0,1]
	v_mov_b32_e32 v64, v81
	v_mov_b32_e32 v35, v68
	v_pk_add_f32 v[84:85], v[80:81], v[34:35] neg_lo:[0,1] neg_hi:[0,1]
	v_mov_b32_e32 v80, v67
	v_mov_b32_e32 v81, v68
	;; [unrolled: 1-line block ×3, first 2 shown]
	v_pk_add_f32 v[64:65], v[64:65], v[80:81] neg_lo:[0,1] neg_hi:[0,1]
	v_mov_b32_e32 v68, v71
	v_mov_b32_e32 v69, v66
	v_pk_add_f32 v[64:65], v[68:69], v[64:65] neg_lo:[0,1] neg_hi:[0,1]
	v_mov_b32_e32 v84, v82
	v_pk_add_f32 v[66:67], v[84:85], v[64:65]
	s_mov_b32 s54, 0x33800000
	v_mov_b32_e32 v38, v67
	v_pk_add_f32 v[68:69], v[66:67], v[38:39]
	v_cmp_lt_f32_e64 s[54:55], |v55|, s54
	v_pk_add_f32 v[70:71], v[36:37], v[68:69]
	v_mov_b32_e32 v65, v68
	v_mov_b32_e32 v67, v70
	v_pk_add_f32 v[80:81], v[66:67], v[82:83] neg_lo:[0,1] neg_hi:[0,1]
	s_or_b64 s[48:49], s[48:49], s[54:55]
	v_sub_f32_e32 v35, v66, v80
	v_pk_add_f32 v[64:65], v[64:65], v[80:81] neg_lo:[0,1] neg_hi:[0,1]
	v_sub_f32_e32 v35, v82, v35
	v_add_f32_e32 v35, v64, v35
	v_add_f32_e32 v35, v35, v65
	;; [unrolled: 1-line block ×3, first 2 shown]
	v_cndmask_b32_e64 v35, v35, v55, s[48:49]
	v_add_f32_e32 v35, v37, v35
	v_cvt_f16_f32_e32 v35, v35
	v_cvt_f32_f16_e32 v36, v35
.LBB408_316:
	s_or_b64 exec, exec, s[52:53]
	v_cvt_f32_f16_sdwa v55, v19 dst_sel:DWORD dst_unused:UNUSED_PAD src0_sel:WORD_1
	v_max_f32_e32 v38, v36, v36
	v_cmp_u_f16_e64 s[52:53], v35, v35
	v_cmp_u_f16_sdwa s[48:49], v19, v19 src0_sel:WORD_1 src1_sel:WORD_1
	v_min_f32_e32 v37, v38, v55
	v_max_f32_e32 v19, v38, v55
	v_cndmask_b32_e64 v37, v37, v36, s[52:53]
	v_cndmask_b32_e64 v19, v19, v36, s[52:53]
	v_cndmask_b32_e64 v37, v37, v55, s[48:49]
	v_cndmask_b32_e64 v19, v19, v55, s[48:49]
	s_movk_i32 s54, 0x1f8
	v_cmp_neq_f32_e64 s[52:53], v37, v19
	v_cmp_class_f32_e64 s[54:55], v37, s54
	s_or_b64 s[52:53], s[52:53], s[54:55]
	s_and_saveexec_b64 s[54:55], s[52:53]
	s_cbranch_execz .LBB408_318
; %bb.317:
	v_sub_f32_e32 v35, v37, v19
	s_mov_b32 s52, 0x3fb8aa3b
	v_mul_f32_e32 v36, 0x3fb8aa3b, v35
	v_fma_f32 v37, v35, s52, -v36
	v_rndne_f32_e32 v38, v36
	v_fmamk_f32 v37, v35, 0x32a5705f, v37
	v_sub_f32_e32 v36, v36, v38
	v_add_f32_e32 v36, v36, v37
	v_exp_f32_e32 v36, v36
	v_cvt_i32_f32_e32 v37, v38
	s_mov_b32 s52, 0xc2ce8ed0
	v_cmp_ngt_f32_e64 s[52:53], s52, v35
	s_mov_b32 s56, 0x7f800000
	v_ldexp_f32 v36, v36, v37
	v_cndmask_b32_e64 v36, 0, v36, s[52:53]
	s_mov_b32 s52, 0x42b17218
	v_mov_b32_e32 v37, 0x7f800000
	v_cmp_nlt_f32_e64 s[52:53], s52, v35
	s_nop 1
	v_cndmask_b32_e64 v84, v37, v36, s[52:53]
	v_add_f32_e32 v35, 1.0, v84
	v_add_f32_e32 v36, -1.0, v35
	v_sub_f32_e32 v37, v36, v35
	v_add_f32_e32 v37, 1.0, v37
	v_sub_f32_e32 v36, v84, v36
	v_add_f32_e32 v38, v36, v37
	v_frexp_mant_f32_e32 v64, v35
	s_mov_b32 s52, 0x3f2aaaab
	v_cvt_f64_f32_e32 v[36:37], v35
	v_frexp_exp_i32_f64_e32 v36, v[36:37]
	v_cmp_gt_f32_e64 s[52:53], s52, v64
	s_nop 1
	v_subbrev_co_u32_e64 v70, s[52:53], 0, v36, s[52:53]
	v_sub_u32_e32 v36, 0, v70
	v_ldexp_f32 v35, v35, v36
	v_ldexp_f32 v36, v38, v36
	v_add_f32_e32 v38, -1.0, v35
	v_add_f32_e32 v37, 1.0, v38
	v_sub_f32_e32 v37, v35, v37
	v_add_f32_e32 v64, v36, v37
	v_add_f32_e32 v37, 1.0, v35
	v_add_f32_e32 v65, -1.0, v37
	v_sub_f32_e32 v35, v35, v65
	v_add_f32_e32 v35, v36, v35
	v_add_f32_e32 v71, v37, v35
	v_rcp_f32_e32 v80, v71
	v_sub_f32_e32 v36, v37, v71
	v_add_f32_e32 v37, v38, v64
	v_add_f32_e32 v35, v35, v36
	v_sub_f32_e32 v36, v38, v37
	v_mul_f32_e32 v81, v37, v80
	v_add_f32_e32 v38, v64, v36
	v_mul_f32_e32 v64, v71, v81
	v_fma_f32 v66, v81, v71, -v64
	v_fmac_f32_e32 v66, v81, v35
	v_add_f32_e32 v36, v64, v66
	v_sub_f32_e32 v65, v37, v36
	v_pk_add_f32 v[68:69], v[36:37], v[64:65] neg_lo:[0,1] neg_hi:[0,1]
	v_mov_b32_e32 v67, v36
	v_pk_add_f32 v[36:37], v[68:69], v[66:67] neg_lo:[0,1] neg_hi:[0,1]
	s_mov_b32 s52, 0x3f317218
	v_add_f32_e32 v37, v38, v37
	v_add_f32_e32 v36, v36, v37
	;; [unrolled: 1-line block ×3, first 2 shown]
	v_mul_f32_e32 v38, v80, v37
	v_mul_f32_e32 v64, v71, v38
	v_fma_f32 v66, v38, v71, -v64
	v_fmac_f32_e32 v66, v38, v35
	v_sub_f32_e32 v35, v65, v37
	v_add_f32_e32 v35, v36, v35
	v_add_f32_e32 v36, v64, v66
	v_sub_f32_e32 v65, v37, v36
	v_pk_add_f32 v[68:69], v[36:37], v[64:65] neg_lo:[0,1] neg_hi:[0,1]
	v_mov_b32_e32 v67, v36
	v_pk_add_f32 v[36:37], v[68:69], v[66:67] neg_lo:[0,1] neg_hi:[0,1]
	v_cvt_f32_i32_e32 v64, v70
	v_add_f32_e32 v35, v35, v37
	v_add_f32_e32 v35, v36, v35
	;; [unrolled: 1-line block ×4, first 2 shown]
	v_sub_f32_e32 v37, v36, v81
	v_mul_f32_e32 v35, v80, v35
	v_sub_f32_e32 v37, v38, v37
	v_add_f32_e32 v35, v37, v35
	v_add_f32_e32 v38, v36, v35
	v_mul_f32_e32 v65, v38, v38
	v_mov_b32_e32 v37, 0x3ecc95a3
	v_fmac_f32_e32 v37, 0x3e9b6dac, v65
	v_sub_f32_e32 v36, v38, v36
	v_fmaak_f32 v37, v65, v37, 0x3f2aaada
	v_sub_f32_e32 v35, v35, v36
	v_mul_f32_e32 v65, v38, v65
	v_mov_b32_e32 v36, 0x3f317218
	v_pk_mul_f32 v[36:37], v[64:65], v[36:37]
	v_ldexp_f32 v67, v38, 1
	v_fma_f32 v38, v64, s52, -v36
	v_fmamk_f32 v66, v64, 0xb102e308, v38
	v_pk_add_f32 v[64:65], v[36:37], v[66:67]
	v_ldexp_f32 v35, v35, 1
	v_sub_f32_e32 v38, v65, v67
	v_sub_f32_e32 v38, v37, v38
	v_add_f32_e32 v69, v35, v38
	v_mov_b32_e32 v68, v36
	v_pk_add_f32 v[36:37], v[64:65], v[36:37] neg_lo:[0,1] neg_hi:[0,1]
	v_pk_add_f32 v[70:71], v[64:65], v[68:69]
	v_mov_b32_e32 v67, v64
	v_mov_b32_e32 v37, v71
	v_pk_add_f32 v[80:81], v[66:67], v[36:37] neg_lo:[0,1] neg_hi:[0,1]
	v_pk_add_f32 v[36:37], v[66:67], v[36:37]
	v_cmp_eq_f32_e64 s[52:53], s56, v84
	v_mov_b32_e32 v38, v37
	v_pk_add_f32 v[66:67], v[38:39], v[64:65] neg_lo:[0,1] neg_hi:[0,1]
	v_mov_b32_e32 v36, v71
	v_mov_b32_e32 v35, v66
	v_pk_add_f32 v[82:83], v[70:71], v[34:35] neg_lo:[0,1] neg_hi:[0,1]
	v_mov_b32_e32 v70, v65
	v_mov_b32_e32 v71, v66
	v_mov_b32_e32 v81, v37
	v_pk_add_f32 v[36:37], v[36:37], v[70:71] neg_lo:[0,1] neg_hi:[0,1]
	v_mov_b32_e32 v66, v69
	v_mov_b32_e32 v67, v64
	v_pk_add_f32 v[36:37], v[66:67], v[36:37] neg_lo:[0,1] neg_hi:[0,1]
	v_mov_b32_e32 v82, v80
	v_pk_add_f32 v[64:65], v[82:83], v[36:37]
	s_mov_b32 s56, 0x33800000
	v_mov_b32_e32 v66, v65
	v_pk_add_f32 v[66:67], v[64:65], v[66:67]
	v_cmp_lt_f32_e64 s[56:57], |v84|, s56
	v_pk_add_f32 v[68:69], v[38:39], v[66:67]
	v_mov_b32_e32 v37, v66
	v_mov_b32_e32 v65, v68
	v_pk_add_f32 v[70:71], v[64:65], v[80:81] neg_lo:[0,1] neg_hi:[0,1]
	s_or_b64 s[52:53], s[52:53], s[56:57]
	v_sub_f32_e32 v35, v64, v70
	v_pk_add_f32 v[36:37], v[36:37], v[70:71] neg_lo:[0,1] neg_hi:[0,1]
	v_sub_f32_e32 v35, v80, v35
	v_add_f32_e32 v35, v36, v35
	v_add_f32_e32 v35, v35, v37
	;; [unrolled: 1-line block ×3, first 2 shown]
	v_cndmask_b32_e64 v35, v35, v84, s[52:53]
	v_add_f32_e32 v19, v19, v35
	v_cvt_f16_f32_e32 v35, v19
.LBB408_318:
	s_or_b64 exec, exec, s[54:55]
	v_mbcnt_lo_u32_b32 v19, -1, 0
	v_mbcnt_hi_u32_b32 v19, -1, v19
	v_and_b32_e32 v36, 15, v19
	v_and_b32_e32 v37, 0xffff, v35
	v_cmp_ne_u32_e64 s[52:53], 0, v36
	s_nop 0
	v_mov_b32_dpp v38, v37 row_shr:1 row_mask:0xf bank_mask:0xf
	s_and_saveexec_b64 s[56:57], s[52:53]
	s_cbranch_execz .LBB408_322
; %bb.319:
	v_cvt_f32_f16_e32 v64, v38
	v_cvt_f32_f16_e32 v65, v35
	v_cmp_u_f16_e64 s[52:53], v38, v38
	v_cmp_u_f16_e64 s[54:55], v35, v35
	v_min_f32_e32 v37, v64, v65
	v_max_f32_e32 v35, v64, v65
	v_cndmask_b32_e64 v37, v37, v64, s[52:53]
	v_cndmask_b32_e64 v35, v35, v64, s[52:53]
	;; [unrolled: 1-line block ×4, first 2 shown]
	s_movk_i32 s54, 0x1f8
	v_cmp_neq_f32_e64 s[52:53], v37, v35
	v_cmp_class_f32_e64 s[54:55], v37, s54
	s_or_b64 s[52:53], s[52:53], s[54:55]
	s_and_saveexec_b64 s[54:55], s[52:53]
	s_cbranch_execz .LBB408_321
; %bb.320:
	v_sub_f32_e32 v37, v37, v35
	s_mov_b32 s52, 0x3fb8aa3b
	v_mul_f32_e32 v38, 0x3fb8aa3b, v37
	v_fma_f32 v64, v37, s52, -v38
	v_rndne_f32_e32 v65, v38
	v_fmamk_f32 v64, v37, 0x32a5705f, v64
	v_sub_f32_e32 v38, v38, v65
	v_add_f32_e32 v38, v38, v64
	v_exp_f32_e32 v38, v38
	v_cvt_i32_f32_e32 v64, v65
	s_mov_b32 s52, 0xc2ce8ed0
	v_cmp_ngt_f32_e64 s[52:53], s52, v37
	s_mov_b32 s60, 0x7f800000
	v_ldexp_f32 v38, v38, v64
	v_cndmask_b32_e64 v38, 0, v38, s[52:53]
	s_mov_b32 s52, 0x42b17218
	v_mov_b32_e32 v64, 0x7f800000
	v_cmp_nlt_f32_e64 s[52:53], s52, v37
	s_nop 1
	v_cndmask_b32_e64 v86, v64, v38, s[52:53]
	v_add_f32_e32 v37, 1.0, v86
	v_add_f32_e32 v38, -1.0, v37
	v_sub_f32_e32 v64, v38, v37
	v_add_f32_e32 v64, 1.0, v64
	v_sub_f32_e32 v38, v86, v38
	v_add_f32_e32 v38, v38, v64
	v_frexp_mant_f32_e32 v66, v37
	s_mov_b32 s52, 0x3f2aaaab
	v_cvt_f64_f32_e32 v[64:65], v37
	v_frexp_exp_i32_f64_e32 v64, v[64:65]
	v_cmp_gt_f32_e64 s[52:53], s52, v66
	s_nop 1
	v_subbrev_co_u32_e64 v80, s[52:53], 0, v64, s[52:53]
	v_sub_u32_e32 v64, 0, v80
	v_ldexp_f32 v37, v37, v64
	v_ldexp_f32 v38, v38, v64
	v_add_f32_e32 v64, -1.0, v37
	v_add_f32_e32 v65, 1.0, v64
	v_sub_f32_e32 v65, v37, v65
	v_add_f32_e32 v66, v38, v65
	v_add_f32_e32 v65, 1.0, v37
	v_add_f32_e32 v67, -1.0, v65
	v_sub_f32_e32 v37, v37, v67
	v_add_f32_e32 v37, v38, v37
	v_add_f32_e32 v38, v65, v37
	v_rcp_f32_e32 v81, v38
	v_sub_f32_e32 v65, v65, v38
	v_add_f32_e32 v37, v37, v65
	v_add_f32_e32 v65, v64, v66
	v_sub_f32_e32 v64, v64, v65
	v_mul_f32_e32 v83, v65, v81
	v_add_f32_e32 v82, v66, v64
	v_mul_f32_e32 v66, v38, v83
	v_fma_f32 v68, v83, v38, -v66
	v_fmac_f32_e32 v68, v83, v37
	v_add_f32_e32 v64, v66, v68
	v_sub_f32_e32 v67, v65, v64
	v_pk_add_f32 v[70:71], v[64:65], v[66:67] neg_lo:[0,1] neg_hi:[0,1]
	v_mov_b32_e32 v69, v64
	v_pk_add_f32 v[64:65], v[70:71], v[68:69] neg_lo:[0,1] neg_hi:[0,1]
	s_mov_b32 s52, 0x3f317218
	v_add_f32_e32 v65, v82, v65
	v_add_f32_e32 v64, v64, v65
	;; [unrolled: 1-line block ×3, first 2 shown]
	v_mul_f32_e32 v82, v81, v65
	v_mul_f32_e32 v66, v38, v82
	v_fma_f32 v68, v82, v38, -v66
	v_fmac_f32_e32 v68, v82, v37
	v_sub_f32_e32 v37, v67, v65
	v_add_f32_e32 v37, v64, v37
	v_add_f32_e32 v64, v66, v68
	v_sub_f32_e32 v67, v65, v64
	v_pk_add_f32 v[70:71], v[64:65], v[66:67] neg_lo:[0,1] neg_hi:[0,1]
	v_mov_b32_e32 v69, v64
	v_pk_add_f32 v[64:65], v[70:71], v[68:69] neg_lo:[0,1] neg_hi:[0,1]
	v_add_f32_e32 v38, v83, v82
	v_add_f32_e32 v37, v37, v65
	;; [unrolled: 1-line block ×4, first 2 shown]
	v_sub_f32_e32 v64, v38, v83
	v_mul_f32_e32 v37, v81, v37
	v_sub_f32_e32 v64, v82, v64
	v_add_f32_e32 v37, v64, v37
	v_add_f32_e32 v64, v38, v37
	v_cvt_f32_i32_e32 v66, v80
	v_mul_f32_e32 v67, v64, v64
	v_mov_b32_e32 v65, 0x3ecc95a3
	v_fmac_f32_e32 v65, 0x3e9b6dac, v67
	v_fmaak_f32 v65, v67, v65, 0x3f2aaada
	v_sub_f32_e32 v38, v64, v38
	v_ldexp_f32 v69, v64, 1
	v_mul_f32_e32 v67, v64, v67
	v_mov_b32_e32 v64, 0x3f317218
	v_pk_mul_f32 v[64:65], v[66:67], v[64:65]
	v_sub_f32_e32 v37, v37, v38
	v_fma_f32 v38, v66, s52, -v64
	v_fmamk_f32 v68, v66, 0xb102e308, v38
	v_pk_add_f32 v[66:67], v[64:65], v[68:69]
	v_ldexp_f32 v37, v37, 1
	v_sub_f32_e32 v38, v67, v69
	v_sub_f32_e32 v38, v65, v38
	v_add_f32_e32 v71, v37, v38
	v_mov_b32_e32 v70, v64
	v_pk_add_f32 v[64:65], v[66:67], v[64:65] neg_lo:[0,1] neg_hi:[0,1]
	v_pk_add_f32 v[80:81], v[66:67], v[70:71]
	v_mov_b32_e32 v69, v66
	v_mov_b32_e32 v65, v81
	v_pk_add_f32 v[82:83], v[68:69], v[64:65] neg_lo:[0,1] neg_hi:[0,1]
	v_pk_add_f32 v[64:65], v[68:69], v[64:65]
	v_cmp_eq_f32_e64 s[52:53], s60, v86
	v_mov_b32_e32 v38, v65
	v_pk_add_f32 v[68:69], v[38:39], v[66:67] neg_lo:[0,1] neg_hi:[0,1]
	v_mov_b32_e32 v64, v81
	v_mov_b32_e32 v37, v68
	v_pk_add_f32 v[84:85], v[80:81], v[36:37] neg_lo:[0,1] neg_hi:[0,1]
	v_mov_b32_e32 v80, v67
	v_mov_b32_e32 v81, v68
	v_mov_b32_e32 v83, v65
	v_pk_add_f32 v[64:65], v[64:65], v[80:81] neg_lo:[0,1] neg_hi:[0,1]
	v_mov_b32_e32 v68, v71
	v_mov_b32_e32 v69, v66
	v_pk_add_f32 v[64:65], v[68:69], v[64:65] neg_lo:[0,1] neg_hi:[0,1]
	v_mov_b32_e32 v84, v82
	v_pk_add_f32 v[66:67], v[84:85], v[64:65]
	s_mov_b32 s60, 0x33800000
	v_mov_b32_e32 v68, v67
	v_pk_add_f32 v[68:69], v[66:67], v[68:69]
	v_cmp_lt_f32_e64 s[60:61], |v86|, s60
	v_pk_add_f32 v[70:71], v[38:39], v[68:69]
	v_mov_b32_e32 v65, v68
	v_mov_b32_e32 v67, v70
	v_pk_add_f32 v[80:81], v[66:67], v[82:83] neg_lo:[0,1] neg_hi:[0,1]
	s_or_b64 s[52:53], s[52:53], s[60:61]
	v_sub_f32_e32 v37, v66, v80
	v_pk_add_f32 v[64:65], v[64:65], v[80:81] neg_lo:[0,1] neg_hi:[0,1]
	v_sub_f32_e32 v37, v82, v37
	v_add_f32_e32 v37, v64, v37
	v_add_f32_e32 v37, v37, v65
	;; [unrolled: 1-line block ×3, first 2 shown]
	v_cndmask_b32_e64 v37, v37, v86, s[52:53]
	v_add_f32_e32 v35, v35, v37
	v_cvt_f16_f32_e32 v38, v35
.LBB408_321:
	s_or_b64 exec, exec, s[54:55]
	v_and_b32_e32 v37, 0xffff, v38
	v_mov_b32_e32 v35, v38
.LBB408_322:
	s_or_b64 exec, exec, s[56:57]
	v_mov_b32_dpp v38, v37 row_shr:2 row_mask:0xf bank_mask:0xf
	v_cmp_lt_u32_e64 s[52:53], 1, v36
	s_and_saveexec_b64 s[56:57], s[52:53]
	s_cbranch_execz .LBB408_326
; %bb.323:
	v_cvt_f32_f16_e32 v64, v38
	v_cvt_f32_f16_e32 v65, v35
	v_cmp_u_f16_e64 s[52:53], v38, v38
	v_cmp_u_f16_e64 s[54:55], v35, v35
	v_min_f32_e32 v37, v64, v65
	v_max_f32_e32 v35, v64, v65
	v_cndmask_b32_e64 v37, v37, v64, s[52:53]
	v_cndmask_b32_e64 v35, v35, v64, s[52:53]
	;; [unrolled: 1-line block ×4, first 2 shown]
	s_movk_i32 s54, 0x1f8
	v_cmp_neq_f32_e64 s[52:53], v37, v35
	v_cmp_class_f32_e64 s[54:55], v37, s54
	s_or_b64 s[52:53], s[52:53], s[54:55]
	s_and_saveexec_b64 s[54:55], s[52:53]
	s_cbranch_execz .LBB408_325
; %bb.324:
	v_sub_f32_e32 v37, v37, v35
	s_mov_b32 s52, 0x3fb8aa3b
	v_mul_f32_e32 v38, 0x3fb8aa3b, v37
	v_fma_f32 v64, v37, s52, -v38
	v_rndne_f32_e32 v65, v38
	v_fmamk_f32 v64, v37, 0x32a5705f, v64
	v_sub_f32_e32 v38, v38, v65
	v_add_f32_e32 v38, v38, v64
	v_exp_f32_e32 v38, v38
	v_cvt_i32_f32_e32 v64, v65
	s_mov_b32 s52, 0xc2ce8ed0
	v_cmp_ngt_f32_e64 s[52:53], s52, v37
	s_mov_b32 s60, 0x7f800000
	v_ldexp_f32 v38, v38, v64
	v_cndmask_b32_e64 v38, 0, v38, s[52:53]
	s_mov_b32 s52, 0x42b17218
	v_mov_b32_e32 v64, 0x7f800000
	v_cmp_nlt_f32_e64 s[52:53], s52, v37
	s_nop 1
	v_cndmask_b32_e64 v86, v64, v38, s[52:53]
	v_add_f32_e32 v37, 1.0, v86
	v_add_f32_e32 v38, -1.0, v37
	v_sub_f32_e32 v64, v38, v37
	v_add_f32_e32 v64, 1.0, v64
	v_sub_f32_e32 v38, v86, v38
	v_add_f32_e32 v38, v38, v64
	v_frexp_mant_f32_e32 v66, v37
	s_mov_b32 s52, 0x3f2aaaab
	v_cvt_f64_f32_e32 v[64:65], v37
	v_frexp_exp_i32_f64_e32 v64, v[64:65]
	v_cmp_gt_f32_e64 s[52:53], s52, v66
	s_nop 1
	v_subbrev_co_u32_e64 v80, s[52:53], 0, v64, s[52:53]
	v_sub_u32_e32 v64, 0, v80
	v_ldexp_f32 v37, v37, v64
	v_ldexp_f32 v38, v38, v64
	v_add_f32_e32 v64, -1.0, v37
	v_add_f32_e32 v65, 1.0, v64
	v_sub_f32_e32 v65, v37, v65
	v_add_f32_e32 v66, v38, v65
	v_add_f32_e32 v65, 1.0, v37
	v_add_f32_e32 v67, -1.0, v65
	v_sub_f32_e32 v37, v37, v67
	v_add_f32_e32 v37, v38, v37
	v_add_f32_e32 v38, v65, v37
	v_rcp_f32_e32 v81, v38
	v_sub_f32_e32 v65, v65, v38
	v_add_f32_e32 v37, v37, v65
	v_add_f32_e32 v65, v64, v66
	v_sub_f32_e32 v64, v64, v65
	v_mul_f32_e32 v83, v65, v81
	v_add_f32_e32 v82, v66, v64
	v_mul_f32_e32 v66, v38, v83
	v_fma_f32 v68, v83, v38, -v66
	v_fmac_f32_e32 v68, v83, v37
	v_add_f32_e32 v64, v66, v68
	v_sub_f32_e32 v67, v65, v64
	v_pk_add_f32 v[70:71], v[64:65], v[66:67] neg_lo:[0,1] neg_hi:[0,1]
	v_mov_b32_e32 v69, v64
	v_pk_add_f32 v[64:65], v[70:71], v[68:69] neg_lo:[0,1] neg_hi:[0,1]
	s_mov_b32 s52, 0x3f317218
	v_add_f32_e32 v65, v82, v65
	v_add_f32_e32 v64, v64, v65
	;; [unrolled: 1-line block ×3, first 2 shown]
	v_mul_f32_e32 v82, v81, v65
	v_mul_f32_e32 v66, v38, v82
	v_fma_f32 v68, v82, v38, -v66
	v_fmac_f32_e32 v68, v82, v37
	v_sub_f32_e32 v37, v67, v65
	v_add_f32_e32 v37, v64, v37
	v_add_f32_e32 v64, v66, v68
	v_sub_f32_e32 v67, v65, v64
	v_pk_add_f32 v[70:71], v[64:65], v[66:67] neg_lo:[0,1] neg_hi:[0,1]
	v_mov_b32_e32 v69, v64
	v_pk_add_f32 v[64:65], v[70:71], v[68:69] neg_lo:[0,1] neg_hi:[0,1]
	v_add_f32_e32 v38, v83, v82
	v_add_f32_e32 v37, v37, v65
	;; [unrolled: 1-line block ×4, first 2 shown]
	v_sub_f32_e32 v64, v38, v83
	v_mul_f32_e32 v37, v81, v37
	v_sub_f32_e32 v64, v82, v64
	v_add_f32_e32 v37, v64, v37
	v_add_f32_e32 v64, v38, v37
	v_cvt_f32_i32_e32 v66, v80
	v_mul_f32_e32 v67, v64, v64
	v_mov_b32_e32 v65, 0x3ecc95a3
	v_fmac_f32_e32 v65, 0x3e9b6dac, v67
	v_fmaak_f32 v65, v67, v65, 0x3f2aaada
	v_sub_f32_e32 v38, v64, v38
	v_ldexp_f32 v69, v64, 1
	v_mul_f32_e32 v67, v64, v67
	v_mov_b32_e32 v64, 0x3f317218
	v_pk_mul_f32 v[64:65], v[66:67], v[64:65]
	v_sub_f32_e32 v37, v37, v38
	v_fma_f32 v38, v66, s52, -v64
	v_fmamk_f32 v68, v66, 0xb102e308, v38
	v_pk_add_f32 v[66:67], v[64:65], v[68:69]
	v_ldexp_f32 v37, v37, 1
	v_sub_f32_e32 v38, v67, v69
	v_sub_f32_e32 v38, v65, v38
	v_add_f32_e32 v71, v37, v38
	v_mov_b32_e32 v70, v64
	v_pk_add_f32 v[64:65], v[66:67], v[64:65] neg_lo:[0,1] neg_hi:[0,1]
	v_pk_add_f32 v[80:81], v[66:67], v[70:71]
	v_mov_b32_e32 v69, v66
	v_mov_b32_e32 v65, v81
	v_pk_add_f32 v[82:83], v[68:69], v[64:65] neg_lo:[0,1] neg_hi:[0,1]
	v_pk_add_f32 v[64:65], v[68:69], v[64:65]
	v_cmp_eq_f32_e64 s[52:53], s60, v86
	v_mov_b32_e32 v38, v65
	v_pk_add_f32 v[68:69], v[38:39], v[66:67] neg_lo:[0,1] neg_hi:[0,1]
	v_mov_b32_e32 v64, v81
	v_mov_b32_e32 v37, v68
	v_pk_add_f32 v[84:85], v[80:81], v[36:37] neg_lo:[0,1] neg_hi:[0,1]
	v_mov_b32_e32 v80, v67
	v_mov_b32_e32 v81, v68
	;; [unrolled: 1-line block ×3, first 2 shown]
	v_pk_add_f32 v[64:65], v[64:65], v[80:81] neg_lo:[0,1] neg_hi:[0,1]
	v_mov_b32_e32 v68, v71
	v_mov_b32_e32 v69, v66
	v_pk_add_f32 v[64:65], v[68:69], v[64:65] neg_lo:[0,1] neg_hi:[0,1]
	v_mov_b32_e32 v84, v82
	v_pk_add_f32 v[66:67], v[84:85], v[64:65]
	s_mov_b32 s60, 0x33800000
	v_mov_b32_e32 v68, v67
	v_pk_add_f32 v[68:69], v[66:67], v[68:69]
	v_cmp_lt_f32_e64 s[60:61], |v86|, s60
	v_pk_add_f32 v[70:71], v[38:39], v[68:69]
	v_mov_b32_e32 v65, v68
	v_mov_b32_e32 v67, v70
	v_pk_add_f32 v[80:81], v[66:67], v[82:83] neg_lo:[0,1] neg_hi:[0,1]
	s_or_b64 s[52:53], s[52:53], s[60:61]
	v_sub_f32_e32 v37, v66, v80
	v_pk_add_f32 v[64:65], v[64:65], v[80:81] neg_lo:[0,1] neg_hi:[0,1]
	v_sub_f32_e32 v37, v82, v37
	v_add_f32_e32 v37, v64, v37
	v_add_f32_e32 v37, v37, v65
	;; [unrolled: 1-line block ×3, first 2 shown]
	v_cndmask_b32_e64 v37, v37, v86, s[52:53]
	v_add_f32_e32 v35, v35, v37
	v_cvt_f16_f32_e32 v38, v35
.LBB408_325:
	s_or_b64 exec, exec, s[54:55]
	v_and_b32_e32 v37, 0xffff, v38
	v_mov_b32_e32 v35, v38
.LBB408_326:
	s_or_b64 exec, exec, s[56:57]
	v_mov_b32_dpp v38, v37 row_shr:4 row_mask:0xf bank_mask:0xf
	v_cmp_lt_u32_e64 s[52:53], 3, v36
	s_and_saveexec_b64 s[56:57], s[52:53]
	s_cbranch_execz .LBB408_330
; %bb.327:
	v_cvt_f32_f16_e32 v64, v38
	v_cvt_f32_f16_e32 v65, v35
	v_cmp_u_f16_e64 s[52:53], v38, v38
	v_cmp_u_f16_e64 s[54:55], v35, v35
	v_min_f32_e32 v37, v64, v65
	v_max_f32_e32 v35, v64, v65
	v_cndmask_b32_e64 v37, v37, v64, s[52:53]
	v_cndmask_b32_e64 v35, v35, v64, s[52:53]
	;; [unrolled: 1-line block ×4, first 2 shown]
	s_movk_i32 s54, 0x1f8
	v_cmp_neq_f32_e64 s[52:53], v37, v35
	v_cmp_class_f32_e64 s[54:55], v37, s54
	s_or_b64 s[52:53], s[52:53], s[54:55]
	s_and_saveexec_b64 s[54:55], s[52:53]
	s_cbranch_execz .LBB408_329
; %bb.328:
	v_sub_f32_e32 v37, v37, v35
	s_mov_b32 s52, 0x3fb8aa3b
	v_mul_f32_e32 v38, 0x3fb8aa3b, v37
	v_fma_f32 v64, v37, s52, -v38
	v_rndne_f32_e32 v65, v38
	v_fmamk_f32 v64, v37, 0x32a5705f, v64
	v_sub_f32_e32 v38, v38, v65
	v_add_f32_e32 v38, v38, v64
	v_exp_f32_e32 v38, v38
	v_cvt_i32_f32_e32 v64, v65
	s_mov_b32 s52, 0xc2ce8ed0
	v_cmp_ngt_f32_e64 s[52:53], s52, v37
	s_mov_b32 s60, 0x7f800000
	v_ldexp_f32 v38, v38, v64
	v_cndmask_b32_e64 v38, 0, v38, s[52:53]
	s_mov_b32 s52, 0x42b17218
	v_mov_b32_e32 v64, 0x7f800000
	v_cmp_nlt_f32_e64 s[52:53], s52, v37
	s_nop 1
	v_cndmask_b32_e64 v86, v64, v38, s[52:53]
	v_add_f32_e32 v37, 1.0, v86
	v_add_f32_e32 v38, -1.0, v37
	v_sub_f32_e32 v64, v38, v37
	v_add_f32_e32 v64, 1.0, v64
	v_sub_f32_e32 v38, v86, v38
	v_add_f32_e32 v38, v38, v64
	v_frexp_mant_f32_e32 v66, v37
	s_mov_b32 s52, 0x3f2aaaab
	v_cvt_f64_f32_e32 v[64:65], v37
	v_frexp_exp_i32_f64_e32 v64, v[64:65]
	v_cmp_gt_f32_e64 s[52:53], s52, v66
	s_nop 1
	v_subbrev_co_u32_e64 v80, s[52:53], 0, v64, s[52:53]
	v_sub_u32_e32 v64, 0, v80
	v_ldexp_f32 v37, v37, v64
	v_ldexp_f32 v38, v38, v64
	v_add_f32_e32 v64, -1.0, v37
	v_add_f32_e32 v65, 1.0, v64
	v_sub_f32_e32 v65, v37, v65
	v_add_f32_e32 v66, v38, v65
	v_add_f32_e32 v65, 1.0, v37
	v_add_f32_e32 v67, -1.0, v65
	v_sub_f32_e32 v37, v37, v67
	v_add_f32_e32 v37, v38, v37
	v_add_f32_e32 v38, v65, v37
	v_rcp_f32_e32 v81, v38
	v_sub_f32_e32 v65, v65, v38
	v_add_f32_e32 v37, v37, v65
	v_add_f32_e32 v65, v64, v66
	v_sub_f32_e32 v64, v64, v65
	v_mul_f32_e32 v83, v65, v81
	v_add_f32_e32 v82, v66, v64
	v_mul_f32_e32 v66, v38, v83
	v_fma_f32 v68, v83, v38, -v66
	v_fmac_f32_e32 v68, v83, v37
	v_add_f32_e32 v64, v66, v68
	v_sub_f32_e32 v67, v65, v64
	v_pk_add_f32 v[70:71], v[64:65], v[66:67] neg_lo:[0,1] neg_hi:[0,1]
	v_mov_b32_e32 v69, v64
	v_pk_add_f32 v[64:65], v[70:71], v[68:69] neg_lo:[0,1] neg_hi:[0,1]
	s_mov_b32 s52, 0x3f317218
	v_add_f32_e32 v65, v82, v65
	v_add_f32_e32 v64, v64, v65
	;; [unrolled: 1-line block ×3, first 2 shown]
	v_mul_f32_e32 v82, v81, v65
	v_mul_f32_e32 v66, v38, v82
	v_fma_f32 v68, v82, v38, -v66
	v_fmac_f32_e32 v68, v82, v37
	v_sub_f32_e32 v37, v67, v65
	v_add_f32_e32 v37, v64, v37
	v_add_f32_e32 v64, v66, v68
	v_sub_f32_e32 v67, v65, v64
	v_pk_add_f32 v[70:71], v[64:65], v[66:67] neg_lo:[0,1] neg_hi:[0,1]
	v_mov_b32_e32 v69, v64
	v_pk_add_f32 v[64:65], v[70:71], v[68:69] neg_lo:[0,1] neg_hi:[0,1]
	v_add_f32_e32 v38, v83, v82
	v_add_f32_e32 v37, v37, v65
	;; [unrolled: 1-line block ×4, first 2 shown]
	v_sub_f32_e32 v64, v38, v83
	v_mul_f32_e32 v37, v81, v37
	v_sub_f32_e32 v64, v82, v64
	v_add_f32_e32 v37, v64, v37
	v_add_f32_e32 v64, v38, v37
	v_cvt_f32_i32_e32 v66, v80
	v_mul_f32_e32 v67, v64, v64
	v_mov_b32_e32 v65, 0x3ecc95a3
	v_fmac_f32_e32 v65, 0x3e9b6dac, v67
	v_fmaak_f32 v65, v67, v65, 0x3f2aaada
	v_sub_f32_e32 v38, v64, v38
	v_ldexp_f32 v69, v64, 1
	v_mul_f32_e32 v67, v64, v67
	v_mov_b32_e32 v64, 0x3f317218
	v_pk_mul_f32 v[64:65], v[66:67], v[64:65]
	v_sub_f32_e32 v37, v37, v38
	v_fma_f32 v38, v66, s52, -v64
	v_fmamk_f32 v68, v66, 0xb102e308, v38
	v_pk_add_f32 v[66:67], v[64:65], v[68:69]
	v_ldexp_f32 v37, v37, 1
	v_sub_f32_e32 v38, v67, v69
	v_sub_f32_e32 v38, v65, v38
	v_add_f32_e32 v71, v37, v38
	v_mov_b32_e32 v70, v64
	v_pk_add_f32 v[64:65], v[66:67], v[64:65] neg_lo:[0,1] neg_hi:[0,1]
	v_pk_add_f32 v[80:81], v[66:67], v[70:71]
	v_mov_b32_e32 v69, v66
	v_mov_b32_e32 v65, v81
	v_pk_add_f32 v[82:83], v[68:69], v[64:65] neg_lo:[0,1] neg_hi:[0,1]
	v_pk_add_f32 v[64:65], v[68:69], v[64:65]
	v_cmp_eq_f32_e64 s[52:53], s60, v86
	v_mov_b32_e32 v38, v65
	v_pk_add_f32 v[68:69], v[38:39], v[66:67] neg_lo:[0,1] neg_hi:[0,1]
	v_mov_b32_e32 v64, v81
	v_mov_b32_e32 v37, v68
	v_pk_add_f32 v[84:85], v[80:81], v[36:37] neg_lo:[0,1] neg_hi:[0,1]
	v_mov_b32_e32 v80, v67
	v_mov_b32_e32 v81, v68
	;; [unrolled: 1-line block ×3, first 2 shown]
	v_pk_add_f32 v[64:65], v[64:65], v[80:81] neg_lo:[0,1] neg_hi:[0,1]
	v_mov_b32_e32 v68, v71
	v_mov_b32_e32 v69, v66
	v_pk_add_f32 v[64:65], v[68:69], v[64:65] neg_lo:[0,1] neg_hi:[0,1]
	v_mov_b32_e32 v84, v82
	v_pk_add_f32 v[66:67], v[84:85], v[64:65]
	s_mov_b32 s60, 0x33800000
	v_mov_b32_e32 v68, v67
	v_pk_add_f32 v[68:69], v[66:67], v[68:69]
	v_cmp_lt_f32_e64 s[60:61], |v86|, s60
	v_pk_add_f32 v[70:71], v[38:39], v[68:69]
	v_mov_b32_e32 v65, v68
	v_mov_b32_e32 v67, v70
	v_pk_add_f32 v[80:81], v[66:67], v[82:83] neg_lo:[0,1] neg_hi:[0,1]
	s_or_b64 s[52:53], s[52:53], s[60:61]
	v_sub_f32_e32 v37, v66, v80
	v_pk_add_f32 v[64:65], v[64:65], v[80:81] neg_lo:[0,1] neg_hi:[0,1]
	v_sub_f32_e32 v37, v82, v37
	v_add_f32_e32 v37, v64, v37
	v_add_f32_e32 v37, v37, v65
	;; [unrolled: 1-line block ×3, first 2 shown]
	v_cndmask_b32_e64 v37, v37, v86, s[52:53]
	v_add_f32_e32 v35, v35, v37
	v_cvt_f16_f32_e32 v38, v35
.LBB408_329:
	s_or_b64 exec, exec, s[54:55]
	v_and_b32_e32 v37, 0xffff, v38
	v_mov_b32_e32 v35, v38
.LBB408_330:
	s_or_b64 exec, exec, s[56:57]
	v_mov_b32_dpp v38, v37 row_shr:8 row_mask:0xf bank_mask:0xf
	v_cmp_lt_u32_e64 s[52:53], 7, v36
	s_and_saveexec_b64 s[56:57], s[52:53]
	s_cbranch_execz .LBB408_334
; %bb.331:
	v_cvt_f32_f16_e32 v37, v38
	v_cvt_f32_f16_e32 v64, v35
	v_cmp_u_f16_e64 s[52:53], v38, v38
	v_cmp_u_f16_e64 s[54:55], v35, v35
	v_min_f32_e32 v36, v37, v64
	v_max_f32_e32 v35, v37, v64
	v_cndmask_b32_e64 v36, v36, v37, s[52:53]
	v_cndmask_b32_e64 v35, v35, v37, s[52:53]
	;; [unrolled: 1-line block ×4, first 2 shown]
	s_movk_i32 s54, 0x1f8
	v_cmp_neq_f32_e64 s[52:53], v36, v35
	v_cmp_class_f32_e64 s[54:55], v36, s54
	s_or_b64 s[52:53], s[52:53], s[54:55]
	s_and_saveexec_b64 s[54:55], s[52:53]
	s_cbranch_execz .LBB408_333
; %bb.332:
	v_sub_f32_e32 v36, v36, v35
	s_mov_b32 s52, 0x3fb8aa3b
	v_mul_f32_e32 v37, 0x3fb8aa3b, v36
	v_fma_f32 v38, v36, s52, -v37
	v_rndne_f32_e32 v64, v37
	v_fmamk_f32 v38, v36, 0x32a5705f, v38
	v_sub_f32_e32 v37, v37, v64
	v_add_f32_e32 v37, v37, v38
	v_exp_f32_e32 v37, v37
	v_cvt_i32_f32_e32 v38, v64
	s_mov_b32 s52, 0xc2ce8ed0
	v_cmp_ngt_f32_e64 s[52:53], s52, v36
	s_mov_b32 s60, 0x7f800000
	v_ldexp_f32 v37, v37, v38
	v_cndmask_b32_e64 v37, 0, v37, s[52:53]
	s_mov_b32 s52, 0x42b17218
	v_mov_b32_e32 v38, 0x7f800000
	v_cmp_nlt_f32_e64 s[52:53], s52, v36
	s_nop 1
	v_cndmask_b32_e64 v84, v38, v37, s[52:53]
	v_add_f32_e32 v38, 1.0, v84
	v_add_f32_e32 v36, -1.0, v38
	v_sub_f32_e32 v37, v36, v38
	v_add_f32_e32 v37, 1.0, v37
	v_sub_f32_e32 v36, v84, v36
	v_add_f32_e32 v64, v36, v37
	v_frexp_mant_f32_e32 v65, v38
	s_mov_b32 s52, 0x3f2aaaab
	v_cvt_f64_f32_e32 v[36:37], v38
	v_frexp_exp_i32_f64_e32 v36, v[36:37]
	v_cmp_gt_f32_e64 s[52:53], s52, v65
	s_nop 1
	v_subbrev_co_u32_e64 v70, s[52:53], 0, v36, s[52:53]
	v_sub_u32_e32 v36, 0, v70
	v_ldexp_f32 v37, v38, v36
	v_add_f32_e32 v38, -1.0, v37
	v_add_f32_e32 v65, 1.0, v37
	v_ldexp_f32 v36, v64, v36
	v_add_f32_e32 v64, 1.0, v38
	v_add_f32_e32 v66, -1.0, v65
	v_sub_f32_e32 v64, v37, v64
	v_sub_f32_e32 v37, v37, v66
	v_add_f32_e32 v64, v36, v64
	v_add_f32_e32 v36, v36, v37
	;; [unrolled: 1-line block ×3, first 2 shown]
	v_rcp_f32_e32 v81, v71
	v_sub_f32_e32 v37, v65, v71
	v_add_f32_e32 v80, v36, v37
	v_add_f32_e32 v37, v38, v64
	v_sub_f32_e32 v36, v38, v37
	v_mul_f32_e32 v82, v37, v81
	v_add_f32_e32 v38, v64, v36
	v_mul_f32_e32 v64, v71, v82
	v_fma_f32 v66, v82, v71, -v64
	v_fmac_f32_e32 v66, v82, v80
	v_add_f32_e32 v36, v64, v66
	v_sub_f32_e32 v65, v37, v36
	v_pk_add_f32 v[68:69], v[36:37], v[64:65] neg_lo:[0,1] neg_hi:[0,1]
	v_mov_b32_e32 v67, v36
	v_pk_add_f32 v[36:37], v[68:69], v[66:67] neg_lo:[0,1] neg_hi:[0,1]
	s_mov_b32 s52, 0x3f317218
	v_add_f32_e32 v37, v38, v37
	v_add_f32_e32 v36, v36, v37
	;; [unrolled: 1-line block ×3, first 2 shown]
	v_mul_f32_e32 v38, v81, v37
	v_mul_f32_e32 v64, v71, v38
	v_fma_f32 v66, v38, v71, -v64
	v_fmac_f32_e32 v66, v38, v80
	v_sub_f32_e32 v65, v65, v37
	v_add_f32_e32 v71, v36, v65
	v_add_f32_e32 v36, v64, v66
	v_sub_f32_e32 v65, v37, v36
	v_pk_add_f32 v[68:69], v[36:37], v[64:65] neg_lo:[0,1] neg_hi:[0,1]
	v_mov_b32_e32 v67, v36
	v_pk_add_f32 v[36:37], v[68:69], v[66:67] neg_lo:[0,1] neg_hi:[0,1]
	v_cvt_f32_i32_e32 v64, v70
	v_add_f32_e32 v37, v71, v37
	v_add_f32_e32 v36, v36, v37
	;; [unrolled: 1-line block ×4, first 2 shown]
	v_sub_f32_e32 v37, v65, v82
	v_mul_f32_e32 v36, v81, v36
	v_sub_f32_e32 v37, v38, v37
	v_add_f32_e32 v36, v37, v36
	v_add_f32_e32 v38, v65, v36
	v_mul_f32_e32 v66, v38, v38
	v_mov_b32_e32 v37, 0x3ecc95a3
	v_sub_f32_e32 v65, v38, v65
	v_fmac_f32_e32 v37, 0x3e9b6dac, v66
	v_sub_f32_e32 v36, v36, v65
	v_fmaak_f32 v37, v66, v37, 0x3f2aaada
	v_ldexp_f32 v68, v36, 1
	v_mul_f32_e32 v65, v38, v66
	v_mov_b32_e32 v36, 0x3f317218
	v_pk_mul_f32 v[36:37], v[64:65], v[36:37]
	v_ldexp_f32 v67, v38, 1
	v_fma_f32 v38, v64, s52, -v36
	v_fmamk_f32 v66, v64, 0xb102e308, v38
	v_pk_add_f32 v[64:65], v[36:37], v[66:67]
	v_cmp_eq_f32_e64 s[52:53], s60, v84
	v_sub_f32_e32 v38, v65, v67
	v_sub_f32_e32 v38, v37, v38
	v_add_f32_e32 v69, v68, v38
	v_mov_b32_e32 v68, v36
	v_pk_add_f32 v[36:37], v[64:65], v[36:37] neg_lo:[0,1] neg_hi:[0,1]
	v_pk_add_f32 v[70:71], v[64:65], v[68:69]
	v_mov_b32_e32 v67, v64
	v_mov_b32_e32 v37, v71
	v_pk_add_f32 v[80:81], v[66:67], v[36:37] neg_lo:[0,1] neg_hi:[0,1]
	v_pk_add_f32 v[36:37], v[66:67], v[36:37]
	s_mov_b32 s60, 0x33800000
	v_mov_b32_e32 v38, v37
	v_pk_add_f32 v[66:67], v[38:39], v[64:65] neg_lo:[0,1] neg_hi:[0,1]
	v_mov_b32_e32 v36, v71
	v_mov_b32_e32 v67, v66
	v_pk_add_f32 v[82:83], v[70:71], v[66:67] neg_lo:[0,1] neg_hi:[0,1]
	v_mov_b32_e32 v70, v65
	v_mov_b32_e32 v71, v66
	;; [unrolled: 1-line block ×3, first 2 shown]
	v_pk_add_f32 v[36:37], v[36:37], v[70:71] neg_lo:[0,1] neg_hi:[0,1]
	v_mov_b32_e32 v66, v69
	v_mov_b32_e32 v67, v64
	v_pk_add_f32 v[36:37], v[66:67], v[36:37] neg_lo:[0,1] neg_hi:[0,1]
	v_mov_b32_e32 v82, v80
	v_pk_add_f32 v[64:65], v[82:83], v[36:37]
	v_cmp_lt_f32_e64 s[60:61], |v84|, s60
	v_mov_b32_e32 v66, v65
	v_pk_add_f32 v[66:67], v[64:65], v[66:67]
	s_or_b64 s[52:53], s[52:53], s[60:61]
	v_pk_add_f32 v[68:69], v[38:39], v[66:67]
	v_mov_b32_e32 v37, v66
	v_mov_b32_e32 v65, v68
	v_pk_add_f32 v[70:71], v[64:65], v[80:81] neg_lo:[0,1] neg_hi:[0,1]
	s_nop 0
	v_sub_f32_e32 v38, v64, v70
	v_pk_add_f32 v[36:37], v[36:37], v[70:71] neg_lo:[0,1] neg_hi:[0,1]
	v_sub_f32_e32 v38, v80, v38
	v_add_f32_e32 v36, v36, v38
	v_add_f32_e32 v36, v36, v37
	;; [unrolled: 1-line block ×3, first 2 shown]
	v_cndmask_b32_e64 v36, v36, v84, s[52:53]
	v_add_f32_e32 v35, v35, v36
	v_cvt_f16_f32_e32 v38, v35
.LBB408_333:
	s_or_b64 exec, exec, s[54:55]
	v_and_b32_e32 v37, 0xffff, v38
	v_mov_b32_e32 v35, v38
.LBB408_334:
	s_or_b64 exec, exec, s[56:57]
	v_and_b32_e32 v38, 16, v19
	v_mov_b32_dpp v36, v37 row_bcast:15 row_mask:0xf bank_mask:0xf
	v_cmp_ne_u32_e64 s[52:53], 0, v38
	s_and_saveexec_b64 s[56:57], s[52:53]
	s_cbranch_execz .LBB408_338
; %bb.335:
	v_cvt_f32_f16_e32 v38, v36
	v_cvt_f32_f16_e32 v64, v35
	v_cmp_u_f16_e64 s[52:53], v36, v36
	v_cmp_u_f16_e64 s[54:55], v35, v35
	v_min_f32_e32 v37, v38, v64
	v_max_f32_e32 v35, v38, v64
	v_cndmask_b32_e64 v37, v37, v38, s[52:53]
	v_cndmask_b32_e64 v35, v35, v38, s[52:53]
	;; [unrolled: 1-line block ×4, first 2 shown]
	s_movk_i32 s54, 0x1f8
	v_cmp_neq_f32_e64 s[52:53], v37, v35
	v_cmp_class_f32_e64 s[54:55], v37, s54
	s_or_b64 s[52:53], s[52:53], s[54:55]
	s_and_saveexec_b64 s[54:55], s[52:53]
	s_cbranch_execz .LBB408_337
; %bb.336:
	v_sub_f32_e32 v36, v37, v35
	s_mov_b32 s52, 0x3fb8aa3b
	v_mul_f32_e32 v37, 0x3fb8aa3b, v36
	v_fma_f32 v38, v36, s52, -v37
	v_rndne_f32_e32 v64, v37
	v_fmamk_f32 v38, v36, 0x32a5705f, v38
	v_sub_f32_e32 v37, v37, v64
	v_add_f32_e32 v37, v37, v38
	v_exp_f32_e32 v37, v37
	v_cvt_i32_f32_e32 v38, v64
	s_mov_b32 s52, 0xc2ce8ed0
	v_cmp_ngt_f32_e64 s[52:53], s52, v36
	s_mov_b32 s60, 0x7f800000
	v_ldexp_f32 v37, v37, v38
	v_cndmask_b32_e64 v37, 0, v37, s[52:53]
	s_mov_b32 s52, 0x42b17218
	v_mov_b32_e32 v38, 0x7f800000
	v_cmp_nlt_f32_e64 s[52:53], s52, v36
	s_nop 1
	v_cndmask_b32_e64 v84, v38, v37, s[52:53]
	v_add_f32_e32 v38, 1.0, v84
	v_add_f32_e32 v36, -1.0, v38
	v_sub_f32_e32 v37, v36, v38
	v_add_f32_e32 v37, 1.0, v37
	v_sub_f32_e32 v36, v84, v36
	v_add_f32_e32 v64, v36, v37
	v_frexp_mant_f32_e32 v65, v38
	s_mov_b32 s52, 0x3f2aaaab
	v_cvt_f64_f32_e32 v[36:37], v38
	v_frexp_exp_i32_f64_e32 v36, v[36:37]
	v_cmp_gt_f32_e64 s[52:53], s52, v65
	s_nop 1
	v_subbrev_co_u32_e64 v70, s[52:53], 0, v36, s[52:53]
	v_sub_u32_e32 v36, 0, v70
	v_ldexp_f32 v37, v38, v36
	v_add_f32_e32 v38, -1.0, v37
	v_add_f32_e32 v65, 1.0, v37
	v_ldexp_f32 v36, v64, v36
	v_add_f32_e32 v64, 1.0, v38
	v_add_f32_e32 v66, -1.0, v65
	v_sub_f32_e32 v64, v37, v64
	v_sub_f32_e32 v37, v37, v66
	v_add_f32_e32 v64, v36, v64
	v_add_f32_e32 v36, v36, v37
	;; [unrolled: 1-line block ×3, first 2 shown]
	v_rcp_f32_e32 v81, v71
	v_sub_f32_e32 v37, v65, v71
	v_add_f32_e32 v80, v36, v37
	v_add_f32_e32 v37, v38, v64
	v_sub_f32_e32 v36, v38, v37
	v_mul_f32_e32 v82, v37, v81
	v_add_f32_e32 v38, v64, v36
	v_mul_f32_e32 v64, v71, v82
	v_fma_f32 v66, v82, v71, -v64
	v_fmac_f32_e32 v66, v82, v80
	v_add_f32_e32 v36, v64, v66
	v_sub_f32_e32 v65, v37, v36
	v_pk_add_f32 v[68:69], v[36:37], v[64:65] neg_lo:[0,1] neg_hi:[0,1]
	v_mov_b32_e32 v67, v36
	v_pk_add_f32 v[36:37], v[68:69], v[66:67] neg_lo:[0,1] neg_hi:[0,1]
	s_mov_b32 s52, 0x3f317218
	v_add_f32_e32 v37, v38, v37
	v_add_f32_e32 v36, v36, v37
	;; [unrolled: 1-line block ×3, first 2 shown]
	v_mul_f32_e32 v38, v81, v37
	v_mul_f32_e32 v64, v71, v38
	v_fma_f32 v66, v38, v71, -v64
	v_fmac_f32_e32 v66, v38, v80
	v_sub_f32_e32 v65, v65, v37
	v_add_f32_e32 v71, v36, v65
	v_add_f32_e32 v36, v64, v66
	v_sub_f32_e32 v65, v37, v36
	v_pk_add_f32 v[68:69], v[36:37], v[64:65] neg_lo:[0,1] neg_hi:[0,1]
	v_mov_b32_e32 v67, v36
	v_pk_add_f32 v[36:37], v[68:69], v[66:67] neg_lo:[0,1] neg_hi:[0,1]
	v_cvt_f32_i32_e32 v64, v70
	v_add_f32_e32 v37, v71, v37
	v_add_f32_e32 v36, v36, v37
	v_add_f32_e32 v36, v65, v36
	v_add_f32_e32 v65, v82, v38
	v_sub_f32_e32 v37, v65, v82
	v_mul_f32_e32 v36, v81, v36
	v_sub_f32_e32 v37, v38, v37
	v_add_f32_e32 v36, v37, v36
	v_add_f32_e32 v38, v65, v36
	v_mul_f32_e32 v66, v38, v38
	v_mov_b32_e32 v37, 0x3ecc95a3
	v_sub_f32_e32 v65, v38, v65
	v_fmac_f32_e32 v37, 0x3e9b6dac, v66
	v_sub_f32_e32 v36, v36, v65
	v_fmaak_f32 v37, v66, v37, 0x3f2aaada
	v_ldexp_f32 v68, v36, 1
	v_mul_f32_e32 v65, v38, v66
	v_mov_b32_e32 v36, 0x3f317218
	v_pk_mul_f32 v[36:37], v[64:65], v[36:37]
	v_ldexp_f32 v67, v38, 1
	v_fma_f32 v38, v64, s52, -v36
	v_fmamk_f32 v66, v64, 0xb102e308, v38
	v_pk_add_f32 v[64:65], v[36:37], v[66:67]
	v_cmp_eq_f32_e64 s[52:53], s60, v84
	v_sub_f32_e32 v38, v65, v67
	v_sub_f32_e32 v38, v37, v38
	v_add_f32_e32 v69, v68, v38
	v_mov_b32_e32 v68, v36
	v_pk_add_f32 v[36:37], v[64:65], v[36:37] neg_lo:[0,1] neg_hi:[0,1]
	v_pk_add_f32 v[70:71], v[64:65], v[68:69]
	v_mov_b32_e32 v67, v64
	v_mov_b32_e32 v37, v71
	v_pk_add_f32 v[80:81], v[66:67], v[36:37] neg_lo:[0,1] neg_hi:[0,1]
	v_pk_add_f32 v[36:37], v[66:67], v[36:37]
	s_mov_b32 s60, 0x33800000
	v_mov_b32_e32 v38, v37
	v_pk_add_f32 v[66:67], v[38:39], v[64:65] neg_lo:[0,1] neg_hi:[0,1]
	v_mov_b32_e32 v36, v71
	v_mov_b32_e32 v67, v66
	v_pk_add_f32 v[82:83], v[70:71], v[66:67] neg_lo:[0,1] neg_hi:[0,1]
	v_mov_b32_e32 v70, v65
	v_mov_b32_e32 v71, v66
	;; [unrolled: 1-line block ×3, first 2 shown]
	v_pk_add_f32 v[36:37], v[36:37], v[70:71] neg_lo:[0,1] neg_hi:[0,1]
	v_mov_b32_e32 v66, v69
	v_mov_b32_e32 v67, v64
	v_pk_add_f32 v[36:37], v[66:67], v[36:37] neg_lo:[0,1] neg_hi:[0,1]
	v_mov_b32_e32 v82, v80
	v_pk_add_f32 v[64:65], v[82:83], v[36:37]
	v_cmp_lt_f32_e64 s[60:61], |v84|, s60
	v_mov_b32_e32 v66, v65
	v_pk_add_f32 v[66:67], v[64:65], v[66:67]
	s_or_b64 s[52:53], s[52:53], s[60:61]
	v_pk_add_f32 v[68:69], v[38:39], v[66:67]
	v_mov_b32_e32 v37, v66
	v_mov_b32_e32 v65, v68
	v_pk_add_f32 v[70:71], v[64:65], v[80:81] neg_lo:[0,1] neg_hi:[0,1]
	s_nop 0
	v_sub_f32_e32 v38, v64, v70
	v_pk_add_f32 v[36:37], v[36:37], v[70:71] neg_lo:[0,1] neg_hi:[0,1]
	v_sub_f32_e32 v38, v80, v38
	v_add_f32_e32 v36, v36, v38
	v_add_f32_e32 v36, v36, v37
	;; [unrolled: 1-line block ×3, first 2 shown]
	v_cndmask_b32_e64 v36, v36, v84, s[52:53]
	v_add_f32_e32 v35, v35, v36
	v_cvt_f16_f32_e32 v36, v35
.LBB408_337:
	s_or_b64 exec, exec, s[54:55]
	v_and_b32_e32 v37, 0xffff, v36
	v_mov_b32_e32 v35, v36
.LBB408_338:
	s_or_b64 exec, exec, s[56:57]
	v_mov_b32_dpp v36, v37 row_bcast:31 row_mask:0xf bank_mask:0xf
	v_cmp_lt_u32_e64 s[52:53], 31, v19
	s_and_saveexec_b64 s[56:57], s[52:53]
	s_cbranch_execz .LBB408_342
; %bb.339:
	v_cvt_f32_f16_e32 v38, v36
	v_cvt_f32_f16_e32 v64, v35
	v_cmp_u_f16_e64 s[52:53], v36, v36
	v_cmp_u_f16_e64 s[54:55], v35, v35
	v_min_f32_e32 v37, v38, v64
	v_max_f32_e32 v35, v38, v64
	v_cndmask_b32_e64 v37, v37, v38, s[52:53]
	v_cndmask_b32_e64 v35, v35, v38, s[52:53]
	;; [unrolled: 1-line block ×4, first 2 shown]
	s_movk_i32 s54, 0x1f8
	v_cmp_neq_f32_e64 s[52:53], v37, v35
	v_cmp_class_f32_e64 s[54:55], v37, s54
	s_or_b64 s[52:53], s[52:53], s[54:55]
	s_and_saveexec_b64 s[54:55], s[52:53]
	s_cbranch_execz .LBB408_341
; %bb.340:
	v_sub_f32_e32 v36, v37, v35
	s_mov_b32 s52, 0x3fb8aa3b
	v_mul_f32_e32 v37, 0x3fb8aa3b, v36
	v_fma_f32 v38, v36, s52, -v37
	v_rndne_f32_e32 v64, v37
	v_fmamk_f32 v38, v36, 0x32a5705f, v38
	v_sub_f32_e32 v37, v37, v64
	v_add_f32_e32 v37, v37, v38
	v_exp_f32_e32 v37, v37
	v_cvt_i32_f32_e32 v38, v64
	s_mov_b32 s52, 0xc2ce8ed0
	v_cmp_ngt_f32_e64 s[52:53], s52, v36
	s_mov_b32 s60, 0x7f800000
	v_ldexp_f32 v37, v37, v38
	v_cndmask_b32_e64 v37, 0, v37, s[52:53]
	s_mov_b32 s52, 0x42b17218
	v_mov_b32_e32 v38, 0x7f800000
	v_cmp_nlt_f32_e64 s[52:53], s52, v36
	s_nop 1
	v_cndmask_b32_e64 v84, v38, v37, s[52:53]
	v_add_f32_e32 v38, 1.0, v84
	v_add_f32_e32 v36, -1.0, v38
	v_sub_f32_e32 v37, v36, v38
	v_add_f32_e32 v37, 1.0, v37
	v_sub_f32_e32 v36, v84, v36
	v_add_f32_e32 v64, v36, v37
	v_frexp_mant_f32_e32 v65, v38
	s_mov_b32 s52, 0x3f2aaaab
	v_cvt_f64_f32_e32 v[36:37], v38
	v_frexp_exp_i32_f64_e32 v36, v[36:37]
	v_cmp_gt_f32_e64 s[52:53], s52, v65
	s_nop 1
	v_subbrev_co_u32_e64 v70, s[52:53], 0, v36, s[52:53]
	v_sub_u32_e32 v36, 0, v70
	v_ldexp_f32 v37, v38, v36
	v_add_f32_e32 v38, -1.0, v37
	v_add_f32_e32 v65, 1.0, v37
	v_ldexp_f32 v36, v64, v36
	v_add_f32_e32 v64, 1.0, v38
	v_add_f32_e32 v66, -1.0, v65
	v_sub_f32_e32 v64, v37, v64
	v_sub_f32_e32 v37, v37, v66
	v_add_f32_e32 v64, v36, v64
	v_add_f32_e32 v36, v36, v37
	;; [unrolled: 1-line block ×3, first 2 shown]
	v_rcp_f32_e32 v81, v71
	v_sub_f32_e32 v37, v65, v71
	v_add_f32_e32 v80, v36, v37
	v_add_f32_e32 v37, v38, v64
	v_sub_f32_e32 v36, v38, v37
	v_mul_f32_e32 v82, v37, v81
	v_add_f32_e32 v38, v64, v36
	v_mul_f32_e32 v64, v71, v82
	v_fma_f32 v66, v82, v71, -v64
	v_fmac_f32_e32 v66, v82, v80
	v_add_f32_e32 v36, v64, v66
	v_sub_f32_e32 v65, v37, v36
	v_pk_add_f32 v[68:69], v[36:37], v[64:65] neg_lo:[0,1] neg_hi:[0,1]
	v_mov_b32_e32 v67, v36
	v_pk_add_f32 v[36:37], v[68:69], v[66:67] neg_lo:[0,1] neg_hi:[0,1]
	s_mov_b32 s52, 0x3f317218
	v_add_f32_e32 v37, v38, v37
	v_add_f32_e32 v36, v36, v37
	;; [unrolled: 1-line block ×3, first 2 shown]
	v_mul_f32_e32 v38, v81, v37
	v_mul_f32_e32 v64, v71, v38
	v_fma_f32 v66, v38, v71, -v64
	v_fmac_f32_e32 v66, v38, v80
	v_sub_f32_e32 v65, v65, v37
	v_add_f32_e32 v71, v36, v65
	v_add_f32_e32 v36, v64, v66
	v_sub_f32_e32 v65, v37, v36
	v_pk_add_f32 v[68:69], v[36:37], v[64:65] neg_lo:[0,1] neg_hi:[0,1]
	v_mov_b32_e32 v67, v36
	v_pk_add_f32 v[36:37], v[68:69], v[66:67] neg_lo:[0,1] neg_hi:[0,1]
	v_cvt_f32_i32_e32 v64, v70
	v_add_f32_e32 v37, v71, v37
	v_add_f32_e32 v36, v36, v37
	;; [unrolled: 1-line block ×4, first 2 shown]
	v_sub_f32_e32 v37, v65, v82
	v_mul_f32_e32 v36, v81, v36
	v_sub_f32_e32 v37, v38, v37
	v_add_f32_e32 v36, v37, v36
	v_add_f32_e32 v38, v65, v36
	v_mul_f32_e32 v66, v38, v38
	v_mov_b32_e32 v37, 0x3ecc95a3
	v_sub_f32_e32 v65, v38, v65
	v_fmac_f32_e32 v37, 0x3e9b6dac, v66
	v_sub_f32_e32 v36, v36, v65
	v_fmaak_f32 v37, v66, v37, 0x3f2aaada
	v_ldexp_f32 v68, v36, 1
	v_mul_f32_e32 v65, v38, v66
	v_mov_b32_e32 v36, 0x3f317218
	v_pk_mul_f32 v[36:37], v[64:65], v[36:37]
	v_ldexp_f32 v67, v38, 1
	v_fma_f32 v38, v64, s52, -v36
	v_fmamk_f32 v66, v64, 0xb102e308, v38
	v_pk_add_f32 v[64:65], v[36:37], v[66:67]
	v_cmp_eq_f32_e64 s[52:53], s60, v84
	v_sub_f32_e32 v38, v65, v67
	v_sub_f32_e32 v38, v37, v38
	v_add_f32_e32 v69, v68, v38
	v_mov_b32_e32 v68, v36
	v_pk_add_f32 v[36:37], v[64:65], v[36:37] neg_lo:[0,1] neg_hi:[0,1]
	v_pk_add_f32 v[70:71], v[64:65], v[68:69]
	v_mov_b32_e32 v67, v64
	v_mov_b32_e32 v37, v71
	v_pk_add_f32 v[80:81], v[66:67], v[36:37] neg_lo:[0,1] neg_hi:[0,1]
	v_pk_add_f32 v[36:37], v[66:67], v[36:37]
	s_mov_b32 s60, 0x33800000
	v_mov_b32_e32 v38, v37
	v_pk_add_f32 v[66:67], v[38:39], v[64:65] neg_lo:[0,1] neg_hi:[0,1]
	v_mov_b32_e32 v36, v71
	v_mov_b32_e32 v67, v66
	v_pk_add_f32 v[82:83], v[70:71], v[66:67] neg_lo:[0,1] neg_hi:[0,1]
	v_mov_b32_e32 v70, v65
	v_mov_b32_e32 v71, v66
	;; [unrolled: 1-line block ×3, first 2 shown]
	v_pk_add_f32 v[36:37], v[36:37], v[70:71] neg_lo:[0,1] neg_hi:[0,1]
	v_mov_b32_e32 v66, v69
	v_mov_b32_e32 v67, v64
	v_pk_add_f32 v[36:37], v[66:67], v[36:37] neg_lo:[0,1] neg_hi:[0,1]
	v_mov_b32_e32 v82, v80
	v_pk_add_f32 v[64:65], v[82:83], v[36:37]
	v_cmp_lt_f32_e64 s[60:61], |v84|, s60
	v_mov_b32_e32 v66, v65
	v_pk_add_f32 v[66:67], v[64:65], v[66:67]
	s_or_b64 s[52:53], s[52:53], s[60:61]
	v_pk_add_f32 v[68:69], v[38:39], v[66:67]
	v_mov_b32_e32 v37, v66
	v_mov_b32_e32 v65, v68
	v_pk_add_f32 v[70:71], v[64:65], v[80:81] neg_lo:[0,1] neg_hi:[0,1]
	s_nop 0
	v_sub_f32_e32 v38, v64, v70
	v_pk_add_f32 v[36:37], v[36:37], v[70:71] neg_lo:[0,1] neg_hi:[0,1]
	v_sub_f32_e32 v38, v80, v38
	v_add_f32_e32 v36, v36, v38
	v_add_f32_e32 v36, v36, v37
	;; [unrolled: 1-line block ×3, first 2 shown]
	v_cndmask_b32_e64 v36, v36, v84, s[52:53]
	v_add_f32_e32 v35, v35, v36
	v_cvt_f16_f32_e32 v36, v35
.LBB408_341:
	s_or_b64 exec, exec, s[54:55]
	v_mov_b32_e32 v35, v36
.LBB408_342:
	s_or_b64 exec, exec, s[56:57]
	v_and_b32_e32 v37, 0x3c0, v0
	v_min_u32_e32 v37, 0xc0, v37
	v_or_b32_e32 v37, 63, v37
	v_lshrrev_b32_e32 v36, 6, v0
	v_cmp_eq_u32_e64 s[52:53], v37, v0
	s_and_saveexec_b64 s[54:55], s[52:53]
	s_cbranch_execz .LBB408_344
; %bb.343:
	v_lshlrev_b32_e32 v37, 1, v36
	ds_write_b16 v37, v35
.LBB408_344:
	s_or_b64 exec, exec, s[54:55]
	v_cmp_gt_u32_e64 s[52:53], 4, v0
	s_waitcnt lgkmcnt(0)
	s_barrier
	s_and_saveexec_b64 s[56:57], s[52:53]
	s_cbranch_execz .LBB408_354
; %bb.345:
	ds_read_u16 v38, v10
	v_and_b32_e32 v37, 3, v19
	v_cmp_ne_u32_e64 s[52:53], 0, v37
	s_waitcnt lgkmcnt(0)
	v_and_b32_e32 v65, 0xffff, v38
	s_nop 1
	v_mov_b32_dpp v64, v65 row_shr:1 row_mask:0xf bank_mask:0xf
	s_and_saveexec_b64 s[60:61], s[52:53]
	s_cbranch_execz .LBB408_349
; %bb.346:
	v_cvt_f32_f16_e32 v66, v64
	v_cvt_f32_f16_e32 v67, v38
	v_cmp_u_f16_e64 s[52:53], v64, v64
	v_cmp_u_f16_e64 s[54:55], v38, v38
	v_min_f32_e32 v65, v66, v67
	v_max_f32_e32 v38, v66, v67
	v_cndmask_b32_e64 v65, v65, v66, s[52:53]
	v_cndmask_b32_e64 v38, v38, v66, s[52:53]
	;; [unrolled: 1-line block ×4, first 2 shown]
	s_movk_i32 s54, 0x1f8
	v_cmp_neq_f32_e64 s[52:53], v65, v38
	v_cmp_class_f32_e64 s[54:55], v65, s54
	s_or_b64 s[52:53], s[52:53], s[54:55]
	s_and_saveexec_b64 s[54:55], s[52:53]
	s_cbranch_execz .LBB408_348
; %bb.347:
	v_sub_f32_e32 v64, v65, v38
	s_mov_b32 s52, 0x3fb8aa3b
	v_mul_f32_e32 v65, 0x3fb8aa3b, v64
	v_fma_f32 v66, v64, s52, -v65
	v_rndne_f32_e32 v67, v65
	v_fmamk_f32 v66, v64, 0x32a5705f, v66
	v_sub_f32_e32 v65, v65, v67
	v_add_f32_e32 v65, v65, v66
	v_exp_f32_e32 v65, v65
	v_cvt_i32_f32_e32 v66, v67
	s_mov_b32 s52, 0xc2ce8ed0
	v_cmp_ngt_f32_e64 s[52:53], s52, v64
	s_mov_b32 s62, 0x7f800000
	v_ldexp_f32 v65, v65, v66
	v_cndmask_b32_e64 v65, 0, v65, s[52:53]
	s_mov_b32 s52, 0x42b17218
	v_mov_b32_e32 v66, 0x7f800000
	v_cmp_nlt_f32_e64 s[52:53], s52, v64
	s_nop 1
	v_cndmask_b32_e64 v96, v66, v65, s[52:53]
	v_add_f32_e32 v66, 1.0, v96
	v_add_f32_e32 v64, -1.0, v66
	v_sub_f32_e32 v65, v64, v66
	v_add_f32_e32 v65, 1.0, v65
	v_sub_f32_e32 v64, v96, v64
	v_add_f32_e32 v67, v64, v65
	v_frexp_mant_f32_e32 v68, v66
	s_mov_b32 s52, 0x3f2aaaab
	v_cvt_f64_f32_e32 v[64:65], v66
	v_frexp_exp_i32_f64_e32 v64, v[64:65]
	v_cmp_gt_f32_e64 s[52:53], s52, v68
	s_nop 1
	v_subbrev_co_u32_e64 v80, s[52:53], 0, v64, s[52:53]
	v_sub_u32_e32 v64, 0, v80
	v_ldexp_f32 v65, v66, v64
	v_add_f32_e32 v66, -1.0, v65
	v_add_f32_e32 v68, 1.0, v65
	v_ldexp_f32 v64, v67, v64
	v_add_f32_e32 v67, 1.0, v66
	v_add_f32_e32 v69, -1.0, v68
	v_sub_f32_e32 v67, v65, v67
	v_sub_f32_e32 v65, v65, v69
	v_add_f32_e32 v67, v64, v67
	v_add_f32_e32 v64, v64, v65
	;; [unrolled: 1-line block ×3, first 2 shown]
	v_rcp_f32_e32 v83, v81
	v_sub_f32_e32 v65, v68, v81
	v_add_f32_e32 v82, v64, v65
	v_add_f32_e32 v65, v66, v67
	v_mul_f32_e32 v85, v65, v83
	v_sub_f32_e32 v64, v66, v65
	v_mul_f32_e32 v66, v81, v85
	v_fma_f32 v68, v85, v81, -v66
	v_fmac_f32_e32 v68, v85, v82
	v_add_f32_e32 v84, v67, v64
	v_add_f32_e32 v64, v66, v68
	v_sub_f32_e32 v67, v65, v64
	v_pk_add_f32 v[70:71], v[64:65], v[66:67] neg_lo:[0,1] neg_hi:[0,1]
	v_mov_b32_e32 v69, v64
	v_pk_add_f32 v[64:65], v[70:71], v[68:69] neg_lo:[0,1] neg_hi:[0,1]
	s_mov_b32 s52, 0x3f317218
	v_add_f32_e32 v65, v84, v65
	v_add_f32_e32 v64, v64, v65
	;; [unrolled: 1-line block ×3, first 2 shown]
	v_mul_f32_e32 v84, v83, v65
	v_mul_f32_e32 v66, v81, v84
	v_fma_f32 v68, v84, v81, -v66
	v_fmac_f32_e32 v68, v84, v82
	v_sub_f32_e32 v67, v67, v65
	v_add_f32_e32 v81, v64, v67
	v_add_f32_e32 v64, v66, v68
	v_sub_f32_e32 v67, v65, v64
	v_pk_add_f32 v[70:71], v[64:65], v[66:67] neg_lo:[0,1] neg_hi:[0,1]
	v_mov_b32_e32 v69, v64
	v_pk_add_f32 v[64:65], v[70:71], v[68:69] neg_lo:[0,1] neg_hi:[0,1]
	v_cvt_f32_i32_e32 v66, v80
	v_add_f32_e32 v65, v81, v65
	v_add_f32_e32 v64, v64, v65
	;; [unrolled: 1-line block ×4, first 2 shown]
	v_sub_f32_e32 v65, v67, v85
	v_mul_f32_e32 v64, v83, v64
	v_sub_f32_e32 v65, v84, v65
	v_add_f32_e32 v64, v65, v64
	v_add_f32_e32 v68, v67, v64
	v_mul_f32_e32 v70, v68, v68
	v_mov_b32_e32 v65, 0x3ecc95a3
	v_sub_f32_e32 v67, v68, v67
	v_fmac_f32_e32 v65, 0x3e9b6dac, v70
	v_sub_f32_e32 v64, v64, v67
	v_fmaak_f32 v65, v70, v65, 0x3f2aaada
	v_ldexp_f32 v71, v64, 1
	v_mul_f32_e32 v67, v68, v70
	v_mov_b32_e32 v64, 0x3f317218
	v_pk_mul_f32 v[64:65], v[66:67], v[64:65]
	v_ldexp_f32 v69, v68, 1
	v_fma_f32 v67, v66, s52, -v64
	v_fmamk_f32 v68, v66, 0xb102e308, v67
	v_pk_add_f32 v[66:67], v[64:65], v[68:69]
	v_mov_b32_e32 v70, v64
	v_sub_f32_e32 v69, v67, v69
	v_sub_f32_e32 v69, v65, v69
	v_add_f32_e32 v71, v71, v69
	v_pk_add_f32 v[64:65], v[66:67], v[64:65] neg_lo:[0,1] neg_hi:[0,1]
	v_pk_add_f32 v[80:81], v[66:67], v[70:71]
	v_mov_b32_e32 v69, v66
	v_mov_b32_e32 v65, v81
	v_pk_add_f32 v[82:83], v[68:69], v[64:65] neg_lo:[0,1] neg_hi:[0,1]
	v_pk_add_f32 v[64:65], v[68:69], v[64:65]
	v_mov_b32_e32 v70, v71
	v_mov_b32_e32 v68, v65
	v_pk_add_f32 v[84:85], v[68:69], v[66:67] neg_lo:[0,1] neg_hi:[0,1]
	v_mov_b32_e32 v64, v81
	v_mov_b32_e32 v69, v84
	v_pk_add_f32 v[86:87], v[80:81], v[68:69] neg_lo:[0,1] neg_hi:[0,1]
	v_mov_b32_e32 v80, v67
	v_mov_b32_e32 v81, v84
	;; [unrolled: 1-line block ×3, first 2 shown]
	v_pk_add_f32 v[64:65], v[64:65], v[80:81] neg_lo:[0,1] neg_hi:[0,1]
	v_mov_b32_e32 v71, v66
	v_pk_add_f32 v[64:65], v[70:71], v[64:65] neg_lo:[0,1] neg_hi:[0,1]
	v_mov_b32_e32 v86, v82
	v_pk_add_f32 v[66:67], v[86:87], v[64:65]
	v_cmp_eq_f32_e64 s[52:53], s62, v96
	v_mov_b32_e32 v70, v67
	v_pk_add_f32 v[70:71], v[66:67], v[70:71]
	s_mov_b32 s62, 0x33800000
	v_pk_add_f32 v[68:69], v[68:69], v[70:71]
	v_mov_b32_e32 v65, v70
	v_mov_b32_e32 v67, v68
	v_pk_add_f32 v[80:81], v[66:67], v[82:83] neg_lo:[0,1] neg_hi:[0,1]
	v_cmp_lt_f32_e64 s[62:63], |v96|, s62
	v_sub_f32_e32 v66, v66, v80
	v_pk_add_f32 v[64:65], v[64:65], v[80:81] neg_lo:[0,1] neg_hi:[0,1]
	v_sub_f32_e32 v66, v82, v66
	v_add_f32_e32 v64, v64, v66
	v_add_f32_e32 v64, v64, v65
	;; [unrolled: 1-line block ×3, first 2 shown]
	s_or_b64 s[52:53], s[52:53], s[62:63]
	v_cndmask_b32_e64 v64, v64, v96, s[52:53]
	v_add_f32_e32 v38, v38, v64
	v_cvt_f16_f32_e32 v64, v38
.LBB408_348:
	s_or_b64 exec, exec, s[54:55]
	v_and_b32_e32 v65, 0xffff, v64
	v_mov_b32_e32 v38, v64
.LBB408_349:
	s_or_b64 exec, exec, s[60:61]
	v_mov_b32_dpp v64, v65 row_shr:2 row_mask:0xf bank_mask:0xf
	v_cmp_lt_u32_e64 s[52:53], 1, v37
	s_and_saveexec_b64 s[60:61], s[52:53]
	s_cbranch_execz .LBB408_353
; %bb.350:
	v_cvt_f32_f16_e32 v37, v64
	v_cvt_f32_f16_e32 v65, v38
	v_cmp_u_f16_e64 s[52:53], v64, v64
	v_cmp_u_f16_e64 s[54:55], v38, v38
	v_min_f32_e32 v66, v37, v65
	v_cndmask_b32_e64 v66, v66, v37, s[52:53]
	v_cndmask_b32_e64 v38, v66, v65, s[54:55]
	v_max_f32_e32 v66, v37, v65
	v_cndmask_b32_e64 v37, v66, v37, s[52:53]
	v_cndmask_b32_e64 v37, v37, v65, s[54:55]
	s_movk_i32 s54, 0x1f8
	v_cmp_neq_f32_e64 s[52:53], v38, v37
	v_cmp_class_f32_e64 s[54:55], v38, s54
	s_or_b64 s[52:53], s[52:53], s[54:55]
	s_and_saveexec_b64 s[54:55], s[52:53]
	s_cbranch_execz .LBB408_352
; %bb.351:
	v_sub_f32_e32 v38, v38, v37
	s_mov_b32 s52, 0x3fb8aa3b
	v_mul_f32_e32 v64, 0x3fb8aa3b, v38
	v_fma_f32 v65, v38, s52, -v64
	v_rndne_f32_e32 v66, v64
	v_fmamk_f32 v65, v38, 0x32a5705f, v65
	v_sub_f32_e32 v64, v64, v66
	v_add_f32_e32 v64, v64, v65
	v_exp_f32_e32 v64, v64
	v_cvt_i32_f32_e32 v65, v66
	s_mov_b32 s52, 0xc2ce8ed0
	v_cmp_ngt_f32_e64 s[52:53], s52, v38
	s_mov_b32 s62, 0x7f800000
	v_ldexp_f32 v64, v64, v65
	v_cndmask_b32_e64 v64, 0, v64, s[52:53]
	s_mov_b32 s52, 0x42b17218
	v_mov_b32_e32 v65, 0x7f800000
	v_cmp_nlt_f32_e64 s[52:53], s52, v38
	s_nop 1
	v_cndmask_b32_e64 v86, v65, v64, s[52:53]
	v_add_f32_e32 v38, 1.0, v86
	v_add_f32_e32 v64, -1.0, v38
	v_sub_f32_e32 v65, v64, v38
	v_add_f32_e32 v65, 1.0, v65
	v_sub_f32_e32 v64, v86, v64
	v_add_f32_e32 v66, v64, v65
	v_frexp_mant_f32_e32 v67, v38
	s_mov_b32 s52, 0x3f2aaaab
	v_cvt_f64_f32_e32 v[64:65], v38
	v_frexp_exp_i32_f64_e32 v64, v[64:65]
	v_cmp_gt_f32_e64 s[52:53], s52, v67
	s_nop 1
	v_subbrev_co_u32_e64 v80, s[52:53], 0, v64, s[52:53]
	v_sub_u32_e32 v64, 0, v80
	v_ldexp_f32 v38, v38, v64
	v_ldexp_f32 v64, v66, v64
	v_add_f32_e32 v66, -1.0, v38
	v_add_f32_e32 v65, 1.0, v66
	v_sub_f32_e32 v65, v38, v65
	v_add_f32_e32 v67, v64, v65
	v_add_f32_e32 v65, 1.0, v38
	v_add_f32_e32 v68, -1.0, v65
	v_sub_f32_e32 v38, v38, v68
	v_add_f32_e32 v38, v64, v38
	v_add_f32_e32 v81, v65, v38
	v_rcp_f32_e32 v82, v81
	v_sub_f32_e32 v64, v65, v81
	v_add_f32_e32 v65, v66, v67
	v_add_f32_e32 v38, v38, v64
	v_mul_f32_e32 v84, v65, v82
	v_sub_f32_e32 v64, v66, v65
	v_mul_f32_e32 v66, v81, v84
	v_fma_f32 v68, v84, v81, -v66
	v_fmac_f32_e32 v68, v84, v38
	v_add_f32_e32 v83, v67, v64
	v_add_f32_e32 v64, v66, v68
	v_sub_f32_e32 v67, v65, v64
	v_pk_add_f32 v[70:71], v[64:65], v[66:67] neg_lo:[0,1] neg_hi:[0,1]
	v_mov_b32_e32 v69, v64
	v_pk_add_f32 v[64:65], v[70:71], v[68:69] neg_lo:[0,1] neg_hi:[0,1]
	s_mov_b32 s52, 0x3f317218
	v_add_f32_e32 v65, v83, v65
	v_add_f32_e32 v64, v64, v65
	;; [unrolled: 1-line block ×3, first 2 shown]
	v_mul_f32_e32 v83, v82, v65
	v_mul_f32_e32 v66, v81, v83
	v_fma_f32 v68, v83, v81, -v66
	v_fmac_f32_e32 v68, v83, v38
	v_sub_f32_e32 v38, v67, v65
	v_add_f32_e32 v38, v64, v38
	v_add_f32_e32 v64, v66, v68
	v_sub_f32_e32 v67, v65, v64
	v_pk_add_f32 v[70:71], v[64:65], v[66:67] neg_lo:[0,1] neg_hi:[0,1]
	v_mov_b32_e32 v69, v64
	v_pk_add_f32 v[64:65], v[70:71], v[68:69] neg_lo:[0,1] neg_hi:[0,1]
	v_cvt_f32_i32_e32 v66, v80
	v_add_f32_e32 v38, v38, v65
	v_add_f32_e32 v38, v64, v38
	;; [unrolled: 1-line block ×4, first 2 shown]
	v_sub_f32_e32 v65, v64, v84
	v_mul_f32_e32 v38, v82, v38
	v_sub_f32_e32 v65, v83, v65
	v_add_f32_e32 v38, v65, v38
	v_add_f32_e32 v67, v64, v38
	v_mul_f32_e32 v68, v67, v67
	v_mov_b32_e32 v65, 0x3ecc95a3
	v_fmac_f32_e32 v65, 0x3e9b6dac, v68
	v_sub_f32_e32 v64, v67, v64
	v_fmaak_f32 v65, v68, v65, 0x3f2aaada
	v_sub_f32_e32 v38, v38, v64
	v_ldexp_f32 v69, v67, 1
	v_mul_f32_e32 v67, v67, v68
	v_mov_b32_e32 v64, 0x3f317218
	v_pk_mul_f32 v[64:65], v[66:67], v[64:65]
	v_ldexp_f32 v38, v38, 1
	v_fma_f32 v67, v66, s52, -v64
	v_fmamk_f32 v68, v66, 0xb102e308, v67
	v_pk_add_f32 v[66:67], v[64:65], v[68:69]
	v_mov_b32_e32 v70, v64
	v_sub_f32_e32 v69, v67, v69
	v_sub_f32_e32 v69, v65, v69
	v_add_f32_e32 v71, v38, v69
	v_pk_add_f32 v[64:65], v[66:67], v[64:65] neg_lo:[0,1] neg_hi:[0,1]
	v_pk_add_f32 v[80:81], v[66:67], v[70:71]
	v_mov_b32_e32 v69, v66
	v_mov_b32_e32 v65, v81
	v_pk_add_f32 v[82:83], v[68:69], v[64:65] neg_lo:[0,1] neg_hi:[0,1]
	v_pk_add_f32 v[64:65], v[68:69], v[64:65]
	v_cmp_eq_f32_e64 s[52:53], s62, v86
	v_mov_b32_e32 v38, v65
	v_pk_add_f32 v[68:69], v[38:39], v[66:67] neg_lo:[0,1] neg_hi:[0,1]
	v_mov_b32_e32 v64, v81
	v_mov_b32_e32 v69, v68
	v_pk_add_f32 v[84:85], v[80:81], v[68:69] neg_lo:[0,1] neg_hi:[0,1]
	v_mov_b32_e32 v80, v67
	v_mov_b32_e32 v81, v68
	;; [unrolled: 1-line block ×3, first 2 shown]
	v_pk_add_f32 v[64:65], v[64:65], v[80:81] neg_lo:[0,1] neg_hi:[0,1]
	v_mov_b32_e32 v68, v71
	v_mov_b32_e32 v69, v66
	v_pk_add_f32 v[64:65], v[68:69], v[64:65] neg_lo:[0,1] neg_hi:[0,1]
	v_mov_b32_e32 v84, v82
	v_pk_add_f32 v[66:67], v[84:85], v[64:65]
	s_mov_b32 s62, 0x33800000
	v_mov_b32_e32 v68, v67
	v_pk_add_f32 v[68:69], v[66:67], v[68:69]
	v_cmp_lt_f32_e64 s[62:63], |v86|, s62
	v_pk_add_f32 v[70:71], v[38:39], v[68:69]
	v_mov_b32_e32 v65, v68
	v_mov_b32_e32 v67, v70
	v_pk_add_f32 v[80:81], v[66:67], v[82:83] neg_lo:[0,1] neg_hi:[0,1]
	s_or_b64 s[52:53], s[52:53], s[62:63]
	v_sub_f32_e32 v38, v66, v80
	v_pk_add_f32 v[64:65], v[64:65], v[80:81] neg_lo:[0,1] neg_hi:[0,1]
	v_sub_f32_e32 v38, v82, v38
	v_add_f32_e32 v38, v64, v38
	v_add_f32_e32 v38, v38, v65
	;; [unrolled: 1-line block ×3, first 2 shown]
	v_cndmask_b32_e64 v38, v38, v86, s[52:53]
	v_add_f32_e32 v37, v37, v38
	v_cvt_f16_f32_e32 v64, v37
.LBB408_352:
	s_or_b64 exec, exec, s[54:55]
	v_mov_b32_e32 v38, v64
.LBB408_353:
	s_or_b64 exec, exec, s[60:61]
	ds_write_b16 v10, v38
.LBB408_354:
	s_or_b64 exec, exec, s[56:57]
	v_cmp_lt_u32_e64 s[52:53], 63, v0
	s_waitcnt lgkmcnt(0)
	s_barrier
	s_waitcnt lgkmcnt(0)
                                        ; implicit-def: $vgpr37
	s_and_saveexec_b64 s[54:55], s[52:53]
	s_cbranch_execz .LBB408_358
; %bb.355:
	v_lshl_add_u32 v36, v36, 1, -2
	ds_read_u16 v37, v36
	v_cvt_f32_f16_e32 v36, v35
	s_movk_i32 s56, 0x1f8
	s_waitcnt lgkmcnt(0)
	v_cvt_f32_f16_e32 v38, v37
	v_cmp_u_f16_e64 s[52:53], v37, v37
	v_min_f32_e32 v64, v38, v36
	v_max_f32_e32 v65, v38, v36
	v_cndmask_b32_e64 v64, v64, v38, s[52:53]
	v_cndmask_b32_e64 v65, v65, v38, s[52:53]
	v_cmp_u_f16_e64 s[52:53], v35, v35
	v_mov_b32_e32 v35, v37
	s_nop 0
	v_cndmask_b32_e64 v38, v64, v36, s[52:53]
	v_cndmask_b32_e64 v36, v65, v36, s[52:53]
	v_cmp_neq_f32_e64 s[52:53], v38, v36
	v_cmp_class_f32_e64 s[56:57], v38, s56
	s_or_b64 s[52:53], s[52:53], s[56:57]
	s_and_saveexec_b64 s[56:57], s[52:53]
	s_cbranch_execz .LBB408_357
; %bb.356:
	v_sub_f32_e32 v35, v38, v36
	s_mov_b32 s52, 0x3fb8aa3b
	v_mul_f32_e32 v38, 0x3fb8aa3b, v35
	v_fma_f32 v64, v35, s52, -v38
	v_rndne_f32_e32 v65, v38
	v_fmamk_f32 v64, v35, 0x32a5705f, v64
	v_sub_f32_e32 v38, v38, v65
	v_add_f32_e32 v38, v38, v64
	v_exp_f32_e32 v38, v38
	v_cvt_i32_f32_e32 v64, v65
	s_mov_b32 s52, 0xc2ce8ed0
	v_cmp_ngt_f32_e64 s[52:53], s52, v35
	s_mov_b32 s60, 0x7f800000
	v_ldexp_f32 v38, v38, v64
	v_cndmask_b32_e64 v38, 0, v38, s[52:53]
	s_mov_b32 s52, 0x42b17218
	v_mov_b32_e32 v64, 0x7f800000
	v_cmp_nlt_f32_e64 s[52:53], s52, v35
	s_nop 1
	v_cndmask_b32_e64 v86, v64, v38, s[52:53]
	v_add_f32_e32 v35, 1.0, v86
	v_add_f32_e32 v38, -1.0, v35
	v_sub_f32_e32 v64, v38, v35
	v_add_f32_e32 v64, 1.0, v64
	v_sub_f32_e32 v38, v86, v38
	v_add_f32_e32 v38, v38, v64
	v_frexp_mant_f32_e32 v66, v35
	s_mov_b32 s52, 0x3f2aaaab
	v_cvt_f64_f32_e32 v[64:65], v35
	v_frexp_exp_i32_f64_e32 v64, v[64:65]
	v_cmp_gt_f32_e64 s[52:53], s52, v66
	s_nop 1
	v_subbrev_co_u32_e64 v80, s[52:53], 0, v64, s[52:53]
	v_sub_u32_e32 v64, 0, v80
	v_ldexp_f32 v35, v35, v64
	v_ldexp_f32 v38, v38, v64
	v_add_f32_e32 v64, -1.0, v35
	v_add_f32_e32 v65, 1.0, v64
	v_sub_f32_e32 v65, v35, v65
	v_add_f32_e32 v66, v38, v65
	v_add_f32_e32 v65, 1.0, v35
	v_add_f32_e32 v67, -1.0, v65
	v_sub_f32_e32 v35, v35, v67
	v_add_f32_e32 v35, v38, v35
	v_add_f32_e32 v38, v65, v35
	v_rcp_f32_e32 v81, v38
	v_sub_f32_e32 v65, v65, v38
	v_add_f32_e32 v35, v35, v65
	v_add_f32_e32 v65, v64, v66
	v_sub_f32_e32 v64, v64, v65
	v_mul_f32_e32 v83, v65, v81
	v_add_f32_e32 v82, v66, v64
	v_mul_f32_e32 v66, v38, v83
	v_fma_f32 v68, v83, v38, -v66
	v_fmac_f32_e32 v68, v83, v35
	v_add_f32_e32 v64, v66, v68
	v_sub_f32_e32 v67, v65, v64
	v_pk_add_f32 v[70:71], v[64:65], v[66:67] neg_lo:[0,1] neg_hi:[0,1]
	v_mov_b32_e32 v69, v64
	v_pk_add_f32 v[64:65], v[70:71], v[68:69] neg_lo:[0,1] neg_hi:[0,1]
	s_mov_b32 s52, 0x3f317218
	v_add_f32_e32 v65, v82, v65
	v_add_f32_e32 v64, v64, v65
	;; [unrolled: 1-line block ×3, first 2 shown]
	v_mul_f32_e32 v82, v81, v65
	v_mul_f32_e32 v66, v38, v82
	v_fma_f32 v68, v82, v38, -v66
	v_fmac_f32_e32 v68, v82, v35
	v_sub_f32_e32 v35, v67, v65
	v_add_f32_e32 v35, v64, v35
	v_add_f32_e32 v64, v66, v68
	v_sub_f32_e32 v67, v65, v64
	v_pk_add_f32 v[70:71], v[64:65], v[66:67] neg_lo:[0,1] neg_hi:[0,1]
	v_mov_b32_e32 v69, v64
	v_pk_add_f32 v[64:65], v[70:71], v[68:69] neg_lo:[0,1] neg_hi:[0,1]
	v_add_f32_e32 v38, v83, v82
	v_add_f32_e32 v35, v35, v65
	;; [unrolled: 1-line block ×4, first 2 shown]
	v_sub_f32_e32 v64, v38, v83
	v_mul_f32_e32 v35, v81, v35
	v_sub_f32_e32 v64, v82, v64
	v_add_f32_e32 v35, v64, v35
	v_add_f32_e32 v64, v38, v35
	v_cvt_f32_i32_e32 v66, v80
	v_mul_f32_e32 v67, v64, v64
	v_mov_b32_e32 v65, 0x3ecc95a3
	v_fmac_f32_e32 v65, 0x3e9b6dac, v67
	v_fmaak_f32 v65, v67, v65, 0x3f2aaada
	v_sub_f32_e32 v38, v64, v38
	v_ldexp_f32 v69, v64, 1
	v_mul_f32_e32 v67, v64, v67
	v_mov_b32_e32 v64, 0x3f317218
	v_pk_mul_f32 v[64:65], v[66:67], v[64:65]
	v_sub_f32_e32 v35, v35, v38
	v_fma_f32 v38, v66, s52, -v64
	v_fmamk_f32 v68, v66, 0xb102e308, v38
	v_pk_add_f32 v[66:67], v[64:65], v[68:69]
	v_ldexp_f32 v35, v35, 1
	v_sub_f32_e32 v38, v67, v69
	v_sub_f32_e32 v38, v65, v38
	v_add_f32_e32 v71, v35, v38
	v_mov_b32_e32 v70, v64
	v_pk_add_f32 v[64:65], v[66:67], v[64:65] neg_lo:[0,1] neg_hi:[0,1]
	v_pk_add_f32 v[80:81], v[66:67], v[70:71]
	v_mov_b32_e32 v69, v66
	v_mov_b32_e32 v65, v81
	v_pk_add_f32 v[82:83], v[68:69], v[64:65] neg_lo:[0,1] neg_hi:[0,1]
	v_pk_add_f32 v[64:65], v[68:69], v[64:65]
	v_cmp_eq_f32_e64 s[52:53], s60, v86
	v_mov_b32_e32 v38, v65
	v_pk_add_f32 v[68:69], v[38:39], v[66:67] neg_lo:[0,1] neg_hi:[0,1]
	v_mov_b32_e32 v64, v81
	v_mov_b32_e32 v35, v68
	v_pk_add_f32 v[84:85], v[80:81], v[34:35] neg_lo:[0,1] neg_hi:[0,1]
	v_mov_b32_e32 v80, v67
	v_mov_b32_e32 v81, v68
	v_mov_b32_e32 v83, v65
	v_pk_add_f32 v[64:65], v[64:65], v[80:81] neg_lo:[0,1] neg_hi:[0,1]
	v_mov_b32_e32 v68, v71
	v_mov_b32_e32 v69, v66
	v_pk_add_f32 v[64:65], v[68:69], v[64:65] neg_lo:[0,1] neg_hi:[0,1]
	v_mov_b32_e32 v84, v82
	v_pk_add_f32 v[66:67], v[84:85], v[64:65]
	s_mov_b32 s60, 0x33800000
	v_mov_b32_e32 v68, v67
	v_pk_add_f32 v[68:69], v[66:67], v[68:69]
	v_cmp_lt_f32_e64 s[60:61], |v86|, s60
	v_pk_add_f32 v[70:71], v[38:39], v[68:69]
	v_mov_b32_e32 v65, v68
	v_mov_b32_e32 v67, v70
	v_pk_add_f32 v[80:81], v[66:67], v[82:83] neg_lo:[0,1] neg_hi:[0,1]
	s_or_b64 s[52:53], s[52:53], s[60:61]
	v_sub_f32_e32 v35, v66, v80
	v_pk_add_f32 v[64:65], v[64:65], v[80:81] neg_lo:[0,1] neg_hi:[0,1]
	v_sub_f32_e32 v35, v82, v35
	v_add_f32_e32 v35, v64, v35
	v_add_f32_e32 v35, v35, v65
	;; [unrolled: 1-line block ×3, first 2 shown]
	v_cndmask_b32_e64 v35, v35, v86, s[52:53]
	v_add_f32_e32 v35, v36, v35
	v_cvt_f16_f32_e32 v35, v35
.LBB408_357:
	s_or_b64 exec, exec, s[56:57]
.LBB408_358:
	s_or_b64 exec, exec, s[54:55]
	v_add_u32_e32 v36, -1, v19
	v_and_b32_e32 v38, 64, v19
	v_cmp_lt_i32_e64 s[52:53], v36, v38
	v_and_b32_e32 v35, 0xffff, v35
	v_mov_b32_e32 v70, v32
	v_cndmask_b32_e64 v36, v36, v19, s[52:53]
	v_lshlrev_b32_e32 v36, 2, v36
	ds_bpermute_b32 v35, v36, v35
	s_and_saveexec_b64 s[52:53], s[2:3]
	s_cbranch_execz .LBB408_362
; %bb.359:
	v_cmp_eq_u32_e64 s[2:3], 0, v19
	v_max_f32_e32 v34, v2, v2
	s_waitcnt lgkmcnt(0)
	v_cndmask_b32_e64 v32, v35, v37, s[2:3]
	v_cvt_f32_f16_e32 v19, v32
	v_cmp_u_f16_e64 s[2:3], v32, v32
	v_min_f32_e32 v33, v19, v34
	v_max_f32_e32 v34, v19, v34
	v_cndmask_b32_e64 v33, v33, v19, s[2:3]
	v_cndmask_b32_e64 v34, v34, v19, s[2:3]
	;; [unrolled: 1-line block ×4, first 2 shown]
	s_movk_i32 s50, 0x1f8
	v_cmp_neq_f32_e64 s[2:3], v33, v2
	v_cmp_class_f32_e64 s[50:51], v33, s50
	s_or_b64 s[2:3], s[2:3], s[50:51]
	s_and_saveexec_b64 s[50:51], s[2:3]
	s_cbranch_execz .LBB408_361
; %bb.360:
	v_sub_f32_e32 v19, v33, v2
	s_mov_b32 s2, 0x3fb8aa3b
	v_mul_f32_e32 v32, 0x3fb8aa3b, v19
	v_fma_f32 v33, v19, s2, -v32
	v_rndne_f32_e32 v34, v32
	v_fmamk_f32 v33, v19, 0x32a5705f, v33
	v_sub_f32_e32 v32, v32, v34
	v_add_f32_e32 v32, v32, v33
	v_exp_f32_e32 v32, v32
	v_cvt_i32_f32_e32 v33, v34
	s_mov_b32 s2, 0xc2ce8ed0
	v_cmp_ngt_f32_e64 s[2:3], s2, v19
	s_mov_b32 s54, 0x7f800000
	v_ldexp_f32 v32, v32, v33
	v_cndmask_b32_e64 v32, 0, v32, s[2:3]
	s_mov_b32 s2, 0x42b17218
	v_mov_b32_e32 v33, 0x7f800000
	v_cmp_nlt_f32_e64 s[2:3], s2, v19
	s_nop 1
	v_cndmask_b32_e64 v82, v33, v32, s[2:3]
	v_add_f32_e32 v19, 1.0, v82
	v_add_f32_e32 v32, -1.0, v19
	v_sub_f32_e32 v33, v32, v19
	v_add_f32_e32 v33, 1.0, v33
	v_sub_f32_e32 v32, v82, v32
	v_add_f32_e32 v34, v32, v33
	v_frexp_mant_f32_e32 v35, v19
	s_mov_b32 s2, 0x3f2aaaab
	v_cvt_f64_f32_e32 v[32:33], v19
	v_frexp_exp_i32_f64_e32 v32, v[32:33]
	v_cmp_gt_f32_e64 s[2:3], s2, v35
	s_nop 1
	v_subbrev_co_u32_e64 v38, s[2:3], 0, v32, s[2:3]
	v_sub_u32_e32 v32, 0, v38
	v_ldexp_f32 v19, v19, v32
	v_ldexp_f32 v32, v34, v32
	v_add_f32_e32 v34, -1.0, v19
	v_add_f32_e32 v33, 1.0, v34
	v_sub_f32_e32 v33, v19, v33
	v_add_f32_e32 v35, v32, v33
	v_add_f32_e32 v33, 1.0, v19
	v_add_f32_e32 v36, -1.0, v33
	v_sub_f32_e32 v19, v19, v36
	v_add_f32_e32 v19, v32, v19
	v_add_f32_e32 v66, v33, v19
	v_rcp_f32_e32 v67, v66
	v_sub_f32_e32 v32, v33, v66
	v_add_f32_e32 v33, v34, v35
	v_add_f32_e32 v19, v19, v32
	v_mul_f32_e32 v69, v33, v67
	v_sub_f32_e32 v32, v34, v33
	v_mul_f32_e32 v34, v66, v69
	v_fma_f32 v36, v69, v66, -v34
	v_fmac_f32_e32 v36, v69, v19
	v_add_f32_e32 v68, v35, v32
	v_add_f32_e32 v32, v34, v36
	v_sub_f32_e32 v35, v33, v32
	v_pk_add_f32 v[64:65], v[32:33], v[34:35] neg_lo:[0,1] neg_hi:[0,1]
	v_mov_b32_e32 v37, v32
	v_pk_add_f32 v[32:33], v[64:65], v[36:37] neg_lo:[0,1] neg_hi:[0,1]
	s_mov_b32 s2, 0x3f317218
	v_add_f32_e32 v33, v68, v33
	v_add_f32_e32 v32, v32, v33
	;; [unrolled: 1-line block ×3, first 2 shown]
	v_mul_f32_e32 v68, v67, v33
	v_mul_f32_e32 v34, v66, v68
	v_fma_f32 v36, v68, v66, -v34
	v_fmac_f32_e32 v36, v68, v19
	v_sub_f32_e32 v19, v35, v33
	v_add_f32_e32 v19, v32, v19
	v_add_f32_e32 v32, v34, v36
	v_sub_f32_e32 v35, v33, v32
	v_pk_add_f32 v[64:65], v[32:33], v[34:35] neg_lo:[0,1] neg_hi:[0,1]
	v_mov_b32_e32 v37, v32
	v_pk_add_f32 v[32:33], v[64:65], v[36:37] neg_lo:[0,1] neg_hi:[0,1]
	v_cvt_f32_i32_e32 v34, v38
	v_add_f32_e32 v19, v19, v33
	v_add_f32_e32 v19, v32, v19
	;; [unrolled: 1-line block ×4, first 2 shown]
	v_sub_f32_e32 v33, v32, v69
	v_mul_f32_e32 v19, v67, v19
	v_sub_f32_e32 v33, v68, v33
	v_add_f32_e32 v19, v33, v19
	v_add_f32_e32 v35, v32, v19
	v_mul_f32_e32 v36, v35, v35
	v_mov_b32_e32 v33, 0x3ecc95a3
	v_fmac_f32_e32 v33, 0x3e9b6dac, v36
	v_sub_f32_e32 v32, v35, v32
	v_fmaak_f32 v33, v36, v33, 0x3f2aaada
	v_sub_f32_e32 v19, v19, v32
	v_ldexp_f32 v37, v35, 1
	v_mul_f32_e32 v35, v35, v36
	v_mov_b32_e32 v32, 0x3f317218
	v_pk_mul_f32 v[32:33], v[34:35], v[32:33]
	v_ldexp_f32 v19, v19, 1
	v_fma_f32 v35, v34, s2, -v32
	v_fmamk_f32 v36, v34, 0xb102e308, v35
	v_pk_add_f32 v[34:35], v[32:33], v[36:37]
	v_mov_b32_e32 v64, v32
	v_sub_f32_e32 v37, v35, v37
	v_sub_f32_e32 v37, v33, v37
	v_add_f32_e32 v65, v19, v37
	v_pk_add_f32 v[32:33], v[34:35], v[32:33] neg_lo:[0,1] neg_hi:[0,1]
	v_pk_add_f32 v[66:67], v[34:35], v[64:65]
	v_mov_b32_e32 v37, v34
	v_mov_b32_e32 v33, v67
	v_pk_add_f32 v[68:69], v[36:37], v[32:33] neg_lo:[0,1] neg_hi:[0,1]
	v_pk_add_f32 v[32:33], v[36:37], v[32:33]
	v_mov_b32_e32 v64, v65
	v_mov_b32_e32 v36, v33
	v_pk_add_f32 v[70:71], v[36:37], v[34:35] neg_lo:[0,1] neg_hi:[0,1]
	v_mov_b32_e32 v32, v67
	v_mov_b32_e32 v19, v70
	v_pk_add_f32 v[80:81], v[66:67], v[18:19] neg_lo:[0,1] neg_hi:[0,1]
	v_mov_b32_e32 v66, v35
	v_mov_b32_e32 v67, v70
	;; [unrolled: 1-line block ×3, first 2 shown]
	v_pk_add_f32 v[32:33], v[32:33], v[66:67] neg_lo:[0,1] neg_hi:[0,1]
	v_mov_b32_e32 v65, v34
	v_pk_add_f32 v[32:33], v[64:65], v[32:33] neg_lo:[0,1] neg_hi:[0,1]
	v_mov_b32_e32 v80, v68
	v_pk_add_f32 v[34:35], v[80:81], v[32:33]
	v_cmp_eq_f32_e64 s[2:3], s54, v82
	v_mov_b32_e32 v38, v35
	v_pk_add_f32 v[64:65], v[34:35], v[38:39]
	s_mov_b32 s54, 0x33800000
	v_pk_add_f32 v[36:37], v[36:37], v[64:65]
	v_mov_b32_e32 v33, v64
	v_mov_b32_e32 v35, v36
	v_pk_add_f32 v[66:67], v[34:35], v[68:69] neg_lo:[0,1] neg_hi:[0,1]
	v_cmp_lt_f32_e64 s[54:55], |v82|, s54
	v_sub_f32_e32 v19, v34, v66
	v_pk_add_f32 v[32:33], v[32:33], v[66:67] neg_lo:[0,1] neg_hi:[0,1]
	v_sub_f32_e32 v19, v68, v19
	v_add_f32_e32 v19, v32, v19
	v_add_f32_e32 v19, v19, v33
	;; [unrolled: 1-line block ×3, first 2 shown]
	s_or_b64 s[2:3], s[2:3], s[54:55]
	v_cndmask_b32_e64 v19, v19, v82, s[2:3]
	v_add_f32_e32 v2, v2, v19
	v_cvt_f16_f32_e32 v32, v2
	v_cvt_f32_f16_e32 v19, v32
.LBB408_361:
	s_or_b64 exec, exec, s[50:51]
	v_max_f32_e32 v2, v11, v11
	v_max_f32_e32 v34, v19, v19
	v_min_f32_e32 v33, v34, v2
	v_max_f32_e32 v34, v34, v2
	v_mov_b32_e32 v70, v32
	v_mov_b32_e32 v2, v19
	;;#ASMSTART
	;;#ASMEND
.LBB408_362:
	s_or_b64 exec, exec, s[52:53]
	v_cmp_u_f16_e64 s[2:3], v70, v70
	s_movk_i32 s50, 0x1f8
	s_nop 0
	v_cndmask_b32_e64 v19, v33, v2, s[2:3]
	v_cndmask_b32_e64 v33, v34, v2, s[2:3]
	v_cndmask_b32_e32 v19, v19, v11, vcc
	v_cndmask_b32_e32 v11, v33, v11, vcc
	v_cmp_neq_f32_e32 vcc, v19, v11
	v_cmp_class_f32_e64 s[2:3], v19, s50
	s_or_b64 vcc, vcc, s[2:3]
	v_mov_b32_e32 v33, v32
	s_and_saveexec_b64 s[2:3], vcc
	s_cbranch_execz .LBB408_364
; %bb.363:
	v_sub_f32_e32 v2, v19, v11
	s_mov_b32 s51, 0x3fb8aa3b
	v_mul_f32_e32 v19, 0x3fb8aa3b, v2
	v_fma_f32 v33, v2, s51, -v19
	v_rndne_f32_e32 v34, v19
	v_fmamk_f32 v33, v2, 0x32a5705f, v33
	v_sub_f32_e32 v19, v19, v34
	v_add_f32_e32 v19, v19, v33
	v_exp_f32_e32 v19, v19
	v_cvt_i32_f32_e32 v33, v34
	s_mov_b32 s51, 0xc2ce8ed0
	v_cmp_ngt_f32_e32 vcc, s51, v2
	s_mov_b32 s51, 0x42b17218
	v_ldexp_f32 v19, v19, v33
	v_cndmask_b32_e32 v19, 0, v19, vcc
	v_mov_b32_e32 v33, 0x7f800000
	v_cmp_nlt_f32_e32 vcc, s51, v2
	s_mov_b32 s51, 0x3f2aaaab
	s_mov_b32 s52, 0x7f800000
	v_cndmask_b32_e32 v33, v33, v19, vcc
	v_add_f32_e32 v2, 1.0, v33
	v_add_f32_e32 v19, -1.0, v2
	v_sub_f32_e32 v34, v19, v2
	v_add_f32_e32 v34, 1.0, v34
	v_sub_f32_e32 v19, v33, v19
	v_add_f32_e32 v19, v19, v34
	v_frexp_mant_f32_e32 v36, v2
	s_waitcnt lgkmcnt(0)
	v_cvt_f64_f32_e32 v[34:35], v2
	v_frexp_exp_i32_f64_e32 v34, v[34:35]
	v_cmp_gt_f32_e32 vcc, s51, v36
	s_mov_b32 s51, 0x3f317218
	s_nop 0
	v_subbrev_co_u32_e32 v38, vcc, 0, v34, vcc
	v_sub_u32_e32 v34, 0, v38
	v_ldexp_f32 v2, v2, v34
	v_ldexp_f32 v19, v19, v34
	v_add_f32_e32 v34, -1.0, v2
	v_add_f32_e32 v35, 1.0, v34
	v_sub_f32_e32 v35, v2, v35
	v_add_f32_e32 v36, v19, v35
	v_add_f32_e32 v35, 1.0, v2
	v_add_f32_e32 v37, -1.0, v35
	v_sub_f32_e32 v2, v2, v37
	v_add_f32_e32 v2, v19, v2
	v_add_f32_e32 v19, v35, v2
	v_rcp_f32_e32 v68, v19
	v_sub_f32_e32 v35, v35, v19
	v_add_f32_e32 v2, v2, v35
	v_add_f32_e32 v35, v34, v36
	v_sub_f32_e32 v34, v34, v35
	v_mul_f32_e32 v70, v35, v68
	v_add_f32_e32 v69, v36, v34
	v_mul_f32_e32 v36, v19, v70
	v_fma_f32 v64, v70, v19, -v36
	v_fmac_f32_e32 v64, v70, v2
	v_add_f32_e32 v34, v36, v64
	v_sub_f32_e32 v37, v35, v34
	v_pk_add_f32 v[66:67], v[34:35], v[36:37] neg_lo:[0,1] neg_hi:[0,1]
	v_mov_b32_e32 v65, v34
	v_pk_add_f32 v[34:35], v[66:67], v[64:65] neg_lo:[0,1] neg_hi:[0,1]
	v_cmp_eq_f32_e32 vcc, s52, v33
	v_add_f32_e32 v35, v69, v35
	v_add_f32_e32 v34, v34, v35
	;; [unrolled: 1-line block ×3, first 2 shown]
	v_mul_f32_e32 v69, v68, v35
	v_mul_f32_e32 v36, v19, v69
	v_fma_f32 v64, v69, v19, -v36
	v_fmac_f32_e32 v64, v69, v2
	v_sub_f32_e32 v2, v37, v35
	v_add_f32_e32 v2, v34, v2
	v_add_f32_e32 v34, v36, v64
	v_sub_f32_e32 v37, v35, v34
	v_pk_add_f32 v[66:67], v[34:35], v[36:37] neg_lo:[0,1] neg_hi:[0,1]
	v_mov_b32_e32 v65, v34
	v_pk_add_f32 v[34:35], v[66:67], v[64:65] neg_lo:[0,1] neg_hi:[0,1]
	v_add_f32_e32 v19, v70, v69
	v_add_f32_e32 v2, v2, v35
	;; [unrolled: 1-line block ×4, first 2 shown]
	v_sub_f32_e32 v34, v19, v70
	v_mul_f32_e32 v2, v68, v2
	v_sub_f32_e32 v34, v69, v34
	v_add_f32_e32 v2, v34, v2
	v_add_f32_e32 v34, v19, v2
	v_cvt_f32_i32_e32 v36, v38
	v_mul_f32_e32 v37, v34, v34
	v_mov_b32_e32 v35, 0x3ecc95a3
	v_fmac_f32_e32 v35, 0x3e9b6dac, v37
	v_fmaak_f32 v35, v37, v35, 0x3f2aaada
	v_sub_f32_e32 v19, v34, v19
	v_ldexp_f32 v65, v34, 1
	v_mul_f32_e32 v37, v34, v37
	v_mov_b32_e32 v34, 0x3f317218
	v_pk_mul_f32 v[34:35], v[36:37], v[34:35]
	v_sub_f32_e32 v2, v2, v19
	v_fma_f32 v19, v36, s51, -v34
	v_fmamk_f32 v64, v36, 0xb102e308, v19
	v_pk_add_f32 v[36:37], v[34:35], v[64:65]
	v_ldexp_f32 v2, v2, 1
	v_sub_f32_e32 v19, v37, v65
	v_sub_f32_e32 v19, v35, v19
	v_add_f32_e32 v67, v2, v19
	v_mov_b32_e32 v66, v34
	v_pk_add_f32 v[34:35], v[36:37], v[34:35] neg_lo:[0,1] neg_hi:[0,1]
	v_pk_add_f32 v[68:69], v[36:37], v[66:67]
	v_mov_b32_e32 v65, v36
	v_mov_b32_e32 v35, v69
	v_pk_add_f32 v[70:71], v[64:65], v[34:35] neg_lo:[0,1] neg_hi:[0,1]
	v_pk_add_f32 v[34:35], v[64:65], v[34:35]
	s_mov_b32 s51, 0x33800000
	v_mov_b32_e32 v2, v35
	v_pk_add_f32 v[64:65], v[2:3], v[36:37] neg_lo:[0,1] neg_hi:[0,1]
	v_mov_b32_e32 v34, v69
	v_mov_b32_e32 v19, v64
	v_pk_add_f32 v[80:81], v[68:69], v[18:19] neg_lo:[0,1] neg_hi:[0,1]
	v_mov_b32_e32 v68, v37
	v_mov_b32_e32 v69, v64
	;; [unrolled: 1-line block ×3, first 2 shown]
	v_pk_add_f32 v[34:35], v[34:35], v[68:69] neg_lo:[0,1] neg_hi:[0,1]
	v_mov_b32_e32 v64, v67
	v_mov_b32_e32 v65, v36
	v_pk_add_f32 v[34:35], v[64:65], v[34:35] neg_lo:[0,1] neg_hi:[0,1]
	v_mov_b32_e32 v80, v70
	v_pk_add_f32 v[36:37], v[80:81], v[34:35]
	v_cmp_lt_f32_e64 s[52:53], |v33|, s51
	v_mov_b32_e32 v38, v37
	v_pk_add_f32 v[64:65], v[36:37], v[38:39]
	s_or_b64 vcc, vcc, s[52:53]
	v_pk_add_f32 v[66:67], v[2:3], v[64:65]
	v_mov_b32_e32 v35, v64
	v_mov_b32_e32 v37, v66
	v_pk_add_f32 v[68:69], v[36:37], v[70:71] neg_lo:[0,1] neg_hi:[0,1]
	s_nop 0
	v_sub_f32_e32 v2, v36, v68
	v_pk_add_f32 v[34:35], v[34:35], v[68:69] neg_lo:[0,1] neg_hi:[0,1]
	v_sub_f32_e32 v2, v70, v2
	v_add_f32_e32 v2, v34, v2
	v_add_f32_e32 v2, v2, v35
	;; [unrolled: 1-line block ×3, first 2 shown]
	v_cndmask_b32_e32 v2, v2, v33, vcc
	v_add_f32_e32 v2, v11, v2
	v_cvt_f16_f32_e32 v70, v2
	v_cvt_f32_f16_e32 v2, v70
	v_mov_b32_e32 v33, v70
.LBB408_364:
	s_or_b64 exec, exec, s[2:3]
	v_max_f32_e32 v19, v3, v3
	v_max_f32_e32 v34, v2, v2
	v_min_f32_e32 v11, v34, v19
	v_cmp_u_f16_e32 vcc, v70, v70
	v_max_f32_e32 v19, v34, v19
	v_mov_b32_e32 v34, v33
	v_cndmask_b32_e32 v11, v11, v2, vcc
	v_cndmask_b32_e32 v19, v19, v2, vcc
	v_cndmask_b32_e64 v11, v11, v3, s[4:5]
	v_cndmask_b32_e64 v3, v19, v3, s[4:5]
	v_cmp_neq_f32_e32 vcc, v11, v3
	v_cmp_class_f32_e64 s[2:3], v11, s50
	s_or_b64 s[4:5], vcc, s[2:3]
	s_and_saveexec_b64 s[2:3], s[4:5]
	s_cbranch_execz .LBB408_366
; %bb.365:
	v_sub_f32_e32 v2, v11, v3
	s_mov_b32 s4, 0x3fb8aa3b
	v_mul_f32_e32 v11, 0x3fb8aa3b, v2
	v_fma_f32 v19, v2, s4, -v11
	v_rndne_f32_e32 v34, v11
	v_fmamk_f32 v19, v2, 0x32a5705f, v19
	v_sub_f32_e32 v11, v11, v34
	v_add_f32_e32 v11, v11, v19
	v_exp_f32_e32 v11, v11
	v_cvt_i32_f32_e32 v19, v34
	s_mov_b32 s4, 0xc2ce8ed0
	v_cmp_ngt_f32_e32 vcc, s4, v2
	s_mov_b32 s4, 0x42b17218
	v_ldexp_f32 v11, v11, v19
	v_cndmask_b32_e32 v11, 0, v11, vcc
	v_mov_b32_e32 v19, 0x7f800000
	v_cmp_nlt_f32_e32 vcc, s4, v2
	s_mov_b32 s4, 0x3f2aaaab
	s_mov_b32 s5, 0x7f800000
	v_cndmask_b32_e32 v19, v19, v11, vcc
	v_add_f32_e32 v2, 1.0, v19
	v_add_f32_e32 v11, -1.0, v2
	v_sub_f32_e32 v34, v11, v2
	v_add_f32_e32 v34, 1.0, v34
	v_sub_f32_e32 v11, v19, v11
	v_add_f32_e32 v11, v11, v34
	v_frexp_mant_f32_e32 v36, v2
	s_waitcnt lgkmcnt(0)
	v_cvt_f64_f32_e32 v[34:35], v2
	v_frexp_exp_i32_f64_e32 v34, v[34:35]
	v_cmp_gt_f32_e32 vcc, s4, v36
	s_mov_b32 s4, 0x3f317218
	s_nop 0
	v_subbrev_co_u32_e32 v38, vcc, 0, v34, vcc
	v_sub_u32_e32 v34, 0, v38
	v_ldexp_f32 v2, v2, v34
	v_ldexp_f32 v11, v11, v34
	v_add_f32_e32 v34, -1.0, v2
	v_add_f32_e32 v35, 1.0, v34
	v_sub_f32_e32 v35, v2, v35
	v_add_f32_e32 v36, v11, v35
	v_add_f32_e32 v35, 1.0, v2
	v_add_f32_e32 v37, -1.0, v35
	v_sub_f32_e32 v2, v2, v37
	v_add_f32_e32 v2, v11, v2
	v_add_f32_e32 v11, v35, v2
	v_rcp_f32_e32 v68, v11
	v_sub_f32_e32 v35, v35, v11
	v_add_f32_e32 v2, v2, v35
	v_add_f32_e32 v35, v34, v36
	v_sub_f32_e32 v34, v34, v35
	v_mul_f32_e32 v70, v35, v68
	v_add_f32_e32 v69, v36, v34
	v_mul_f32_e32 v36, v11, v70
	v_fma_f32 v64, v70, v11, -v36
	v_fmac_f32_e32 v64, v70, v2
	v_add_f32_e32 v34, v36, v64
	v_sub_f32_e32 v37, v35, v34
	v_pk_add_f32 v[66:67], v[34:35], v[36:37] neg_lo:[0,1] neg_hi:[0,1]
	v_mov_b32_e32 v65, v34
	v_pk_add_f32 v[34:35], v[66:67], v[64:65] neg_lo:[0,1] neg_hi:[0,1]
	v_cmp_eq_f32_e32 vcc, s5, v19
	v_add_f32_e32 v35, v69, v35
	v_add_f32_e32 v34, v34, v35
	;; [unrolled: 1-line block ×3, first 2 shown]
	v_mul_f32_e32 v69, v68, v35
	v_mul_f32_e32 v36, v11, v69
	v_fma_f32 v64, v69, v11, -v36
	v_fmac_f32_e32 v64, v69, v2
	v_sub_f32_e32 v2, v37, v35
	v_add_f32_e32 v2, v34, v2
	v_add_f32_e32 v34, v36, v64
	v_sub_f32_e32 v37, v35, v34
	v_pk_add_f32 v[66:67], v[34:35], v[36:37] neg_lo:[0,1] neg_hi:[0,1]
	v_mov_b32_e32 v65, v34
	v_pk_add_f32 v[34:35], v[66:67], v[64:65] neg_lo:[0,1] neg_hi:[0,1]
	v_add_f32_e32 v11, v70, v69
	v_add_f32_e32 v2, v2, v35
	v_add_f32_e32 v2, v34, v2
	v_add_f32_e32 v2, v37, v2
	v_sub_f32_e32 v34, v11, v70
	v_mul_f32_e32 v2, v68, v2
	v_sub_f32_e32 v34, v69, v34
	v_add_f32_e32 v2, v34, v2
	v_add_f32_e32 v34, v11, v2
	v_cvt_f32_i32_e32 v36, v38
	v_mul_f32_e32 v37, v34, v34
	v_mov_b32_e32 v35, 0x3ecc95a3
	v_fmac_f32_e32 v35, 0x3e9b6dac, v37
	v_fmaak_f32 v35, v37, v35, 0x3f2aaada
	v_sub_f32_e32 v11, v34, v11
	v_ldexp_f32 v65, v34, 1
	v_mul_f32_e32 v37, v34, v37
	v_mov_b32_e32 v34, 0x3f317218
	v_pk_mul_f32 v[34:35], v[36:37], v[34:35]
	v_sub_f32_e32 v2, v2, v11
	v_fma_f32 v11, v36, s4, -v34
	v_fmamk_f32 v64, v36, 0xb102e308, v11
	v_pk_add_f32 v[36:37], v[34:35], v[64:65]
	v_ldexp_f32 v2, v2, 1
	v_sub_f32_e32 v11, v37, v65
	v_sub_f32_e32 v11, v35, v11
	v_add_f32_e32 v67, v2, v11
	v_mov_b32_e32 v66, v34
	v_pk_add_f32 v[34:35], v[36:37], v[34:35] neg_lo:[0,1] neg_hi:[0,1]
	v_pk_add_f32 v[68:69], v[36:37], v[66:67]
	v_mov_b32_e32 v65, v36
	v_mov_b32_e32 v35, v69
	v_pk_add_f32 v[70:71], v[64:65], v[34:35] neg_lo:[0,1] neg_hi:[0,1]
	v_pk_add_f32 v[34:35], v[64:65], v[34:35]
	s_mov_b32 s4, 0x33800000
	v_mov_b32_e32 v2, v35
	v_pk_add_f32 v[64:65], v[2:3], v[36:37] neg_lo:[0,1] neg_hi:[0,1]
	v_mov_b32_e32 v34, v69
	v_mov_b32_e32 v11, v64
	v_pk_add_f32 v[80:81], v[68:69], v[10:11] neg_lo:[0,1] neg_hi:[0,1]
	v_mov_b32_e32 v68, v37
	v_mov_b32_e32 v69, v64
	;; [unrolled: 1-line block ×3, first 2 shown]
	v_pk_add_f32 v[34:35], v[34:35], v[68:69] neg_lo:[0,1] neg_hi:[0,1]
	v_mov_b32_e32 v64, v67
	v_mov_b32_e32 v65, v36
	v_pk_add_f32 v[34:35], v[64:65], v[34:35] neg_lo:[0,1] neg_hi:[0,1]
	v_mov_b32_e32 v80, v70
	v_pk_add_f32 v[36:37], v[80:81], v[34:35]
	v_cmp_lt_f32_e64 s[4:5], |v19|, s4
	v_mov_b32_e32 v38, v37
	v_pk_add_f32 v[64:65], v[36:37], v[38:39]
	s_or_b64 vcc, vcc, s[4:5]
	v_pk_add_f32 v[66:67], v[2:3], v[64:65]
	v_mov_b32_e32 v35, v64
	v_mov_b32_e32 v37, v66
	v_pk_add_f32 v[68:69], v[36:37], v[70:71] neg_lo:[0,1] neg_hi:[0,1]
	s_nop 0
	v_sub_f32_e32 v2, v36, v68
	v_pk_add_f32 v[34:35], v[34:35], v[68:69] neg_lo:[0,1] neg_hi:[0,1]
	v_sub_f32_e32 v2, v70, v2
	v_add_f32_e32 v2, v34, v2
	v_add_f32_e32 v2, v2, v35
	;; [unrolled: 1-line block ×3, first 2 shown]
	v_cndmask_b32_e32 v2, v2, v19, vcc
	v_add_f32_e32 v2, v3, v2
	v_cvt_f16_f32_e32 v70, v2
	v_cvt_f32_f16_e32 v2, v70
	v_mov_b32_e32 v34, v70
.LBB408_366:
	s_or_b64 exec, exec, s[2:3]
	v_max_f32_e32 v3, v6, v6
	v_max_f32_e32 v19, v2, v2
	v_min_f32_e32 v11, v19, v3
	v_cmp_u_f16_e32 vcc, v70, v70
	v_max_f32_e32 v3, v19, v3
	s_movk_i32 s4, 0x1f8
	v_cndmask_b32_e32 v11, v11, v2, vcc
	v_cndmask_b32_e32 v3, v3, v2, vcc
	v_cndmask_b32_e64 v11, v11, v6, s[6:7]
	v_cndmask_b32_e64 v3, v3, v6, s[6:7]
	v_cmp_neq_f32_e32 vcc, v11, v3
	v_cmp_class_f32_e64 s[2:3], v11, s4
	s_or_b64 s[6:7], vcc, s[2:3]
	s_waitcnt lgkmcnt(0)
	v_mov_b32_e32 v35, v34
	s_and_saveexec_b64 s[2:3], s[6:7]
	s_cbranch_execz .LBB408_368
; %bb.367:
	v_sub_f32_e32 v2, v11, v3
	s_mov_b32 s5, 0x3fb8aa3b
	v_mul_f32_e32 v6, 0x3fb8aa3b, v2
	v_fma_f32 v11, v2, s5, -v6
	v_rndne_f32_e32 v19, v6
	v_fmamk_f32 v11, v2, 0x32a5705f, v11
	v_sub_f32_e32 v6, v6, v19
	v_add_f32_e32 v6, v6, v11
	v_exp_f32_e32 v6, v6
	v_cvt_i32_f32_e32 v11, v19
	s_mov_b32 s5, 0xc2ce8ed0
	v_cmp_ngt_f32_e32 vcc, s5, v2
	s_mov_b32 s5, 0x42b17218
	v_ldexp_f32 v6, v6, v11
	v_cndmask_b32_e32 v6, 0, v6, vcc
	v_mov_b32_e32 v11, 0x7f800000
	v_cmp_nlt_f32_e32 vcc, s5, v2
	s_mov_b32 s5, 0x3f2aaaab
	s_mov_b32 s6, 0x7f800000
	v_cndmask_b32_e32 v19, v11, v6, vcc
	v_add_f32_e32 v2, 1.0, v19
	v_add_f32_e32 v6, -1.0, v2
	v_sub_f32_e32 v11, v6, v2
	v_add_f32_e32 v11, 1.0, v11
	v_sub_f32_e32 v6, v19, v6
	v_add_f32_e32 v6, v6, v11
	v_frexp_mant_f32_e32 v11, v2
	v_cvt_f64_f32_e32 v[36:37], v2
	v_frexp_exp_i32_f64_e32 v35, v[36:37]
	v_cmp_gt_f32_e32 vcc, s5, v11
	s_mov_b32 s5, 0x3f317218
	s_nop 0
	v_subbrev_co_u32_e32 v11, vcc, 0, v35, vcc
	v_sub_u32_e32 v35, 0, v11
	v_ldexp_f32 v2, v2, v35
	v_ldexp_f32 v6, v6, v35
	v_add_f32_e32 v35, -1.0, v2
	v_add_f32_e32 v37, 1.0, v2
	v_add_f32_e32 v36, 1.0, v35
	v_add_f32_e32 v38, -1.0, v37
	v_sub_f32_e32 v36, v2, v36
	v_sub_f32_e32 v2, v2, v38
	v_add_f32_e32 v2, v6, v2
	v_add_f32_e32 v36, v6, v36
	;; [unrolled: 1-line block ×3, first 2 shown]
	v_rcp_f32_e32 v38, v6
	v_sub_f32_e32 v37, v37, v6
	v_add_f32_e32 v2, v2, v37
	v_add_f32_e32 v37, v35, v36
	v_mul_f32_e32 v70, v37, v38
	v_mul_f32_e32 v64, v6, v70
	v_fma_f32 v66, v70, v6, -v64
	v_sub_f32_e32 v35, v35, v37
	v_fmac_f32_e32 v66, v70, v2
	v_add_f32_e32 v35, v36, v35
	v_add_f32_e32 v36, v64, v66
	v_sub_f32_e32 v65, v37, v36
	v_pk_add_f32 v[68:69], v[36:37], v[64:65] neg_lo:[0,1] neg_hi:[0,1]
	v_mov_b32_e32 v67, v36
	v_pk_add_f32 v[36:37], v[68:69], v[66:67] neg_lo:[0,1] neg_hi:[0,1]
	v_cmp_eq_f32_e32 vcc, s6, v19
	v_add_f32_e32 v35, v35, v37
	v_add_f32_e32 v35, v36, v35
	;; [unrolled: 1-line block ×3, first 2 shown]
	v_mul_f32_e32 v71, v38, v37
	v_mul_f32_e32 v64, v6, v71
	v_fma_f32 v66, v71, v6, -v64
	v_fmac_f32_e32 v66, v71, v2
	v_add_f32_e32 v36, v64, v66
	v_sub_f32_e32 v2, v65, v37
	v_sub_f32_e32 v65, v37, v36
	v_pk_add_f32 v[68:69], v[36:37], v[64:65] neg_lo:[0,1] neg_hi:[0,1]
	v_mov_b32_e32 v67, v36
	v_add_f32_e32 v2, v35, v2
	v_pk_add_f32 v[36:37], v[68:69], v[66:67] neg_lo:[0,1] neg_hi:[0,1]
	v_add_f32_e32 v6, v70, v71
	v_add_f32_e32 v2, v2, v37
	;; [unrolled: 1-line block ×4, first 2 shown]
	v_sub_f32_e32 v35, v6, v70
	v_mul_f32_e32 v2, v38, v2
	v_sub_f32_e32 v35, v71, v35
	v_add_f32_e32 v2, v35, v2
	v_add_f32_e32 v35, v6, v2
	v_cvt_f32_i32_e32 v64, v11
	v_mul_f32_e32 v36, v35, v35
	v_mov_b32_e32 v37, 0x3ecc95a3
	v_fmac_f32_e32 v37, 0x3e9b6dac, v36
	v_fmaak_f32 v37, v36, v37, 0x3f2aaada
	v_mul_f32_e32 v65, v35, v36
	v_mov_b32_e32 v36, 0x3f317218
	v_sub_f32_e32 v6, v35, v6
	v_pk_mul_f32 v[36:37], v[64:65], v[36:37]
	v_sub_f32_e32 v2, v2, v6
	v_fma_f32 v6, v64, s5, -v36
	v_ldexp_f32 v67, v35, 1
	v_fmamk_f32 v66, v64, 0xb102e308, v6
	v_pk_add_f32 v[64:65], v[36:37], v[66:67]
	v_ldexp_f32 v2, v2, 1
	v_sub_f32_e32 v6, v65, v67
	v_sub_f32_e32 v6, v37, v6
	v_add_f32_e32 v69, v2, v6
	v_mov_b32_e32 v68, v36
	v_pk_add_f32 v[36:37], v[64:65], v[36:37] neg_lo:[0,1] neg_hi:[0,1]
	v_pk_add_f32 v[70:71], v[64:65], v[68:69]
	v_mov_b32_e32 v67, v64
	v_mov_b32_e32 v37, v71
	v_pk_add_f32 v[80:81], v[66:67], v[36:37] neg_lo:[0,1] neg_hi:[0,1]
	v_pk_add_f32 v[36:37], v[66:67], v[36:37]
	s_mov_b32 s5, 0x33800000
	v_mov_b32_e32 v2, v37
	v_pk_add_f32 v[66:67], v[2:3], v[64:65] neg_lo:[0,1] neg_hi:[0,1]
	v_mov_b32_e32 v36, v71
	v_mov_b32_e32 v11, v66
	v_pk_add_f32 v[82:83], v[70:71], v[10:11] neg_lo:[0,1] neg_hi:[0,1]
	v_mov_b32_e32 v70, v65
	v_mov_b32_e32 v71, v66
	;; [unrolled: 1-line block ×3, first 2 shown]
	v_pk_add_f32 v[36:37], v[36:37], v[70:71] neg_lo:[0,1] neg_hi:[0,1]
	v_mov_b32_e32 v66, v69
	v_mov_b32_e32 v67, v64
	v_pk_add_f32 v[36:37], v[66:67], v[36:37] neg_lo:[0,1] neg_hi:[0,1]
	v_mov_b32_e32 v82, v80
	v_pk_add_f32 v[64:65], v[82:83], v[36:37]
	v_cmp_lt_f32_e64 s[6:7], |v19|, s5
	v_mov_b32_e32 v6, v65
	v_pk_add_f32 v[66:67], v[64:65], v[6:7]
	s_or_b64 vcc, vcc, s[6:7]
	v_pk_add_f32 v[68:69], v[2:3], v[66:67]
	v_mov_b32_e32 v37, v66
	v_mov_b32_e32 v65, v68
	v_pk_add_f32 v[70:71], v[64:65], v[80:81] neg_lo:[0,1] neg_hi:[0,1]
	s_nop 0
	v_sub_f32_e32 v2, v64, v70
	v_pk_add_f32 v[36:37], v[36:37], v[70:71] neg_lo:[0,1] neg_hi:[0,1]
	v_sub_f32_e32 v2, v80, v2
	v_add_f32_e32 v2, v36, v2
	v_add_f32_e32 v2, v2, v37
	;; [unrolled: 1-line block ×3, first 2 shown]
	v_cndmask_b32_e32 v2, v2, v19, vcc
	v_add_f32_e32 v2, v3, v2
	v_cvt_f16_f32_e32 v70, v2
	v_cvt_f32_f16_e32 v2, v70
	v_mov_b32_e32 v35, v70
.LBB408_368:
	s_or_b64 exec, exec, s[2:3]
	v_max_f32_e32 v3, v7, v7
	v_max_f32_e32 v11, v2, v2
	v_min_f32_e32 v6, v11, v3
	v_cmp_u_f16_e32 vcc, v70, v70
	v_max_f32_e32 v3, v11, v3
	v_mov_b32_e32 v36, v35
	v_cndmask_b32_e32 v6, v6, v2, vcc
	v_cndmask_b32_e32 v3, v3, v2, vcc
	v_cndmask_b32_e64 v6, v6, v7, s[8:9]
	v_cndmask_b32_e64 v3, v3, v7, s[8:9]
	v_cmp_neq_f32_e32 vcc, v6, v3
	v_cmp_class_f32_e64 s[2:3], v6, s4
	s_or_b64 s[4:5], vcc, s[2:3]
	s_and_saveexec_b64 s[2:3], s[4:5]
	s_cbranch_execz .LBB408_370
; %bb.369:
	v_sub_f32_e32 v2, v6, v3
	s_mov_b32 s4, 0x3fb8aa3b
	v_mul_f32_e32 v6, 0x3fb8aa3b, v2
	v_fma_f32 v7, v2, s4, -v6
	v_rndne_f32_e32 v11, v6
	v_fmamk_f32 v7, v2, 0x32a5705f, v7
	v_sub_f32_e32 v6, v6, v11
	v_add_f32_e32 v6, v6, v7
	v_exp_f32_e32 v6, v6
	v_cvt_i32_f32_e32 v7, v11
	s_mov_b32 s4, 0xc2ce8ed0
	v_cmp_ngt_f32_e32 vcc, s4, v2
	s_mov_b32 s4, 0x42b17218
	v_ldexp_f32 v6, v6, v7
	v_cndmask_b32_e32 v6, 0, v6, vcc
	v_mov_b32_e32 v7, 0x7f800000
	v_cmp_nlt_f32_e32 vcc, s4, v2
	s_mov_b32 s4, 0x3f2aaaab
	s_mov_b32 s5, 0x7f800000
	v_cndmask_b32_e32 v19, v7, v6, vcc
	v_add_f32_e32 v2, 1.0, v19
	v_add_f32_e32 v6, -1.0, v2
	v_sub_f32_e32 v7, v6, v2
	v_add_f32_e32 v7, 1.0, v7
	v_sub_f32_e32 v6, v19, v6
	v_add_f32_e32 v11, v6, v7
	v_frexp_mant_f32_e32 v36, v2
	v_cvt_f64_f32_e32 v[6:7], v2
	v_frexp_exp_i32_f64_e32 v6, v[6:7]
	v_cmp_gt_f32_e32 vcc, s4, v36
	s_mov_b32 s4, 0x3f317218
	s_nop 0
	v_subbrev_co_u32_e32 v38, vcc, 0, v6, vcc
	v_sub_u32_e32 v6, 0, v38
	v_ldexp_f32 v2, v2, v6
	v_ldexp_f32 v6, v11, v6
	v_add_f32_e32 v11, -1.0, v2
	v_add_f32_e32 v7, 1.0, v11
	v_sub_f32_e32 v7, v2, v7
	v_add_f32_e32 v36, v6, v7
	v_add_f32_e32 v7, 1.0, v2
	v_add_f32_e32 v37, -1.0, v7
	v_sub_f32_e32 v2, v2, v37
	v_add_f32_e32 v2, v6, v2
	v_add_f32_e32 v68, v7, v2
	v_rcp_f32_e32 v69, v68
	v_sub_f32_e32 v6, v7, v68
	v_add_f32_e32 v7, v11, v36
	v_add_f32_e32 v2, v2, v6
	v_sub_f32_e32 v6, v11, v7
	v_mul_f32_e32 v70, v7, v69
	v_add_f32_e32 v11, v36, v6
	v_mul_f32_e32 v36, v68, v70
	v_fma_f32 v64, v70, v68, -v36
	v_fmac_f32_e32 v64, v70, v2
	v_add_f32_e32 v6, v36, v64
	v_sub_f32_e32 v37, v7, v6
	v_pk_add_f32 v[66:67], v[6:7], v[36:37] neg_lo:[0,1] neg_hi:[0,1]
	v_mov_b32_e32 v65, v6
	v_pk_add_f32 v[6:7], v[66:67], v[64:65] neg_lo:[0,1] neg_hi:[0,1]
	v_cmp_eq_f32_e32 vcc, s5, v19
	v_add_f32_e32 v7, v11, v7
	v_add_f32_e32 v6, v6, v7
	;; [unrolled: 1-line block ×3, first 2 shown]
	v_mul_f32_e32 v11, v69, v7
	v_mul_f32_e32 v36, v68, v11
	v_fma_f32 v64, v11, v68, -v36
	v_fmac_f32_e32 v64, v11, v2
	v_sub_f32_e32 v2, v37, v7
	v_add_f32_e32 v2, v6, v2
	v_add_f32_e32 v6, v36, v64
	v_sub_f32_e32 v37, v7, v6
	v_pk_add_f32 v[66:67], v[6:7], v[36:37] neg_lo:[0,1] neg_hi:[0,1]
	v_mov_b32_e32 v65, v6
	v_pk_add_f32 v[6:7], v[66:67], v[64:65] neg_lo:[0,1] neg_hi:[0,1]
	v_cvt_f32_i32_e32 v36, v38
	v_add_f32_e32 v2, v2, v7
	v_add_f32_e32 v2, v6, v2
	;; [unrolled: 1-line block ×4, first 2 shown]
	v_sub_f32_e32 v7, v6, v70
	v_mul_f32_e32 v2, v69, v2
	v_sub_f32_e32 v7, v11, v7
	v_add_f32_e32 v2, v7, v2
	v_add_f32_e32 v11, v6, v2
	v_mul_f32_e32 v37, v11, v11
	v_mov_b32_e32 v7, 0x3ecc95a3
	v_fmac_f32_e32 v7, 0x3e9b6dac, v37
	v_sub_f32_e32 v6, v11, v6
	v_fmaak_f32 v7, v37, v7, 0x3f2aaada
	v_sub_f32_e32 v2, v2, v6
	v_mul_f32_e32 v37, v11, v37
	v_mov_b32_e32 v6, 0x3f317218
	v_pk_mul_f32 v[6:7], v[36:37], v[6:7]
	v_ldexp_f32 v65, v11, 1
	v_fma_f32 v11, v36, s4, -v6
	v_fmamk_f32 v64, v36, 0xb102e308, v11
	v_pk_add_f32 v[36:37], v[6:7], v[64:65]
	v_ldexp_f32 v2, v2, 1
	v_sub_f32_e32 v11, v37, v65
	v_sub_f32_e32 v11, v7, v11
	v_add_f32_e32 v67, v2, v11
	v_mov_b32_e32 v66, v6
	v_pk_add_f32 v[6:7], v[36:37], v[6:7] neg_lo:[0,1] neg_hi:[0,1]
	v_pk_add_f32 v[68:69], v[36:37], v[66:67]
	v_mov_b32_e32 v65, v36
	v_mov_b32_e32 v7, v69
	v_pk_add_f32 v[70:71], v[64:65], v[6:7] neg_lo:[0,1] neg_hi:[0,1]
	v_pk_add_f32 v[6:7], v[64:65], v[6:7]
	s_mov_b32 s4, 0x33800000
	v_mov_b32_e32 v2, v7
	v_pk_add_f32 v[64:65], v[2:3], v[36:37] neg_lo:[0,1] neg_hi:[0,1]
	v_mov_b32_e32 v6, v69
	v_mov_b32_e32 v11, v64
	v_pk_add_f32 v[80:81], v[68:69], v[10:11] neg_lo:[0,1] neg_hi:[0,1]
	v_mov_b32_e32 v68, v37
	v_mov_b32_e32 v69, v64
	;; [unrolled: 1-line block ×3, first 2 shown]
	v_pk_add_f32 v[6:7], v[6:7], v[68:69] neg_lo:[0,1] neg_hi:[0,1]
	v_mov_b32_e32 v64, v67
	v_mov_b32_e32 v65, v36
	v_pk_add_f32 v[6:7], v[64:65], v[6:7] neg_lo:[0,1] neg_hi:[0,1]
	v_mov_b32_e32 v80, v70
	v_pk_add_f32 v[36:37], v[80:81], v[6:7]
	v_cmp_lt_f32_e64 s[4:5], |v19|, s4
	v_mov_b32_e32 v38, v37
	v_pk_add_f32 v[64:65], v[36:37], v[38:39]
	s_or_b64 vcc, vcc, s[4:5]
	v_pk_add_f32 v[66:67], v[2:3], v[64:65]
	v_mov_b32_e32 v7, v64
	v_mov_b32_e32 v37, v66
	v_pk_add_f32 v[68:69], v[36:37], v[70:71] neg_lo:[0,1] neg_hi:[0,1]
	s_nop 0
	v_sub_f32_e32 v2, v36, v68
	v_pk_add_f32 v[6:7], v[6:7], v[68:69] neg_lo:[0,1] neg_hi:[0,1]
	v_sub_f32_e32 v2, v70, v2
	v_add_f32_e32 v2, v6, v2
	v_add_f32_e32 v2, v2, v7
	v_add_f32_e32 v2, v66, v2
	v_cndmask_b32_e32 v2, v2, v19, vcc
	v_add_f32_e32 v2, v3, v2
	v_cvt_f16_f32_e32 v70, v2
	v_cvt_f32_f16_e32 v2, v70
	v_mov_b32_e32 v36, v70
.LBB408_370:
	s_or_b64 exec, exec, s[2:3]
	v_max_f32_e32 v3, v24, v24
	v_max_f32_e32 v7, v2, v2
	v_min_f32_e32 v6, v7, v3
	v_cmp_u_f16_e32 vcc, v70, v70
	v_max_f32_e32 v3, v7, v3
	s_movk_i32 s4, 0x1f8
	v_cndmask_b32_e32 v6, v6, v2, vcc
	v_cndmask_b32_e32 v3, v3, v2, vcc
	v_cndmask_b32_e64 v6, v6, v24, s[10:11]
	v_cndmask_b32_e64 v3, v3, v24, s[10:11]
	v_cmp_neq_f32_e32 vcc, v6, v3
	v_cmp_class_f32_e64 s[2:3], v6, s4
	s_or_b64 s[6:7], vcc, s[2:3]
	v_mov_b32_e32 v37, v36
	s_and_saveexec_b64 s[2:3], s[6:7]
	s_cbranch_execz .LBB408_372
; %bb.371:
	v_sub_f32_e32 v2, v6, v3
	s_mov_b32 s5, 0x3fb8aa3b
	v_mul_f32_e32 v6, 0x3fb8aa3b, v2
	v_fma_f32 v7, v2, s5, -v6
	v_rndne_f32_e32 v11, v6
	v_fmamk_f32 v7, v2, 0x32a5705f, v7
	v_sub_f32_e32 v6, v6, v11
	v_add_f32_e32 v6, v6, v7
	v_exp_f32_e32 v6, v6
	v_cvt_i32_f32_e32 v7, v11
	s_mov_b32 s5, 0xc2ce8ed0
	v_cmp_ngt_f32_e32 vcc, s5, v2
	s_mov_b32 s5, 0x42b17218
	v_ldexp_f32 v6, v6, v7
	v_cndmask_b32_e32 v6, 0, v6, vcc
	v_mov_b32_e32 v7, 0x7f800000
	v_cmp_nlt_f32_e32 vcc, s5, v2
	s_mov_b32 s5, 0x3f2aaaab
	s_mov_b32 s6, 0x7f800000
	v_cndmask_b32_e32 v19, v7, v6, vcc
	v_add_f32_e32 v2, 1.0, v19
	v_add_f32_e32 v6, -1.0, v2
	v_sub_f32_e32 v7, v6, v2
	v_add_f32_e32 v7, 1.0, v7
	v_sub_f32_e32 v6, v19, v6
	v_add_f32_e32 v11, v6, v7
	v_frexp_mant_f32_e32 v24, v2
	v_cvt_f64_f32_e32 v[6:7], v2
	v_frexp_exp_i32_f64_e32 v6, v[6:7]
	v_cmp_gt_f32_e32 vcc, s5, v24
	s_mov_b32 s5, 0x3f317218
	s_nop 0
	v_subbrev_co_u32_e32 v24, vcc, 0, v6, vcc
	v_sub_u32_e32 v6, 0, v24
	v_ldexp_f32 v2, v2, v6
	v_ldexp_f32 v6, v11, v6
	v_add_f32_e32 v11, -1.0, v2
	v_add_f32_e32 v7, 1.0, v11
	v_sub_f32_e32 v7, v2, v7
	v_add_f32_e32 v37, v6, v7
	v_add_f32_e32 v7, 1.0, v2
	v_add_f32_e32 v38, -1.0, v7
	v_sub_f32_e32 v2, v2, v38
	v_add_f32_e32 v2, v6, v2
	v_add_f32_e32 v38, v7, v2
	v_rcp_f32_e32 v70, v38
	v_sub_f32_e32 v6, v7, v38
	v_add_f32_e32 v7, v11, v37
	v_add_f32_e32 v2, v2, v6
	v_sub_f32_e32 v6, v11, v7
	v_add_f32_e32 v11, v37, v6
	v_mul_f32_e32 v37, v7, v70
	v_mul_f32_e32 v64, v38, v37
	v_fma_f32 v66, v37, v38, -v64
	v_fmac_f32_e32 v66, v37, v2
	v_add_f32_e32 v6, v64, v66
	v_sub_f32_e32 v65, v7, v6
	v_pk_add_f32 v[68:69], v[6:7], v[64:65] neg_lo:[0,1] neg_hi:[0,1]
	v_mov_b32_e32 v67, v6
	v_pk_add_f32 v[6:7], v[68:69], v[66:67] neg_lo:[0,1] neg_hi:[0,1]
	v_cmp_eq_f32_e32 vcc, s6, v19
	v_add_f32_e32 v7, v11, v7
	v_add_f32_e32 v6, v6, v7
	v_add_f32_e32 v7, v65, v6
	v_mul_f32_e32 v11, v70, v7
	v_mul_f32_e32 v64, v38, v11
	v_fma_f32 v66, v11, v38, -v64
	v_fmac_f32_e32 v66, v11, v2
	v_sub_f32_e32 v2, v65, v7
	v_add_f32_e32 v2, v6, v2
	v_add_f32_e32 v6, v64, v66
	v_sub_f32_e32 v65, v7, v6
	v_pk_add_f32 v[68:69], v[6:7], v[64:65] neg_lo:[0,1] neg_hi:[0,1]
	v_mov_b32_e32 v67, v6
	v_pk_add_f32 v[6:7], v[68:69], v[66:67] neg_lo:[0,1] neg_hi:[0,1]
	v_cvt_f32_i32_e32 v64, v24
	v_add_f32_e32 v2, v2, v7
	v_add_f32_e32 v2, v6, v2
	;; [unrolled: 1-line block ×4, first 2 shown]
	v_sub_f32_e32 v7, v6, v37
	v_mul_f32_e32 v2, v70, v2
	v_sub_f32_e32 v7, v11, v7
	v_add_f32_e32 v2, v7, v2
	v_add_f32_e32 v11, v6, v2
	v_mul_f32_e32 v37, v11, v11
	v_mov_b32_e32 v7, 0x3ecc95a3
	v_fmac_f32_e32 v7, 0x3e9b6dac, v37
	v_sub_f32_e32 v6, v11, v6
	v_fmaak_f32 v7, v37, v7, 0x3f2aaada
	v_sub_f32_e32 v2, v2, v6
	v_mul_f32_e32 v65, v11, v37
	v_mov_b32_e32 v6, 0x3f317218
	v_pk_mul_f32 v[6:7], v[64:65], v[6:7]
	v_ldexp_f32 v67, v11, 1
	v_fma_f32 v11, v64, s5, -v6
	v_fmamk_f32 v66, v64, 0xb102e308, v11
	v_pk_add_f32 v[64:65], v[6:7], v[66:67]
	v_ldexp_f32 v2, v2, 1
	v_sub_f32_e32 v11, v65, v67
	v_sub_f32_e32 v11, v7, v11
	v_add_f32_e32 v69, v2, v11
	v_mov_b32_e32 v68, v6
	v_pk_add_f32 v[6:7], v[64:65], v[6:7] neg_lo:[0,1] neg_hi:[0,1]
	v_pk_add_f32 v[70:71], v[64:65], v[68:69]
	v_mov_b32_e32 v67, v64
	v_mov_b32_e32 v7, v71
	v_pk_add_f32 v[80:81], v[66:67], v[6:7] neg_lo:[0,1] neg_hi:[0,1]
	v_pk_add_f32 v[6:7], v[66:67], v[6:7]
	s_mov_b32 s5, 0x33800000
	v_mov_b32_e32 v2, v7
	v_pk_add_f32 v[66:67], v[2:3], v[64:65] neg_lo:[0,1] neg_hi:[0,1]
	v_mov_b32_e32 v6, v71
	v_mov_b32_e32 v11, v66
	v_pk_add_f32 v[82:83], v[70:71], v[10:11] neg_lo:[0,1] neg_hi:[0,1]
	v_mov_b32_e32 v70, v65
	v_mov_b32_e32 v71, v66
	;; [unrolled: 1-line block ×3, first 2 shown]
	v_pk_add_f32 v[6:7], v[6:7], v[70:71] neg_lo:[0,1] neg_hi:[0,1]
	v_mov_b32_e32 v66, v69
	v_mov_b32_e32 v67, v64
	v_pk_add_f32 v[6:7], v[66:67], v[6:7] neg_lo:[0,1] neg_hi:[0,1]
	v_mov_b32_e32 v82, v80
	v_pk_add_f32 v[64:65], v[82:83], v[6:7]
	v_cmp_lt_f32_e64 s[6:7], |v19|, s5
	v_mov_b32_e32 v24, v65
	v_pk_add_f32 v[66:67], v[64:65], v[24:25]
	s_or_b64 vcc, vcc, s[6:7]
	v_pk_add_f32 v[68:69], v[2:3], v[66:67]
	v_mov_b32_e32 v7, v66
	v_mov_b32_e32 v65, v68
	v_pk_add_f32 v[70:71], v[64:65], v[80:81] neg_lo:[0,1] neg_hi:[0,1]
	s_nop 0
	v_sub_f32_e32 v2, v64, v70
	v_pk_add_f32 v[6:7], v[6:7], v[70:71] neg_lo:[0,1] neg_hi:[0,1]
	v_sub_f32_e32 v2, v80, v2
	v_add_f32_e32 v2, v6, v2
	v_add_f32_e32 v2, v2, v7
	;; [unrolled: 1-line block ×3, first 2 shown]
	v_cndmask_b32_e32 v2, v2, v19, vcc
	v_add_f32_e32 v2, v3, v2
	v_cvt_f16_f32_e32 v70, v2
	v_cvt_f32_f16_e32 v2, v70
	v_mov_b32_e32 v37, v70
.LBB408_372:
	s_or_b64 exec, exec, s[2:3]
	v_max_f32_e32 v3, v25, v25
	v_max_f32_e32 v7, v2, v2
	v_min_f32_e32 v6, v7, v3
	v_cmp_u_f16_e32 vcc, v70, v70
	v_max_f32_e32 v3, v7, v3
	v_mov_b32_e32 v38, v37
	v_cndmask_b32_e32 v6, v6, v2, vcc
	v_cndmask_b32_e32 v3, v3, v2, vcc
	v_cndmask_b32_e64 v6, v6, v25, s[12:13]
	v_cndmask_b32_e64 v3, v3, v25, s[12:13]
	v_cmp_neq_f32_e32 vcc, v6, v3
	v_cmp_class_f32_e64 s[2:3], v6, s4
	s_or_b64 s[4:5], vcc, s[2:3]
	s_and_saveexec_b64 s[2:3], s[4:5]
	s_cbranch_execz .LBB408_374
; %bb.373:
	v_sub_f32_e32 v2, v6, v3
	s_mov_b32 s4, 0x3fb8aa3b
	v_mul_f32_e32 v6, 0x3fb8aa3b, v2
	v_fma_f32 v7, v2, s4, -v6
	v_rndne_f32_e32 v11, v6
	v_fmamk_f32 v7, v2, 0x32a5705f, v7
	v_sub_f32_e32 v6, v6, v11
	v_add_f32_e32 v6, v6, v7
	v_exp_f32_e32 v6, v6
	v_cvt_i32_f32_e32 v7, v11
	s_mov_b32 s4, 0xc2ce8ed0
	v_cmp_ngt_f32_e32 vcc, s4, v2
	s_mov_b32 s4, 0x42b17218
	v_ldexp_f32 v6, v6, v7
	v_cndmask_b32_e32 v6, 0, v6, vcc
	v_mov_b32_e32 v7, 0x7f800000
	v_cmp_nlt_f32_e32 vcc, s4, v2
	s_mov_b32 s4, 0x3f2aaaab
	s_mov_b32 s5, 0x7f800000
	v_cndmask_b32_e32 v19, v7, v6, vcc
	v_add_f32_e32 v2, 1.0, v19
	v_add_f32_e32 v6, -1.0, v2
	v_sub_f32_e32 v7, v6, v2
	v_add_f32_e32 v7, 1.0, v7
	v_sub_f32_e32 v6, v19, v6
	v_add_f32_e32 v11, v6, v7
	v_frexp_mant_f32_e32 v24, v2
	v_cvt_f64_f32_e32 v[6:7], v2
	v_frexp_exp_i32_f64_e32 v6, v[6:7]
	v_cmp_gt_f32_e32 vcc, s4, v24
	s_mov_b32 s4, 0x3f317218
	s_nop 0
	v_subbrev_co_u32_e32 v38, vcc, 0, v6, vcc
	v_sub_u32_e32 v6, 0, v38
	v_ldexp_f32 v2, v2, v6
	v_ldexp_f32 v6, v11, v6
	v_add_f32_e32 v11, -1.0, v2
	v_add_f32_e32 v7, 1.0, v11
	v_sub_f32_e32 v7, v2, v7
	v_add_f32_e32 v24, v6, v7
	v_add_f32_e32 v7, 1.0, v2
	v_add_f32_e32 v25, -1.0, v7
	v_sub_f32_e32 v2, v2, v25
	v_add_f32_e32 v2, v6, v2
	v_add_f32_e32 v68, v7, v2
	v_rcp_f32_e32 v69, v68
	v_sub_f32_e32 v6, v7, v68
	v_add_f32_e32 v7, v11, v24
	v_add_f32_e32 v2, v2, v6
	v_sub_f32_e32 v6, v11, v7
	v_mul_f32_e32 v70, v7, v69
	v_add_f32_e32 v11, v24, v6
	v_mul_f32_e32 v24, v68, v70
	v_fma_f32 v64, v70, v68, -v24
	v_fmac_f32_e32 v64, v70, v2
	v_add_f32_e32 v6, v24, v64
	v_sub_f32_e32 v25, v7, v6
	v_pk_add_f32 v[66:67], v[6:7], v[24:25] neg_lo:[0,1] neg_hi:[0,1]
	v_mov_b32_e32 v65, v6
	v_pk_add_f32 v[6:7], v[66:67], v[64:65] neg_lo:[0,1] neg_hi:[0,1]
	v_cmp_eq_f32_e32 vcc, s5, v19
	v_add_f32_e32 v7, v11, v7
	v_add_f32_e32 v6, v6, v7
	;; [unrolled: 1-line block ×3, first 2 shown]
	v_mul_f32_e32 v11, v69, v7
	v_mul_f32_e32 v24, v68, v11
	v_fma_f32 v64, v11, v68, -v24
	v_fmac_f32_e32 v64, v11, v2
	v_sub_f32_e32 v2, v25, v7
	v_add_f32_e32 v2, v6, v2
	v_add_f32_e32 v6, v24, v64
	v_sub_f32_e32 v25, v7, v6
	v_pk_add_f32 v[66:67], v[6:7], v[24:25] neg_lo:[0,1] neg_hi:[0,1]
	v_mov_b32_e32 v65, v6
	v_pk_add_f32 v[6:7], v[66:67], v[64:65] neg_lo:[0,1] neg_hi:[0,1]
	v_cvt_f32_i32_e32 v24, v38
	v_add_f32_e32 v2, v2, v7
	v_add_f32_e32 v2, v6, v2
	;; [unrolled: 1-line block ×4, first 2 shown]
	v_sub_f32_e32 v7, v6, v70
	v_mul_f32_e32 v2, v69, v2
	v_sub_f32_e32 v7, v11, v7
	v_add_f32_e32 v2, v7, v2
	v_add_f32_e32 v11, v6, v2
	v_mul_f32_e32 v25, v11, v11
	v_mov_b32_e32 v7, 0x3ecc95a3
	v_fmac_f32_e32 v7, 0x3e9b6dac, v25
	v_sub_f32_e32 v6, v11, v6
	v_fmaak_f32 v7, v25, v7, 0x3f2aaada
	v_sub_f32_e32 v2, v2, v6
	v_mul_f32_e32 v25, v11, v25
	v_mov_b32_e32 v6, 0x3f317218
	v_pk_mul_f32 v[6:7], v[24:25], v[6:7]
	v_ldexp_f32 v65, v11, 1
	v_fma_f32 v11, v24, s4, -v6
	v_fmamk_f32 v64, v24, 0xb102e308, v11
	v_pk_add_f32 v[24:25], v[6:7], v[64:65]
	v_ldexp_f32 v2, v2, 1
	v_sub_f32_e32 v11, v25, v65
	v_sub_f32_e32 v11, v7, v11
	v_add_f32_e32 v67, v2, v11
	v_mov_b32_e32 v66, v6
	v_pk_add_f32 v[6:7], v[24:25], v[6:7] neg_lo:[0,1] neg_hi:[0,1]
	v_pk_add_f32 v[68:69], v[24:25], v[66:67]
	v_mov_b32_e32 v65, v24
	v_mov_b32_e32 v7, v69
	v_pk_add_f32 v[70:71], v[64:65], v[6:7] neg_lo:[0,1] neg_hi:[0,1]
	v_pk_add_f32 v[6:7], v[64:65], v[6:7]
	s_mov_b32 s4, 0x33800000
	v_mov_b32_e32 v2, v7
	v_pk_add_f32 v[64:65], v[2:3], v[24:25] neg_lo:[0,1] neg_hi:[0,1]
	v_mov_b32_e32 v6, v69
	v_mov_b32_e32 v11, v64
	v_pk_add_f32 v[80:81], v[68:69], v[10:11] neg_lo:[0,1] neg_hi:[0,1]
	v_mov_b32_e32 v68, v25
	v_mov_b32_e32 v69, v64
	;; [unrolled: 1-line block ×3, first 2 shown]
	v_pk_add_f32 v[6:7], v[6:7], v[68:69] neg_lo:[0,1] neg_hi:[0,1]
	v_mov_b32_e32 v64, v67
	v_mov_b32_e32 v65, v24
	v_pk_add_f32 v[6:7], v[64:65], v[6:7] neg_lo:[0,1] neg_hi:[0,1]
	v_mov_b32_e32 v80, v70
	v_pk_add_f32 v[24:25], v[80:81], v[6:7]
	v_cmp_lt_f32_e64 s[4:5], |v19|, s4
	v_mov_b32_e32 v38, v25
	v_pk_add_f32 v[64:65], v[24:25], v[38:39]
	s_or_b64 vcc, vcc, s[4:5]
	v_pk_add_f32 v[66:67], v[2:3], v[64:65]
	v_mov_b32_e32 v7, v64
	v_mov_b32_e32 v25, v66
	v_pk_add_f32 v[68:69], v[24:25], v[70:71] neg_lo:[0,1] neg_hi:[0,1]
	s_nop 0
	v_sub_f32_e32 v2, v24, v68
	v_pk_add_f32 v[6:7], v[6:7], v[68:69] neg_lo:[0,1] neg_hi:[0,1]
	v_sub_f32_e32 v2, v70, v2
	v_add_f32_e32 v2, v6, v2
	v_add_f32_e32 v2, v2, v7
	;; [unrolled: 1-line block ×3, first 2 shown]
	v_cndmask_b32_e32 v2, v2, v19, vcc
	v_add_f32_e32 v2, v3, v2
	v_cvt_f16_f32_e32 v70, v2
	v_cvt_f32_f16_e32 v2, v70
	v_mov_b32_e32 v38, v70
.LBB408_374:
	s_or_b64 exec, exec, s[2:3]
	v_max_f32_e32 v3, v26, v26
	v_max_f32_e32 v7, v2, v2
	v_min_f32_e32 v6, v7, v3
	v_cmp_u_f16_e32 vcc, v70, v70
	v_max_f32_e32 v3, v7, v3
	s_movk_i32 s4, 0x1f8
	v_cndmask_b32_e32 v6, v6, v2, vcc
	v_cndmask_b32_e32 v3, v3, v2, vcc
	v_cndmask_b32_e64 v6, v6, v26, s[14:15]
	v_cndmask_b32_e64 v3, v3, v26, s[14:15]
	v_cmp_neq_f32_e32 vcc, v6, v3
	v_cmp_class_f32_e64 s[2:3], v6, s4
	s_or_b64 s[6:7], vcc, s[2:3]
	v_mov_b32_e32 v87, v38
	s_and_saveexec_b64 s[2:3], s[6:7]
	s_cbranch_execz .LBB408_376
; %bb.375:
	v_sub_f32_e32 v2, v6, v3
	s_mov_b32 s5, 0x3fb8aa3b
	v_mul_f32_e32 v6, 0x3fb8aa3b, v2
	v_fma_f32 v7, v2, s5, -v6
	v_rndne_f32_e32 v11, v6
	v_fmamk_f32 v7, v2, 0x32a5705f, v7
	v_sub_f32_e32 v6, v6, v11
	v_add_f32_e32 v6, v6, v7
	v_exp_f32_e32 v6, v6
	v_cvt_i32_f32_e32 v7, v11
	s_mov_b32 s5, 0xc2ce8ed0
	v_cmp_ngt_f32_e32 vcc, s5, v2
	s_mov_b32 s5, 0x42b17218
	v_ldexp_f32 v6, v6, v7
	v_cndmask_b32_e32 v6, 0, v6, vcc
	v_mov_b32_e32 v7, 0x7f800000
	v_cmp_nlt_f32_e32 vcc, s5, v2
	s_mov_b32 s5, 0x3f2aaaab
	s_mov_b32 s6, 0x7f800000
	v_cndmask_b32_e32 v19, v7, v6, vcc
	v_add_f32_e32 v2, 1.0, v19
	v_add_f32_e32 v6, -1.0, v2
	v_sub_f32_e32 v7, v6, v2
	v_add_f32_e32 v7, 1.0, v7
	v_sub_f32_e32 v6, v19, v6
	v_add_f32_e32 v11, v6, v7
	v_frexp_mant_f32_e32 v24, v2
	v_cvt_f64_f32_e32 v[6:7], v2
	v_frexp_exp_i32_f64_e32 v6, v[6:7]
	v_cmp_gt_f32_e32 vcc, s5, v24
	s_mov_b32 s5, 0x3f317218
	s_nop 0
	v_subbrev_co_u32_e32 v26, vcc, 0, v6, vcc
	v_sub_u32_e32 v6, 0, v26
	v_ldexp_f32 v2, v2, v6
	v_ldexp_f32 v6, v11, v6
	v_add_f32_e32 v11, -1.0, v2
	v_add_f32_e32 v7, 1.0, v11
	v_sub_f32_e32 v7, v2, v7
	v_add_f32_e32 v24, v6, v7
	v_add_f32_e32 v7, 1.0, v2
	v_add_f32_e32 v25, -1.0, v7
	v_sub_f32_e32 v2, v2, v25
	v_add_f32_e32 v2, v6, v2
	v_add_f32_e32 v68, v7, v2
	v_rcp_f32_e32 v69, v68
	v_sub_f32_e32 v6, v7, v68
	v_add_f32_e32 v7, v11, v24
	v_add_f32_e32 v2, v2, v6
	v_sub_f32_e32 v6, v11, v7
	v_mul_f32_e32 v70, v7, v69
	v_add_f32_e32 v11, v24, v6
	v_mul_f32_e32 v24, v68, v70
	v_fma_f32 v64, v70, v68, -v24
	v_fmac_f32_e32 v64, v70, v2
	v_add_f32_e32 v6, v24, v64
	v_sub_f32_e32 v25, v7, v6
	v_pk_add_f32 v[66:67], v[6:7], v[24:25] neg_lo:[0,1] neg_hi:[0,1]
	v_mov_b32_e32 v65, v6
	v_pk_add_f32 v[6:7], v[66:67], v[64:65] neg_lo:[0,1] neg_hi:[0,1]
	v_cmp_eq_f32_e32 vcc, s6, v19
	v_add_f32_e32 v7, v11, v7
	v_add_f32_e32 v6, v6, v7
	;; [unrolled: 1-line block ×3, first 2 shown]
	v_mul_f32_e32 v11, v69, v7
	v_mul_f32_e32 v24, v68, v11
	v_fma_f32 v64, v11, v68, -v24
	v_fmac_f32_e32 v64, v11, v2
	v_sub_f32_e32 v2, v25, v7
	v_add_f32_e32 v2, v6, v2
	v_add_f32_e32 v6, v24, v64
	v_sub_f32_e32 v25, v7, v6
	v_pk_add_f32 v[66:67], v[6:7], v[24:25] neg_lo:[0,1] neg_hi:[0,1]
	v_mov_b32_e32 v65, v6
	v_pk_add_f32 v[6:7], v[66:67], v[64:65] neg_lo:[0,1] neg_hi:[0,1]
	v_cvt_f32_i32_e32 v24, v26
	v_add_f32_e32 v2, v2, v7
	v_add_f32_e32 v2, v6, v2
	;; [unrolled: 1-line block ×4, first 2 shown]
	v_sub_f32_e32 v7, v6, v70
	v_mul_f32_e32 v2, v69, v2
	v_sub_f32_e32 v7, v11, v7
	v_add_f32_e32 v2, v7, v2
	v_add_f32_e32 v11, v6, v2
	v_mul_f32_e32 v25, v11, v11
	v_mov_b32_e32 v7, 0x3ecc95a3
	v_fmac_f32_e32 v7, 0x3e9b6dac, v25
	v_sub_f32_e32 v6, v11, v6
	v_fmaak_f32 v7, v25, v7, 0x3f2aaada
	v_sub_f32_e32 v2, v2, v6
	v_mul_f32_e32 v25, v11, v25
	v_mov_b32_e32 v6, 0x3f317218
	v_pk_mul_f32 v[6:7], v[24:25], v[6:7]
	v_ldexp_f32 v65, v11, 1
	v_fma_f32 v11, v24, s5, -v6
	v_fmamk_f32 v64, v24, 0xb102e308, v11
	v_pk_add_f32 v[24:25], v[6:7], v[64:65]
	v_ldexp_f32 v2, v2, 1
	v_sub_f32_e32 v11, v25, v65
	v_sub_f32_e32 v11, v7, v11
	v_add_f32_e32 v67, v2, v11
	v_mov_b32_e32 v66, v6
	v_pk_add_f32 v[6:7], v[24:25], v[6:7] neg_lo:[0,1] neg_hi:[0,1]
	v_pk_add_f32 v[68:69], v[24:25], v[66:67]
	v_mov_b32_e32 v65, v24
	v_mov_b32_e32 v7, v69
	v_pk_add_f32 v[70:71], v[64:65], v[6:7] neg_lo:[0,1] neg_hi:[0,1]
	v_pk_add_f32 v[6:7], v[64:65], v[6:7]
	s_mov_b32 s5, 0x33800000
	v_mov_b32_e32 v2, v7
	v_pk_add_f32 v[64:65], v[2:3], v[24:25] neg_lo:[0,1] neg_hi:[0,1]
	v_mov_b32_e32 v6, v69
	v_mov_b32_e32 v11, v64
	v_pk_add_f32 v[80:81], v[68:69], v[10:11] neg_lo:[0,1] neg_hi:[0,1]
	v_mov_b32_e32 v68, v25
	v_mov_b32_e32 v69, v64
	;; [unrolled: 1-line block ×3, first 2 shown]
	v_pk_add_f32 v[6:7], v[6:7], v[68:69] neg_lo:[0,1] neg_hi:[0,1]
	v_mov_b32_e32 v64, v67
	v_mov_b32_e32 v65, v24
	v_pk_add_f32 v[6:7], v[64:65], v[6:7] neg_lo:[0,1] neg_hi:[0,1]
	v_mov_b32_e32 v80, v70
	v_pk_add_f32 v[24:25], v[80:81], v[6:7]
	v_cmp_lt_f32_e64 s[6:7], |v19|, s5
	v_mov_b32_e32 v26, v25
	v_pk_add_f32 v[64:65], v[24:25], v[26:27]
	s_or_b64 vcc, vcc, s[6:7]
	v_pk_add_f32 v[66:67], v[2:3], v[64:65]
	v_mov_b32_e32 v7, v64
	v_mov_b32_e32 v25, v66
	v_pk_add_f32 v[68:69], v[24:25], v[70:71] neg_lo:[0,1] neg_hi:[0,1]
	s_nop 0
	v_sub_f32_e32 v2, v24, v68
	v_pk_add_f32 v[6:7], v[6:7], v[68:69] neg_lo:[0,1] neg_hi:[0,1]
	v_sub_f32_e32 v2, v70, v2
	v_add_f32_e32 v2, v6, v2
	v_add_f32_e32 v2, v2, v7
	;; [unrolled: 1-line block ×3, first 2 shown]
	v_cndmask_b32_e32 v2, v2, v19, vcc
	v_add_f32_e32 v2, v3, v2
	v_cvt_f16_f32_e32 v70, v2
	v_cvt_f32_f16_e32 v2, v70
	v_mov_b32_e32 v87, v70
.LBB408_376:
	s_or_b64 exec, exec, s[2:3]
	v_max_f32_e32 v3, v27, v27
	v_max_f32_e32 v7, v2, v2
	v_min_f32_e32 v6, v7, v3
	v_cmp_u_f16_e32 vcc, v70, v70
	v_max_f32_e32 v3, v7, v3
	v_mov_b32_e32 v96, v87
	v_cndmask_b32_e32 v6, v6, v2, vcc
	v_cndmask_b32_e32 v3, v3, v2, vcc
	v_cndmask_b32_e64 v6, v6, v27, s[16:17]
	v_cndmask_b32_e64 v3, v3, v27, s[16:17]
	v_cmp_neq_f32_e32 vcc, v6, v3
	v_cmp_class_f32_e64 s[2:3], v6, s4
	s_or_b64 s[4:5], vcc, s[2:3]
	s_and_saveexec_b64 s[2:3], s[4:5]
	s_cbranch_execz .LBB408_378
; %bb.377:
	v_sub_f32_e32 v2, v6, v3
	s_mov_b32 s4, 0x3fb8aa3b
	v_mul_f32_e32 v6, 0x3fb8aa3b, v2
	v_fma_f32 v7, v2, s4, -v6
	v_rndne_f32_e32 v11, v6
	v_fmamk_f32 v7, v2, 0x32a5705f, v7
	v_sub_f32_e32 v6, v6, v11
	v_add_f32_e32 v6, v6, v7
	v_exp_f32_e32 v6, v6
	v_cvt_i32_f32_e32 v7, v11
	s_mov_b32 s4, 0xc2ce8ed0
	v_cmp_ngt_f32_e32 vcc, s4, v2
	s_mov_b32 s4, 0x42b17218
	v_ldexp_f32 v6, v6, v7
	v_cndmask_b32_e32 v6, 0, v6, vcc
	v_mov_b32_e32 v7, 0x7f800000
	v_cmp_nlt_f32_e32 vcc, s4, v2
	s_mov_b32 s4, 0x3f2aaaab
	s_mov_b32 s5, 0x7f800000
	v_cndmask_b32_e32 v19, v7, v6, vcc
	v_add_f32_e32 v2, 1.0, v19
	v_add_f32_e32 v6, -1.0, v2
	v_sub_f32_e32 v7, v6, v2
	v_add_f32_e32 v7, 1.0, v7
	v_sub_f32_e32 v6, v19, v6
	v_add_f32_e32 v11, v6, v7
	v_frexp_mant_f32_e32 v24, v2
	v_cvt_f64_f32_e32 v[6:7], v2
	v_frexp_exp_i32_f64_e32 v6, v[6:7]
	v_cmp_gt_f32_e32 vcc, s4, v24
	s_mov_b32 s4, 0x3f317218
	s_nop 0
	v_subbrev_co_u32_e32 v66, vcc, 0, v6, vcc
	v_sub_u32_e32 v6, 0, v66
	v_ldexp_f32 v2, v2, v6
	v_ldexp_f32 v6, v11, v6
	v_add_f32_e32 v11, -1.0, v2
	v_add_f32_e32 v7, 1.0, v11
	v_sub_f32_e32 v7, v2, v7
	v_add_f32_e32 v24, v6, v7
	v_add_f32_e32 v7, 1.0, v2
	v_add_f32_e32 v25, -1.0, v7
	v_sub_f32_e32 v2, v2, v25
	v_add_f32_e32 v2, v6, v2
	v_add_f32_e32 v67, v7, v2
	v_rcp_f32_e32 v68, v67
	v_sub_f32_e32 v6, v7, v67
	v_add_f32_e32 v7, v11, v24
	v_add_f32_e32 v2, v2, v6
	v_sub_f32_e32 v6, v11, v7
	v_mul_f32_e32 v69, v7, v68
	v_add_f32_e32 v11, v24, v6
	v_mul_f32_e32 v24, v67, v69
	v_fma_f32 v26, v69, v67, -v24
	v_fmac_f32_e32 v26, v69, v2
	v_add_f32_e32 v6, v24, v26
	v_sub_f32_e32 v25, v7, v6
	v_pk_add_f32 v[64:65], v[6:7], v[24:25] neg_lo:[0,1] neg_hi:[0,1]
	v_mov_b32_e32 v27, v6
	v_pk_add_f32 v[6:7], v[64:65], v[26:27] neg_lo:[0,1] neg_hi:[0,1]
	v_cmp_eq_f32_e32 vcc, s5, v19
	v_add_f32_e32 v7, v11, v7
	v_add_f32_e32 v6, v6, v7
	;; [unrolled: 1-line block ×3, first 2 shown]
	v_mul_f32_e32 v11, v68, v7
	v_mul_f32_e32 v24, v67, v11
	v_fma_f32 v26, v11, v67, -v24
	v_fmac_f32_e32 v26, v11, v2
	v_sub_f32_e32 v2, v25, v7
	v_add_f32_e32 v2, v6, v2
	v_add_f32_e32 v6, v24, v26
	v_sub_f32_e32 v25, v7, v6
	v_pk_add_f32 v[64:65], v[6:7], v[24:25] neg_lo:[0,1] neg_hi:[0,1]
	v_mov_b32_e32 v27, v6
	v_pk_add_f32 v[6:7], v[64:65], v[26:27] neg_lo:[0,1] neg_hi:[0,1]
	v_cvt_f32_i32_e32 v24, v66
	v_add_f32_e32 v2, v2, v7
	v_add_f32_e32 v2, v6, v2
	;; [unrolled: 1-line block ×4, first 2 shown]
	v_sub_f32_e32 v7, v6, v69
	v_mul_f32_e32 v2, v68, v2
	v_sub_f32_e32 v7, v11, v7
	v_add_f32_e32 v2, v7, v2
	v_add_f32_e32 v11, v6, v2
	v_mul_f32_e32 v25, v11, v11
	v_mov_b32_e32 v7, 0x3ecc95a3
	v_fmac_f32_e32 v7, 0x3e9b6dac, v25
	v_sub_f32_e32 v6, v11, v6
	v_fmaak_f32 v7, v25, v7, 0x3f2aaada
	v_sub_f32_e32 v2, v2, v6
	v_mul_f32_e32 v25, v11, v25
	v_mov_b32_e32 v6, 0x3f317218
	v_pk_mul_f32 v[6:7], v[24:25], v[6:7]
	v_ldexp_f32 v27, v11, 1
	v_fma_f32 v11, v24, s4, -v6
	v_fmamk_f32 v26, v24, 0xb102e308, v11
	v_pk_add_f32 v[24:25], v[6:7], v[26:27]
	v_ldexp_f32 v2, v2, 1
	v_sub_f32_e32 v11, v25, v27
	v_sub_f32_e32 v11, v7, v11
	v_add_f32_e32 v65, v2, v11
	v_mov_b32_e32 v64, v6
	v_pk_add_f32 v[6:7], v[24:25], v[6:7] neg_lo:[0,1] neg_hi:[0,1]
	v_pk_add_f32 v[66:67], v[24:25], v[64:65]
	v_mov_b32_e32 v27, v24
	v_mov_b32_e32 v7, v67
	v_pk_add_f32 v[68:69], v[26:27], v[6:7] neg_lo:[0,1] neg_hi:[0,1]
	v_pk_add_f32 v[6:7], v[26:27], v[6:7]
	s_mov_b32 s4, 0x33800000
	v_mov_b32_e32 v2, v7
	v_pk_add_f32 v[26:27], v[2:3], v[24:25] neg_lo:[0,1] neg_hi:[0,1]
	v_mov_b32_e32 v6, v67
	v_mov_b32_e32 v11, v26
	v_pk_add_f32 v[70:71], v[66:67], v[10:11] neg_lo:[0,1] neg_hi:[0,1]
	v_mov_b32_e32 v66, v25
	v_mov_b32_e32 v67, v26
	;; [unrolled: 1-line block ×3, first 2 shown]
	v_pk_add_f32 v[6:7], v[6:7], v[66:67] neg_lo:[0,1] neg_hi:[0,1]
	v_mov_b32_e32 v26, v65
	v_mov_b32_e32 v27, v24
	v_pk_add_f32 v[6:7], v[26:27], v[6:7] neg_lo:[0,1] neg_hi:[0,1]
	v_mov_b32_e32 v70, v68
	v_pk_add_f32 v[24:25], v[70:71], v[6:7]
	v_cmp_lt_f32_e64 s[4:5], |v19|, s4
	v_mov_b32_e32 v26, v25
	v_pk_add_f32 v[26:27], v[24:25], v[26:27]
	s_or_b64 vcc, vcc, s[4:5]
	v_pk_add_f32 v[64:65], v[2:3], v[26:27]
	v_mov_b32_e32 v7, v26
	v_mov_b32_e32 v25, v64
	v_pk_add_f32 v[66:67], v[24:25], v[68:69] neg_lo:[0,1] neg_hi:[0,1]
	s_nop 0
	v_sub_f32_e32 v2, v24, v66
	v_pk_add_f32 v[6:7], v[6:7], v[66:67] neg_lo:[0,1] neg_hi:[0,1]
	v_sub_f32_e32 v2, v68, v2
	v_add_f32_e32 v2, v6, v2
	v_add_f32_e32 v2, v2, v7
	;; [unrolled: 1-line block ×3, first 2 shown]
	v_cndmask_b32_e32 v2, v2, v19, vcc
	v_add_f32_e32 v2, v3, v2
	v_cvt_f16_f32_e32 v70, v2
	v_cvt_f32_f16_e32 v2, v70
	v_mov_b32_e32 v96, v70
.LBB408_378:
	s_or_b64 exec, exec, s[2:3]
	v_max_f32_e32 v3, v39, v39
	v_max_f32_e32 v7, v2, v2
	v_min_f32_e32 v6, v7, v3
	v_cmp_u_f16_e32 vcc, v70, v70
	v_max_f32_e32 v3, v7, v3
	s_movk_i32 s4, 0x1f8
	v_cndmask_b32_e32 v6, v6, v2, vcc
	v_cndmask_b32_e32 v3, v3, v2, vcc
	v_cndmask_b32_e64 v6, v6, v39, s[18:19]
	v_cndmask_b32_e64 v3, v3, v39, s[18:19]
	v_cmp_neq_f32_e32 vcc, v6, v3
	v_cmp_class_f32_e64 s[2:3], v6, s4
	s_or_b64 s[6:7], vcc, s[2:3]
	v_mov_b32_e32 v39, v96
	s_and_saveexec_b64 s[2:3], s[6:7]
	s_cbranch_execz .LBB408_380
; %bb.379:
	v_sub_f32_e32 v2, v6, v3
	s_mov_b32 s5, 0x3fb8aa3b
	v_mul_f32_e32 v6, 0x3fb8aa3b, v2
	v_fma_f32 v7, v2, s5, -v6
	v_rndne_f32_e32 v11, v6
	v_fmamk_f32 v7, v2, 0x32a5705f, v7
	v_sub_f32_e32 v6, v6, v11
	v_add_f32_e32 v6, v6, v7
	v_exp_f32_e32 v6, v6
	v_cvt_i32_f32_e32 v7, v11
	s_mov_b32 s5, 0xc2ce8ed0
	v_cmp_ngt_f32_e32 vcc, s5, v2
	s_mov_b32 s5, 0x42b17218
	v_ldexp_f32 v6, v6, v7
	v_cndmask_b32_e32 v6, 0, v6, vcc
	v_mov_b32_e32 v7, 0x7f800000
	v_cmp_nlt_f32_e32 vcc, s5, v2
	s_mov_b32 s5, 0x3f2aaaab
	s_mov_b32 s6, 0x7f800000
	v_cndmask_b32_e32 v19, v7, v6, vcc
	v_add_f32_e32 v2, 1.0, v19
	v_add_f32_e32 v6, -1.0, v2
	v_sub_f32_e32 v7, v6, v2
	v_add_f32_e32 v7, 1.0, v7
	v_sub_f32_e32 v6, v19, v6
	v_add_f32_e32 v11, v6, v7
	v_frexp_mant_f32_e32 v24, v2
	v_cvt_f64_f32_e32 v[6:7], v2
	v_frexp_exp_i32_f64_e32 v6, v[6:7]
	v_cmp_gt_f32_e32 vcc, s5, v24
	s_mov_b32 s5, 0x3f317218
	s_nop 0
	v_subbrev_co_u32_e32 v39, vcc, 0, v6, vcc
	v_sub_u32_e32 v6, 0, v39
	v_ldexp_f32 v2, v2, v6
	v_ldexp_f32 v6, v11, v6
	v_add_f32_e32 v11, -1.0, v2
	v_add_f32_e32 v7, 1.0, v11
	v_sub_f32_e32 v7, v2, v7
	v_add_f32_e32 v24, v6, v7
	v_add_f32_e32 v7, 1.0, v2
	v_add_f32_e32 v25, -1.0, v7
	v_sub_f32_e32 v2, v2, v25
	v_add_f32_e32 v2, v6, v2
	v_add_f32_e32 v66, v7, v2
	v_rcp_f32_e32 v67, v66
	v_sub_f32_e32 v6, v7, v66
	v_add_f32_e32 v7, v11, v24
	v_add_f32_e32 v2, v2, v6
	v_sub_f32_e32 v6, v11, v7
	v_mul_f32_e32 v68, v7, v67
	v_add_f32_e32 v11, v24, v6
	v_mul_f32_e32 v24, v66, v68
	v_fma_f32 v26, v68, v66, -v24
	v_fmac_f32_e32 v26, v68, v2
	v_add_f32_e32 v6, v24, v26
	v_sub_f32_e32 v25, v7, v6
	v_pk_add_f32 v[64:65], v[6:7], v[24:25] neg_lo:[0,1] neg_hi:[0,1]
	v_mov_b32_e32 v27, v6
	v_pk_add_f32 v[6:7], v[64:65], v[26:27] neg_lo:[0,1] neg_hi:[0,1]
	v_cmp_eq_f32_e32 vcc, s6, v19
	v_add_f32_e32 v7, v11, v7
	v_add_f32_e32 v6, v6, v7
	v_add_f32_e32 v7, v25, v6
	v_mul_f32_e32 v11, v67, v7
	v_mul_f32_e32 v24, v66, v11
	v_fma_f32 v26, v11, v66, -v24
	v_fmac_f32_e32 v26, v11, v2
	v_sub_f32_e32 v2, v25, v7
	v_add_f32_e32 v2, v6, v2
	v_add_f32_e32 v6, v24, v26
	v_sub_f32_e32 v25, v7, v6
	v_pk_add_f32 v[64:65], v[6:7], v[24:25] neg_lo:[0,1] neg_hi:[0,1]
	v_mov_b32_e32 v27, v6
	v_pk_add_f32 v[6:7], v[64:65], v[26:27] neg_lo:[0,1] neg_hi:[0,1]
	v_cvt_f32_i32_e32 v24, v39
	v_add_f32_e32 v2, v2, v7
	v_add_f32_e32 v2, v6, v2
	;; [unrolled: 1-line block ×4, first 2 shown]
	v_sub_f32_e32 v7, v6, v68
	v_mul_f32_e32 v2, v67, v2
	v_sub_f32_e32 v7, v11, v7
	v_add_f32_e32 v2, v7, v2
	v_add_f32_e32 v11, v6, v2
	v_mul_f32_e32 v25, v11, v11
	v_mov_b32_e32 v7, 0x3ecc95a3
	v_fmac_f32_e32 v7, 0x3e9b6dac, v25
	v_sub_f32_e32 v6, v11, v6
	v_fmaak_f32 v7, v25, v7, 0x3f2aaada
	v_sub_f32_e32 v2, v2, v6
	v_mul_f32_e32 v25, v11, v25
	v_mov_b32_e32 v6, 0x3f317218
	v_pk_mul_f32 v[6:7], v[24:25], v[6:7]
	v_ldexp_f32 v27, v11, 1
	v_fma_f32 v11, v24, s5, -v6
	v_fmamk_f32 v26, v24, 0xb102e308, v11
	v_pk_add_f32 v[24:25], v[6:7], v[26:27]
	v_ldexp_f32 v2, v2, 1
	v_sub_f32_e32 v11, v25, v27
	v_sub_f32_e32 v11, v7, v11
	v_add_f32_e32 v65, v2, v11
	v_mov_b32_e32 v64, v6
	v_pk_add_f32 v[6:7], v[24:25], v[6:7] neg_lo:[0,1] neg_hi:[0,1]
	v_pk_add_f32 v[66:67], v[24:25], v[64:65]
	v_mov_b32_e32 v27, v24
	v_mov_b32_e32 v7, v67
	v_pk_add_f32 v[68:69], v[26:27], v[6:7] neg_lo:[0,1] neg_hi:[0,1]
	v_pk_add_f32 v[6:7], v[26:27], v[6:7]
	s_mov_b32 s5, 0x33800000
	v_mov_b32_e32 v2, v7
	v_pk_add_f32 v[26:27], v[2:3], v[24:25] neg_lo:[0,1] neg_hi:[0,1]
	v_mov_b32_e32 v6, v67
	v_mov_b32_e32 v11, v26
	v_pk_add_f32 v[70:71], v[66:67], v[10:11] neg_lo:[0,1] neg_hi:[0,1]
	v_mov_b32_e32 v66, v25
	v_mov_b32_e32 v67, v26
	;; [unrolled: 1-line block ×3, first 2 shown]
	v_pk_add_f32 v[6:7], v[6:7], v[66:67] neg_lo:[0,1] neg_hi:[0,1]
	v_mov_b32_e32 v26, v65
	v_mov_b32_e32 v27, v24
	v_pk_add_f32 v[6:7], v[26:27], v[6:7] neg_lo:[0,1] neg_hi:[0,1]
	v_mov_b32_e32 v70, v68
	v_pk_add_f32 v[24:25], v[70:71], v[6:7]
	v_cmp_lt_f32_e64 s[6:7], |v19|, s5
	v_mov_b32_e32 v26, v25
	v_pk_add_f32 v[26:27], v[24:25], v[26:27]
	s_or_b64 vcc, vcc, s[6:7]
	v_pk_add_f32 v[64:65], v[2:3], v[26:27]
	v_mov_b32_e32 v7, v26
	v_mov_b32_e32 v25, v64
	v_pk_add_f32 v[66:67], v[24:25], v[68:69] neg_lo:[0,1] neg_hi:[0,1]
	s_nop 0
	v_sub_f32_e32 v2, v24, v66
	v_pk_add_f32 v[6:7], v[6:7], v[66:67] neg_lo:[0,1] neg_hi:[0,1]
	v_sub_f32_e32 v2, v68, v2
	v_add_f32_e32 v2, v6, v2
	v_add_f32_e32 v2, v2, v7
	;; [unrolled: 1-line block ×3, first 2 shown]
	v_cndmask_b32_e32 v2, v2, v19, vcc
	v_add_f32_e32 v2, v3, v2
	v_cvt_f16_f32_e32 v70, v2
	v_cvt_f32_f16_e32 v2, v70
	v_mov_b32_e32 v39, v70
.LBB408_380:
	s_or_b64 exec, exec, s[2:3]
	v_max_f32_e32 v3, v20, v20
	v_max_f32_e32 v7, v2, v2
	v_min_f32_e32 v6, v7, v3
	v_cmp_u_f16_e32 vcc, v70, v70
	v_max_f32_e32 v3, v7, v3
	v_mov_b32_e32 v64, v39
	v_cndmask_b32_e32 v6, v6, v2, vcc
	v_cndmask_b32_e32 v3, v3, v2, vcc
	v_cndmask_b32_e64 v6, v6, v20, s[20:21]
	v_cndmask_b32_e64 v3, v3, v20, s[20:21]
	v_cmp_neq_f32_e32 vcc, v6, v3
	v_cmp_class_f32_e64 s[2:3], v6, s4
	s_or_b64 s[4:5], vcc, s[2:3]
	s_and_saveexec_b64 s[2:3], s[4:5]
	s_cbranch_execz .LBB408_382
; %bb.381:
	v_sub_f32_e32 v2, v6, v3
	s_mov_b32 s4, 0x3fb8aa3b
	v_mul_f32_e32 v6, 0x3fb8aa3b, v2
	v_fma_f32 v7, v2, s4, -v6
	v_rndne_f32_e32 v11, v6
	v_fmamk_f32 v7, v2, 0x32a5705f, v7
	v_sub_f32_e32 v6, v6, v11
	v_add_f32_e32 v6, v6, v7
	v_exp_f32_e32 v6, v6
	v_cvt_i32_f32_e32 v7, v11
	s_mov_b32 s4, 0xc2ce8ed0
	v_cmp_ngt_f32_e32 vcc, s4, v2
	s_mov_b32 s4, 0x42b17218
	v_ldexp_f32 v6, v6, v7
	v_cndmask_b32_e32 v6, 0, v6, vcc
	v_mov_b32_e32 v7, 0x7f800000
	v_cmp_nlt_f32_e32 vcc, s4, v2
	s_mov_b32 s4, 0x3f2aaaab
	s_mov_b32 s5, 0x7f800000
	v_cndmask_b32_e32 v19, v7, v6, vcc
	v_add_f32_e32 v2, 1.0, v19
	v_add_f32_e32 v6, -1.0, v2
	v_sub_f32_e32 v7, v6, v2
	v_add_f32_e32 v7, 1.0, v7
	v_sub_f32_e32 v6, v19, v6
	v_add_f32_e32 v11, v6, v7
	v_frexp_mant_f32_e32 v20, v2
	v_cvt_f64_f32_e32 v[6:7], v2
	v_frexp_exp_i32_f64_e32 v6, v[6:7]
	v_cmp_gt_f32_e32 vcc, s4, v20
	s_mov_b32 s4, 0x3f317218
	s_nop 0
	v_subbrev_co_u32_e32 v20, vcc, 0, v6, vcc
	v_sub_u32_e32 v6, 0, v20
	v_ldexp_f32 v2, v2, v6
	v_ldexp_f32 v6, v11, v6
	v_add_f32_e32 v11, -1.0, v2
	v_add_f32_e32 v7, 1.0, v11
	v_sub_f32_e32 v7, v2, v7
	v_add_f32_e32 v24, v6, v7
	v_add_f32_e32 v7, 1.0, v2
	v_add_f32_e32 v25, -1.0, v7
	v_sub_f32_e32 v2, v2, v25
	v_add_f32_e32 v2, v6, v2
	v_add_f32_e32 v66, v7, v2
	v_rcp_f32_e32 v67, v66
	v_sub_f32_e32 v6, v7, v66
	v_add_f32_e32 v7, v11, v24
	v_add_f32_e32 v2, v2, v6
	v_sub_f32_e32 v6, v11, v7
	v_mul_f32_e32 v68, v7, v67
	v_add_f32_e32 v11, v24, v6
	v_mul_f32_e32 v24, v66, v68
	v_fma_f32 v26, v68, v66, -v24
	v_fmac_f32_e32 v26, v68, v2
	v_add_f32_e32 v6, v24, v26
	v_sub_f32_e32 v25, v7, v6
	v_pk_add_f32 v[64:65], v[6:7], v[24:25] neg_lo:[0,1] neg_hi:[0,1]
	v_mov_b32_e32 v27, v6
	v_pk_add_f32 v[6:7], v[64:65], v[26:27] neg_lo:[0,1] neg_hi:[0,1]
	v_cmp_eq_f32_e32 vcc, s5, v19
	v_add_f32_e32 v7, v11, v7
	v_add_f32_e32 v6, v6, v7
	;; [unrolled: 1-line block ×3, first 2 shown]
	v_mul_f32_e32 v11, v67, v7
	v_mul_f32_e32 v24, v66, v11
	v_fma_f32 v26, v11, v66, -v24
	v_fmac_f32_e32 v26, v11, v2
	v_sub_f32_e32 v2, v25, v7
	v_add_f32_e32 v2, v6, v2
	v_add_f32_e32 v6, v24, v26
	v_sub_f32_e32 v25, v7, v6
	v_pk_add_f32 v[64:65], v[6:7], v[24:25] neg_lo:[0,1] neg_hi:[0,1]
	v_mov_b32_e32 v27, v6
	v_pk_add_f32 v[6:7], v[64:65], v[26:27] neg_lo:[0,1] neg_hi:[0,1]
	v_cvt_f32_i32_e32 v24, v20
	v_add_f32_e32 v2, v2, v7
	v_add_f32_e32 v2, v6, v2
	;; [unrolled: 1-line block ×4, first 2 shown]
	v_sub_f32_e32 v7, v6, v68
	v_mul_f32_e32 v2, v67, v2
	v_sub_f32_e32 v7, v11, v7
	v_add_f32_e32 v2, v7, v2
	v_add_f32_e32 v11, v6, v2
	v_mul_f32_e32 v25, v11, v11
	v_mov_b32_e32 v7, 0x3ecc95a3
	v_fmac_f32_e32 v7, 0x3e9b6dac, v25
	v_sub_f32_e32 v6, v11, v6
	v_fmaak_f32 v7, v25, v7, 0x3f2aaada
	v_sub_f32_e32 v2, v2, v6
	v_mul_f32_e32 v25, v11, v25
	v_mov_b32_e32 v6, 0x3f317218
	v_pk_mul_f32 v[6:7], v[24:25], v[6:7]
	v_ldexp_f32 v27, v11, 1
	v_fma_f32 v11, v24, s4, -v6
	v_fmamk_f32 v26, v24, 0xb102e308, v11
	v_pk_add_f32 v[24:25], v[6:7], v[26:27]
	v_ldexp_f32 v2, v2, 1
	v_sub_f32_e32 v11, v25, v27
	v_sub_f32_e32 v11, v7, v11
	v_add_f32_e32 v65, v2, v11
	v_mov_b32_e32 v64, v6
	v_pk_add_f32 v[6:7], v[24:25], v[6:7] neg_lo:[0,1] neg_hi:[0,1]
	v_pk_add_f32 v[66:67], v[24:25], v[64:65]
	v_mov_b32_e32 v27, v24
	v_mov_b32_e32 v7, v67
	v_pk_add_f32 v[68:69], v[26:27], v[6:7] neg_lo:[0,1] neg_hi:[0,1]
	v_pk_add_f32 v[6:7], v[26:27], v[6:7]
	s_mov_b32 s4, 0x33800000
	v_mov_b32_e32 v2, v7
	v_pk_add_f32 v[26:27], v[2:3], v[24:25] neg_lo:[0,1] neg_hi:[0,1]
	v_mov_b32_e32 v6, v67
	v_mov_b32_e32 v11, v26
	v_pk_add_f32 v[70:71], v[66:67], v[10:11] neg_lo:[0,1] neg_hi:[0,1]
	v_mov_b32_e32 v66, v25
	v_mov_b32_e32 v67, v26
	;; [unrolled: 1-line block ×3, first 2 shown]
	v_pk_add_f32 v[6:7], v[6:7], v[66:67] neg_lo:[0,1] neg_hi:[0,1]
	v_mov_b32_e32 v26, v65
	v_mov_b32_e32 v27, v24
	v_pk_add_f32 v[6:7], v[26:27], v[6:7] neg_lo:[0,1] neg_hi:[0,1]
	v_mov_b32_e32 v70, v68
	v_pk_add_f32 v[24:25], v[70:71], v[6:7]
	v_cmp_lt_f32_e64 s[4:5], |v19|, s4
	v_mov_b32_e32 v20, v25
	v_pk_add_f32 v[26:27], v[24:25], v[20:21]
	s_or_b64 vcc, vcc, s[4:5]
	v_pk_add_f32 v[64:65], v[2:3], v[26:27]
	v_mov_b32_e32 v7, v26
	v_mov_b32_e32 v25, v64
	v_pk_add_f32 v[66:67], v[24:25], v[68:69] neg_lo:[0,1] neg_hi:[0,1]
	s_nop 0
	v_sub_f32_e32 v2, v24, v66
	v_pk_add_f32 v[6:7], v[6:7], v[66:67] neg_lo:[0,1] neg_hi:[0,1]
	v_sub_f32_e32 v2, v68, v2
	v_add_f32_e32 v2, v6, v2
	v_add_f32_e32 v2, v2, v7
	;; [unrolled: 1-line block ×3, first 2 shown]
	v_cndmask_b32_e32 v2, v2, v19, vcc
	v_add_f32_e32 v2, v3, v2
	v_cvt_f16_f32_e32 v70, v2
	v_cvt_f32_f16_e32 v2, v70
	v_mov_b32_e32 v64, v70
.LBB408_382:
	s_or_b64 exec, exec, s[2:3]
	v_max_f32_e32 v3, v49, v49
	v_max_f32_e32 v7, v2, v2
	v_min_f32_e32 v6, v7, v3
	v_cmp_u_f16_e32 vcc, v70, v70
	v_max_f32_e32 v3, v7, v3
	s_movk_i32 s4, 0x1f8
	v_cndmask_b32_e32 v6, v6, v2, vcc
	v_cndmask_b32_e32 v3, v3, v2, vcc
	v_cndmask_b32_e64 v6, v6, v49, s[22:23]
	v_cndmask_b32_e64 v3, v3, v49, s[22:23]
	v_cmp_neq_f32_e32 vcc, v6, v3
	v_cmp_class_f32_e64 s[2:3], v6, s4
	s_or_b64 s[6:7], vcc, s[2:3]
	v_mov_b32_e32 v49, v64
	s_and_saveexec_b64 s[2:3], s[6:7]
	s_cbranch_execz .LBB408_384
; %bb.383:
	v_sub_f32_e32 v2, v6, v3
	s_mov_b32 s5, 0x3fb8aa3b
	v_mul_f32_e32 v6, 0x3fb8aa3b, v2
	v_fma_f32 v7, v2, s5, -v6
	v_rndne_f32_e32 v11, v6
	v_fmamk_f32 v7, v2, 0x32a5705f, v7
	v_sub_f32_e32 v6, v6, v11
	v_add_f32_e32 v6, v6, v7
	v_exp_f32_e32 v6, v6
	v_cvt_i32_f32_e32 v7, v11
	s_mov_b32 s5, 0xc2ce8ed0
	v_cmp_ngt_f32_e32 vcc, s5, v2
	s_mov_b32 s5, 0x42b17218
	v_ldexp_f32 v6, v6, v7
	v_cndmask_b32_e32 v6, 0, v6, vcc
	v_mov_b32_e32 v7, 0x7f800000
	v_cmp_nlt_f32_e32 vcc, s5, v2
	s_mov_b32 s5, 0x3f2aaaab
	s_mov_b32 s6, 0x7f800000
	v_cndmask_b32_e32 v19, v7, v6, vcc
	v_add_f32_e32 v2, 1.0, v19
	v_add_f32_e32 v6, -1.0, v2
	v_sub_f32_e32 v7, v6, v2
	v_add_f32_e32 v7, 1.0, v7
	v_sub_f32_e32 v6, v19, v6
	v_add_f32_e32 v11, v6, v7
	v_frexp_mant_f32_e32 v20, v2
	v_cvt_f64_f32_e32 v[6:7], v2
	v_frexp_exp_i32_f64_e32 v6, v[6:7]
	v_cmp_gt_f32_e32 vcc, s5, v20
	s_mov_b32 s5, 0x3f317218
	s_nop 0
	v_subbrev_co_u32_e32 v20, vcc, 0, v6, vcc
	v_sub_u32_e32 v6, 0, v20
	v_ldexp_f32 v2, v2, v6
	v_ldexp_f32 v6, v11, v6
	v_add_f32_e32 v11, -1.0, v2
	v_add_f32_e32 v7, 1.0, v11
	v_sub_f32_e32 v7, v2, v7
	v_add_f32_e32 v24, v6, v7
	v_add_f32_e32 v7, 1.0, v2
	v_add_f32_e32 v25, -1.0, v7
	v_sub_f32_e32 v2, v2, v25
	v_add_f32_e32 v2, v6, v2
	v_add_f32_e32 v49, v7, v2
	v_rcp_f32_e32 v65, v49
	v_sub_f32_e32 v6, v7, v49
	v_add_f32_e32 v7, v11, v24
	v_add_f32_e32 v2, v2, v6
	v_sub_f32_e32 v6, v11, v7
	v_mul_f32_e32 v68, v7, v65
	v_add_f32_e32 v11, v24, v6
	v_mul_f32_e32 v24, v49, v68
	v_fma_f32 v26, v68, v49, -v24
	v_fmac_f32_e32 v26, v68, v2
	v_add_f32_e32 v6, v24, v26
	v_sub_f32_e32 v25, v7, v6
	v_pk_add_f32 v[66:67], v[6:7], v[24:25] neg_lo:[0,1] neg_hi:[0,1]
	v_mov_b32_e32 v27, v6
	v_pk_add_f32 v[6:7], v[66:67], v[26:27] neg_lo:[0,1] neg_hi:[0,1]
	v_cmp_eq_f32_e32 vcc, s6, v19
	v_add_f32_e32 v7, v11, v7
	v_add_f32_e32 v6, v6, v7
	;; [unrolled: 1-line block ×3, first 2 shown]
	v_mul_f32_e32 v11, v65, v7
	v_mul_f32_e32 v24, v49, v11
	v_fma_f32 v26, v11, v49, -v24
	v_fmac_f32_e32 v26, v11, v2
	v_sub_f32_e32 v2, v25, v7
	v_add_f32_e32 v2, v6, v2
	v_add_f32_e32 v6, v24, v26
	v_sub_f32_e32 v25, v7, v6
	v_pk_add_f32 v[66:67], v[6:7], v[24:25] neg_lo:[0,1] neg_hi:[0,1]
	v_mov_b32_e32 v27, v6
	v_pk_add_f32 v[6:7], v[66:67], v[26:27] neg_lo:[0,1] neg_hi:[0,1]
	v_cvt_f32_i32_e32 v24, v20
	v_add_f32_e32 v2, v2, v7
	v_add_f32_e32 v2, v6, v2
	;; [unrolled: 1-line block ×4, first 2 shown]
	v_sub_f32_e32 v7, v6, v68
	v_mul_f32_e32 v2, v65, v2
	v_sub_f32_e32 v7, v11, v7
	v_add_f32_e32 v2, v7, v2
	v_add_f32_e32 v11, v6, v2
	v_mul_f32_e32 v25, v11, v11
	v_mov_b32_e32 v7, 0x3ecc95a3
	v_fmac_f32_e32 v7, 0x3e9b6dac, v25
	v_sub_f32_e32 v6, v11, v6
	v_fmaak_f32 v7, v25, v7, 0x3f2aaada
	v_sub_f32_e32 v2, v2, v6
	v_mul_f32_e32 v25, v11, v25
	v_mov_b32_e32 v6, 0x3f317218
	v_pk_mul_f32 v[6:7], v[24:25], v[6:7]
	v_ldexp_f32 v27, v11, 1
	v_fma_f32 v11, v24, s5, -v6
	v_fmamk_f32 v26, v24, 0xb102e308, v11
	v_pk_add_f32 v[24:25], v[6:7], v[26:27]
	v_ldexp_f32 v2, v2, 1
	v_sub_f32_e32 v11, v25, v27
	v_sub_f32_e32 v11, v7, v11
	v_add_f32_e32 v67, v2, v11
	v_mov_b32_e32 v66, v6
	v_pk_add_f32 v[6:7], v[24:25], v[6:7] neg_lo:[0,1] neg_hi:[0,1]
	v_pk_add_f32 v[68:69], v[24:25], v[66:67]
	v_mov_b32_e32 v27, v24
	v_mov_b32_e32 v7, v69
	v_pk_add_f32 v[70:71], v[26:27], v[6:7] neg_lo:[0,1] neg_hi:[0,1]
	v_pk_add_f32 v[6:7], v[26:27], v[6:7]
	s_mov_b32 s5, 0x33800000
	v_mov_b32_e32 v2, v7
	v_pk_add_f32 v[26:27], v[2:3], v[24:25] neg_lo:[0,1] neg_hi:[0,1]
	v_mov_b32_e32 v6, v69
	v_mov_b32_e32 v11, v26
	v_pk_add_f32 v[80:81], v[68:69], v[10:11] neg_lo:[0,1] neg_hi:[0,1]
	v_mov_b32_e32 v68, v25
	v_mov_b32_e32 v69, v26
	;; [unrolled: 1-line block ×3, first 2 shown]
	v_pk_add_f32 v[6:7], v[6:7], v[68:69] neg_lo:[0,1] neg_hi:[0,1]
	v_mov_b32_e32 v26, v67
	v_mov_b32_e32 v27, v24
	v_pk_add_f32 v[6:7], v[26:27], v[6:7] neg_lo:[0,1] neg_hi:[0,1]
	v_mov_b32_e32 v80, v70
	v_pk_add_f32 v[24:25], v[80:81], v[6:7]
	v_cmp_lt_f32_e64 s[6:7], |v19|, s5
	v_mov_b32_e32 v20, v25
	v_pk_add_f32 v[26:27], v[24:25], v[20:21]
	s_or_b64 vcc, vcc, s[6:7]
	v_pk_add_f32 v[66:67], v[2:3], v[26:27]
	v_mov_b32_e32 v7, v26
	v_mov_b32_e32 v25, v66
	v_pk_add_f32 v[68:69], v[24:25], v[70:71] neg_lo:[0,1] neg_hi:[0,1]
	s_nop 0
	v_sub_f32_e32 v2, v24, v68
	v_pk_add_f32 v[6:7], v[6:7], v[68:69] neg_lo:[0,1] neg_hi:[0,1]
	v_sub_f32_e32 v2, v70, v2
	v_add_f32_e32 v2, v6, v2
	v_add_f32_e32 v2, v2, v7
	;; [unrolled: 1-line block ×3, first 2 shown]
	v_cndmask_b32_e32 v2, v2, v19, vcc
	v_add_f32_e32 v2, v3, v2
	v_cvt_f16_f32_e32 v70, v2
	v_cvt_f32_f16_e32 v2, v70
	v_mov_b32_e32 v49, v70
.LBB408_384:
	s_or_b64 exec, exec, s[2:3]
	v_max_f32_e32 v3, v21, v21
	v_max_f32_e32 v7, v2, v2
	v_min_f32_e32 v6, v7, v3
	v_cmp_u_f16_e32 vcc, v70, v70
	v_max_f32_e32 v3, v7, v3
	v_mov_b32_e32 v65, v49
	v_cndmask_b32_e32 v6, v6, v2, vcc
	v_cndmask_b32_e32 v3, v3, v2, vcc
	v_cndmask_b32_e64 v6, v6, v21, s[24:25]
	v_cndmask_b32_e64 v3, v3, v21, s[24:25]
	v_cmp_neq_f32_e32 vcc, v6, v3
	v_cmp_class_f32_e64 s[2:3], v6, s4
	s_or_b64 s[4:5], vcc, s[2:3]
	s_and_saveexec_b64 s[2:3], s[4:5]
	s_cbranch_execz .LBB408_386
; %bb.385:
	v_sub_f32_e32 v2, v6, v3
	s_mov_b32 s4, 0x3fb8aa3b
	v_mul_f32_e32 v6, 0x3fb8aa3b, v2
	v_fma_f32 v7, v2, s4, -v6
	v_rndne_f32_e32 v11, v6
	v_fmamk_f32 v7, v2, 0x32a5705f, v7
	v_sub_f32_e32 v6, v6, v11
	v_add_f32_e32 v6, v6, v7
	v_exp_f32_e32 v6, v6
	v_cvt_i32_f32_e32 v7, v11
	s_mov_b32 s4, 0xc2ce8ed0
	v_cmp_ngt_f32_e32 vcc, s4, v2
	s_mov_b32 s4, 0x42b17218
	v_ldexp_f32 v6, v6, v7
	v_cndmask_b32_e32 v6, 0, v6, vcc
	v_mov_b32_e32 v7, 0x7f800000
	v_cmp_nlt_f32_e32 vcc, s4, v2
	s_mov_b32 s4, 0x3f2aaaab
	s_mov_b32 s5, 0x7f800000
	v_cndmask_b32_e32 v19, v7, v6, vcc
	v_add_f32_e32 v2, 1.0, v19
	v_add_f32_e32 v6, -1.0, v2
	v_sub_f32_e32 v7, v6, v2
	v_add_f32_e32 v7, 1.0, v7
	v_sub_f32_e32 v6, v19, v6
	v_add_f32_e32 v11, v6, v7
	v_frexp_mant_f32_e32 v20, v2
	v_cvt_f64_f32_e32 v[6:7], v2
	v_frexp_exp_i32_f64_e32 v6, v[6:7]
	v_cmp_gt_f32_e32 vcc, s4, v20
	s_mov_b32 s4, 0x3f317218
	s_nop 0
	v_subbrev_co_u32_e32 v65, vcc, 0, v6, vcc
	v_sub_u32_e32 v6, 0, v65
	v_ldexp_f32 v2, v2, v6
	v_ldexp_f32 v6, v11, v6
	v_add_f32_e32 v11, -1.0, v2
	v_add_f32_e32 v7, 1.0, v11
	v_sub_f32_e32 v7, v2, v7
	v_add_f32_e32 v20, v6, v7
	v_add_f32_e32 v7, 1.0, v2
	v_add_f32_e32 v21, -1.0, v7
	v_sub_f32_e32 v2, v2, v21
	v_add_f32_e32 v2, v6, v2
	v_add_f32_e32 v66, v7, v2
	v_rcp_f32_e32 v67, v66
	v_sub_f32_e32 v6, v7, v66
	v_add_f32_e32 v7, v11, v20
	v_add_f32_e32 v2, v2, v6
	v_sub_f32_e32 v6, v11, v7
	v_mul_f32_e32 v68, v7, v67
	v_add_f32_e32 v11, v20, v6
	v_mul_f32_e32 v20, v66, v68
	v_fma_f32 v24, v68, v66, -v20
	v_fmac_f32_e32 v24, v68, v2
	v_add_f32_e32 v6, v20, v24
	v_sub_f32_e32 v21, v7, v6
	v_pk_add_f32 v[26:27], v[6:7], v[20:21] neg_lo:[0,1] neg_hi:[0,1]
	v_mov_b32_e32 v25, v6
	v_pk_add_f32 v[6:7], v[26:27], v[24:25] neg_lo:[0,1] neg_hi:[0,1]
	v_cmp_eq_f32_e32 vcc, s5, v19
	v_add_f32_e32 v7, v11, v7
	v_add_f32_e32 v6, v6, v7
	;; [unrolled: 1-line block ×3, first 2 shown]
	v_mul_f32_e32 v11, v67, v7
	v_mul_f32_e32 v20, v66, v11
	v_fma_f32 v24, v11, v66, -v20
	v_fmac_f32_e32 v24, v11, v2
	v_sub_f32_e32 v2, v21, v7
	v_add_f32_e32 v2, v6, v2
	v_add_f32_e32 v6, v20, v24
	v_sub_f32_e32 v21, v7, v6
	v_pk_add_f32 v[26:27], v[6:7], v[20:21] neg_lo:[0,1] neg_hi:[0,1]
	v_mov_b32_e32 v25, v6
	v_pk_add_f32 v[6:7], v[26:27], v[24:25] neg_lo:[0,1] neg_hi:[0,1]
	v_cvt_f32_i32_e32 v20, v65
	v_add_f32_e32 v2, v2, v7
	v_add_f32_e32 v2, v6, v2
	;; [unrolled: 1-line block ×4, first 2 shown]
	v_sub_f32_e32 v7, v6, v68
	v_mul_f32_e32 v2, v67, v2
	v_sub_f32_e32 v7, v11, v7
	v_add_f32_e32 v2, v7, v2
	v_add_f32_e32 v11, v6, v2
	v_mul_f32_e32 v21, v11, v11
	v_mov_b32_e32 v7, 0x3ecc95a3
	v_fmac_f32_e32 v7, 0x3e9b6dac, v21
	v_sub_f32_e32 v6, v11, v6
	v_fmaak_f32 v7, v21, v7, 0x3f2aaada
	v_sub_f32_e32 v2, v2, v6
	v_mul_f32_e32 v21, v11, v21
	v_mov_b32_e32 v6, 0x3f317218
	v_pk_mul_f32 v[6:7], v[20:21], v[6:7]
	v_ldexp_f32 v25, v11, 1
	v_fma_f32 v11, v20, s4, -v6
	v_fmamk_f32 v24, v20, 0xb102e308, v11
	v_pk_add_f32 v[20:21], v[6:7], v[24:25]
	v_ldexp_f32 v2, v2, 1
	v_sub_f32_e32 v11, v21, v25
	v_sub_f32_e32 v11, v7, v11
	v_add_f32_e32 v27, v2, v11
	v_mov_b32_e32 v26, v6
	v_pk_add_f32 v[6:7], v[20:21], v[6:7] neg_lo:[0,1] neg_hi:[0,1]
	v_pk_add_f32 v[66:67], v[20:21], v[26:27]
	v_mov_b32_e32 v25, v20
	v_mov_b32_e32 v7, v67
	v_pk_add_f32 v[68:69], v[24:25], v[6:7] neg_lo:[0,1] neg_hi:[0,1]
	v_pk_add_f32 v[6:7], v[24:25], v[6:7]
	s_mov_b32 s4, 0x33800000
	v_mov_b32_e32 v2, v7
	v_pk_add_f32 v[24:25], v[2:3], v[20:21] neg_lo:[0,1] neg_hi:[0,1]
	v_mov_b32_e32 v6, v67
	v_mov_b32_e32 v11, v24
	v_pk_add_f32 v[70:71], v[66:67], v[10:11] neg_lo:[0,1] neg_hi:[0,1]
	v_mov_b32_e32 v66, v21
	v_mov_b32_e32 v67, v24
	;; [unrolled: 1-line block ×3, first 2 shown]
	v_pk_add_f32 v[6:7], v[6:7], v[66:67] neg_lo:[0,1] neg_hi:[0,1]
	v_mov_b32_e32 v24, v27
	v_mov_b32_e32 v25, v20
	v_pk_add_f32 v[6:7], v[24:25], v[6:7] neg_lo:[0,1] neg_hi:[0,1]
	v_mov_b32_e32 v70, v68
	v_pk_add_f32 v[20:21], v[70:71], v[6:7]
	v_cmp_lt_f32_e64 s[4:5], |v19|, s4
	v_mov_b32_e32 v24, v21
	v_pk_add_f32 v[24:25], v[20:21], v[24:25]
	s_or_b64 vcc, vcc, s[4:5]
	v_pk_add_f32 v[26:27], v[2:3], v[24:25]
	v_mov_b32_e32 v7, v24
	v_mov_b32_e32 v21, v26
	v_pk_add_f32 v[66:67], v[20:21], v[68:69] neg_lo:[0,1] neg_hi:[0,1]
	s_nop 0
	v_sub_f32_e32 v2, v20, v66
	v_pk_add_f32 v[6:7], v[6:7], v[66:67] neg_lo:[0,1] neg_hi:[0,1]
	v_sub_f32_e32 v2, v68, v2
	v_add_f32_e32 v2, v6, v2
	v_add_f32_e32 v2, v2, v7
	;; [unrolled: 1-line block ×3, first 2 shown]
	v_cndmask_b32_e32 v2, v2, v19, vcc
	v_add_f32_e32 v2, v3, v2
	v_cvt_f16_f32_e32 v70, v2
	v_cvt_f32_f16_e32 v2, v70
	v_mov_b32_e32 v65, v70
.LBB408_386:
	s_or_b64 exec, exec, s[2:3]
	v_max_f32_e32 v3, v50, v50
	v_max_f32_e32 v7, v2, v2
	v_min_f32_e32 v6, v7, v3
	v_cmp_u_f16_e32 vcc, v70, v70
	v_max_f32_e32 v3, v7, v3
	s_movk_i32 s4, 0x1f8
	v_cndmask_b32_e32 v6, v6, v2, vcc
	v_cndmask_b32_e32 v3, v3, v2, vcc
	v_cndmask_b32_e64 v6, v6, v50, s[26:27]
	v_cndmask_b32_e64 v3, v3, v50, s[26:27]
	v_cmp_neq_f32_e32 vcc, v6, v3
	v_cmp_class_f32_e64 s[2:3], v6, s4
	s_or_b64 s[6:7], vcc, s[2:3]
	v_mov_b32_e32 v50, v65
	s_and_saveexec_b64 s[2:3], s[6:7]
	s_cbranch_execz .LBB408_388
; %bb.387:
	v_sub_f32_e32 v2, v6, v3
	s_mov_b32 s5, 0x3fb8aa3b
	v_mul_f32_e32 v6, 0x3fb8aa3b, v2
	v_fma_f32 v7, v2, s5, -v6
	v_rndne_f32_e32 v11, v6
	v_fmamk_f32 v7, v2, 0x32a5705f, v7
	v_sub_f32_e32 v6, v6, v11
	v_add_f32_e32 v6, v6, v7
	v_exp_f32_e32 v6, v6
	v_cvt_i32_f32_e32 v7, v11
	s_mov_b32 s5, 0xc2ce8ed0
	v_cmp_ngt_f32_e32 vcc, s5, v2
	s_mov_b32 s5, 0x42b17218
	v_ldexp_f32 v6, v6, v7
	v_cndmask_b32_e32 v6, 0, v6, vcc
	v_mov_b32_e32 v7, 0x7f800000
	v_cmp_nlt_f32_e32 vcc, s5, v2
	s_mov_b32 s5, 0x3f2aaaab
	s_mov_b32 s6, 0x7f800000
	v_cndmask_b32_e32 v19, v7, v6, vcc
	v_add_f32_e32 v2, 1.0, v19
	v_add_f32_e32 v6, -1.0, v2
	v_sub_f32_e32 v7, v6, v2
	v_add_f32_e32 v7, 1.0, v7
	v_sub_f32_e32 v6, v19, v6
	v_add_f32_e32 v11, v6, v7
	v_frexp_mant_f32_e32 v20, v2
	v_cvt_f64_f32_e32 v[6:7], v2
	v_frexp_exp_i32_f64_e32 v6, v[6:7]
	v_cmp_gt_f32_e32 vcc, s5, v20
	s_mov_b32 s5, 0x3f317218
	s_nop 0
	v_subbrev_co_u32_e32 v50, vcc, 0, v6, vcc
	v_sub_u32_e32 v6, 0, v50
	v_ldexp_f32 v2, v2, v6
	v_ldexp_f32 v6, v11, v6
	v_add_f32_e32 v11, -1.0, v2
	v_add_f32_e32 v7, 1.0, v11
	v_sub_f32_e32 v7, v2, v7
	v_add_f32_e32 v20, v6, v7
	v_add_f32_e32 v7, 1.0, v2
	v_add_f32_e32 v21, -1.0, v7
	v_sub_f32_e32 v2, v2, v21
	v_add_f32_e32 v2, v6, v2
	v_add_f32_e32 v66, v7, v2
	v_rcp_f32_e32 v67, v66
	v_sub_f32_e32 v6, v7, v66
	v_add_f32_e32 v7, v11, v20
	v_add_f32_e32 v2, v2, v6
	v_sub_f32_e32 v6, v11, v7
	v_mul_f32_e32 v68, v7, v67
	v_add_f32_e32 v11, v20, v6
	v_mul_f32_e32 v20, v66, v68
	v_fma_f32 v24, v68, v66, -v20
	v_fmac_f32_e32 v24, v68, v2
	v_add_f32_e32 v6, v20, v24
	v_sub_f32_e32 v21, v7, v6
	v_pk_add_f32 v[26:27], v[6:7], v[20:21] neg_lo:[0,1] neg_hi:[0,1]
	v_mov_b32_e32 v25, v6
	v_pk_add_f32 v[6:7], v[26:27], v[24:25] neg_lo:[0,1] neg_hi:[0,1]
	v_cmp_eq_f32_e32 vcc, s6, v19
	v_add_f32_e32 v7, v11, v7
	v_add_f32_e32 v6, v6, v7
	;; [unrolled: 1-line block ×3, first 2 shown]
	v_mul_f32_e32 v11, v67, v7
	v_mul_f32_e32 v20, v66, v11
	v_fma_f32 v24, v11, v66, -v20
	v_fmac_f32_e32 v24, v11, v2
	v_sub_f32_e32 v2, v21, v7
	v_add_f32_e32 v2, v6, v2
	v_add_f32_e32 v6, v20, v24
	v_sub_f32_e32 v21, v7, v6
	v_pk_add_f32 v[26:27], v[6:7], v[20:21] neg_lo:[0,1] neg_hi:[0,1]
	v_mov_b32_e32 v25, v6
	v_pk_add_f32 v[6:7], v[26:27], v[24:25] neg_lo:[0,1] neg_hi:[0,1]
	v_cvt_f32_i32_e32 v20, v50
	v_add_f32_e32 v2, v2, v7
	v_add_f32_e32 v2, v6, v2
	;; [unrolled: 1-line block ×4, first 2 shown]
	v_sub_f32_e32 v7, v6, v68
	v_mul_f32_e32 v2, v67, v2
	v_sub_f32_e32 v7, v11, v7
	v_add_f32_e32 v2, v7, v2
	v_add_f32_e32 v11, v6, v2
	v_mul_f32_e32 v21, v11, v11
	v_mov_b32_e32 v7, 0x3ecc95a3
	v_fmac_f32_e32 v7, 0x3e9b6dac, v21
	v_sub_f32_e32 v6, v11, v6
	v_fmaak_f32 v7, v21, v7, 0x3f2aaada
	v_sub_f32_e32 v2, v2, v6
	v_mul_f32_e32 v21, v11, v21
	v_mov_b32_e32 v6, 0x3f317218
	v_pk_mul_f32 v[6:7], v[20:21], v[6:7]
	v_ldexp_f32 v25, v11, 1
	v_fma_f32 v11, v20, s5, -v6
	v_fmamk_f32 v24, v20, 0xb102e308, v11
	v_pk_add_f32 v[20:21], v[6:7], v[24:25]
	v_ldexp_f32 v2, v2, 1
	v_sub_f32_e32 v11, v21, v25
	v_sub_f32_e32 v11, v7, v11
	v_add_f32_e32 v27, v2, v11
	v_mov_b32_e32 v26, v6
	v_pk_add_f32 v[6:7], v[20:21], v[6:7] neg_lo:[0,1] neg_hi:[0,1]
	v_pk_add_f32 v[66:67], v[20:21], v[26:27]
	v_mov_b32_e32 v25, v20
	v_mov_b32_e32 v7, v67
	v_pk_add_f32 v[68:69], v[24:25], v[6:7] neg_lo:[0,1] neg_hi:[0,1]
	v_pk_add_f32 v[6:7], v[24:25], v[6:7]
	s_mov_b32 s5, 0x33800000
	v_mov_b32_e32 v2, v7
	v_pk_add_f32 v[24:25], v[2:3], v[20:21] neg_lo:[0,1] neg_hi:[0,1]
	v_mov_b32_e32 v6, v67
	v_mov_b32_e32 v11, v24
	v_pk_add_f32 v[70:71], v[66:67], v[10:11] neg_lo:[0,1] neg_hi:[0,1]
	v_mov_b32_e32 v66, v21
	v_mov_b32_e32 v67, v24
	;; [unrolled: 1-line block ×3, first 2 shown]
	v_pk_add_f32 v[6:7], v[6:7], v[66:67] neg_lo:[0,1] neg_hi:[0,1]
	v_mov_b32_e32 v24, v27
	v_mov_b32_e32 v25, v20
	v_pk_add_f32 v[6:7], v[24:25], v[6:7] neg_lo:[0,1] neg_hi:[0,1]
	v_mov_b32_e32 v70, v68
	v_pk_add_f32 v[20:21], v[70:71], v[6:7]
	v_cmp_lt_f32_e64 s[6:7], |v19|, s5
	v_mov_b32_e32 v24, v21
	v_pk_add_f32 v[24:25], v[20:21], v[24:25]
	s_or_b64 vcc, vcc, s[6:7]
	v_pk_add_f32 v[26:27], v[2:3], v[24:25]
	v_mov_b32_e32 v7, v24
	v_mov_b32_e32 v21, v26
	v_pk_add_f32 v[66:67], v[20:21], v[68:69] neg_lo:[0,1] neg_hi:[0,1]
	s_nop 0
	v_sub_f32_e32 v2, v20, v66
	v_pk_add_f32 v[6:7], v[6:7], v[66:67] neg_lo:[0,1] neg_hi:[0,1]
	v_sub_f32_e32 v2, v68, v2
	v_add_f32_e32 v2, v6, v2
	v_add_f32_e32 v2, v2, v7
	;; [unrolled: 1-line block ×3, first 2 shown]
	v_cndmask_b32_e32 v2, v2, v19, vcc
	v_add_f32_e32 v2, v3, v2
	v_cvt_f16_f32_e32 v70, v2
	v_cvt_f32_f16_e32 v2, v70
	v_mov_b32_e32 v50, v70
.LBB408_388:
	s_or_b64 exec, exec, s[2:3]
	v_max_f32_e32 v3, v22, v22
	v_max_f32_e32 v7, v2, v2
	v_min_f32_e32 v6, v7, v3
	v_cmp_u_f16_e32 vcc, v70, v70
	v_max_f32_e32 v3, v7, v3
	v_mov_b32_e32 v66, v50
	v_cndmask_b32_e32 v6, v6, v2, vcc
	v_cndmask_b32_e32 v3, v3, v2, vcc
	v_cndmask_b32_e64 v6, v6, v22, s[28:29]
	v_cndmask_b32_e64 v3, v3, v22, s[28:29]
	v_cmp_neq_f32_e32 vcc, v6, v3
	v_cmp_class_f32_e64 s[2:3], v6, s4
	s_or_b64 s[4:5], vcc, s[2:3]
	s_and_saveexec_b64 s[2:3], s[4:5]
	s_cbranch_execz .LBB408_390
; %bb.389:
	v_sub_f32_e32 v2, v6, v3
	s_mov_b32 s4, 0x3fb8aa3b
	v_mul_f32_e32 v6, 0x3fb8aa3b, v2
	v_fma_f32 v7, v2, s4, -v6
	v_rndne_f32_e32 v11, v6
	v_fmamk_f32 v7, v2, 0x32a5705f, v7
	v_sub_f32_e32 v6, v6, v11
	v_add_f32_e32 v6, v6, v7
	v_exp_f32_e32 v6, v6
	v_cvt_i32_f32_e32 v7, v11
	s_mov_b32 s4, 0xc2ce8ed0
	v_cmp_ngt_f32_e32 vcc, s4, v2
	s_mov_b32 s4, 0x42b17218
	v_ldexp_f32 v6, v6, v7
	v_cndmask_b32_e32 v6, 0, v6, vcc
	v_mov_b32_e32 v7, 0x7f800000
	v_cmp_nlt_f32_e32 vcc, s4, v2
	s_mov_b32 s4, 0x3f2aaaab
	s_mov_b32 s5, 0x7f800000
	v_cndmask_b32_e32 v19, v7, v6, vcc
	v_add_f32_e32 v2, 1.0, v19
	v_add_f32_e32 v6, -1.0, v2
	v_sub_f32_e32 v7, v6, v2
	v_add_f32_e32 v7, 1.0, v7
	v_sub_f32_e32 v6, v19, v6
	v_add_f32_e32 v11, v6, v7
	v_frexp_mant_f32_e32 v20, v2
	v_cvt_f64_f32_e32 v[6:7], v2
	v_frexp_exp_i32_f64_e32 v6, v[6:7]
	v_cmp_gt_f32_e32 vcc, s4, v20
	s_mov_b32 s4, 0x3f317218
	s_nop 0
	v_subbrev_co_u32_e32 v22, vcc, 0, v6, vcc
	v_sub_u32_e32 v6, 0, v22
	v_ldexp_f32 v2, v2, v6
	v_ldexp_f32 v6, v11, v6
	v_add_f32_e32 v11, -1.0, v2
	v_add_f32_e32 v7, 1.0, v11
	v_sub_f32_e32 v7, v2, v7
	v_add_f32_e32 v20, v6, v7
	v_add_f32_e32 v7, 1.0, v2
	v_add_f32_e32 v21, -1.0, v7
	v_sub_f32_e32 v2, v2, v21
	v_add_f32_e32 v2, v6, v2
	v_add_f32_e32 v66, v7, v2
	v_rcp_f32_e32 v67, v66
	v_sub_f32_e32 v6, v7, v66
	v_add_f32_e32 v7, v11, v20
	v_add_f32_e32 v2, v2, v6
	v_sub_f32_e32 v6, v11, v7
	v_mul_f32_e32 v68, v7, v67
	v_add_f32_e32 v11, v20, v6
	v_mul_f32_e32 v20, v66, v68
	v_fma_f32 v24, v68, v66, -v20
	v_fmac_f32_e32 v24, v68, v2
	v_add_f32_e32 v6, v20, v24
	v_sub_f32_e32 v21, v7, v6
	v_pk_add_f32 v[26:27], v[6:7], v[20:21] neg_lo:[0,1] neg_hi:[0,1]
	v_mov_b32_e32 v25, v6
	v_pk_add_f32 v[6:7], v[26:27], v[24:25] neg_lo:[0,1] neg_hi:[0,1]
	v_cmp_eq_f32_e32 vcc, s5, v19
	v_add_f32_e32 v7, v11, v7
	v_add_f32_e32 v6, v6, v7
	;; [unrolled: 1-line block ×3, first 2 shown]
	v_mul_f32_e32 v11, v67, v7
	v_mul_f32_e32 v20, v66, v11
	v_fma_f32 v24, v11, v66, -v20
	v_fmac_f32_e32 v24, v11, v2
	v_sub_f32_e32 v2, v21, v7
	v_add_f32_e32 v2, v6, v2
	v_add_f32_e32 v6, v20, v24
	v_sub_f32_e32 v21, v7, v6
	v_pk_add_f32 v[26:27], v[6:7], v[20:21] neg_lo:[0,1] neg_hi:[0,1]
	v_mov_b32_e32 v25, v6
	v_pk_add_f32 v[6:7], v[26:27], v[24:25] neg_lo:[0,1] neg_hi:[0,1]
	v_cvt_f32_i32_e32 v20, v22
	v_add_f32_e32 v2, v2, v7
	v_add_f32_e32 v2, v6, v2
	;; [unrolled: 1-line block ×4, first 2 shown]
	v_sub_f32_e32 v7, v6, v68
	v_mul_f32_e32 v2, v67, v2
	v_sub_f32_e32 v7, v11, v7
	v_add_f32_e32 v2, v7, v2
	v_add_f32_e32 v11, v6, v2
	v_mul_f32_e32 v21, v11, v11
	v_mov_b32_e32 v7, 0x3ecc95a3
	v_fmac_f32_e32 v7, 0x3e9b6dac, v21
	v_sub_f32_e32 v6, v11, v6
	v_fmaak_f32 v7, v21, v7, 0x3f2aaada
	v_sub_f32_e32 v2, v2, v6
	v_mul_f32_e32 v21, v11, v21
	v_mov_b32_e32 v6, 0x3f317218
	v_pk_mul_f32 v[6:7], v[20:21], v[6:7]
	v_ldexp_f32 v25, v11, 1
	v_fma_f32 v11, v20, s4, -v6
	v_fmamk_f32 v24, v20, 0xb102e308, v11
	v_pk_add_f32 v[20:21], v[6:7], v[24:25]
	v_ldexp_f32 v2, v2, 1
	v_sub_f32_e32 v11, v21, v25
	v_sub_f32_e32 v11, v7, v11
	v_add_f32_e32 v27, v2, v11
	v_mov_b32_e32 v26, v6
	v_pk_add_f32 v[6:7], v[20:21], v[6:7] neg_lo:[0,1] neg_hi:[0,1]
	v_pk_add_f32 v[66:67], v[20:21], v[26:27]
	v_mov_b32_e32 v25, v20
	v_mov_b32_e32 v7, v67
	v_pk_add_f32 v[68:69], v[24:25], v[6:7] neg_lo:[0,1] neg_hi:[0,1]
	v_pk_add_f32 v[6:7], v[24:25], v[6:7]
	s_mov_b32 s4, 0x33800000
	v_mov_b32_e32 v2, v7
	v_pk_add_f32 v[24:25], v[2:3], v[20:21] neg_lo:[0,1] neg_hi:[0,1]
	v_mov_b32_e32 v6, v67
	v_mov_b32_e32 v11, v24
	v_pk_add_f32 v[70:71], v[66:67], v[10:11] neg_lo:[0,1] neg_hi:[0,1]
	v_mov_b32_e32 v66, v21
	v_mov_b32_e32 v67, v24
	;; [unrolled: 1-line block ×3, first 2 shown]
	v_pk_add_f32 v[6:7], v[6:7], v[66:67] neg_lo:[0,1] neg_hi:[0,1]
	v_mov_b32_e32 v24, v27
	v_mov_b32_e32 v25, v20
	v_pk_add_f32 v[6:7], v[24:25], v[6:7] neg_lo:[0,1] neg_hi:[0,1]
	v_mov_b32_e32 v70, v68
	v_pk_add_f32 v[20:21], v[70:71], v[6:7]
	v_cmp_lt_f32_e64 s[4:5], |v19|, s4
	v_mov_b32_e32 v22, v21
	v_pk_add_f32 v[24:25], v[20:21], v[22:23]
	s_or_b64 vcc, vcc, s[4:5]
	v_pk_add_f32 v[26:27], v[2:3], v[24:25]
	v_mov_b32_e32 v7, v24
	v_mov_b32_e32 v21, v26
	v_pk_add_f32 v[66:67], v[20:21], v[68:69] neg_lo:[0,1] neg_hi:[0,1]
	s_nop 0
	v_sub_f32_e32 v2, v20, v66
	v_pk_add_f32 v[6:7], v[6:7], v[66:67] neg_lo:[0,1] neg_hi:[0,1]
	v_sub_f32_e32 v2, v68, v2
	v_add_f32_e32 v2, v6, v2
	v_add_f32_e32 v2, v2, v7
	v_add_f32_e32 v2, v26, v2
	v_cndmask_b32_e32 v2, v2, v19, vcc
	v_add_f32_e32 v2, v3, v2
	v_cvt_f16_f32_e32 v70, v2
	v_cvt_f32_f16_e32 v2, v70
	v_mov_b32_e32 v66, v70
.LBB408_390:
	s_or_b64 exec, exec, s[2:3]
	v_max_f32_e32 v3, v51, v51
	v_max_f32_e32 v7, v2, v2
	v_min_f32_e32 v6, v7, v3
	v_cmp_u_f16_e32 vcc, v70, v70
	v_max_f32_e32 v3, v7, v3
	s_movk_i32 s4, 0x1f8
	v_cndmask_b32_e32 v6, v6, v2, vcc
	v_cndmask_b32_e32 v3, v3, v2, vcc
	v_cndmask_b32_e64 v6, v6, v51, s[30:31]
	v_cndmask_b32_e64 v3, v3, v51, s[30:31]
	v_cmp_neq_f32_e32 vcc, v6, v3
	v_cmp_class_f32_e64 s[2:3], v6, s4
	s_or_b64 s[6:7], vcc, s[2:3]
	v_mov_b32_e32 v51, v66
	s_and_saveexec_b64 s[2:3], s[6:7]
	s_cbranch_execz .LBB408_392
; %bb.391:
	v_sub_f32_e32 v2, v6, v3
	s_mov_b32 s5, 0x3fb8aa3b
	v_mul_f32_e32 v6, 0x3fb8aa3b, v2
	v_fma_f32 v7, v2, s5, -v6
	v_rndne_f32_e32 v11, v6
	v_fmamk_f32 v7, v2, 0x32a5705f, v7
	v_sub_f32_e32 v6, v6, v11
	v_add_f32_e32 v6, v6, v7
	v_exp_f32_e32 v6, v6
	v_cvt_i32_f32_e32 v7, v11
	s_mov_b32 s5, 0xc2ce8ed0
	v_cmp_ngt_f32_e32 vcc, s5, v2
	s_mov_b32 s5, 0x42b17218
	v_ldexp_f32 v6, v6, v7
	v_cndmask_b32_e32 v6, 0, v6, vcc
	v_mov_b32_e32 v7, 0x7f800000
	v_cmp_nlt_f32_e32 vcc, s5, v2
	s_mov_b32 s5, 0x3f2aaaab
	s_mov_b32 s6, 0x7f800000
	v_cndmask_b32_e32 v19, v7, v6, vcc
	v_add_f32_e32 v2, 1.0, v19
	v_add_f32_e32 v6, -1.0, v2
	v_sub_f32_e32 v7, v6, v2
	v_add_f32_e32 v7, 1.0, v7
	v_sub_f32_e32 v6, v19, v6
	v_add_f32_e32 v11, v6, v7
	v_frexp_mant_f32_e32 v20, v2
	v_cvt_f64_f32_e32 v[6:7], v2
	v_frexp_exp_i32_f64_e32 v6, v[6:7]
	v_cmp_gt_f32_e32 vcc, s5, v20
	s_mov_b32 s5, 0x3f317218
	s_nop 0
	v_subbrev_co_u32_e32 v22, vcc, 0, v6, vcc
	v_sub_u32_e32 v6, 0, v22
	v_ldexp_f32 v2, v2, v6
	v_ldexp_f32 v6, v11, v6
	v_add_f32_e32 v11, -1.0, v2
	v_add_f32_e32 v7, 1.0, v11
	v_sub_f32_e32 v7, v2, v7
	v_add_f32_e32 v20, v6, v7
	v_add_f32_e32 v7, 1.0, v2
	v_add_f32_e32 v21, -1.0, v7
	v_sub_f32_e32 v2, v2, v21
	v_add_f32_e32 v2, v6, v2
	v_add_f32_e32 v51, v7, v2
	v_rcp_f32_e32 v67, v51
	v_sub_f32_e32 v6, v7, v51
	v_add_f32_e32 v7, v11, v20
	v_add_f32_e32 v2, v2, v6
	v_sub_f32_e32 v6, v11, v7
	v_mul_f32_e32 v68, v7, v67
	v_add_f32_e32 v11, v20, v6
	v_mul_f32_e32 v20, v51, v68
	v_fma_f32 v24, v68, v51, -v20
	v_fmac_f32_e32 v24, v68, v2
	v_add_f32_e32 v6, v20, v24
	v_sub_f32_e32 v21, v7, v6
	v_pk_add_f32 v[26:27], v[6:7], v[20:21] neg_lo:[0,1] neg_hi:[0,1]
	v_mov_b32_e32 v25, v6
	v_pk_add_f32 v[6:7], v[26:27], v[24:25] neg_lo:[0,1] neg_hi:[0,1]
	v_cmp_eq_f32_e32 vcc, s6, v19
	v_add_f32_e32 v7, v11, v7
	v_add_f32_e32 v6, v6, v7
	;; [unrolled: 1-line block ×3, first 2 shown]
	v_mul_f32_e32 v11, v67, v7
	v_mul_f32_e32 v20, v51, v11
	v_fma_f32 v24, v11, v51, -v20
	v_fmac_f32_e32 v24, v11, v2
	v_sub_f32_e32 v2, v21, v7
	v_add_f32_e32 v2, v6, v2
	v_add_f32_e32 v6, v20, v24
	v_sub_f32_e32 v21, v7, v6
	v_pk_add_f32 v[26:27], v[6:7], v[20:21] neg_lo:[0,1] neg_hi:[0,1]
	v_mov_b32_e32 v25, v6
	v_pk_add_f32 v[6:7], v[26:27], v[24:25] neg_lo:[0,1] neg_hi:[0,1]
	v_cvt_f32_i32_e32 v20, v22
	v_add_f32_e32 v2, v2, v7
	v_add_f32_e32 v2, v6, v2
	;; [unrolled: 1-line block ×4, first 2 shown]
	v_sub_f32_e32 v7, v6, v68
	v_mul_f32_e32 v2, v67, v2
	v_sub_f32_e32 v7, v11, v7
	v_add_f32_e32 v2, v7, v2
	v_add_f32_e32 v11, v6, v2
	v_mul_f32_e32 v21, v11, v11
	v_mov_b32_e32 v7, 0x3ecc95a3
	v_fmac_f32_e32 v7, 0x3e9b6dac, v21
	v_sub_f32_e32 v6, v11, v6
	v_fmaak_f32 v7, v21, v7, 0x3f2aaada
	v_sub_f32_e32 v2, v2, v6
	v_mul_f32_e32 v21, v11, v21
	v_mov_b32_e32 v6, 0x3f317218
	v_pk_mul_f32 v[6:7], v[20:21], v[6:7]
	v_ldexp_f32 v25, v11, 1
	v_fma_f32 v11, v20, s5, -v6
	v_fmamk_f32 v24, v20, 0xb102e308, v11
	v_pk_add_f32 v[20:21], v[6:7], v[24:25]
	v_ldexp_f32 v2, v2, 1
	v_sub_f32_e32 v11, v21, v25
	v_sub_f32_e32 v11, v7, v11
	v_add_f32_e32 v27, v2, v11
	v_mov_b32_e32 v26, v6
	v_pk_add_f32 v[6:7], v[20:21], v[6:7] neg_lo:[0,1] neg_hi:[0,1]
	v_pk_add_f32 v[68:69], v[20:21], v[26:27]
	v_mov_b32_e32 v25, v20
	v_mov_b32_e32 v7, v69
	v_pk_add_f32 v[70:71], v[24:25], v[6:7] neg_lo:[0,1] neg_hi:[0,1]
	v_pk_add_f32 v[6:7], v[24:25], v[6:7]
	s_mov_b32 s5, 0x33800000
	v_mov_b32_e32 v2, v7
	v_pk_add_f32 v[24:25], v[2:3], v[20:21] neg_lo:[0,1] neg_hi:[0,1]
	v_mov_b32_e32 v6, v69
	v_mov_b32_e32 v11, v24
	v_pk_add_f32 v[80:81], v[68:69], v[10:11] neg_lo:[0,1] neg_hi:[0,1]
	v_mov_b32_e32 v68, v21
	v_mov_b32_e32 v69, v24
	;; [unrolled: 1-line block ×3, first 2 shown]
	v_pk_add_f32 v[6:7], v[6:7], v[68:69] neg_lo:[0,1] neg_hi:[0,1]
	v_mov_b32_e32 v24, v27
	v_mov_b32_e32 v25, v20
	v_pk_add_f32 v[6:7], v[24:25], v[6:7] neg_lo:[0,1] neg_hi:[0,1]
	v_mov_b32_e32 v80, v70
	v_pk_add_f32 v[20:21], v[80:81], v[6:7]
	v_cmp_lt_f32_e64 s[6:7], |v19|, s5
	v_mov_b32_e32 v22, v21
	v_pk_add_f32 v[24:25], v[20:21], v[22:23]
	s_or_b64 vcc, vcc, s[6:7]
	v_pk_add_f32 v[26:27], v[2:3], v[24:25]
	v_mov_b32_e32 v7, v24
	v_mov_b32_e32 v21, v26
	v_pk_add_f32 v[68:69], v[20:21], v[70:71] neg_lo:[0,1] neg_hi:[0,1]
	s_nop 0
	v_sub_f32_e32 v2, v20, v68
	v_pk_add_f32 v[6:7], v[6:7], v[68:69] neg_lo:[0,1] neg_hi:[0,1]
	v_sub_f32_e32 v2, v70, v2
	v_add_f32_e32 v2, v6, v2
	v_add_f32_e32 v2, v2, v7
	;; [unrolled: 1-line block ×3, first 2 shown]
	v_cndmask_b32_e32 v2, v2, v19, vcc
	v_add_f32_e32 v2, v3, v2
	v_cvt_f16_f32_e32 v70, v2
	v_cvt_f32_f16_e32 v2, v70
	v_mov_b32_e32 v51, v70
.LBB408_392:
	s_or_b64 exec, exec, s[2:3]
	v_max_f32_e32 v3, v23, v23
	v_max_f32_e32 v7, v2, v2
	v_min_f32_e32 v6, v7, v3
	v_cmp_u_f16_e32 vcc, v70, v70
	v_max_f32_e32 v3, v7, v3
	v_mov_b32_e32 v67, v51
	v_cndmask_b32_e32 v6, v6, v2, vcc
	v_cndmask_b32_e32 v3, v3, v2, vcc
	v_cndmask_b32_e64 v6, v6, v23, s[34:35]
	v_cndmask_b32_e64 v3, v3, v23, s[34:35]
	v_cmp_neq_f32_e32 vcc, v6, v3
	v_cmp_class_f32_e64 s[2:3], v6, s4
	s_or_b64 s[4:5], vcc, s[2:3]
	s_and_saveexec_b64 s[2:3], s[4:5]
	s_cbranch_execz .LBB408_394
; %bb.393:
	v_sub_f32_e32 v2, v6, v3
	s_mov_b32 s4, 0x3fb8aa3b
	v_mul_f32_e32 v6, 0x3fb8aa3b, v2
	v_fma_f32 v7, v2, s4, -v6
	v_rndne_f32_e32 v11, v6
	v_fmamk_f32 v7, v2, 0x32a5705f, v7
	v_sub_f32_e32 v6, v6, v11
	v_add_f32_e32 v6, v6, v7
	v_exp_f32_e32 v6, v6
	v_cvt_i32_f32_e32 v7, v11
	s_mov_b32 s4, 0xc2ce8ed0
	v_cmp_ngt_f32_e32 vcc, s4, v2
	s_mov_b32 s4, 0x42b17218
	v_ldexp_f32 v6, v6, v7
	v_cndmask_b32_e32 v6, 0, v6, vcc
	v_mov_b32_e32 v7, 0x7f800000
	v_cmp_nlt_f32_e32 vcc, s4, v2
	s_mov_b32 s4, 0x3f2aaaab
	s_mov_b32 s5, 0x7f800000
	v_cndmask_b32_e32 v19, v7, v6, vcc
	v_add_f32_e32 v2, 1.0, v19
	v_add_f32_e32 v6, -1.0, v2
	v_sub_f32_e32 v7, v6, v2
	v_add_f32_e32 v7, 1.0, v7
	v_sub_f32_e32 v6, v19, v6
	v_add_f32_e32 v11, v6, v7
	v_frexp_mant_f32_e32 v20, v2
	v_cvt_f64_f32_e32 v[6:7], v2
	v_frexp_exp_i32_f64_e32 v6, v[6:7]
	v_cmp_gt_f32_e32 vcc, s4, v20
	s_mov_b32 s4, 0x3f317218
	s_nop 0
	v_subbrev_co_u32_e32 v26, vcc, 0, v6, vcc
	v_sub_u32_e32 v6, 0, v26
	v_ldexp_f32 v2, v2, v6
	v_ldexp_f32 v6, v11, v6
	v_add_f32_e32 v11, -1.0, v2
	v_add_f32_e32 v7, 1.0, v11
	v_sub_f32_e32 v7, v2, v7
	v_add_f32_e32 v20, v6, v7
	v_add_f32_e32 v7, 1.0, v2
	v_add_f32_e32 v21, -1.0, v7
	v_sub_f32_e32 v2, v2, v21
	v_add_f32_e32 v2, v6, v2
	v_add_f32_e32 v27, v7, v2
	v_rcp_f32_e32 v67, v27
	v_sub_f32_e32 v6, v7, v27
	v_add_f32_e32 v7, v11, v20
	v_add_f32_e32 v2, v2, v6
	v_sub_f32_e32 v6, v11, v7
	v_mul_f32_e32 v68, v7, v67
	v_add_f32_e32 v11, v20, v6
	v_mul_f32_e32 v20, v27, v68
	v_fma_f32 v22, v68, v27, -v20
	v_fmac_f32_e32 v22, v68, v2
	v_add_f32_e32 v6, v20, v22
	v_sub_f32_e32 v21, v7, v6
	v_pk_add_f32 v[24:25], v[6:7], v[20:21] neg_lo:[0,1] neg_hi:[0,1]
	v_mov_b32_e32 v23, v6
	v_pk_add_f32 v[6:7], v[24:25], v[22:23] neg_lo:[0,1] neg_hi:[0,1]
	v_cmp_eq_f32_e32 vcc, s5, v19
	v_add_f32_e32 v7, v11, v7
	v_add_f32_e32 v6, v6, v7
	v_add_f32_e32 v7, v21, v6
	v_mul_f32_e32 v11, v67, v7
	v_mul_f32_e32 v20, v27, v11
	v_fma_f32 v22, v11, v27, -v20
	v_fmac_f32_e32 v22, v11, v2
	v_sub_f32_e32 v2, v21, v7
	v_add_f32_e32 v2, v6, v2
	v_add_f32_e32 v6, v20, v22
	v_sub_f32_e32 v21, v7, v6
	v_pk_add_f32 v[24:25], v[6:7], v[20:21] neg_lo:[0,1] neg_hi:[0,1]
	v_mov_b32_e32 v23, v6
	v_pk_add_f32 v[6:7], v[24:25], v[22:23] neg_lo:[0,1] neg_hi:[0,1]
	v_cvt_f32_i32_e32 v20, v26
	v_add_f32_e32 v2, v2, v7
	v_add_f32_e32 v2, v6, v2
	;; [unrolled: 1-line block ×4, first 2 shown]
	v_sub_f32_e32 v7, v6, v68
	v_mul_f32_e32 v2, v67, v2
	v_sub_f32_e32 v7, v11, v7
	v_add_f32_e32 v2, v7, v2
	v_add_f32_e32 v11, v6, v2
	v_mul_f32_e32 v21, v11, v11
	v_mov_b32_e32 v7, 0x3ecc95a3
	v_fmac_f32_e32 v7, 0x3e9b6dac, v21
	v_sub_f32_e32 v6, v11, v6
	v_fmaak_f32 v7, v21, v7, 0x3f2aaada
	v_sub_f32_e32 v2, v2, v6
	v_mul_f32_e32 v21, v11, v21
	v_mov_b32_e32 v6, 0x3f317218
	v_pk_mul_f32 v[6:7], v[20:21], v[6:7]
	v_ldexp_f32 v23, v11, 1
	v_fma_f32 v11, v20, s4, -v6
	v_fmamk_f32 v22, v20, 0xb102e308, v11
	v_pk_add_f32 v[20:21], v[6:7], v[22:23]
	v_ldexp_f32 v2, v2, 1
	v_sub_f32_e32 v11, v21, v23
	v_sub_f32_e32 v11, v7, v11
	v_add_f32_e32 v25, v2, v11
	v_mov_b32_e32 v24, v6
	v_pk_add_f32 v[6:7], v[20:21], v[6:7] neg_lo:[0,1] neg_hi:[0,1]
	v_pk_add_f32 v[26:27], v[20:21], v[24:25]
	v_mov_b32_e32 v23, v20
	v_mov_b32_e32 v7, v27
	v_pk_add_f32 v[68:69], v[22:23], v[6:7] neg_lo:[0,1] neg_hi:[0,1]
	v_pk_add_f32 v[6:7], v[22:23], v[6:7]
	s_mov_b32 s4, 0x33800000
	v_mov_b32_e32 v2, v7
	v_pk_add_f32 v[22:23], v[2:3], v[20:21] neg_lo:[0,1] neg_hi:[0,1]
	v_mov_b32_e32 v6, v27
	v_mov_b32_e32 v11, v22
	v_pk_add_f32 v[70:71], v[26:27], v[10:11] neg_lo:[0,1] neg_hi:[0,1]
	v_mov_b32_e32 v26, v21
	v_mov_b32_e32 v27, v22
	;; [unrolled: 1-line block ×3, first 2 shown]
	v_pk_add_f32 v[6:7], v[6:7], v[26:27] neg_lo:[0,1] neg_hi:[0,1]
	v_mov_b32_e32 v22, v25
	v_mov_b32_e32 v23, v20
	v_pk_add_f32 v[6:7], v[22:23], v[6:7] neg_lo:[0,1] neg_hi:[0,1]
	v_mov_b32_e32 v70, v68
	v_pk_add_f32 v[20:21], v[70:71], v[6:7]
	v_cmp_lt_f32_e64 s[4:5], |v19|, s4
	v_mov_b32_e32 v22, v21
	v_pk_add_f32 v[22:23], v[20:21], v[22:23]
	s_or_b64 vcc, vcc, s[4:5]
	v_pk_add_f32 v[24:25], v[2:3], v[22:23]
	v_mov_b32_e32 v7, v22
	v_mov_b32_e32 v21, v24
	v_pk_add_f32 v[26:27], v[20:21], v[68:69] neg_lo:[0,1] neg_hi:[0,1]
	s_nop 0
	v_sub_f32_e32 v2, v20, v26
	v_pk_add_f32 v[6:7], v[6:7], v[26:27] neg_lo:[0,1] neg_hi:[0,1]
	v_sub_f32_e32 v2, v68, v2
	v_add_f32_e32 v2, v6, v2
	v_add_f32_e32 v2, v2, v7
	;; [unrolled: 1-line block ×3, first 2 shown]
	v_cndmask_b32_e32 v2, v2, v19, vcc
	v_add_f32_e32 v2, v3, v2
	v_cvt_f16_f32_e32 v70, v2
	v_cvt_f32_f16_e32 v2, v70
	v_mov_b32_e32 v67, v70
.LBB408_394:
	s_or_b64 exec, exec, s[2:3]
	v_max_f32_e32 v3, v52, v52
	v_max_f32_e32 v7, v2, v2
	v_min_f32_e32 v6, v7, v3
	v_cmp_u_f16_e32 vcc, v70, v70
	v_max_f32_e32 v3, v7, v3
	s_movk_i32 s4, 0x1f8
	v_cndmask_b32_e32 v6, v6, v2, vcc
	v_cndmask_b32_e32 v3, v3, v2, vcc
	v_cndmask_b32_e64 v6, v6, v52, s[36:37]
	v_cndmask_b32_e64 v3, v3, v52, s[36:37]
	v_cmp_neq_f32_e32 vcc, v6, v3
	v_cmp_class_f32_e64 s[2:3], v6, s4
	s_or_b64 s[6:7], vcc, s[2:3]
	v_mov_b32_e32 v52, v67
	s_and_saveexec_b64 s[2:3], s[6:7]
	s_cbranch_execz .LBB408_396
; %bb.395:
	v_sub_f32_e32 v2, v6, v3
	s_mov_b32 s5, 0x3fb8aa3b
	v_mul_f32_e32 v6, 0x3fb8aa3b, v2
	v_fma_f32 v7, v2, s5, -v6
	v_rndne_f32_e32 v11, v6
	v_fmamk_f32 v7, v2, 0x32a5705f, v7
	v_sub_f32_e32 v6, v6, v11
	v_add_f32_e32 v6, v6, v7
	v_exp_f32_e32 v6, v6
	v_cvt_i32_f32_e32 v7, v11
	s_mov_b32 s5, 0xc2ce8ed0
	v_cmp_ngt_f32_e32 vcc, s5, v2
	s_mov_b32 s5, 0x42b17218
	v_ldexp_f32 v6, v6, v7
	v_cndmask_b32_e32 v6, 0, v6, vcc
	v_mov_b32_e32 v7, 0x7f800000
	v_cmp_nlt_f32_e32 vcc, s5, v2
	s_mov_b32 s5, 0x3f2aaaab
	s_mov_b32 s6, 0x7f800000
	v_cndmask_b32_e32 v19, v7, v6, vcc
	v_add_f32_e32 v2, 1.0, v19
	v_add_f32_e32 v6, -1.0, v2
	v_sub_f32_e32 v7, v6, v2
	v_add_f32_e32 v7, 1.0, v7
	v_sub_f32_e32 v6, v19, v6
	v_add_f32_e32 v11, v6, v7
	v_frexp_mant_f32_e32 v20, v2
	v_cvt_f64_f32_e32 v[6:7], v2
	v_frexp_exp_i32_f64_e32 v6, v[6:7]
	v_cmp_gt_f32_e32 vcc, s5, v20
	s_mov_b32 s5, 0x3f317218
	s_nop 0
	v_subbrev_co_u32_e32 v26, vcc, 0, v6, vcc
	v_sub_u32_e32 v6, 0, v26
	v_ldexp_f32 v2, v2, v6
	v_ldexp_f32 v6, v11, v6
	v_add_f32_e32 v11, -1.0, v2
	v_add_f32_e32 v7, 1.0, v11
	v_sub_f32_e32 v7, v2, v7
	v_add_f32_e32 v20, v6, v7
	v_add_f32_e32 v7, 1.0, v2
	v_add_f32_e32 v21, -1.0, v7
	v_sub_f32_e32 v2, v2, v21
	v_add_f32_e32 v2, v6, v2
	v_add_f32_e32 v27, v7, v2
	v_rcp_f32_e32 v52, v27
	v_sub_f32_e32 v6, v7, v27
	v_add_f32_e32 v7, v11, v20
	v_add_f32_e32 v2, v2, v6
	v_sub_f32_e32 v6, v11, v7
	v_mul_f32_e32 v68, v7, v52
	v_add_f32_e32 v11, v20, v6
	v_mul_f32_e32 v20, v27, v68
	v_fma_f32 v22, v68, v27, -v20
	v_fmac_f32_e32 v22, v68, v2
	v_add_f32_e32 v6, v20, v22
	v_sub_f32_e32 v21, v7, v6
	v_pk_add_f32 v[24:25], v[6:7], v[20:21] neg_lo:[0,1] neg_hi:[0,1]
	v_mov_b32_e32 v23, v6
	v_pk_add_f32 v[6:7], v[24:25], v[22:23] neg_lo:[0,1] neg_hi:[0,1]
	v_cmp_eq_f32_e32 vcc, s6, v19
	v_add_f32_e32 v7, v11, v7
	v_add_f32_e32 v6, v6, v7
	;; [unrolled: 1-line block ×3, first 2 shown]
	v_mul_f32_e32 v11, v52, v7
	v_mul_f32_e32 v20, v27, v11
	v_fma_f32 v22, v11, v27, -v20
	v_fmac_f32_e32 v22, v11, v2
	v_sub_f32_e32 v2, v21, v7
	v_add_f32_e32 v2, v6, v2
	v_add_f32_e32 v6, v20, v22
	v_sub_f32_e32 v21, v7, v6
	v_pk_add_f32 v[24:25], v[6:7], v[20:21] neg_lo:[0,1] neg_hi:[0,1]
	v_mov_b32_e32 v23, v6
	v_pk_add_f32 v[6:7], v[24:25], v[22:23] neg_lo:[0,1] neg_hi:[0,1]
	v_cvt_f32_i32_e32 v20, v26
	v_add_f32_e32 v2, v2, v7
	v_add_f32_e32 v2, v6, v2
	;; [unrolled: 1-line block ×4, first 2 shown]
	v_sub_f32_e32 v7, v6, v68
	v_mul_f32_e32 v2, v52, v2
	v_sub_f32_e32 v7, v11, v7
	v_add_f32_e32 v2, v7, v2
	v_add_f32_e32 v11, v6, v2
	v_mul_f32_e32 v21, v11, v11
	v_mov_b32_e32 v7, 0x3ecc95a3
	v_fmac_f32_e32 v7, 0x3e9b6dac, v21
	v_sub_f32_e32 v6, v11, v6
	v_fmaak_f32 v7, v21, v7, 0x3f2aaada
	v_sub_f32_e32 v2, v2, v6
	v_mul_f32_e32 v21, v11, v21
	v_mov_b32_e32 v6, 0x3f317218
	v_pk_mul_f32 v[6:7], v[20:21], v[6:7]
	v_ldexp_f32 v23, v11, 1
	v_fma_f32 v11, v20, s5, -v6
	v_fmamk_f32 v22, v20, 0xb102e308, v11
	v_pk_add_f32 v[20:21], v[6:7], v[22:23]
	v_ldexp_f32 v2, v2, 1
	v_sub_f32_e32 v11, v21, v23
	v_sub_f32_e32 v11, v7, v11
	v_add_f32_e32 v25, v2, v11
	v_mov_b32_e32 v24, v6
	v_pk_add_f32 v[6:7], v[20:21], v[6:7] neg_lo:[0,1] neg_hi:[0,1]
	v_pk_add_f32 v[26:27], v[20:21], v[24:25]
	v_mov_b32_e32 v23, v20
	v_mov_b32_e32 v7, v27
	v_pk_add_f32 v[68:69], v[22:23], v[6:7] neg_lo:[0,1] neg_hi:[0,1]
	v_pk_add_f32 v[6:7], v[22:23], v[6:7]
	s_mov_b32 s5, 0x33800000
	v_mov_b32_e32 v2, v7
	v_pk_add_f32 v[22:23], v[2:3], v[20:21] neg_lo:[0,1] neg_hi:[0,1]
	v_mov_b32_e32 v6, v27
	v_mov_b32_e32 v11, v22
	v_pk_add_f32 v[70:71], v[26:27], v[10:11] neg_lo:[0,1] neg_hi:[0,1]
	v_mov_b32_e32 v26, v21
	v_mov_b32_e32 v27, v22
	;; [unrolled: 1-line block ×3, first 2 shown]
	v_pk_add_f32 v[6:7], v[6:7], v[26:27] neg_lo:[0,1] neg_hi:[0,1]
	v_mov_b32_e32 v22, v25
	v_mov_b32_e32 v23, v20
	v_pk_add_f32 v[6:7], v[22:23], v[6:7] neg_lo:[0,1] neg_hi:[0,1]
	v_mov_b32_e32 v70, v68
	v_pk_add_f32 v[20:21], v[70:71], v[6:7]
	v_cmp_lt_f32_e64 s[6:7], |v19|, s5
	v_mov_b32_e32 v22, v21
	v_pk_add_f32 v[22:23], v[20:21], v[22:23]
	s_or_b64 vcc, vcc, s[6:7]
	v_pk_add_f32 v[24:25], v[2:3], v[22:23]
	v_mov_b32_e32 v7, v22
	v_mov_b32_e32 v21, v24
	v_pk_add_f32 v[26:27], v[20:21], v[68:69] neg_lo:[0,1] neg_hi:[0,1]
	s_nop 0
	v_sub_f32_e32 v2, v20, v26
	v_pk_add_f32 v[6:7], v[6:7], v[26:27] neg_lo:[0,1] neg_hi:[0,1]
	v_sub_f32_e32 v2, v68, v2
	v_add_f32_e32 v2, v6, v2
	v_add_f32_e32 v2, v2, v7
	;; [unrolled: 1-line block ×3, first 2 shown]
	v_cndmask_b32_e32 v2, v2, v19, vcc
	v_add_f32_e32 v2, v3, v2
	v_cvt_f16_f32_e32 v70, v2
	v_cvt_f32_f16_e32 v2, v70
	v_mov_b32_e32 v52, v70
.LBB408_396:
	s_or_b64 exec, exec, s[2:3]
	v_max_f32_e32 v3, v16, v16
	v_max_f32_e32 v7, v2, v2
	v_min_f32_e32 v6, v7, v3
	v_cmp_u_f16_e32 vcc, v70, v70
	v_max_f32_e32 v3, v7, v3
	v_mov_b32_e32 v68, v52
	v_cndmask_b32_e32 v6, v6, v2, vcc
	v_cndmask_b32_e32 v3, v3, v2, vcc
	v_cndmask_b32_e64 v6, v6, v16, s[38:39]
	v_cndmask_b32_e64 v3, v3, v16, s[38:39]
	v_cmp_neq_f32_e32 vcc, v6, v3
	v_cmp_class_f32_e64 s[2:3], v6, s4
	s_or_b64 s[4:5], vcc, s[2:3]
	s_and_saveexec_b64 s[2:3], s[4:5]
	s_cbranch_execz .LBB408_398
; %bb.397:
	v_sub_f32_e32 v2, v6, v3
	s_mov_b32 s4, 0x3fb8aa3b
	v_mul_f32_e32 v6, 0x3fb8aa3b, v2
	v_fma_f32 v7, v2, s4, -v6
	v_rndne_f32_e32 v11, v6
	v_fmamk_f32 v7, v2, 0x32a5705f, v7
	v_sub_f32_e32 v6, v6, v11
	v_add_f32_e32 v6, v6, v7
	v_exp_f32_e32 v6, v6
	v_cvt_i32_f32_e32 v7, v11
	s_mov_b32 s4, 0xc2ce8ed0
	v_cmp_ngt_f32_e32 vcc, s4, v2
	s_mov_b32 s4, 0x42b17218
	v_ldexp_f32 v6, v6, v7
	v_cndmask_b32_e32 v6, 0, v6, vcc
	v_mov_b32_e32 v7, 0x7f800000
	v_cmp_nlt_f32_e32 vcc, s4, v2
	s_mov_b32 s4, 0x3f2aaaab
	s_mov_b32 s5, 0x7f800000
	v_cndmask_b32_e32 v19, v7, v6, vcc
	v_add_f32_e32 v2, 1.0, v19
	v_add_f32_e32 v6, -1.0, v2
	v_sub_f32_e32 v7, v6, v2
	v_add_f32_e32 v7, 1.0, v7
	v_sub_f32_e32 v6, v19, v6
	v_add_f32_e32 v11, v6, v7
	v_frexp_mant_f32_e32 v16, v2
	v_cvt_f64_f32_e32 v[6:7], v2
	v_frexp_exp_i32_f64_e32 v6, v[6:7]
	v_cmp_gt_f32_e32 vcc, s4, v16
	s_mov_b32 s4, 0x3f317218
	s_nop 0
	v_subbrev_co_u32_e32 v16, vcc, 0, v6, vcc
	v_sub_u32_e32 v6, 0, v16
	v_ldexp_f32 v2, v2, v6
	v_ldexp_f32 v6, v11, v6
	v_add_f32_e32 v11, -1.0, v2
	v_add_f32_e32 v7, 1.0, v11
	v_sub_f32_e32 v7, v2, v7
	v_add_f32_e32 v20, v6, v7
	v_add_f32_e32 v7, 1.0, v2
	v_add_f32_e32 v21, -1.0, v7
	v_sub_f32_e32 v2, v2, v21
	v_add_f32_e32 v2, v6, v2
	v_add_f32_e32 v26, v7, v2
	v_rcp_f32_e32 v27, v26
	v_sub_f32_e32 v6, v7, v26
	v_add_f32_e32 v7, v11, v20
	v_add_f32_e32 v2, v2, v6
	v_sub_f32_e32 v6, v11, v7
	v_mul_f32_e32 v68, v7, v27
	v_add_f32_e32 v11, v20, v6
	v_mul_f32_e32 v20, v26, v68
	v_fma_f32 v22, v68, v26, -v20
	v_fmac_f32_e32 v22, v68, v2
	v_add_f32_e32 v6, v20, v22
	v_sub_f32_e32 v21, v7, v6
	v_pk_add_f32 v[24:25], v[6:7], v[20:21] neg_lo:[0,1] neg_hi:[0,1]
	v_mov_b32_e32 v23, v6
	v_pk_add_f32 v[6:7], v[24:25], v[22:23] neg_lo:[0,1] neg_hi:[0,1]
	v_cmp_eq_f32_e32 vcc, s5, v19
	v_add_f32_e32 v7, v11, v7
	v_add_f32_e32 v6, v6, v7
	;; [unrolled: 1-line block ×3, first 2 shown]
	v_mul_f32_e32 v11, v27, v7
	v_mul_f32_e32 v20, v26, v11
	v_fma_f32 v22, v11, v26, -v20
	v_fmac_f32_e32 v22, v11, v2
	v_sub_f32_e32 v2, v21, v7
	v_add_f32_e32 v2, v6, v2
	v_add_f32_e32 v6, v20, v22
	v_sub_f32_e32 v21, v7, v6
	v_pk_add_f32 v[24:25], v[6:7], v[20:21] neg_lo:[0,1] neg_hi:[0,1]
	v_mov_b32_e32 v23, v6
	v_pk_add_f32 v[6:7], v[24:25], v[22:23] neg_lo:[0,1] neg_hi:[0,1]
	v_cvt_f32_i32_e32 v20, v16
	v_add_f32_e32 v2, v2, v7
	v_add_f32_e32 v2, v6, v2
	;; [unrolled: 1-line block ×4, first 2 shown]
	v_sub_f32_e32 v7, v6, v68
	v_mul_f32_e32 v2, v27, v2
	v_sub_f32_e32 v7, v11, v7
	v_add_f32_e32 v2, v7, v2
	v_add_f32_e32 v11, v6, v2
	v_mul_f32_e32 v21, v11, v11
	v_mov_b32_e32 v7, 0x3ecc95a3
	v_fmac_f32_e32 v7, 0x3e9b6dac, v21
	v_sub_f32_e32 v6, v11, v6
	v_fmaak_f32 v7, v21, v7, 0x3f2aaada
	v_sub_f32_e32 v2, v2, v6
	v_mul_f32_e32 v21, v11, v21
	v_mov_b32_e32 v6, 0x3f317218
	v_pk_mul_f32 v[6:7], v[20:21], v[6:7]
	v_ldexp_f32 v23, v11, 1
	v_fma_f32 v11, v20, s4, -v6
	v_fmamk_f32 v22, v20, 0xb102e308, v11
	v_pk_add_f32 v[20:21], v[6:7], v[22:23]
	v_ldexp_f32 v2, v2, 1
	v_sub_f32_e32 v11, v21, v23
	v_sub_f32_e32 v11, v7, v11
	v_add_f32_e32 v25, v2, v11
	v_mov_b32_e32 v24, v6
	v_pk_add_f32 v[6:7], v[20:21], v[6:7] neg_lo:[0,1] neg_hi:[0,1]
	v_pk_add_f32 v[26:27], v[20:21], v[24:25]
	v_mov_b32_e32 v23, v20
	v_mov_b32_e32 v7, v27
	v_pk_add_f32 v[68:69], v[22:23], v[6:7] neg_lo:[0,1] neg_hi:[0,1]
	v_pk_add_f32 v[6:7], v[22:23], v[6:7]
	s_mov_b32 s4, 0x33800000
	v_mov_b32_e32 v2, v7
	v_pk_add_f32 v[22:23], v[2:3], v[20:21] neg_lo:[0,1] neg_hi:[0,1]
	v_mov_b32_e32 v6, v27
	v_mov_b32_e32 v11, v22
	v_pk_add_f32 v[70:71], v[26:27], v[10:11] neg_lo:[0,1] neg_hi:[0,1]
	v_mov_b32_e32 v26, v21
	v_mov_b32_e32 v27, v22
	;; [unrolled: 1-line block ×3, first 2 shown]
	v_pk_add_f32 v[6:7], v[6:7], v[26:27] neg_lo:[0,1] neg_hi:[0,1]
	v_mov_b32_e32 v22, v25
	v_mov_b32_e32 v23, v20
	v_pk_add_f32 v[6:7], v[22:23], v[6:7] neg_lo:[0,1] neg_hi:[0,1]
	v_mov_b32_e32 v70, v68
	v_pk_add_f32 v[20:21], v[70:71], v[6:7]
	v_cmp_lt_f32_e64 s[4:5], |v19|, s4
	v_mov_b32_e32 v16, v21
	v_pk_add_f32 v[22:23], v[20:21], v[16:17]
	s_or_b64 vcc, vcc, s[4:5]
	v_pk_add_f32 v[24:25], v[2:3], v[22:23]
	v_mov_b32_e32 v7, v22
	v_mov_b32_e32 v21, v24
	v_pk_add_f32 v[26:27], v[20:21], v[68:69] neg_lo:[0,1] neg_hi:[0,1]
	s_nop 0
	v_sub_f32_e32 v2, v20, v26
	v_pk_add_f32 v[6:7], v[6:7], v[26:27] neg_lo:[0,1] neg_hi:[0,1]
	v_sub_f32_e32 v2, v68, v2
	v_add_f32_e32 v2, v6, v2
	v_add_f32_e32 v2, v2, v7
	;; [unrolled: 1-line block ×3, first 2 shown]
	v_cndmask_b32_e32 v2, v2, v19, vcc
	v_add_f32_e32 v2, v3, v2
	v_cvt_f16_f32_e32 v70, v2
	v_cvt_f32_f16_e32 v2, v70
	v_mov_b32_e32 v68, v70
.LBB408_398:
	s_or_b64 exec, exec, s[2:3]
	v_max_f32_e32 v3, v53, v53
	v_max_f32_e32 v7, v2, v2
	v_min_f32_e32 v6, v7, v3
	v_cmp_u_f16_e32 vcc, v70, v70
	v_max_f32_e32 v3, v7, v3
	s_movk_i32 s4, 0x1f8
	v_cndmask_b32_e32 v6, v6, v2, vcc
	v_cndmask_b32_e32 v3, v3, v2, vcc
	v_cndmask_b32_e64 v6, v6, v53, s[40:41]
	v_cndmask_b32_e64 v3, v3, v53, s[40:41]
	v_cmp_neq_f32_e32 vcc, v6, v3
	v_cmp_class_f32_e64 s[2:3], v6, s4
	s_or_b64 s[6:7], vcc, s[2:3]
	v_mov_b32_e32 v53, v68
	s_and_saveexec_b64 s[2:3], s[6:7]
	s_cbranch_execz .LBB408_400
; %bb.399:
	v_sub_f32_e32 v2, v6, v3
	s_mov_b32 s5, 0x3fb8aa3b
	v_mul_f32_e32 v6, 0x3fb8aa3b, v2
	v_fma_f32 v7, v2, s5, -v6
	v_rndne_f32_e32 v11, v6
	v_fmamk_f32 v7, v2, 0x32a5705f, v7
	v_sub_f32_e32 v6, v6, v11
	v_add_f32_e32 v6, v6, v7
	v_exp_f32_e32 v6, v6
	v_cvt_i32_f32_e32 v7, v11
	s_mov_b32 s5, 0xc2ce8ed0
	v_cmp_ngt_f32_e32 vcc, s5, v2
	s_mov_b32 s5, 0x42b17218
	v_ldexp_f32 v6, v6, v7
	v_cndmask_b32_e32 v6, 0, v6, vcc
	v_mov_b32_e32 v7, 0x7f800000
	v_cmp_nlt_f32_e32 vcc, s5, v2
	s_mov_b32 s5, 0x3f2aaaab
	s_mov_b32 s6, 0x7f800000
	v_cndmask_b32_e32 v19, v7, v6, vcc
	v_add_f32_e32 v2, 1.0, v19
	v_add_f32_e32 v6, -1.0, v2
	v_sub_f32_e32 v7, v6, v2
	v_add_f32_e32 v7, 1.0, v7
	v_sub_f32_e32 v6, v19, v6
	v_add_f32_e32 v11, v6, v7
	v_frexp_mant_f32_e32 v16, v2
	v_cvt_f64_f32_e32 v[6:7], v2
	v_frexp_exp_i32_f64_e32 v6, v[6:7]
	v_cmp_gt_f32_e32 vcc, s5, v16
	s_mov_b32 s5, 0x3f317218
	s_nop 0
	v_subbrev_co_u32_e32 v16, vcc, 0, v6, vcc
	v_sub_u32_e32 v6, 0, v16
	v_ldexp_f32 v2, v2, v6
	v_ldexp_f32 v6, v11, v6
	v_add_f32_e32 v11, -1.0, v2
	v_add_f32_e32 v7, 1.0, v11
	v_sub_f32_e32 v7, v2, v7
	v_add_f32_e32 v20, v6, v7
	v_add_f32_e32 v7, 1.0, v2
	v_add_f32_e32 v21, -1.0, v7
	v_sub_f32_e32 v2, v2, v21
	v_add_f32_e32 v2, v6, v2
	v_add_f32_e32 v26, v7, v2
	v_rcp_f32_e32 v27, v26
	v_sub_f32_e32 v6, v7, v26
	v_add_f32_e32 v7, v11, v20
	v_add_f32_e32 v2, v2, v6
	v_sub_f32_e32 v6, v11, v7
	v_mul_f32_e32 v53, v7, v27
	v_add_f32_e32 v11, v20, v6
	v_mul_f32_e32 v20, v26, v53
	v_fma_f32 v22, v53, v26, -v20
	v_fmac_f32_e32 v22, v53, v2
	v_add_f32_e32 v6, v20, v22
	v_sub_f32_e32 v21, v7, v6
	v_pk_add_f32 v[24:25], v[6:7], v[20:21] neg_lo:[0,1] neg_hi:[0,1]
	v_mov_b32_e32 v23, v6
	v_pk_add_f32 v[6:7], v[24:25], v[22:23] neg_lo:[0,1] neg_hi:[0,1]
	v_cmp_eq_f32_e32 vcc, s6, v19
	v_add_f32_e32 v7, v11, v7
	v_add_f32_e32 v6, v6, v7
	;; [unrolled: 1-line block ×3, first 2 shown]
	v_mul_f32_e32 v11, v27, v7
	v_mul_f32_e32 v20, v26, v11
	v_fma_f32 v22, v11, v26, -v20
	v_fmac_f32_e32 v22, v11, v2
	v_sub_f32_e32 v2, v21, v7
	v_add_f32_e32 v2, v6, v2
	v_add_f32_e32 v6, v20, v22
	v_sub_f32_e32 v21, v7, v6
	v_pk_add_f32 v[24:25], v[6:7], v[20:21] neg_lo:[0,1] neg_hi:[0,1]
	v_mov_b32_e32 v23, v6
	v_pk_add_f32 v[6:7], v[24:25], v[22:23] neg_lo:[0,1] neg_hi:[0,1]
	v_cvt_f32_i32_e32 v20, v16
	v_add_f32_e32 v2, v2, v7
	v_add_f32_e32 v2, v6, v2
	;; [unrolled: 1-line block ×4, first 2 shown]
	v_sub_f32_e32 v7, v6, v53
	v_mul_f32_e32 v2, v27, v2
	v_sub_f32_e32 v7, v11, v7
	v_add_f32_e32 v2, v7, v2
	v_add_f32_e32 v11, v6, v2
	v_mul_f32_e32 v21, v11, v11
	v_mov_b32_e32 v7, 0x3ecc95a3
	v_fmac_f32_e32 v7, 0x3e9b6dac, v21
	v_sub_f32_e32 v6, v11, v6
	v_fmaak_f32 v7, v21, v7, 0x3f2aaada
	v_sub_f32_e32 v2, v2, v6
	v_mul_f32_e32 v21, v11, v21
	v_mov_b32_e32 v6, 0x3f317218
	v_pk_mul_f32 v[6:7], v[20:21], v[6:7]
	v_ldexp_f32 v23, v11, 1
	v_fma_f32 v11, v20, s5, -v6
	v_fmamk_f32 v22, v20, 0xb102e308, v11
	v_pk_add_f32 v[20:21], v[6:7], v[22:23]
	v_ldexp_f32 v2, v2, 1
	v_sub_f32_e32 v11, v21, v23
	v_sub_f32_e32 v11, v7, v11
	v_add_f32_e32 v25, v2, v11
	v_mov_b32_e32 v24, v6
	v_pk_add_f32 v[6:7], v[20:21], v[6:7] neg_lo:[0,1] neg_hi:[0,1]
	v_pk_add_f32 v[26:27], v[20:21], v[24:25]
	v_mov_b32_e32 v23, v20
	v_mov_b32_e32 v7, v27
	v_pk_add_f32 v[70:71], v[22:23], v[6:7] neg_lo:[0,1] neg_hi:[0,1]
	v_pk_add_f32 v[6:7], v[22:23], v[6:7]
	s_mov_b32 s5, 0x33800000
	v_mov_b32_e32 v2, v7
	v_pk_add_f32 v[22:23], v[2:3], v[20:21] neg_lo:[0,1] neg_hi:[0,1]
	v_mov_b32_e32 v6, v27
	v_mov_b32_e32 v11, v22
	v_pk_add_f32 v[80:81], v[26:27], v[10:11] neg_lo:[0,1] neg_hi:[0,1]
	v_mov_b32_e32 v26, v21
	v_mov_b32_e32 v27, v22
	;; [unrolled: 1-line block ×3, first 2 shown]
	v_pk_add_f32 v[6:7], v[6:7], v[26:27] neg_lo:[0,1] neg_hi:[0,1]
	v_mov_b32_e32 v22, v25
	v_mov_b32_e32 v23, v20
	v_pk_add_f32 v[6:7], v[22:23], v[6:7] neg_lo:[0,1] neg_hi:[0,1]
	v_mov_b32_e32 v80, v70
	v_pk_add_f32 v[20:21], v[80:81], v[6:7]
	v_cmp_lt_f32_e64 s[6:7], |v19|, s5
	v_mov_b32_e32 v16, v21
	v_pk_add_f32 v[22:23], v[20:21], v[16:17]
	s_or_b64 vcc, vcc, s[6:7]
	v_pk_add_f32 v[24:25], v[2:3], v[22:23]
	v_mov_b32_e32 v7, v22
	v_mov_b32_e32 v21, v24
	v_pk_add_f32 v[26:27], v[20:21], v[70:71] neg_lo:[0,1] neg_hi:[0,1]
	s_nop 0
	v_sub_f32_e32 v2, v20, v26
	v_pk_add_f32 v[6:7], v[6:7], v[26:27] neg_lo:[0,1] neg_hi:[0,1]
	v_sub_f32_e32 v2, v70, v2
	v_add_f32_e32 v2, v6, v2
	v_add_f32_e32 v2, v2, v7
	;; [unrolled: 1-line block ×3, first 2 shown]
	v_cndmask_b32_e32 v2, v2, v19, vcc
	v_add_f32_e32 v2, v3, v2
	v_cvt_f16_f32_e32 v70, v2
	v_cvt_f32_f16_e32 v2, v70
	v_mov_b32_e32 v53, v70
.LBB408_400:
	s_or_b64 exec, exec, s[2:3]
	v_max_f32_e32 v3, v17, v17
	v_max_f32_e32 v7, v2, v2
	v_min_f32_e32 v6, v7, v3
	v_cmp_u_f16_e32 vcc, v70, v70
	v_max_f32_e32 v3, v7, v3
	v_mov_b32_e32 v69, v53
	v_cndmask_b32_e32 v6, v6, v2, vcc
	v_cndmask_b32_e32 v3, v3, v2, vcc
	v_cndmask_b32_e64 v6, v6, v17, s[42:43]
	v_cndmask_b32_e64 v3, v3, v17, s[42:43]
	v_cmp_neq_f32_e32 vcc, v6, v3
	v_cmp_class_f32_e64 s[2:3], v6, s4
	s_or_b64 s[4:5], vcc, s[2:3]
	s_and_saveexec_b64 s[2:3], s[4:5]
	s_cbranch_execz .LBB408_402
; %bb.401:
	v_sub_f32_e32 v2, v6, v3
	s_mov_b32 s4, 0x3fb8aa3b
	v_mul_f32_e32 v6, 0x3fb8aa3b, v2
	v_fma_f32 v7, v2, s4, -v6
	v_rndne_f32_e32 v11, v6
	v_fmamk_f32 v7, v2, 0x32a5705f, v7
	v_sub_f32_e32 v6, v6, v11
	v_add_f32_e32 v6, v6, v7
	v_exp_f32_e32 v6, v6
	v_cvt_i32_f32_e32 v7, v11
	s_mov_b32 s4, 0xc2ce8ed0
	v_cmp_ngt_f32_e32 vcc, s4, v2
	s_mov_b32 s4, 0x42b17218
	v_ldexp_f32 v6, v6, v7
	v_cndmask_b32_e32 v6, 0, v6, vcc
	v_mov_b32_e32 v7, 0x7f800000
	v_cmp_nlt_f32_e32 vcc, s4, v2
	s_mov_b32 s4, 0x3f2aaaab
	s_mov_b32 s5, 0x7f800000
	v_cndmask_b32_e32 v19, v7, v6, vcc
	v_add_f32_e32 v2, 1.0, v19
	v_add_f32_e32 v6, -1.0, v2
	v_sub_f32_e32 v7, v6, v2
	v_add_f32_e32 v7, 1.0, v7
	v_sub_f32_e32 v6, v19, v6
	v_add_f32_e32 v11, v6, v7
	v_frexp_mant_f32_e32 v16, v2
	v_cvt_f64_f32_e32 v[6:7], v2
	v_frexp_exp_i32_f64_e32 v6, v[6:7]
	v_cmp_gt_f32_e32 vcc, s4, v16
	s_mov_b32 s4, 0x3f317218
	s_nop 0
	v_subbrev_co_u32_e32 v24, vcc, 0, v6, vcc
	v_sub_u32_e32 v6, 0, v24
	v_ldexp_f32 v2, v2, v6
	v_ldexp_f32 v6, v11, v6
	v_add_f32_e32 v11, -1.0, v2
	v_add_f32_e32 v7, 1.0, v11
	v_sub_f32_e32 v7, v2, v7
	v_add_f32_e32 v16, v6, v7
	v_add_f32_e32 v7, 1.0, v2
	v_add_f32_e32 v17, -1.0, v7
	v_sub_f32_e32 v2, v2, v17
	v_add_f32_e32 v2, v6, v2
	v_add_f32_e32 v25, v7, v2
	v_rcp_f32_e32 v26, v25
	v_sub_f32_e32 v6, v7, v25
	v_add_f32_e32 v7, v11, v16
	v_add_f32_e32 v2, v2, v6
	v_sub_f32_e32 v6, v11, v7
	v_mul_f32_e32 v27, v7, v26
	v_add_f32_e32 v11, v16, v6
	v_mul_f32_e32 v16, v25, v27
	v_fma_f32 v20, v27, v25, -v16
	v_fmac_f32_e32 v20, v27, v2
	v_add_f32_e32 v6, v16, v20
	v_sub_f32_e32 v17, v7, v6
	v_pk_add_f32 v[22:23], v[6:7], v[16:17] neg_lo:[0,1] neg_hi:[0,1]
	v_mov_b32_e32 v21, v6
	v_pk_add_f32 v[6:7], v[22:23], v[20:21] neg_lo:[0,1] neg_hi:[0,1]
	v_cmp_eq_f32_e32 vcc, s5, v19
	v_add_f32_e32 v7, v11, v7
	v_add_f32_e32 v6, v6, v7
	;; [unrolled: 1-line block ×3, first 2 shown]
	v_mul_f32_e32 v11, v26, v7
	v_mul_f32_e32 v16, v25, v11
	v_fma_f32 v20, v11, v25, -v16
	v_fmac_f32_e32 v20, v11, v2
	v_sub_f32_e32 v2, v17, v7
	v_add_f32_e32 v2, v6, v2
	v_add_f32_e32 v6, v16, v20
	v_sub_f32_e32 v17, v7, v6
	v_pk_add_f32 v[22:23], v[6:7], v[16:17] neg_lo:[0,1] neg_hi:[0,1]
	v_mov_b32_e32 v21, v6
	v_pk_add_f32 v[6:7], v[22:23], v[20:21] neg_lo:[0,1] neg_hi:[0,1]
	v_cvt_f32_i32_e32 v16, v24
	v_add_f32_e32 v2, v2, v7
	v_add_f32_e32 v2, v6, v2
	;; [unrolled: 1-line block ×4, first 2 shown]
	v_sub_f32_e32 v7, v6, v27
	v_mul_f32_e32 v2, v26, v2
	v_sub_f32_e32 v7, v11, v7
	v_add_f32_e32 v2, v7, v2
	v_add_f32_e32 v11, v6, v2
	v_mul_f32_e32 v17, v11, v11
	v_mov_b32_e32 v7, 0x3ecc95a3
	v_fmac_f32_e32 v7, 0x3e9b6dac, v17
	v_sub_f32_e32 v6, v11, v6
	v_fmaak_f32 v7, v17, v7, 0x3f2aaada
	v_sub_f32_e32 v2, v2, v6
	v_mul_f32_e32 v17, v11, v17
	v_mov_b32_e32 v6, 0x3f317218
	v_pk_mul_f32 v[6:7], v[16:17], v[6:7]
	v_ldexp_f32 v21, v11, 1
	v_fma_f32 v11, v16, s4, -v6
	v_fmamk_f32 v20, v16, 0xb102e308, v11
	v_pk_add_f32 v[16:17], v[6:7], v[20:21]
	v_ldexp_f32 v2, v2, 1
	v_sub_f32_e32 v11, v17, v21
	v_sub_f32_e32 v11, v7, v11
	v_add_f32_e32 v23, v2, v11
	v_mov_b32_e32 v22, v6
	v_pk_add_f32 v[6:7], v[16:17], v[6:7] neg_lo:[0,1] neg_hi:[0,1]
	v_pk_add_f32 v[24:25], v[16:17], v[22:23]
	v_mov_b32_e32 v21, v16
	v_mov_b32_e32 v7, v25
	v_pk_add_f32 v[26:27], v[20:21], v[6:7] neg_lo:[0,1] neg_hi:[0,1]
	v_pk_add_f32 v[6:7], v[20:21], v[6:7]
	s_mov_b32 s4, 0x33800000
	v_mov_b32_e32 v2, v7
	v_pk_add_f32 v[20:21], v[2:3], v[16:17] neg_lo:[0,1] neg_hi:[0,1]
	v_mov_b32_e32 v6, v25
	v_mov_b32_e32 v11, v20
	v_pk_add_f32 v[70:71], v[24:25], v[10:11] neg_lo:[0,1] neg_hi:[0,1]
	v_mov_b32_e32 v24, v17
	v_mov_b32_e32 v25, v20
	v_mov_b32_e32 v27, v7
	v_pk_add_f32 v[6:7], v[6:7], v[24:25] neg_lo:[0,1] neg_hi:[0,1]
	v_mov_b32_e32 v20, v23
	v_mov_b32_e32 v21, v16
	v_pk_add_f32 v[6:7], v[20:21], v[6:7] neg_lo:[0,1] neg_hi:[0,1]
	v_mov_b32_e32 v70, v26
	v_pk_add_f32 v[16:17], v[70:71], v[6:7]
	v_cmp_lt_f32_e64 s[4:5], |v19|, s4
	v_mov_b32_e32 v20, v17
	v_pk_add_f32 v[20:21], v[16:17], v[20:21]
	s_or_b64 vcc, vcc, s[4:5]
	v_pk_add_f32 v[22:23], v[2:3], v[20:21]
	v_mov_b32_e32 v7, v20
	v_mov_b32_e32 v17, v22
	v_pk_add_f32 v[24:25], v[16:17], v[26:27] neg_lo:[0,1] neg_hi:[0,1]
	s_nop 0
	v_sub_f32_e32 v2, v16, v24
	v_pk_add_f32 v[6:7], v[6:7], v[24:25] neg_lo:[0,1] neg_hi:[0,1]
	v_sub_f32_e32 v2, v26, v2
	v_add_f32_e32 v2, v6, v2
	v_add_f32_e32 v2, v2, v7
	;; [unrolled: 1-line block ×3, first 2 shown]
	v_cndmask_b32_e32 v2, v2, v19, vcc
	v_add_f32_e32 v2, v3, v2
	v_cvt_f16_f32_e32 v70, v2
	v_cvt_f32_f16_e32 v2, v70
	v_mov_b32_e32 v69, v70
.LBB408_402:
	s_or_b64 exec, exec, s[2:3]
	v_max_f32_e32 v3, v54, v54
	v_max_f32_e32 v7, v2, v2
	v_min_f32_e32 v6, v7, v3
	v_cmp_u_f16_e32 vcc, v70, v70
	v_max_f32_e32 v3, v7, v3
	s_movk_i32 s4, 0x1f8
	v_cndmask_b32_e32 v6, v6, v2, vcc
	v_cndmask_b32_e32 v3, v3, v2, vcc
	v_cndmask_b32_e64 v6, v6, v54, s[44:45]
	v_cndmask_b32_e64 v3, v3, v54, s[44:45]
	v_cmp_neq_f32_e32 vcc, v6, v3
	v_cmp_class_f32_e64 s[2:3], v6, s4
	s_or_b64 s[6:7], vcc, s[2:3]
	v_mov_b32_e32 v54, v69
	s_and_saveexec_b64 s[2:3], s[6:7]
	s_cbranch_execz .LBB408_404
; %bb.403:
	v_sub_f32_e32 v2, v6, v3
	s_mov_b32 s5, 0x3fb8aa3b
	v_mul_f32_e32 v6, 0x3fb8aa3b, v2
	v_fma_f32 v7, v2, s5, -v6
	v_rndne_f32_e32 v11, v6
	v_fmamk_f32 v7, v2, 0x32a5705f, v7
	v_sub_f32_e32 v6, v6, v11
	v_add_f32_e32 v6, v6, v7
	v_exp_f32_e32 v6, v6
	v_cvt_i32_f32_e32 v7, v11
	s_mov_b32 s5, 0xc2ce8ed0
	v_cmp_ngt_f32_e32 vcc, s5, v2
	s_mov_b32 s5, 0x42b17218
	v_ldexp_f32 v6, v6, v7
	v_cndmask_b32_e32 v6, 0, v6, vcc
	v_mov_b32_e32 v7, 0x7f800000
	v_cmp_nlt_f32_e32 vcc, s5, v2
	s_mov_b32 s5, 0x3f2aaaab
	s_mov_b32 s6, 0x7f800000
	v_cndmask_b32_e32 v19, v7, v6, vcc
	v_add_f32_e32 v2, 1.0, v19
	v_add_f32_e32 v6, -1.0, v2
	v_sub_f32_e32 v7, v6, v2
	v_add_f32_e32 v7, 1.0, v7
	v_sub_f32_e32 v6, v19, v6
	v_add_f32_e32 v11, v6, v7
	v_frexp_mant_f32_e32 v16, v2
	v_cvt_f64_f32_e32 v[6:7], v2
	v_frexp_exp_i32_f64_e32 v6, v[6:7]
	v_cmp_gt_f32_e32 vcc, s5, v16
	s_mov_b32 s5, 0x3f317218
	s_nop 0
	v_subbrev_co_u32_e32 v24, vcc, 0, v6, vcc
	v_sub_u32_e32 v6, 0, v24
	v_ldexp_f32 v2, v2, v6
	v_ldexp_f32 v6, v11, v6
	v_add_f32_e32 v11, -1.0, v2
	v_add_f32_e32 v7, 1.0, v11
	v_sub_f32_e32 v7, v2, v7
	v_add_f32_e32 v16, v6, v7
	v_add_f32_e32 v7, 1.0, v2
	v_add_f32_e32 v17, -1.0, v7
	v_sub_f32_e32 v2, v2, v17
	v_add_f32_e32 v2, v6, v2
	v_add_f32_e32 v25, v7, v2
	v_rcp_f32_e32 v26, v25
	v_sub_f32_e32 v6, v7, v25
	v_add_f32_e32 v7, v11, v16
	v_add_f32_e32 v2, v2, v6
	v_sub_f32_e32 v6, v11, v7
	v_mul_f32_e32 v27, v7, v26
	v_add_f32_e32 v11, v16, v6
	v_mul_f32_e32 v16, v25, v27
	v_fma_f32 v20, v27, v25, -v16
	v_fmac_f32_e32 v20, v27, v2
	v_add_f32_e32 v6, v16, v20
	v_sub_f32_e32 v17, v7, v6
	v_pk_add_f32 v[22:23], v[6:7], v[16:17] neg_lo:[0,1] neg_hi:[0,1]
	v_mov_b32_e32 v21, v6
	v_pk_add_f32 v[6:7], v[22:23], v[20:21] neg_lo:[0,1] neg_hi:[0,1]
	v_cmp_eq_f32_e32 vcc, s6, v19
	v_add_f32_e32 v7, v11, v7
	v_add_f32_e32 v6, v6, v7
	;; [unrolled: 1-line block ×3, first 2 shown]
	v_mul_f32_e32 v11, v26, v7
	v_mul_f32_e32 v16, v25, v11
	v_fma_f32 v20, v11, v25, -v16
	v_fmac_f32_e32 v20, v11, v2
	v_sub_f32_e32 v2, v17, v7
	v_add_f32_e32 v2, v6, v2
	v_add_f32_e32 v6, v16, v20
	v_sub_f32_e32 v17, v7, v6
	v_pk_add_f32 v[22:23], v[6:7], v[16:17] neg_lo:[0,1] neg_hi:[0,1]
	v_mov_b32_e32 v21, v6
	v_pk_add_f32 v[6:7], v[22:23], v[20:21] neg_lo:[0,1] neg_hi:[0,1]
	v_cvt_f32_i32_e32 v16, v24
	v_add_f32_e32 v2, v2, v7
	v_add_f32_e32 v2, v6, v2
	;; [unrolled: 1-line block ×4, first 2 shown]
	v_sub_f32_e32 v7, v6, v27
	v_mul_f32_e32 v2, v26, v2
	v_sub_f32_e32 v7, v11, v7
	v_add_f32_e32 v2, v7, v2
	v_add_f32_e32 v11, v6, v2
	v_mul_f32_e32 v17, v11, v11
	v_mov_b32_e32 v7, 0x3ecc95a3
	v_fmac_f32_e32 v7, 0x3e9b6dac, v17
	v_sub_f32_e32 v6, v11, v6
	v_fmaak_f32 v7, v17, v7, 0x3f2aaada
	v_sub_f32_e32 v2, v2, v6
	v_mul_f32_e32 v17, v11, v17
	v_mov_b32_e32 v6, 0x3f317218
	v_pk_mul_f32 v[6:7], v[16:17], v[6:7]
	v_ldexp_f32 v21, v11, 1
	v_fma_f32 v11, v16, s5, -v6
	v_fmamk_f32 v20, v16, 0xb102e308, v11
	v_pk_add_f32 v[16:17], v[6:7], v[20:21]
	v_ldexp_f32 v2, v2, 1
	v_sub_f32_e32 v11, v17, v21
	v_sub_f32_e32 v11, v7, v11
	v_add_f32_e32 v23, v2, v11
	v_mov_b32_e32 v22, v6
	v_pk_add_f32 v[6:7], v[16:17], v[6:7] neg_lo:[0,1] neg_hi:[0,1]
	v_pk_add_f32 v[24:25], v[16:17], v[22:23]
	v_mov_b32_e32 v21, v16
	v_mov_b32_e32 v7, v25
	v_pk_add_f32 v[26:27], v[20:21], v[6:7] neg_lo:[0,1] neg_hi:[0,1]
	v_pk_add_f32 v[6:7], v[20:21], v[6:7]
	s_mov_b32 s5, 0x33800000
	v_mov_b32_e32 v2, v7
	v_pk_add_f32 v[20:21], v[2:3], v[16:17] neg_lo:[0,1] neg_hi:[0,1]
	v_mov_b32_e32 v6, v25
	v_mov_b32_e32 v11, v20
	v_pk_add_f32 v[70:71], v[24:25], v[10:11] neg_lo:[0,1] neg_hi:[0,1]
	v_mov_b32_e32 v24, v17
	v_mov_b32_e32 v25, v20
	v_mov_b32_e32 v27, v7
	v_pk_add_f32 v[6:7], v[6:7], v[24:25] neg_lo:[0,1] neg_hi:[0,1]
	v_mov_b32_e32 v20, v23
	v_mov_b32_e32 v21, v16
	v_pk_add_f32 v[6:7], v[20:21], v[6:7] neg_lo:[0,1] neg_hi:[0,1]
	v_mov_b32_e32 v70, v26
	v_pk_add_f32 v[16:17], v[70:71], v[6:7]
	v_cmp_lt_f32_e64 s[6:7], |v19|, s5
	v_mov_b32_e32 v20, v17
	v_pk_add_f32 v[20:21], v[16:17], v[20:21]
	s_or_b64 vcc, vcc, s[6:7]
	v_pk_add_f32 v[22:23], v[2:3], v[20:21]
	v_mov_b32_e32 v7, v20
	v_mov_b32_e32 v17, v22
	v_pk_add_f32 v[24:25], v[16:17], v[26:27] neg_lo:[0,1] neg_hi:[0,1]
	s_nop 0
	v_sub_f32_e32 v2, v16, v24
	v_pk_add_f32 v[6:7], v[6:7], v[24:25] neg_lo:[0,1] neg_hi:[0,1]
	v_sub_f32_e32 v2, v26, v2
	v_add_f32_e32 v2, v6, v2
	v_add_f32_e32 v2, v2, v7
	;; [unrolled: 1-line block ×3, first 2 shown]
	v_cndmask_b32_e32 v2, v2, v19, vcc
	v_add_f32_e32 v2, v3, v2
	v_cvt_f16_f32_e32 v70, v2
	v_cvt_f32_f16_e32 v2, v70
	v_mov_b32_e32 v54, v70
.LBB408_404:
	s_or_b64 exec, exec, s[2:3]
	v_max_f32_e32 v3, v18, v18
	v_max_f32_e32 v7, v2, v2
	v_min_f32_e32 v6, v7, v3
	v_cmp_u_f16_e32 vcc, v70, v70
	v_max_f32_e32 v3, v7, v3
	v_mov_b32_e32 v71, v54
	v_cndmask_b32_e32 v6, v6, v2, vcc
	v_cndmask_b32_e32 v3, v3, v2, vcc
	v_cndmask_b32_e64 v6, v6, v18, s[46:47]
	v_cndmask_b32_e64 v3, v3, v18, s[46:47]
	v_cmp_neq_f32_e32 vcc, v6, v3
	v_cmp_class_f32_e64 s[2:3], v6, s4
	s_or_b64 s[4:5], vcc, s[2:3]
	s_and_saveexec_b64 s[2:3], s[4:5]
	s_cbranch_execz .LBB408_406
; %bb.405:
	v_sub_f32_e32 v2, v6, v3
	s_mov_b32 s4, 0x3fb8aa3b
	v_mul_f32_e32 v6, 0x3fb8aa3b, v2
	v_fma_f32 v7, v2, s4, -v6
	v_rndne_f32_e32 v11, v6
	v_fmamk_f32 v7, v2, 0x32a5705f, v7
	v_sub_f32_e32 v6, v6, v11
	v_add_f32_e32 v6, v6, v7
	v_exp_f32_e32 v6, v6
	v_cvt_i32_f32_e32 v7, v11
	s_mov_b32 s4, 0xc2ce8ed0
	v_cmp_ngt_f32_e32 vcc, s4, v2
	s_mov_b32 s4, 0x42b17218
	v_ldexp_f32 v6, v6, v7
	v_cndmask_b32_e32 v6, 0, v6, vcc
	v_mov_b32_e32 v7, 0x7f800000
	v_cmp_nlt_f32_e32 vcc, s4, v2
	s_mov_b32 s4, 0x3f2aaaab
	s_mov_b32 s5, 0x7f800000
	v_cndmask_b32_e32 v70, v7, v6, vcc
	v_add_f32_e32 v2, 1.0, v70
	v_add_f32_e32 v6, -1.0, v2
	v_sub_f32_e32 v7, v6, v2
	v_add_f32_e32 v7, 1.0, v7
	v_sub_f32_e32 v6, v70, v6
	v_add_f32_e32 v11, v6, v7
	v_frexp_mant_f32_e32 v16, v2
	v_cvt_f64_f32_e32 v[6:7], v2
	v_frexp_exp_i32_f64_e32 v6, v[6:7]
	v_cmp_gt_f32_e32 vcc, s4, v16
	s_mov_b32 s4, 0x3f317218
	s_nop 0
	v_subbrev_co_u32_e32 v22, vcc, 0, v6, vcc
	v_sub_u32_e32 v6, 0, v22
	v_ldexp_f32 v2, v2, v6
	v_ldexp_f32 v6, v11, v6
	v_add_f32_e32 v11, -1.0, v2
	v_add_f32_e32 v7, 1.0, v11
	v_sub_f32_e32 v7, v2, v7
	v_add_f32_e32 v16, v6, v7
	v_add_f32_e32 v7, 1.0, v2
	v_add_f32_e32 v17, -1.0, v7
	v_sub_f32_e32 v2, v2, v17
	v_add_f32_e32 v2, v6, v2
	v_add_f32_e32 v23, v7, v2
	v_rcp_f32_e32 v24, v23
	v_sub_f32_e32 v6, v7, v23
	v_add_f32_e32 v7, v11, v16
	v_add_f32_e32 v2, v2, v6
	v_sub_f32_e32 v6, v11, v7
	v_mul_f32_e32 v25, v7, v24
	v_add_f32_e32 v11, v16, v6
	v_mul_f32_e32 v16, v23, v25
	v_fma_f32 v18, v25, v23, -v16
	v_fmac_f32_e32 v18, v25, v2
	v_add_f32_e32 v6, v16, v18
	v_sub_f32_e32 v17, v7, v6
	v_pk_add_f32 v[20:21], v[6:7], v[16:17] neg_lo:[0,1] neg_hi:[0,1]
	v_mov_b32_e32 v19, v6
	v_pk_add_f32 v[6:7], v[20:21], v[18:19] neg_lo:[0,1] neg_hi:[0,1]
	v_cmp_eq_f32_e32 vcc, s5, v70
	v_add_f32_e32 v7, v11, v7
	v_add_f32_e32 v6, v6, v7
	;; [unrolled: 1-line block ×3, first 2 shown]
	v_mul_f32_e32 v11, v24, v7
	v_mul_f32_e32 v16, v23, v11
	v_fma_f32 v18, v11, v23, -v16
	v_fmac_f32_e32 v18, v11, v2
	v_sub_f32_e32 v2, v17, v7
	v_add_f32_e32 v2, v6, v2
	v_add_f32_e32 v6, v16, v18
	v_sub_f32_e32 v17, v7, v6
	v_pk_add_f32 v[20:21], v[6:7], v[16:17] neg_lo:[0,1] neg_hi:[0,1]
	v_mov_b32_e32 v19, v6
	v_pk_add_f32 v[6:7], v[20:21], v[18:19] neg_lo:[0,1] neg_hi:[0,1]
	v_cvt_f32_i32_e32 v16, v22
	v_add_f32_e32 v2, v2, v7
	v_add_f32_e32 v2, v6, v2
	v_add_f32_e32 v6, v25, v11
	v_add_f32_e32 v2, v17, v2
	v_sub_f32_e32 v7, v6, v25
	v_mul_f32_e32 v2, v24, v2
	v_sub_f32_e32 v7, v11, v7
	v_add_f32_e32 v2, v7, v2
	v_add_f32_e32 v11, v6, v2
	v_mul_f32_e32 v17, v11, v11
	v_mov_b32_e32 v7, 0x3ecc95a3
	v_fmac_f32_e32 v7, 0x3e9b6dac, v17
	v_sub_f32_e32 v6, v11, v6
	v_fmaak_f32 v7, v17, v7, 0x3f2aaada
	v_sub_f32_e32 v2, v2, v6
	v_mul_f32_e32 v17, v11, v17
	v_mov_b32_e32 v6, 0x3f317218
	v_pk_mul_f32 v[6:7], v[16:17], v[6:7]
	v_ldexp_f32 v19, v11, 1
	v_fma_f32 v11, v16, s4, -v6
	v_fmamk_f32 v18, v16, 0xb102e308, v11
	v_pk_add_f32 v[16:17], v[6:7], v[18:19]
	v_ldexp_f32 v2, v2, 1
	v_sub_f32_e32 v11, v17, v19
	v_sub_f32_e32 v11, v7, v11
	v_add_f32_e32 v21, v2, v11
	v_mov_b32_e32 v20, v6
	v_pk_add_f32 v[6:7], v[16:17], v[6:7] neg_lo:[0,1] neg_hi:[0,1]
	v_pk_add_f32 v[22:23], v[16:17], v[20:21]
	v_mov_b32_e32 v19, v16
	v_mov_b32_e32 v7, v23
	v_pk_add_f32 v[24:25], v[18:19], v[6:7] neg_lo:[0,1] neg_hi:[0,1]
	v_pk_add_f32 v[6:7], v[18:19], v[6:7]
	s_mov_b32 s4, 0x33800000
	v_mov_b32_e32 v2, v7
	v_pk_add_f32 v[18:19], v[2:3], v[16:17] neg_lo:[0,1] neg_hi:[0,1]
	v_mov_b32_e32 v6, v23
	v_mov_b32_e32 v11, v18
	v_pk_add_f32 v[26:27], v[22:23], v[10:11] neg_lo:[0,1] neg_hi:[0,1]
	v_mov_b32_e32 v22, v17
	v_mov_b32_e32 v23, v18
	;; [unrolled: 1-line block ×3, first 2 shown]
	v_pk_add_f32 v[6:7], v[6:7], v[22:23] neg_lo:[0,1] neg_hi:[0,1]
	v_mov_b32_e32 v18, v21
	v_mov_b32_e32 v19, v16
	v_pk_add_f32 v[6:7], v[18:19], v[6:7] neg_lo:[0,1] neg_hi:[0,1]
	v_mov_b32_e32 v26, v24
	v_pk_add_f32 v[16:17], v[26:27], v[6:7]
	v_cmp_lt_f32_e64 s[4:5], |v70|, s4
	v_mov_b32_e32 v18, v17
	v_pk_add_f32 v[18:19], v[16:17], v[18:19]
	s_or_b64 vcc, vcc, s[4:5]
	v_pk_add_f32 v[20:21], v[2:3], v[18:19]
	v_mov_b32_e32 v7, v18
	v_mov_b32_e32 v17, v20
	v_pk_add_f32 v[22:23], v[16:17], v[24:25] neg_lo:[0,1] neg_hi:[0,1]
	s_nop 0
	v_sub_f32_e32 v2, v16, v22
	v_pk_add_f32 v[6:7], v[6:7], v[22:23] neg_lo:[0,1] neg_hi:[0,1]
	v_sub_f32_e32 v2, v24, v2
	v_add_f32_e32 v2, v6, v2
	v_add_f32_e32 v2, v2, v7
	;; [unrolled: 1-line block ×3, first 2 shown]
	v_cndmask_b32_e32 v2, v2, v70, vcc
	v_add_f32_e32 v2, v3, v2
	v_cvt_f16_f32_e32 v70, v2
	v_cvt_f32_f16_e32 v2, v70
	v_mov_b32_e32 v71, v70
.LBB408_406:
	s_or_b64 exec, exec, s[2:3]
	v_max_f32_e32 v6, v55, v55
	v_max_f32_e32 v7, v2, v2
	v_min_f32_e32 v3, v7, v6
	v_cmp_u_f16_e32 vcc, v70, v70
	v_max_f32_e32 v6, v7, v6
	s_movk_i32 s2, 0x1f8
	v_cndmask_b32_e32 v3, v3, v2, vcc
	v_cndmask_b32_e32 v2, v6, v2, vcc
	v_cndmask_b32_e64 v3, v3, v55, s[48:49]
	v_cndmask_b32_e64 v2, v2, v55, s[48:49]
	v_cmp_neq_f32_e32 vcc, v3, v2
	v_cmp_class_f32_e64 s[2:3], v3, s2
	s_or_b64 s[4:5], vcc, s[2:3]
	v_mov_b32_e32 v55, v71
	s_and_saveexec_b64 s[2:3], s[4:5]
	s_cbranch_execz .LBB408_408
; %bb.407:
	v_sub_f32_e32 v3, v3, v2
	s_mov_b32 s4, 0x3fb8aa3b
	v_mul_f32_e32 v6, 0x3fb8aa3b, v3
	v_fma_f32 v7, v3, s4, -v6
	v_rndne_f32_e32 v11, v6
	v_fmamk_f32 v7, v3, 0x32a5705f, v7
	v_sub_f32_e32 v6, v6, v11
	v_add_f32_e32 v6, v6, v7
	v_exp_f32_e32 v6, v6
	v_cvt_i32_f32_e32 v7, v11
	s_mov_b32 s4, 0xc2ce8ed0
	v_cmp_ngt_f32_e32 vcc, s4, v3
	s_mov_b32 s4, 0x42b17218
	v_ldexp_f32 v6, v6, v7
	v_cndmask_b32_e32 v6, 0, v6, vcc
	v_mov_b32_e32 v7, 0x7f800000
	v_cmp_nlt_f32_e32 vcc, s4, v3
	s_mov_b32 s4, 0x3f2aaaab
	s_mov_b32 s5, 0x7f800000
	v_cndmask_b32_e32 v11, v7, v6, vcc
	v_add_f32_e32 v3, 1.0, v11
	v_add_f32_e32 v6, -1.0, v3
	v_sub_f32_e32 v7, v6, v3
	v_add_f32_e32 v7, 1.0, v7
	v_sub_f32_e32 v6, v11, v6
	v_add_f32_e32 v16, v6, v7
	v_frexp_mant_f32_e32 v17, v3
	v_cvt_f64_f32_e32 v[6:7], v3
	v_frexp_exp_i32_f64_e32 v6, v[6:7]
	v_cmp_gt_f32_e32 vcc, s4, v17
	s_mov_b32 s4, 0x3f317218
	s_nop 0
	v_subbrev_co_u32_e32 v22, vcc, 0, v6, vcc
	v_sub_u32_e32 v6, 0, v22
	v_ldexp_f32 v3, v3, v6
	v_ldexp_f32 v6, v16, v6
	v_add_f32_e32 v16, -1.0, v3
	v_add_f32_e32 v7, 1.0, v16
	v_sub_f32_e32 v7, v3, v7
	v_add_f32_e32 v17, v6, v7
	v_add_f32_e32 v7, 1.0, v3
	v_add_f32_e32 v18, -1.0, v7
	v_sub_f32_e32 v3, v3, v18
	v_add_f32_e32 v3, v6, v3
	v_add_f32_e32 v23, v7, v3
	v_rcp_f32_e32 v24, v23
	v_sub_f32_e32 v6, v7, v23
	v_add_f32_e32 v7, v16, v17
	v_add_f32_e32 v3, v3, v6
	v_mul_f32_e32 v26, v7, v24
	v_sub_f32_e32 v6, v16, v7
	v_mul_f32_e32 v16, v23, v26
	v_fma_f32 v18, v26, v23, -v16
	v_fmac_f32_e32 v18, v26, v3
	v_add_f32_e32 v25, v17, v6
	v_add_f32_e32 v6, v16, v18
	v_sub_f32_e32 v17, v7, v6
	v_pk_add_f32 v[20:21], v[6:7], v[16:17] neg_lo:[0,1] neg_hi:[0,1]
	v_mov_b32_e32 v19, v6
	v_pk_add_f32 v[6:7], v[20:21], v[18:19] neg_lo:[0,1] neg_hi:[0,1]
	v_cmp_eq_f32_e32 vcc, s5, v11
	v_add_f32_e32 v7, v25, v7
	v_add_f32_e32 v6, v6, v7
	;; [unrolled: 1-line block ×3, first 2 shown]
	v_mul_f32_e32 v25, v24, v7
	v_mul_f32_e32 v16, v23, v25
	v_fma_f32 v18, v25, v23, -v16
	v_fmac_f32_e32 v18, v25, v3
	v_sub_f32_e32 v3, v17, v7
	v_add_f32_e32 v3, v6, v3
	v_add_f32_e32 v6, v16, v18
	v_sub_f32_e32 v17, v7, v6
	v_pk_add_f32 v[20:21], v[6:7], v[16:17] neg_lo:[0,1] neg_hi:[0,1]
	v_mov_b32_e32 v19, v6
	v_pk_add_f32 v[6:7], v[20:21], v[18:19] neg_lo:[0,1] neg_hi:[0,1]
	v_cvt_f32_i32_e32 v16, v22
	v_add_f32_e32 v3, v3, v7
	v_add_f32_e32 v3, v6, v3
	;; [unrolled: 1-line block ×4, first 2 shown]
	v_sub_f32_e32 v7, v6, v26
	v_mul_f32_e32 v3, v24, v3
	v_sub_f32_e32 v7, v25, v7
	v_add_f32_e32 v3, v7, v3
	v_add_f32_e32 v17, v6, v3
	v_mul_f32_e32 v18, v17, v17
	v_mov_b32_e32 v7, 0x3ecc95a3
	v_fmac_f32_e32 v7, 0x3e9b6dac, v18
	v_sub_f32_e32 v6, v17, v6
	v_fmaak_f32 v7, v18, v7, 0x3f2aaada
	v_sub_f32_e32 v3, v3, v6
	v_ldexp_f32 v19, v17, 1
	v_mul_f32_e32 v17, v17, v18
	v_mov_b32_e32 v6, 0x3f317218
	v_pk_mul_f32 v[6:7], v[16:17], v[6:7]
	v_ldexp_f32 v3, v3, 1
	v_fma_f32 v17, v16, s4, -v6
	v_fmamk_f32 v18, v16, 0xb102e308, v17
	v_pk_add_f32 v[16:17], v[6:7], v[18:19]
	v_mov_b32_e32 v20, v6
	v_sub_f32_e32 v19, v17, v19
	v_sub_f32_e32 v19, v7, v19
	v_add_f32_e32 v21, v3, v19
	v_pk_add_f32 v[6:7], v[16:17], v[6:7] neg_lo:[0,1] neg_hi:[0,1]
	v_pk_add_f32 v[22:23], v[16:17], v[20:21]
	v_mov_b32_e32 v19, v16
	v_mov_b32_e32 v7, v23
	v_pk_add_f32 v[24:25], v[18:19], v[6:7] neg_lo:[0,1] neg_hi:[0,1]
	v_pk_add_f32 v[6:7], v[18:19], v[6:7]
	v_mov_b32_e32 v20, v21
	v_mov_b32_e32 v18, v7
	v_pk_add_f32 v[26:27], v[18:19], v[16:17] neg_lo:[0,1] neg_hi:[0,1]
	v_mov_b32_e32 v6, v23
	v_mov_b32_e32 v3, v26
	v_pk_add_f32 v[80:81], v[22:23], v[2:3] neg_lo:[0,1] neg_hi:[0,1]
	v_mov_b32_e32 v22, v17
	v_mov_b32_e32 v23, v26
	;; [unrolled: 1-line block ×3, first 2 shown]
	v_pk_add_f32 v[6:7], v[6:7], v[22:23] neg_lo:[0,1] neg_hi:[0,1]
	v_mov_b32_e32 v21, v16
	v_pk_add_f32 v[6:7], v[20:21], v[6:7] neg_lo:[0,1] neg_hi:[0,1]
	v_mov_b32_e32 v80, v24
	v_pk_add_f32 v[16:17], v[80:81], v[6:7]
	s_mov_b32 s4, 0x33800000
	v_mov_b32_e32 v20, v17
	v_pk_add_f32 v[20:21], v[16:17], v[20:21]
	v_cmp_lt_f32_e64 s[4:5], |v11|, s4
	v_pk_add_f32 v[18:19], v[18:19], v[20:21]
	v_mov_b32_e32 v7, v20
	v_mov_b32_e32 v17, v18
	v_pk_add_f32 v[22:23], v[16:17], v[24:25] neg_lo:[0,1] neg_hi:[0,1]
	s_or_b64 vcc, vcc, s[4:5]
	v_sub_f32_e32 v3, v16, v22
	v_pk_add_f32 v[6:7], v[6:7], v[22:23] neg_lo:[0,1] neg_hi:[0,1]
	v_sub_f32_e32 v3, v24, v3
	v_add_f32_e32 v3, v6, v3
	v_add_f32_e32 v3, v3, v7
	;; [unrolled: 1-line block ×3, first 2 shown]
	v_cndmask_b32_e32 v3, v3, v11, vcc
	v_add_f32_e32 v2, v2, v3
	v_cvt_f16_f32_e32 v55, v2
.LBB408_408:
	s_or_b64 exec, exec, s[2:3]
	s_movk_i32 s2, 0xff
	v_cmp_eq_u32_e32 vcc, s2, v0
	s_and_saveexec_b64 s[2:3], vcc
	s_cbranch_execz .LBB408_410
; %bb.409:
	s_mov_b32 s4, 0x20000
	v_or_b32_sdwa v2, v55, s4 dst_sel:DWORD dst_unused:UNUSED_PAD src0_sel:WORD_0 src1_sel:DWORD
	flat_store_dword v[28:29], v2 offset:256 sc1
.LBB408_410:
	s_or_b64 exec, exec, s[2:3]
.LBB408_411:
	v_lshl_add_u64 v[2:3], v[12:13], 1, v[14:15]
	v_lshl_add_u64 v[2:3], s[58:59], 1, v[2:3]
	s_waitcnt lgkmcnt(0)
	s_barrier
	s_and_saveexec_b64 s[2:3], s[0:1]
	s_xor_b64 s[0:1], exec, s[2:3]
	s_cbranch_execz .LBB408_413
; %bb.412:
	s_mov_b32 s2, 0x5040100
	v_perm_b32 v7, v87, v38, s2
	v_perm_b32 v6, v37, v36, s2
	;; [unrolled: 1-line block ×4, first 2 shown]
	ds_write_b128 v1, v[4:7]
	v_perm_b32 v7, v51, v66, s2
	v_perm_b32 v6, v50, v65, s2
	;; [unrolled: 1-line block ×4, first 2 shown]
	ds_write_b128 v1, v[4:7] offset:16
	v_perm_b32 v7, v55, v71, s2
	v_perm_b32 v6, v54, v69, s2
	;; [unrolled: 1-line block ×4, first 2 shown]
	v_mov_b32_e32 v11, 0
	ds_write_b128 v1, v[4:7] offset:32
	s_waitcnt lgkmcnt(0)
	s_barrier
	ds_read_u16 v4, v10
	ds_read_u16 v5, v10 offset:512
	ds_read_u16 v6, v10 offset:1024
	;; [unrolled: 1-line block ×23, first 2 shown]
	v_lshl_add_u64 v[0:1], v[2:3], 0, v[10:11]
	s_movk_i32 s2, 0x1000
	v_add_co_u32_e32 v2, vcc, s2, v0
	s_waitcnt lgkmcnt(0)
	flat_store_short v[0:1], v4
	flat_store_short v[0:1], v5 offset:512
	flat_store_short v[0:1], v6 offset:1024
	;; [unrolled: 1-line block ×7, first 2 shown]
	v_addc_co_u32_e32 v3, vcc, 0, v1, vcc
	v_add_co_u32_e32 v0, vcc, 0x2000, v0
	flat_store_short v[2:3], v14
	flat_store_short v[2:3], v15 offset:512
	flat_store_short v[2:3], v16 offset:1024
	;; [unrolled: 1-line block ×7, first 2 shown]
	v_addc_co_u32_e32 v1, vcc, 0, v1, vcc
                                        ; implicit-def: $vgpr2_vgpr3_vgpr4_vgpr5
	flat_store_short v[0:1], v22
	flat_store_short v[0:1], v23 offset:512
	flat_store_short v[0:1], v24 offset:1024
	;; [unrolled: 1-line block ×7, first 2 shown]
                                        ; implicit-def: $vgpr6_vgpr7_vgpr8_vgpr9
                                        ; implicit-def: $vgpr0
                                        ; implicit-def: $vgpr30_vgpr31
                                        ; implicit-def: $vgpr1
                                        ; implicit-def: $vgpr32
                                        ; implicit-def: $vgpr33
                                        ; implicit-def: $vgpr34
                                        ; implicit-def: $vgpr35
                                        ; implicit-def: $vgpr36
                                        ; implicit-def: $vgpr37
                                        ; implicit-def: $vgpr38
                                        ; implicit-def: $vgpr87
                                        ; implicit-def: $vgpr96
                                        ; implicit-def: $vgpr39
                                        ; implicit-def: $vgpr64
                                        ; implicit-def: $vgpr49
                                        ; implicit-def: $vgpr65
                                        ; implicit-def: $vgpr50
                                        ; implicit-def: $vgpr66
                                        ; implicit-def: $vgpr51
                                        ; implicit-def: $vgpr67
                                        ; implicit-def: $vgpr52
                                        ; implicit-def: $vgpr68
                                        ; implicit-def: $vgpr53
                                        ; implicit-def: $vgpr69
                                        ; implicit-def: $vgpr54
                                        ; implicit-def: $vgpr71
                                        ; implicit-def: $vgpr55
                                        ; implicit-def: $vgpr2_vgpr3
                                        ; implicit-def: $vgpr48
                                        ; implicit-def: $vgpr10
.LBB408_413:
	s_andn2_saveexec_b64 s[2:3], s[0:1]
	s_cbranch_execz .LBB408_554
; %bb.414:
	s_mov_b32 s0, 0x5040100
	v_perm_b32 v15, v87, v38, s0
	v_perm_b32 v14, v37, v36, s0
	;; [unrolled: 1-line block ×4, first 2 shown]
	ds_write_b128 v1, v[12:15]
	v_perm_b32 v15, v51, v66, s0
	v_perm_b32 v14, v50, v65, s0
	;; [unrolled: 1-line block ×4, first 2 shown]
	ds_write_b128 v1, v[12:15] offset:16
	v_perm_b32 v15, v55, v71, s0
	v_perm_b32 v14, v54, v69, s0
	;; [unrolled: 1-line block ×4, first 2 shown]
	ds_write_b128 v1, v[12:15] offset:32
	s_waitcnt lgkmcnt(0)
	s_barrier
	ds_read_u16 v7, v10
	ds_read_u16 v6, v10 offset:512
	ds_read_u16 v13, v10 offset:1024
	;; [unrolled: 1-line block ×23, first 2 shown]
	v_mov_b32_e32 v11, 0
	v_lshl_add_u64 v[2:3], v[2:3], 0, v[10:11]
	v_cmp_lt_u32_e32 vcc, v0, v30
	s_and_saveexec_b64 s[0:1], vcc
	s_cbranch_execz .LBB408_416
; %bb.415:
	s_waitcnt lgkmcnt(0)
	flat_store_short v[2:3], v7
.LBB408_416:
	s_or_b64 exec, exec, s[0:1]
	v_add_u32_e32 v1, 0x100, v0
	v_cmp_lt_u32_e32 vcc, v1, v30
	s_and_saveexec_b64 s[0:1], vcc
	s_cbranch_execz .LBB408_418
; %bb.417:
	s_waitcnt lgkmcnt(0)
	flat_store_short v[2:3], v6 offset:512
.LBB408_418:
	s_or_b64 exec, exec, s[0:1]
	v_add_u32_e32 v1, 0x200, v0
	v_cmp_lt_u32_e32 vcc, v1, v30
	s_and_saveexec_b64 s[0:1], vcc
	s_cbranch_execz .LBB408_420
; %bb.419:
	s_waitcnt lgkmcnt(0)
	flat_store_short v[2:3], v13 offset:1024
.LBB408_420:
	;; [unrolled: 9-line block ×3, first 2 shown]
	s_or_b64 exec, exec, s[0:1]
	v_or_b32_e32 v1, 0x400, v0
	v_cmp_lt_u32_e32 vcc, v1, v30
	s_and_saveexec_b64 s[0:1], vcc
	s_cbranch_execz .LBB408_424
; %bb.423:
	s_waitcnt lgkmcnt(0)
	flat_store_short v[2:3], v12 offset:2048
.LBB408_424:
	s_or_b64 exec, exec, s[0:1]
	v_add_u32_e32 v1, 0x500, v0
	v_cmp_lt_u32_e32 vcc, v1, v30
	s_and_saveexec_b64 s[0:1], vcc
	s_cbranch_execz .LBB408_426
; %bb.425:
	s_waitcnt lgkmcnt(0)
	flat_store_short v[2:3], v15 offset:2560
.LBB408_426:
	s_or_b64 exec, exec, s[0:1]
	v_add_u32_e32 v1, 0x600, v0
	;; [unrolled: 9-line block ×3, first 2 shown]
	v_cmp_lt_u32_e32 vcc, v1, v30
	s_and_saveexec_b64 s[0:1], vcc
	s_cbranch_execz .LBB408_430
; %bb.429:
	s_waitcnt lgkmcnt(0)
	flat_store_short v[2:3], v21 offset:3584
.LBB408_430:
	s_or_b64 exec, exec, s[0:1]
	v_or_b32_e32 v1, 0x800, v0
	v_cmp_lt_u32_e32 vcc, v1, v30
	s_and_saveexec_b64 s[0:1], vcc
	s_cbranch_execz .LBB408_432
; %bb.431:
	v_add_co_u32_e32 v36, vcc, 0x1000, v2
	s_nop 1
	v_addc_co_u32_e32 v37, vcc, 0, v3, vcc
	s_waitcnt lgkmcnt(0)
	flat_store_short v[36:37], v22
.LBB408_432:
	s_or_b64 exec, exec, s[0:1]
	v_add_u32_e32 v1, 0x900, v0
	v_cmp_lt_u32_e32 vcc, v1, v30
	s_and_saveexec_b64 s[0:1], vcc
	s_cbranch_execz .LBB408_434
; %bb.433:
	v_add_co_u32_e32 v36, vcc, 0x1000, v2
	s_nop 1
	v_addc_co_u32_e32 v37, vcc, 0, v3, vcc
	s_waitcnt lgkmcnt(0)
	flat_store_short v[36:37], v29 offset:512
.LBB408_434:
	s_or_b64 exec, exec, s[0:1]
	v_add_u32_e32 v1, 0xa00, v0
	v_cmp_lt_u32_e32 vcc, v1, v30
	s_and_saveexec_b64 s[0:1], vcc
	s_cbranch_execz .LBB408_436
; %bb.435:
	v_add_co_u32_e32 v36, vcc, 0x1000, v2
	s_nop 1
	v_addc_co_u32_e32 v37, vcc, 0, v3, vcc
	s_waitcnt lgkmcnt(0)
	flat_store_short v[36:37], v26 offset:1024
.LBB408_436:
	;; [unrolled: 12-line block ×3, first 2 shown]
	s_or_b64 exec, exec, s[0:1]
	v_or_b32_e32 v1, 0xc00, v0
	v_cmp_lt_u32_e32 vcc, v1, v30
	s_and_saveexec_b64 s[0:1], vcc
	s_cbranch_execz .LBB408_440
; %bb.439:
	v_add_co_u32_e32 v36, vcc, 0x1000, v2
	s_nop 1
	v_addc_co_u32_e32 v37, vcc, 0, v3, vcc
	s_waitcnt lgkmcnt(0)
	flat_store_short v[36:37], v24 offset:2048
.LBB408_440:
	s_or_b64 exec, exec, s[0:1]
	v_add_u32_e32 v1, 0xd00, v0
	v_cmp_lt_u32_e32 vcc, v1, v30
	s_and_saveexec_b64 s[0:1], vcc
	s_cbranch_execz .LBB408_442
; %bb.441:
	v_add_co_u32_e32 v36, vcc, 0x1000, v2
	s_nop 1
	v_addc_co_u32_e32 v37, vcc, 0, v3, vcc
	s_waitcnt lgkmcnt(0)
	flat_store_short v[36:37], v19 offset:2560
.LBB408_442:
	s_or_b64 exec, exec, s[0:1]
	v_add_u32_e32 v1, 0xe00, v0
	;; [unrolled: 12-line block ×3, first 2 shown]
	v_cmp_lt_u32_e32 vcc, v1, v30
	s_and_saveexec_b64 s[0:1], vcc
	s_cbranch_execz .LBB408_446
; %bb.445:
	v_add_co_u32_e32 v36, vcc, 0x1000, v2
	s_nop 1
	v_addc_co_u32_e32 v37, vcc, 0, v3, vcc
	s_waitcnt lgkmcnt(0)
	flat_store_short v[36:37], v16 offset:3584
.LBB408_446:
	s_or_b64 exec, exec, s[0:1]
	v_or_b32_e32 v1, 0x1000, v0
	v_cmp_lt_u32_e32 vcc, v1, v30
	s_and_saveexec_b64 s[0:1], vcc
	s_cbranch_execz .LBB408_448
; %bb.447:
	v_add_co_u32_e32 v36, vcc, 0x2000, v2
	s_nop 1
	v_addc_co_u32_e32 v37, vcc, 0, v3, vcc
	s_waitcnt lgkmcnt(0)
	flat_store_short v[36:37], v28
.LBB408_448:
	s_or_b64 exec, exec, s[0:1]
	v_add_u32_e32 v1, 0x1100, v0
	v_cmp_lt_u32_e32 vcc, v1, v30
	s_and_saveexec_b64 s[0:1], vcc
	s_cbranch_execz .LBB408_450
; %bb.449:
	v_add_co_u32_e32 v36, vcc, 0x2000, v2
	s_nop 1
	v_addc_co_u32_e32 v37, vcc, 0, v3, vcc
	s_waitcnt lgkmcnt(0)
	flat_store_short v[36:37], v34 offset:512
.LBB408_450:
	s_or_b64 exec, exec, s[0:1]
	v_add_u32_e32 v1, 0x1200, v0
	v_cmp_lt_u32_e32 vcc, v1, v30
	s_and_saveexec_b64 s[0:1], vcc
	s_cbranch_execz .LBB408_452
; %bb.451:
	v_add_co_u32_e32 v36, vcc, 0x2000, v2
	s_nop 1
	v_addc_co_u32_e32 v37, vcc, 0, v3, vcc
	s_waitcnt lgkmcnt(0)
	flat_store_short v[36:37], v32 offset:1024
.LBB408_452:
	s_or_b64 exec, exec, s[0:1]
	v_add_u32_e32 v1, 0x1300, v0
	v_cmp_lt_u32_e32 vcc, v1, v30
	s_and_saveexec_b64 s[0:1], vcc
	s_cbranch_execz .LBB408_454
; %bb.453:
	v_add_co_u32_e32 v36, vcc, 0x2000, v2
	s_nop 1
	v_addc_co_u32_e32 v37, vcc, 0, v3, vcc
	s_waitcnt lgkmcnt(0)
	flat_store_short v[36:37], v27 offset:1536
.LBB408_454:
	s_or_b64 exec, exec, s[0:1]
	v_or_b32_e32 v1, 0x1400, v0
	v_cmp_lt_u32_e32 vcc, v1, v30
	s_and_saveexec_b64 s[0:1], vcc
	s_cbranch_execz .LBB408_456
; %bb.455:
	v_add_co_u32_e32 v36, vcc, 0x2000, v2
	s_nop 1
	v_addc_co_u32_e32 v37, vcc, 0, v3, vcc
	s_waitcnt lgkmcnt(0)
	flat_store_short v[36:37], v18 offset:2048
.LBB408_456:
	s_or_b64 exec, exec, s[0:1]
	v_add_u32_e32 v1, 0x1500, v0
	v_cmp_lt_u32_e32 vcc, v1, v30
	s_and_saveexec_b64 s[0:1], vcc
	s_cbranch_execz .LBB408_458
; %bb.457:
	v_add_co_u32_e32 v36, vcc, 0x2000, v2
	s_nop 1
	v_addc_co_u32_e32 v37, vcc, 0, v3, vcc
	s_waitcnt lgkmcnt(0)
	flat_store_short v[36:37], v17 offset:2560
.LBB408_458:
	s_or_b64 exec, exec, s[0:1]
	v_add_u32_e32 v1, 0x1600, v0
	;; [unrolled: 12-line block ×3, first 2 shown]
	v_cmp_lt_u32_e32 vcc, v1, v30
	s_and_saveexec_b64 s[0:1], vcc
	s_cbranch_execz .LBB408_462
; %bb.461:
	v_add_co_u32_e32 v2, vcc, 0x2000, v2
	s_nop 1
	v_addc_co_u32_e32 v3, vcc, 0, v3, vcc
	s_waitcnt lgkmcnt(0)
	flat_store_short v[2:3], v35 offset:3584
.LBB408_462:
	s_or_b64 exec, exec, s[0:1]
	v_cmp_lt_u64_e32 vcc, 1, v[8:9]
	s_and_saveexec_b64 s[4:5], vcc
	s_cbranch_execz .LBB408_553
; %bb.463:
	s_add_u32 s0, 0, 0xaaaa0000
	s_addc_u32 s1, 0, 42
	s_add_i32 s1, s1, 0xaaaaa80
	s_mul_hi_u32 s9, s0, 0xffffffe8
	s_sub_i32 s9, s9, s0
	s_mul_i32 s10, s1, 0xffffffe8
	s_mul_i32 s6, s0, 0xffffffe8
	s_add_i32 s9, s9, s10
	s_mul_hi_u32 s7, s1, s6
	s_mul_i32 s8, s1, s6
	s_mul_i32 s11, s0, s9
	s_mul_hi_u32 s6, s0, s6
	s_mul_hi_u32 s10, s0, s9
	s_add_u32 s6, s6, s11
	s_addc_u32 s10, 0, s10
	s_add_u32 s6, s6, s8
	s_mul_hi_u32 s11, s1, s9
	s_addc_u32 s6, s10, s7
	s_addc_u32 s7, s11, 0
	s_mul_i32 s8, s1, s9
	s_add_u32 s6, s6, s8
	v_mov_b32_e32 v8, s6
	s_addc_u32 s7, 0, s7
	v_add_co_u32_e32 v36, vcc, s0, v8
	s_cmp_lg_u64 vcc, 0
	v_lshl_add_u64 v[2:3], v[30:31], 0, -1
	s_addc_u32 s6, s1, s7
	v_mov_b32_e32 v1, v11
	v_mad_u64_u32 v[8:9], s[0:1], v2, s6, 0
	v_mul_hi_u32 v10, v2, v36
	v_mov_b32_e32 v11, 0
	v_lshl_add_u64 v[8:9], v[10:11], 0, v[8:9]
	v_mad_u64_u32 v[36:37], s[0:1], v3, v36, 0
	v_add_co_u32_e32 v8, vcc, v8, v36
	v_mad_u64_u32 v[30:31], s[0:1], v3, s6, 0
	s_nop 0
	v_addc_co_u32_e32 v10, vcc, v9, v37, vcc
	s_nop 1
	v_addc_co_u32_e32 v31, vcc, 0, v31, vcc
	v_lshl_add_u64 v[8:9], v[10:11], 0, v[30:31]
	v_mad_u64_u32 v[10:11], s[0:1], v8, 24, 0
	v_mov_b32_e32 v30, v11
	v_mad_u64_u32 v[30:31], s[0:1], v9, 24, v[30:31]
	v_sub_co_u32_e32 v36, vcc, v2, v10
	v_cmp_lt_u32_e64 s[0:1], 23, v36
	s_nop 0
	v_subb_co_u32_e32 v37, vcc, v3, v30, vcc
	v_subrev_co_u32_e32 v10, vcc, 24, v36
	v_lshl_add_u64 v[30:31], v[8:9], 0, 1
	s_nop 0
	v_subbrev_co_u32_e32 v11, vcc, 0, v37, vcc
	v_cmp_lt_u32_e32 vcc, 23, v10
	s_nop 1
	v_cndmask_b32_e64 v10, 0, -1, vcc
	v_cmp_eq_u32_e32 vcc, 0, v11
	s_nop 1
	v_cndmask_b32_e32 v38, -1, v10, vcc
	v_lshl_add_u64 v[10:11], v[8:9], 0, 2
	v_cmp_ne_u32_e32 vcc, 0, v38
	s_nop 1
	v_cndmask_b32_e32 v11, v31, v11, vcc
	v_cndmask_b32_e64 v31, 0, -1, s[0:1]
	v_cmp_eq_u32_e64 s[0:1], 0, v37
	v_cndmask_b32_e32 v10, v30, v10, vcc
	s_nop 0
	v_cndmask_b32_e64 v31, -1, v31, s[0:1]
	v_cmp_ne_u32_e64 s[0:1], 0, v31
	s_nop 1
	v_cndmask_b32_e64 v9, v9, v11, s[0:1]
	v_cndmask_b32_e64 v8, v8, v10, s[0:1]
	v_cmp_eq_u64_e32 vcc, v[8:9], v[0:1]
	s_and_b64 exec, exec, vcc
	s_cbranch_execz .LBB408_553
; %bb.464:
	v_mul_hi_u32_u24_e32 v1, 24, v0
	v_sub_co_u32_e32 v0, vcc, v2, v48
	s_mov_b64 s[0:1], 0
	s_nop 0
	v_subb_co_u32_e32 v1, vcc, v3, v1, vcc
	v_cmp_lt_i64_e32 vcc, 11, v[0:1]
	s_mov_b64 s[12:13], 0
	s_mov_b64 s[10:11], 0
	;; [unrolled: 1-line block ×3, first 2 shown]
	s_and_saveexec_b64 s[6:7], vcc
	s_xor_b64 s[6:7], exec, s[6:7]
	s_cbranch_execnz .LBB408_470
; %bb.465:
	s_andn2_saveexec_b64 s[6:7], s[6:7]
	s_cbranch_execnz .LBB408_515
.LBB408_466:
	s_or_b64 exec, exec, s[6:7]
	s_and_saveexec_b64 s[6:7], s[12:13]
	s_cbranch_execnz .LBB408_532
.LBB408_467:
	s_or_b64 exec, exec, s[6:7]
	s_and_saveexec_b64 s[6:7], s[10:11]
	s_cbranch_execnz .LBB408_533
.LBB408_468:
	s_or_b64 exec, exec, s[6:7]
	s_and_saveexec_b64 s[6:7], s[8:9]
	s_xor_b64 s[6:7], exec, s[6:7]
	s_cbranch_execnz .LBB408_534
.LBB408_469:
	s_or_b64 exec, exec, s[6:7]
	s_and_b64 exec, exec, s[0:1]
	s_cbranch_execnz .LBB408_535
	s_branch .LBB408_553
.LBB408_470:
	v_cmp_lt_i64_e32 vcc, 17, v[0:1]
	s_and_saveexec_b64 s[14:15], vcc
	s_xor_b64 s[14:15], exec, s[14:15]
	s_cbranch_execz .LBB408_492
; %bb.471:
	v_cmp_lt_i64_e32 vcc, 20, v[0:1]
                                        ; implicit-def: $vgpr16
	s_and_saveexec_b64 s[16:17], vcc
	s_xor_b64 s[16:17], exec, s[16:17]
	s_cbranch_execz .LBB408_481
; %bb.472:
	v_cmp_lt_i64_e32 vcc, 21, v[0:1]
	s_mov_b64 s[18:19], 0
                                        ; implicit-def: $vgpr16
	s_and_saveexec_b64 s[8:9], vcc
	s_xor_b64 s[8:9], exec, s[8:9]
	s_cbranch_execz .LBB408_478
; %bb.473:
	v_cmp_lt_i64_e32 vcc, 22, v[0:1]
	s_and_saveexec_b64 s[18:19], vcc
	s_xor_b64 s[18:19], exec, s[18:19]
	s_cbranch_execz .LBB408_475
; %bb.474:
	s_waitcnt lgkmcnt(0)
	flat_store_short v[4:5], v35
                                        ; implicit-def: $vgpr33
.LBB408_475:
	s_or_saveexec_b64 s[18:19], s[18:19]
	s_mov_b64 s[20:21], 0
	s_xor_b64 exec, exec, s[18:19]
; %bb.476:
	s_mov_b64 s[20:21], exec
; %bb.477:
	s_or_b64 exec, exec, s[18:19]
	s_and_b64 s[18:19], s[20:21], exec
	s_waitcnt lgkmcnt(0)
	v_mov_b32_e32 v16, v33
                                        ; implicit-def: $vgpr17
.LBB408_478:
	s_andn2_saveexec_b64 s[8:9], s[8:9]
; %bb.479:
	s_mov_b64 s[10:11], exec
                                        ; implicit-def: $vgpr16
; %bb.480:
	s_or_b64 exec, exec, s[8:9]
	s_and_b64 s[8:9], s[18:19], exec
	s_and_b64 s[10:11], s[10:11], exec
                                        ; implicit-def: $vgpr32
                                        ; implicit-def: $vgpr18
                                        ; implicit-def: $vgpr27
.LBB408_481:
	s_andn2_saveexec_b64 s[16:17], s[16:17]
	s_cbranch_execz .LBB408_491
; %bb.482:
	v_cmp_lt_i64_e32 vcc, 18, v[0:1]
	s_mov_b64 s[18:19], 0
	s_and_saveexec_b64 s[12:13], vcc
	s_xor_b64 s[12:13], exec, s[12:13]
	s_cbranch_execz .LBB408_488
; %bb.483:
	v_cmp_lt_i64_e32 vcc, 19, v[0:1]
	s_and_saveexec_b64 s[20:21], vcc
	s_xor_b64 s[20:21], exec, s[20:21]
; %bb.484:
	s_mov_b64 s[18:19], exec
                                        ; implicit-def: $vgpr27
; %bb.485:
	s_andn2_saveexec_b64 s[20:21], s[20:21]
	s_cbranch_execz .LBB408_487
; %bb.486:
	s_waitcnt lgkmcnt(0)
	flat_store_short v[4:5], v27
                                        ; implicit-def: $vgpr18
.LBB408_487:
	s_or_b64 exec, exec, s[20:21]
	s_and_b64 s[18:19], s[18:19], exec
                                        ; implicit-def: $vgpr32
.LBB408_488:
	s_andn2_saveexec_b64 s[12:13], s[12:13]
	s_cbranch_execz .LBB408_490
; %bb.489:
	s_waitcnt lgkmcnt(0)
	flat_store_short v[4:5], v32
                                        ; implicit-def: $vgpr18
.LBB408_490:
	s_or_b64 exec, exec, s[12:13]
	s_and_b64 s[12:13], s[18:19], exec
                                        ; implicit-def: $vgpr16
                                        ; implicit-def: $vgpr17
.LBB408_491:
	s_or_b64 exec, exec, s[16:17]
	s_and_b64 s[8:9], s[8:9], exec
	s_and_b64 s[10:11], s[10:11], exec
	;; [unrolled: 1-line block ×3, first 2 shown]
                                        ; implicit-def: $vgpr24
                                        ; implicit-def: $vgpr19
                                        ; implicit-def: $vgpr20
                                        ; implicit-def: $vgpr28
                                        ; implicit-def: $vgpr34
.LBB408_492:
	s_andn2_saveexec_b64 s[14:15], s[14:15]
	s_cbranch_execz .LBB408_514
; %bb.493:
	v_cmp_lt_i64_e32 vcc, 14, v[0:1]
	s_mov_b64 s[16:17], s[8:9]
	s_and_saveexec_b64 s[18:19], vcc
	s_xor_b64 s[18:19], exec, s[18:19]
	s_cbranch_execz .LBB408_503
; %bb.494:
	v_cmp_lt_i64_e32 vcc, 15, v[0:1]
	s_and_saveexec_b64 s[16:17], vcc
	s_xor_b64 s[16:17], exec, s[16:17]
	s_cbranch_execz .LBB408_500
; %bb.495:
	v_cmp_lt_i64_e32 vcc, 16, v[0:1]
	s_and_saveexec_b64 s[20:21], vcc
	s_xor_b64 s[20:21], exec, s[20:21]
	s_cbranch_execz .LBB408_497
; %bb.496:
	s_waitcnt lgkmcnt(0)
	flat_store_short v[4:5], v34
                                        ; implicit-def: $vgpr28
.LBB408_497:
	s_andn2_saveexec_b64 s[20:21], s[20:21]
	s_cbranch_execz .LBB408_499
; %bb.498:
	s_waitcnt lgkmcnt(0)
	flat_store_short v[4:5], v28
.LBB408_499:
	s_or_b64 exec, exec, s[20:21]
                                        ; implicit-def: $vgpr16
.LBB408_500:
	s_or_saveexec_b64 s[16:17], s[16:17]
	s_mov_b64 s[20:21], s[8:9]
	s_xor_b64 exec, exec, s[16:17]
; %bb.501:
	s_or_b64 s[20:21], s[8:9], exec
; %bb.502:
	s_or_b64 exec, exec, s[16:17]
	s_andn2_b64 s[16:17], s[8:9], exec
	s_and_b64 s[20:21], s[20:21], exec
	s_or_b64 s[16:17], s[16:17], s[20:21]
                                        ; implicit-def: $vgpr24
                                        ; implicit-def: $vgpr19
                                        ; implicit-def: $vgpr20
.LBB408_503:
	s_or_saveexec_b64 s[18:19], s[18:19]
	s_mov_b64 s[20:21], s[10:11]
                                        ; implicit-def: $vgpr17
	s_xor_b64 exec, exec, s[18:19]
	s_cbranch_execz .LBB408_513
; %bb.504:
	v_cmp_lt_i64_e32 vcc, 12, v[0:1]
	s_mov_b64 s[22:23], s[10:11]
	s_mov_b64 s[24:25], s[16:17]
                                        ; implicit-def: $vgpr16
                                        ; implicit-def: $vgpr17
	s_and_saveexec_b64 s[20:21], vcc
	s_xor_b64 s[20:21], exec, s[20:21]
	s_cbranch_execz .LBB408_510
; %bb.505:
	v_cmp_lt_i64_e32 vcc, 13, v[0:1]
	s_mov_b64 s[22:23], s[16:17]
	s_and_saveexec_b64 s[24:25], vcc
	s_xor_b64 s[24:25], exec, s[24:25]
; %bb.506:
	s_or_b64 s[22:23], s[16:17], exec
                                        ; implicit-def: $vgpr19
; %bb.507:
	s_or_saveexec_b64 s[24:25], s[24:25]
	s_mov_b64 s[26:27], s[10:11]
	s_xor_b64 exec, exec, s[24:25]
; %bb.508:
	s_or_b64 s[26:27], s[10:11], exec
                                        ; implicit-def: $vgpr20
; %bb.509:
	s_or_b64 exec, exec, s[24:25]
	s_andn2_b64 s[24:25], s[16:17], exec
	s_and_b64 s[22:23], s[22:23], exec
	s_or_b64 s[24:25], s[24:25], s[22:23]
	s_andn2_b64 s[22:23], s[10:11], exec
	s_and_b64 s[26:27], s[26:27], exec
	s_or_b64 s[22:23], s[22:23], s[26:27]
	s_waitcnt lgkmcnt(0)
	v_mov_b32_e32 v16, v20
	v_mov_b32_e32 v17, v19
                                        ; implicit-def: $vgpr24
.LBB408_510:
	s_andn2_saveexec_b64 s[20:21], s[20:21]
	s_cbranch_execz .LBB408_512
; %bb.511:
	s_or_b64 s[22:23], s[22:23], exec
                                        ; implicit-def: $vgpr16
	s_waitcnt lgkmcnt(0)
	v_mov_b32_e32 v17, v24
.LBB408_512:
	s_or_b64 exec, exec, s[20:21]
	s_andn2_b64 s[16:17], s[16:17], exec
	s_and_b64 s[20:21], s[24:25], exec
	s_or_b64 s[16:17], s[16:17], s[20:21]
	s_andn2_b64 s[20:21], s[10:11], exec
	s_and_b64 s[22:23], s[22:23], exec
	s_or_b64 s[20:21], s[20:21], s[22:23]
.LBB408_513:
	s_or_b64 exec, exec, s[18:19]
	s_andn2_b64 s[8:9], s[8:9], exec
	s_and_b64 s[16:17], s[16:17], exec
	s_or_b64 s[8:9], s[8:9], s[16:17]
	s_andn2_b64 s[10:11], s[10:11], exec
	s_and_b64 s[16:17], s[20:21], exec
	s_or_b64 s[10:11], s[10:11], s[16:17]
                                        ; implicit-def: $vgpr18
.LBB408_514:
	s_or_b64 exec, exec, s[14:15]
	s_and_b64 s[8:9], s[8:9], exec
	s_and_b64 s[10:11], s[10:11], exec
	;; [unrolled: 1-line block ×3, first 2 shown]
                                        ; implicit-def: $vgpr23
                                        ; implicit-def: $vgpr21
                                        ; implicit-def: $vgpr22
                                        ; implicit-def: $vgpr29
                                        ; implicit-def: $vgpr26
                                        ; implicit-def: $vgpr25
	s_andn2_saveexec_b64 s[6:7], s[6:7]
	s_cbranch_execz .LBB408_466
.LBB408_515:
	v_cmp_lt_i64_e32 vcc, 5, v[0:1]
	s_mov_b64 s[16:17], -1
	s_mov_b64 s[14:15], s[12:13]
	s_mov_b64 s[18:19], s[10:11]
	;; [unrolled: 1-line block ×3, first 2 shown]
                                        ; implicit-def: $vgpr16
                                        ; implicit-def: $vgpr17
                                        ; implicit-def: $vgpr18
	s_and_saveexec_b64 s[0:1], vcc
	s_cbranch_execz .LBB408_531
; %bb.516:
	v_cmp_lt_i64_e32 vcc, 8, v[0:1]
	s_mov_b64 s[14:15], s[12:13]
                                        ; implicit-def: $vgpr18
	s_and_saveexec_b64 s[16:17], vcc
	s_xor_b64 s[16:17], exec, s[16:17]
	s_cbranch_execz .LBB408_526
; %bb.517:
	v_cmp_lt_i64_e32 vcc, 9, v[0:1]
	s_and_saveexec_b64 s[14:15], vcc
	s_xor_b64 s[14:15], exec, s[14:15]
	s_cbranch_execz .LBB408_523
; %bb.518:
	v_cmp_lt_i64_e32 vcc, 10, v[0:1]
	s_and_saveexec_b64 s[18:19], vcc
	s_xor_b64 s[18:19], exec, s[18:19]
; %bb.519:
                                        ; implicit-def: $vgpr26
; %bb.520:
	s_andn2_saveexec_b64 s[18:19], s[18:19]
	s_cbranch_execz .LBB408_522
; %bb.521:
	s_waitcnt lgkmcnt(0)
	v_mov_b32_e32 v25, v26
.LBB408_522:
	s_or_b64 exec, exec, s[18:19]
                                        ; implicit-def: $vgpr29
.LBB408_523:
	s_andn2_saveexec_b64 s[14:15], s[14:15]
	s_cbranch_execz .LBB408_525
; %bb.524:
	s_waitcnt lgkmcnt(0)
	v_mov_b32_e32 v25, v29
.LBB408_525:
	s_or_b64 exec, exec, s[14:15]
	s_or_b64 s[14:15], s[12:13], exec
	s_waitcnt lgkmcnt(0)
	v_mov_b32_e32 v18, v25
                                        ; implicit-def: $vgpr23
                                        ; implicit-def: $vgpr21
                                        ; implicit-def: $vgpr22
.LBB408_526:
	s_or_saveexec_b64 s[16:17], s[16:17]
	s_mov_b64 s[18:19], s[10:11]
	s_mov_b64 s[22:23], s[8:9]
                                        ; implicit-def: $vgpr16
                                        ; implicit-def: $vgpr17
	s_xor_b64 exec, exec, s[16:17]
	s_cbranch_execz .LBB408_530
; %bb.527:
	v_cmp_lt_i64_e32 vcc, 6, v[0:1]
	s_mov_b64 s[22:23], -1
	s_mov_b64 s[20:21], s[14:15]
	s_mov_b64 s[18:19], s[10:11]
	s_and_saveexec_b64 s[24:25], vcc
; %bb.528:
	v_cmp_lt_i64_e32 vcc, 7, v[0:1]
	s_andn2_b64 s[20:21], s[14:15], exec
	s_and_b64 s[26:27], vcc, exec
	s_xor_b64 s[22:23], exec, -1
	s_or_b64 s[18:19], s[10:11], exec
	s_or_b64 s[20:21], s[20:21], s[26:27]
                                        ; implicit-def: $vgpr23
; %bb.529:
	s_or_b64 exec, exec, s[24:25]
	s_andn2_b64 s[24:25], s[8:9], exec
	s_and_b64 s[22:23], s[22:23], exec
	s_or_b64 s[22:23], s[24:25], s[22:23]
	s_andn2_b64 s[24:25], s[10:11], exec
	s_and_b64 s[18:19], s[18:19], exec
	s_andn2_b64 s[14:15], s[14:15], exec
	s_and_b64 s[20:21], s[20:21], exec
	s_or_b64 s[18:19], s[24:25], s[18:19]
	s_or_b64 s[14:15], s[14:15], s[20:21]
	s_waitcnt lgkmcnt(0)
	v_mov_b32_e32 v16, v23
	v_mov_b32_e32 v17, v21
	;; [unrolled: 1-line block ×3, first 2 shown]
.LBB408_530:
	s_or_b64 exec, exec, s[16:17]
	s_andn2_b64 s[20:21], s[8:9], exec
	s_and_b64 s[22:23], s[22:23], exec
	s_or_b64 s[20:21], s[20:21], s[22:23]
	s_andn2_b64 s[22:23], s[10:11], exec
	s_and_b64 s[18:19], s[18:19], exec
	s_or_b64 s[18:19], s[22:23], s[18:19]
	s_andn2_b64 s[22:23], s[12:13], exec
	s_and_b64 s[14:15], s[14:15], exec
	s_xor_b64 s[16:17], exec, -1
	s_or_b64 s[14:15], s[22:23], s[14:15]
.LBB408_531:
	s_or_b64 exec, exec, s[0:1]
	s_and_b64 s[0:1], s[16:17], exec
	s_andn2_b64 s[8:9], s[8:9], exec
	s_and_b64 s[16:17], s[20:21], exec
	s_or_b64 s[8:9], s[8:9], s[16:17]
	s_andn2_b64 s[10:11], s[10:11], exec
	s_and_b64 s[16:17], s[18:19], exec
	s_andn2_b64 s[12:13], s[12:13], exec
	s_and_b64 s[14:15], s[14:15], exec
	s_or_b64 s[10:11], s[10:11], s[16:17]
	s_or_b64 s[12:13], s[12:13], s[14:15]
	s_or_b64 exec, exec, s[6:7]
	s_and_saveexec_b64 s[6:7], s[12:13]
	s_cbranch_execz .LBB408_467
.LBB408_532:
	s_andn2_b64 s[10:11], s[10:11], exec
	s_waitcnt lgkmcnt(0)
	flat_store_short v[4:5], v18
                                        ; implicit-def: $vgpr16
                                        ; implicit-def: $vgpr17
	s_or_b64 exec, exec, s[6:7]
	s_and_saveexec_b64 s[6:7], s[10:11]
	s_cbranch_execz .LBB408_468
.LBB408_533:
	s_waitcnt lgkmcnt(0)
	flat_store_short v[4:5], v17
                                        ; implicit-def: $vgpr16
	s_or_b64 exec, exec, s[6:7]
	s_and_saveexec_b64 s[6:7], s[8:9]
	s_xor_b64 s[6:7], exec, s[6:7]
	s_cbranch_execz .LBB408_469
.LBB408_534:
	s_waitcnt lgkmcnt(0)
	flat_store_short v[4:5], v16
	s_or_b64 exec, exec, s[6:7]
	s_and_b64 exec, exec, s[0:1]
	s_cbranch_execz .LBB408_553
.LBB408_535:
	v_cmp_lt_i64_e32 vcc, 2, v[0:1]
	s_and_saveexec_b64 s[0:1], vcc
	s_xor_b64 s[0:1], exec, s[0:1]
	s_cbranch_execz .LBB408_545
; %bb.536:
	v_cmp_lt_i64_e32 vcc, 3, v[0:1]
	s_and_saveexec_b64 s[6:7], vcc
	s_xor_b64 s[6:7], exec, s[6:7]
	s_cbranch_execz .LBB408_542
; %bb.537:
	;; [unrolled: 5-line block ×3, first 2 shown]
	s_waitcnt lgkmcnt(0)
	flat_store_short v[4:5], v15
                                        ; implicit-def: $vgpr4_vgpr5
                                        ; implicit-def: $vgpr12
.LBB408_539:
	s_andn2_saveexec_b64 s[8:9], s[8:9]
	s_cbranch_execz .LBB408_541
; %bb.540:
	s_waitcnt lgkmcnt(0)
	flat_store_short v[4:5], v12
.LBB408_541:
	s_or_b64 exec, exec, s[8:9]
                                        ; implicit-def: $vgpr4_vgpr5
                                        ; implicit-def: $vgpr14
.LBB408_542:
	s_andn2_saveexec_b64 s[6:7], s[6:7]
	s_cbranch_execz .LBB408_544
; %bb.543:
	s_waitcnt lgkmcnt(0)
	flat_store_short v[4:5], v14
.LBB408_544:
	s_or_b64 exec, exec, s[6:7]
                                        ; implicit-def: $vgpr0_vgpr1
                                        ; implicit-def: $vgpr4_vgpr5
                                        ; implicit-def: $vgpr13
                                        ; implicit-def: $vgpr6
                                        ; implicit-def: $vgpr7
.LBB408_545:
	s_andn2_saveexec_b64 s[0:1], s[0:1]
	s_cbranch_execz .LBB408_553
; %bb.546:
	v_cmp_lt_i64_e32 vcc, 1, v[0:1]
	s_and_saveexec_b64 s[0:1], vcc
	s_xor_b64 s[0:1], exec, s[0:1]
	s_cbranch_execz .LBB408_548
; %bb.547:
	s_waitcnt lgkmcnt(0)
	flat_store_short v[4:5], v13
                                        ; implicit-def: $vgpr4_vgpr5
                                        ; implicit-def: $vgpr6
                                        ; implicit-def: $vgpr0_vgpr1
                                        ; implicit-def: $vgpr7
.LBB408_548:
	s_andn2_saveexec_b64 s[0:1], s[0:1]
	s_cbranch_execz .LBB408_553
; %bb.549:
	v_cmp_ne_u64_e32 vcc, 1, v[0:1]
	s_and_saveexec_b64 s[0:1], vcc
	s_xor_b64 s[0:1], exec, s[0:1]
	s_cbranch_execz .LBB408_551
; %bb.550:
	s_waitcnt lgkmcnt(0)
	flat_store_short v[4:5], v7
                                        ; implicit-def: $vgpr4_vgpr5
                                        ; implicit-def: $vgpr6
.LBB408_551:
	s_andn2_saveexec_b64 s[0:1], s[0:1]
	s_cbranch_execz .LBB408_553
; %bb.552:
	s_waitcnt lgkmcnt(0)
	flat_store_short v[4:5], v6
.LBB408_553:
	s_or_b64 exec, exec, s[4:5]
.LBB408_554:
	s_or_b64 exec, exec, s[2:3]
	v_readlane_b32 s30, v40, 0
	v_readlane_b32 s31, v40, 1
	s_or_saveexec_b64 s[0:1], -1
	scratch_load_dword v40, off, s32        ; 4-byte Folded Reload
	s_mov_b64 exec, s[0:1]
	s_waitcnt vmcnt(0) lgkmcnt(0)
	s_setpc_b64 s[30:31]
.Lfunc_end408:
	.size	_ZZZN7rocprim17ROCPRIM_400000_NS6detail9scan_implILNS1_25lookback_scan_determinismE0ELb0ELb0ENS0_14default_configEPKN3c104HalfEPS6_S6_ZZZN2at6native31launch_logcumsumexp_cuda_kernelERKNSA_10TensorBaseESE_lENKUlvE_clEvENKUlvE3_clEvEUlS6_S6_E_S6_EEDaPvRmT3_T4_T5_mT6_P12ihipStream_tbENKUlT_T0_E_clISt17integral_constantIbLb1EESU_IbLb0EEEEDaSQ_SR_ENKUlSQ_E_clINS1_13target_configIS4_NS1_20scan_config_selectorIS6_EENS1_11comp_targetILNS1_3genE5ELNS1_11target_archE942ELNS1_3gpuE9ELNS1_3repE0EEELNS0_4arch9wavefront6targetE1EEEEEDaSQ_, .Lfunc_end408-_ZZZN7rocprim17ROCPRIM_400000_NS6detail9scan_implILNS1_25lookback_scan_determinismE0ELb0ELb0ENS0_14default_configEPKN3c104HalfEPS6_S6_ZZZN2at6native31launch_logcumsumexp_cuda_kernelERKNSA_10TensorBaseESE_lENKUlvE_clEvENKUlvE3_clEvEUlS6_S6_E_S6_EEDaPvRmT3_T4_T5_mT6_P12ihipStream_tbENKUlT_T0_E_clISt17integral_constantIbLb1EESU_IbLb0EEEEDaSQ_SR_ENKUlSQ_E_clINS1_13target_configIS4_NS1_20scan_config_selectorIS6_EENS1_11comp_targetILNS1_3genE5ELNS1_11target_archE942ELNS1_3gpuE9ELNS1_3repE0EEELNS0_4arch9wavefront6targetE1EEEEEDaSQ_
                                        ; -- End function
	.section	.AMDGPU.csdata,"",@progbits
; Function info:
; codeLenInByte = 116156
; NumSgprs: 80
; NumVgprs: 165
; NumAgprs: 0
; TotalNumVgprs: 165
; ScratchSize: 8
; MemoryBound: 0
	.section	.text._ZN7rocprim17ROCPRIM_400000_NS6detail17trampoline_kernelINS0_14default_configENS1_20scan_config_selectorIN3c104HalfEEEZZNS1_9scan_implILNS1_25lookback_scan_determinismE0ELb0ELb0ES3_PKS6_PS6_S6_ZZZN2at6native31launch_logcumsumexp_cuda_kernelERKNSD_10TensorBaseESH_lENKUlvE_clEvENKUlvE3_clEvEUlS6_S6_E_S6_EEDaPvRmT3_T4_T5_mT6_P12ihipStream_tbENKUlT_T0_E_clISt17integral_constantIbLb1EESX_IbLb0EEEEDaST_SU_EUlST_E_NS1_11comp_targetILNS1_3genE5ELNS1_11target_archE942ELNS1_3gpuE9ELNS1_3repE0EEENS1_30default_config_static_selectorELNS0_4arch9wavefront6targetE1EEEvT1_,"axG",@progbits,_ZN7rocprim17ROCPRIM_400000_NS6detail17trampoline_kernelINS0_14default_configENS1_20scan_config_selectorIN3c104HalfEEEZZNS1_9scan_implILNS1_25lookback_scan_determinismE0ELb0ELb0ES3_PKS6_PS6_S6_ZZZN2at6native31launch_logcumsumexp_cuda_kernelERKNSD_10TensorBaseESH_lENKUlvE_clEvENKUlvE3_clEvEUlS6_S6_E_S6_EEDaPvRmT3_T4_T5_mT6_P12ihipStream_tbENKUlT_T0_E_clISt17integral_constantIbLb1EESX_IbLb0EEEEDaST_SU_EUlST_E_NS1_11comp_targetILNS1_3genE5ELNS1_11target_archE942ELNS1_3gpuE9ELNS1_3repE0EEENS1_30default_config_static_selectorELNS0_4arch9wavefront6targetE1EEEvT1_,comdat
	.globl	_ZN7rocprim17ROCPRIM_400000_NS6detail17trampoline_kernelINS0_14default_configENS1_20scan_config_selectorIN3c104HalfEEEZZNS1_9scan_implILNS1_25lookback_scan_determinismE0ELb0ELb0ES3_PKS6_PS6_S6_ZZZN2at6native31launch_logcumsumexp_cuda_kernelERKNSD_10TensorBaseESH_lENKUlvE_clEvENKUlvE3_clEvEUlS6_S6_E_S6_EEDaPvRmT3_T4_T5_mT6_P12ihipStream_tbENKUlT_T0_E_clISt17integral_constantIbLb1EESX_IbLb0EEEEDaST_SU_EUlST_E_NS1_11comp_targetILNS1_3genE5ELNS1_11target_archE942ELNS1_3gpuE9ELNS1_3repE0EEENS1_30default_config_static_selectorELNS0_4arch9wavefront6targetE1EEEvT1_ ; -- Begin function _ZN7rocprim17ROCPRIM_400000_NS6detail17trampoline_kernelINS0_14default_configENS1_20scan_config_selectorIN3c104HalfEEEZZNS1_9scan_implILNS1_25lookback_scan_determinismE0ELb0ELb0ES3_PKS6_PS6_S6_ZZZN2at6native31launch_logcumsumexp_cuda_kernelERKNSD_10TensorBaseESH_lENKUlvE_clEvENKUlvE3_clEvEUlS6_S6_E_S6_EEDaPvRmT3_T4_T5_mT6_P12ihipStream_tbENKUlT_T0_E_clISt17integral_constantIbLb1EESX_IbLb0EEEEDaST_SU_EUlST_E_NS1_11comp_targetILNS1_3genE5ELNS1_11target_archE942ELNS1_3gpuE9ELNS1_3repE0EEENS1_30default_config_static_selectorELNS0_4arch9wavefront6targetE1EEEvT1_
	.p2align	8
	.type	_ZN7rocprim17ROCPRIM_400000_NS6detail17trampoline_kernelINS0_14default_configENS1_20scan_config_selectorIN3c104HalfEEEZZNS1_9scan_implILNS1_25lookback_scan_determinismE0ELb0ELb0ES3_PKS6_PS6_S6_ZZZN2at6native31launch_logcumsumexp_cuda_kernelERKNSD_10TensorBaseESH_lENKUlvE_clEvENKUlvE3_clEvEUlS6_S6_E_S6_EEDaPvRmT3_T4_T5_mT6_P12ihipStream_tbENKUlT_T0_E_clISt17integral_constantIbLb1EESX_IbLb0EEEEDaST_SU_EUlST_E_NS1_11comp_targetILNS1_3genE5ELNS1_11target_archE942ELNS1_3gpuE9ELNS1_3repE0EEENS1_30default_config_static_selectorELNS0_4arch9wavefront6targetE1EEEvT1_,@function
_ZN7rocprim17ROCPRIM_400000_NS6detail17trampoline_kernelINS0_14default_configENS1_20scan_config_selectorIN3c104HalfEEEZZNS1_9scan_implILNS1_25lookback_scan_determinismE0ELb0ELb0ES3_PKS6_PS6_S6_ZZZN2at6native31launch_logcumsumexp_cuda_kernelERKNSD_10TensorBaseESH_lENKUlvE_clEvENKUlvE3_clEvEUlS6_S6_E_S6_EEDaPvRmT3_T4_T5_mT6_P12ihipStream_tbENKUlT_T0_E_clISt17integral_constantIbLb1EESX_IbLb0EEEEDaST_SU_EUlST_E_NS1_11comp_targetILNS1_3genE5ELNS1_11target_archE942ELNS1_3gpuE9ELNS1_3repE0EEENS1_30default_config_static_selectorELNS0_4arch9wavefront6targetE1EEEvT1_: ; @_ZN7rocprim17ROCPRIM_400000_NS6detail17trampoline_kernelINS0_14default_configENS1_20scan_config_selectorIN3c104HalfEEEZZNS1_9scan_implILNS1_25lookback_scan_determinismE0ELb0ELb0ES3_PKS6_PS6_S6_ZZZN2at6native31launch_logcumsumexp_cuda_kernelERKNSD_10TensorBaseESH_lENKUlvE_clEvENKUlvE3_clEvEUlS6_S6_E_S6_EEDaPvRmT3_T4_T5_mT6_P12ihipStream_tbENKUlT_T0_E_clISt17integral_constantIbLb1EESX_IbLb0EEEEDaST_SU_EUlST_E_NS1_11comp_targetILNS1_3genE5ELNS1_11target_archE942ELNS1_3gpuE9ELNS1_3repE0EEENS1_30default_config_static_selectorELNS0_4arch9wavefront6targetE1EEEvT1_
; %bb.0:
	s_load_dwordx8 s[4:11], s[0:1], 0x0
	s_load_dwordx8 s[12:19], s[0:1], 0x20
	s_mov_b64 s[20:21], src_private_base
	v_mov_b32_e32 v31, v0
	v_mov_b32_e32 v0, 0
	s_waitcnt lgkmcnt(0)
	v_mov_b64_e32 v[2:3], s[4:5]
	v_mov_b64_e32 v[4:5], s[6:7]
	scratch_store_dwordx4 off, v[2:5], off
	v_mov_b32_e32 v1, s21
	s_movk_i32 s32, 0x70
	v_mov_b64_e32 v[2:3], s[8:9]
	v_mov_b64_e32 v[4:5], s[10:11]
	s_load_dwordx8 s[4:11], s[0:1], 0x40
	scratch_store_dwordx4 off, v[2:5], off offset:16
	s_nop 1
	v_mov_b64_e32 v[2:3], s[12:13]
	v_mov_b64_e32 v[4:5], s[14:15]
	scratch_store_dwordx4 off, v[2:5], off offset:32
	s_mov_b32 s12, s2
	s_nop 0
	v_mov_b64_e32 v[2:3], s[16:17]
	v_mov_b64_e32 v[4:5], s[18:19]
	scratch_store_dwordx4 off, v[2:5], off offset:48
	s_waitcnt lgkmcnt(0)
	s_nop 0
	v_mov_b64_e32 v[2:3], s[4:5]
	v_mov_b64_e32 v[4:5], s[6:7]
	scratch_store_dwordx4 off, v[2:5], off offset:64
	s_nop 1
	v_mov_b64_e32 v[2:3], s[8:9]
	v_mov_b64_e32 v[4:5], s[10:11]
	s_add_u32 s8, s0, 0x60
	s_addc_u32 s9, s1, 0
	scratch_store_dwordx4 off, v[2:5], off offset:80
	s_getpc_b64 s[0:1]
	s_add_u32 s0, s0, _ZZZN7rocprim17ROCPRIM_400000_NS6detail9scan_implILNS1_25lookback_scan_determinismE0ELb0ELb0ENS0_14default_configEPKN3c104HalfEPS6_S6_ZZZN2at6native31launch_logcumsumexp_cuda_kernelERKNSA_10TensorBaseESE_lENKUlvE_clEvENKUlvE3_clEvEUlS6_S6_E_S6_EEDaPvRmT3_T4_T5_mT6_P12ihipStream_tbENKUlT_T0_E_clISt17integral_constantIbLb1EESU_IbLb0EEEEDaSQ_SR_ENKUlSQ_E_clINS1_13target_configIS4_NS1_20scan_config_selectorIS6_EENS1_11comp_targetILNS1_3genE5ELNS1_11target_archE942ELNS1_3gpuE9ELNS1_3repE0EEELNS0_4arch9wavefront6targetE1EEEEEDaSQ_@rel32@lo+4
	s_addc_u32 s1, s1, _ZZZN7rocprim17ROCPRIM_400000_NS6detail9scan_implILNS1_25lookback_scan_determinismE0ELb0ELb0ENS0_14default_configEPKN3c104HalfEPS6_S6_ZZZN2at6native31launch_logcumsumexp_cuda_kernelERKNSA_10TensorBaseESE_lENKUlvE_clEvENKUlvE3_clEvEUlS6_S6_E_S6_EEDaPvRmT3_T4_T5_mT6_P12ihipStream_tbENKUlT_T0_E_clISt17integral_constantIbLb1EESU_IbLb0EEEEDaSQ_SR_ENKUlSQ_E_clINS1_13target_configIS4_NS1_20scan_config_selectorIS6_EENS1_11comp_targetILNS1_3genE5ELNS1_11target_archE942ELNS1_3gpuE9ELNS1_3repE0EEELNS0_4arch9wavefront6targetE1EEEEEDaSQ_@rel32@hi+12
	s_swappc_b64 s[30:31], s[0:1]
	s_endpgm
	.section	.rodata,"a",@progbits
	.p2align	6, 0x0
	.amdhsa_kernel _ZN7rocprim17ROCPRIM_400000_NS6detail17trampoline_kernelINS0_14default_configENS1_20scan_config_selectorIN3c104HalfEEEZZNS1_9scan_implILNS1_25lookback_scan_determinismE0ELb0ELb0ES3_PKS6_PS6_S6_ZZZN2at6native31launch_logcumsumexp_cuda_kernelERKNSD_10TensorBaseESH_lENKUlvE_clEvENKUlvE3_clEvEUlS6_S6_E_S6_EEDaPvRmT3_T4_T5_mT6_P12ihipStream_tbENKUlT_T0_E_clISt17integral_constantIbLb1EESX_IbLb0EEEEDaST_SU_EUlST_E_NS1_11comp_targetILNS1_3genE5ELNS1_11target_archE942ELNS1_3gpuE9ELNS1_3repE0EEENS1_30default_config_static_selectorELNS0_4arch9wavefront6targetE1EEEvT1_
		.amdhsa_group_segment_fixed_size 12288
		.amdhsa_private_segment_fixed_size 120
		.amdhsa_kernarg_size 352
		.amdhsa_user_sgpr_count 2
		.amdhsa_user_sgpr_dispatch_ptr 0
		.amdhsa_user_sgpr_queue_ptr 0
		.amdhsa_user_sgpr_kernarg_segment_ptr 1
		.amdhsa_user_sgpr_dispatch_id 0
		.amdhsa_user_sgpr_kernarg_preload_length 0
		.amdhsa_user_sgpr_kernarg_preload_offset 0
		.amdhsa_user_sgpr_private_segment_size 0
		.amdhsa_uses_dynamic_stack 0
		.amdhsa_enable_private_segment 1
		.amdhsa_system_sgpr_workgroup_id_x 1
		.amdhsa_system_sgpr_workgroup_id_y 0
		.amdhsa_system_sgpr_workgroup_id_z 0
		.amdhsa_system_sgpr_workgroup_info 0
		.amdhsa_system_vgpr_workitem_id 0
		.amdhsa_next_free_vgpr 165
		.amdhsa_next_free_sgpr 74
		.amdhsa_accum_offset 168
		.amdhsa_reserve_vcc 1
		.amdhsa_float_round_mode_32 0
		.amdhsa_float_round_mode_16_64 0
		.amdhsa_float_denorm_mode_32 3
		.amdhsa_float_denorm_mode_16_64 3
		.amdhsa_dx10_clamp 1
		.amdhsa_ieee_mode 1
		.amdhsa_fp16_overflow 0
		.amdhsa_tg_split 0
		.amdhsa_exception_fp_ieee_invalid_op 0
		.amdhsa_exception_fp_denorm_src 0
		.amdhsa_exception_fp_ieee_div_zero 0
		.amdhsa_exception_fp_ieee_overflow 0
		.amdhsa_exception_fp_ieee_underflow 0
		.amdhsa_exception_fp_ieee_inexact 0
		.amdhsa_exception_int_div_zero 0
	.end_amdhsa_kernel
	.section	.text._ZN7rocprim17ROCPRIM_400000_NS6detail17trampoline_kernelINS0_14default_configENS1_20scan_config_selectorIN3c104HalfEEEZZNS1_9scan_implILNS1_25lookback_scan_determinismE0ELb0ELb0ES3_PKS6_PS6_S6_ZZZN2at6native31launch_logcumsumexp_cuda_kernelERKNSD_10TensorBaseESH_lENKUlvE_clEvENKUlvE3_clEvEUlS6_S6_E_S6_EEDaPvRmT3_T4_T5_mT6_P12ihipStream_tbENKUlT_T0_E_clISt17integral_constantIbLb1EESX_IbLb0EEEEDaST_SU_EUlST_E_NS1_11comp_targetILNS1_3genE5ELNS1_11target_archE942ELNS1_3gpuE9ELNS1_3repE0EEENS1_30default_config_static_selectorELNS0_4arch9wavefront6targetE1EEEvT1_,"axG",@progbits,_ZN7rocprim17ROCPRIM_400000_NS6detail17trampoline_kernelINS0_14default_configENS1_20scan_config_selectorIN3c104HalfEEEZZNS1_9scan_implILNS1_25lookback_scan_determinismE0ELb0ELb0ES3_PKS6_PS6_S6_ZZZN2at6native31launch_logcumsumexp_cuda_kernelERKNSD_10TensorBaseESH_lENKUlvE_clEvENKUlvE3_clEvEUlS6_S6_E_S6_EEDaPvRmT3_T4_T5_mT6_P12ihipStream_tbENKUlT_T0_E_clISt17integral_constantIbLb1EESX_IbLb0EEEEDaST_SU_EUlST_E_NS1_11comp_targetILNS1_3genE5ELNS1_11target_archE942ELNS1_3gpuE9ELNS1_3repE0EEENS1_30default_config_static_selectorELNS0_4arch9wavefront6targetE1EEEvT1_,comdat
.Lfunc_end409:
	.size	_ZN7rocprim17ROCPRIM_400000_NS6detail17trampoline_kernelINS0_14default_configENS1_20scan_config_selectorIN3c104HalfEEEZZNS1_9scan_implILNS1_25lookback_scan_determinismE0ELb0ELb0ES3_PKS6_PS6_S6_ZZZN2at6native31launch_logcumsumexp_cuda_kernelERKNSD_10TensorBaseESH_lENKUlvE_clEvENKUlvE3_clEvEUlS6_S6_E_S6_EEDaPvRmT3_T4_T5_mT6_P12ihipStream_tbENKUlT_T0_E_clISt17integral_constantIbLb1EESX_IbLb0EEEEDaST_SU_EUlST_E_NS1_11comp_targetILNS1_3genE5ELNS1_11target_archE942ELNS1_3gpuE9ELNS1_3repE0EEENS1_30default_config_static_selectorELNS0_4arch9wavefront6targetE1EEEvT1_, .Lfunc_end409-_ZN7rocprim17ROCPRIM_400000_NS6detail17trampoline_kernelINS0_14default_configENS1_20scan_config_selectorIN3c104HalfEEEZZNS1_9scan_implILNS1_25lookback_scan_determinismE0ELb0ELb0ES3_PKS6_PS6_S6_ZZZN2at6native31launch_logcumsumexp_cuda_kernelERKNSD_10TensorBaseESH_lENKUlvE_clEvENKUlvE3_clEvEUlS6_S6_E_S6_EEDaPvRmT3_T4_T5_mT6_P12ihipStream_tbENKUlT_T0_E_clISt17integral_constantIbLb1EESX_IbLb0EEEEDaST_SU_EUlST_E_NS1_11comp_targetILNS1_3genE5ELNS1_11target_archE942ELNS1_3gpuE9ELNS1_3repE0EEENS1_30default_config_static_selectorELNS0_4arch9wavefront6targetE1EEEvT1_
                                        ; -- End function
	.section	.AMDGPU.csdata,"",@progbits
; Kernel info:
; codeLenInByte = 208
; NumSgprs: 80
; NumVgprs: 165
; NumAgprs: 0
; TotalNumVgprs: 165
; ScratchSize: 120
; MemoryBound: 0
; FloatMode: 240
; IeeeMode: 1
; LDSByteSize: 12288 bytes/workgroup (compile time only)
; SGPRBlocks: 9
; VGPRBlocks: 20
; NumSGPRsForWavesPerEU: 80
; NumVGPRsForWavesPerEU: 165
; AccumOffset: 168
; Occupancy: 3
; WaveLimiterHint : 1
; COMPUTE_PGM_RSRC2:SCRATCH_EN: 1
; COMPUTE_PGM_RSRC2:USER_SGPR: 2
; COMPUTE_PGM_RSRC2:TRAP_HANDLER: 0
; COMPUTE_PGM_RSRC2:TGID_X_EN: 1
; COMPUTE_PGM_RSRC2:TGID_Y_EN: 0
; COMPUTE_PGM_RSRC2:TGID_Z_EN: 0
; COMPUTE_PGM_RSRC2:TIDIG_COMP_CNT: 0
; COMPUTE_PGM_RSRC3_GFX90A:ACCUM_OFFSET: 41
; COMPUTE_PGM_RSRC3_GFX90A:TG_SPLIT: 0
	.section	.text._ZN7rocprim17ROCPRIM_400000_NS6detail17trampoline_kernelINS0_14default_configENS1_20scan_config_selectorIN3c104HalfEEEZZNS1_9scan_implILNS1_25lookback_scan_determinismE0ELb0ELb0ES3_PKS6_PS6_S6_ZZZN2at6native31launch_logcumsumexp_cuda_kernelERKNSD_10TensorBaseESH_lENKUlvE_clEvENKUlvE3_clEvEUlS6_S6_E_S6_EEDaPvRmT3_T4_T5_mT6_P12ihipStream_tbENKUlT_T0_E_clISt17integral_constantIbLb1EESX_IbLb0EEEEDaST_SU_EUlST_E_NS1_11comp_targetILNS1_3genE4ELNS1_11target_archE910ELNS1_3gpuE8ELNS1_3repE0EEENS1_30default_config_static_selectorELNS0_4arch9wavefront6targetE1EEEvT1_,"axG",@progbits,_ZN7rocprim17ROCPRIM_400000_NS6detail17trampoline_kernelINS0_14default_configENS1_20scan_config_selectorIN3c104HalfEEEZZNS1_9scan_implILNS1_25lookback_scan_determinismE0ELb0ELb0ES3_PKS6_PS6_S6_ZZZN2at6native31launch_logcumsumexp_cuda_kernelERKNSD_10TensorBaseESH_lENKUlvE_clEvENKUlvE3_clEvEUlS6_S6_E_S6_EEDaPvRmT3_T4_T5_mT6_P12ihipStream_tbENKUlT_T0_E_clISt17integral_constantIbLb1EESX_IbLb0EEEEDaST_SU_EUlST_E_NS1_11comp_targetILNS1_3genE4ELNS1_11target_archE910ELNS1_3gpuE8ELNS1_3repE0EEENS1_30default_config_static_selectorELNS0_4arch9wavefront6targetE1EEEvT1_,comdat
	.globl	_ZN7rocprim17ROCPRIM_400000_NS6detail17trampoline_kernelINS0_14default_configENS1_20scan_config_selectorIN3c104HalfEEEZZNS1_9scan_implILNS1_25lookback_scan_determinismE0ELb0ELb0ES3_PKS6_PS6_S6_ZZZN2at6native31launch_logcumsumexp_cuda_kernelERKNSD_10TensorBaseESH_lENKUlvE_clEvENKUlvE3_clEvEUlS6_S6_E_S6_EEDaPvRmT3_T4_T5_mT6_P12ihipStream_tbENKUlT_T0_E_clISt17integral_constantIbLb1EESX_IbLb0EEEEDaST_SU_EUlST_E_NS1_11comp_targetILNS1_3genE4ELNS1_11target_archE910ELNS1_3gpuE8ELNS1_3repE0EEENS1_30default_config_static_selectorELNS0_4arch9wavefront6targetE1EEEvT1_ ; -- Begin function _ZN7rocprim17ROCPRIM_400000_NS6detail17trampoline_kernelINS0_14default_configENS1_20scan_config_selectorIN3c104HalfEEEZZNS1_9scan_implILNS1_25lookback_scan_determinismE0ELb0ELb0ES3_PKS6_PS6_S6_ZZZN2at6native31launch_logcumsumexp_cuda_kernelERKNSD_10TensorBaseESH_lENKUlvE_clEvENKUlvE3_clEvEUlS6_S6_E_S6_EEDaPvRmT3_T4_T5_mT6_P12ihipStream_tbENKUlT_T0_E_clISt17integral_constantIbLb1EESX_IbLb0EEEEDaST_SU_EUlST_E_NS1_11comp_targetILNS1_3genE4ELNS1_11target_archE910ELNS1_3gpuE8ELNS1_3repE0EEENS1_30default_config_static_selectorELNS0_4arch9wavefront6targetE1EEEvT1_
	.p2align	8
	.type	_ZN7rocprim17ROCPRIM_400000_NS6detail17trampoline_kernelINS0_14default_configENS1_20scan_config_selectorIN3c104HalfEEEZZNS1_9scan_implILNS1_25lookback_scan_determinismE0ELb0ELb0ES3_PKS6_PS6_S6_ZZZN2at6native31launch_logcumsumexp_cuda_kernelERKNSD_10TensorBaseESH_lENKUlvE_clEvENKUlvE3_clEvEUlS6_S6_E_S6_EEDaPvRmT3_T4_T5_mT6_P12ihipStream_tbENKUlT_T0_E_clISt17integral_constantIbLb1EESX_IbLb0EEEEDaST_SU_EUlST_E_NS1_11comp_targetILNS1_3genE4ELNS1_11target_archE910ELNS1_3gpuE8ELNS1_3repE0EEENS1_30default_config_static_selectorELNS0_4arch9wavefront6targetE1EEEvT1_,@function
_ZN7rocprim17ROCPRIM_400000_NS6detail17trampoline_kernelINS0_14default_configENS1_20scan_config_selectorIN3c104HalfEEEZZNS1_9scan_implILNS1_25lookback_scan_determinismE0ELb0ELb0ES3_PKS6_PS6_S6_ZZZN2at6native31launch_logcumsumexp_cuda_kernelERKNSD_10TensorBaseESH_lENKUlvE_clEvENKUlvE3_clEvEUlS6_S6_E_S6_EEDaPvRmT3_T4_T5_mT6_P12ihipStream_tbENKUlT_T0_E_clISt17integral_constantIbLb1EESX_IbLb0EEEEDaST_SU_EUlST_E_NS1_11comp_targetILNS1_3genE4ELNS1_11target_archE910ELNS1_3gpuE8ELNS1_3repE0EEENS1_30default_config_static_selectorELNS0_4arch9wavefront6targetE1EEEvT1_: ; @_ZN7rocprim17ROCPRIM_400000_NS6detail17trampoline_kernelINS0_14default_configENS1_20scan_config_selectorIN3c104HalfEEEZZNS1_9scan_implILNS1_25lookback_scan_determinismE0ELb0ELb0ES3_PKS6_PS6_S6_ZZZN2at6native31launch_logcumsumexp_cuda_kernelERKNSD_10TensorBaseESH_lENKUlvE_clEvENKUlvE3_clEvEUlS6_S6_E_S6_EEDaPvRmT3_T4_T5_mT6_P12ihipStream_tbENKUlT_T0_E_clISt17integral_constantIbLb1EESX_IbLb0EEEEDaST_SU_EUlST_E_NS1_11comp_targetILNS1_3genE4ELNS1_11target_archE910ELNS1_3gpuE8ELNS1_3repE0EEENS1_30default_config_static_selectorELNS0_4arch9wavefront6targetE1EEEvT1_
; %bb.0:
	.section	.rodata,"a",@progbits
	.p2align	6, 0x0
	.amdhsa_kernel _ZN7rocprim17ROCPRIM_400000_NS6detail17trampoline_kernelINS0_14default_configENS1_20scan_config_selectorIN3c104HalfEEEZZNS1_9scan_implILNS1_25lookback_scan_determinismE0ELb0ELb0ES3_PKS6_PS6_S6_ZZZN2at6native31launch_logcumsumexp_cuda_kernelERKNSD_10TensorBaseESH_lENKUlvE_clEvENKUlvE3_clEvEUlS6_S6_E_S6_EEDaPvRmT3_T4_T5_mT6_P12ihipStream_tbENKUlT_T0_E_clISt17integral_constantIbLb1EESX_IbLb0EEEEDaST_SU_EUlST_E_NS1_11comp_targetILNS1_3genE4ELNS1_11target_archE910ELNS1_3gpuE8ELNS1_3repE0EEENS1_30default_config_static_selectorELNS0_4arch9wavefront6targetE1EEEvT1_
		.amdhsa_group_segment_fixed_size 0
		.amdhsa_private_segment_fixed_size 0
		.amdhsa_kernarg_size 96
		.amdhsa_user_sgpr_count 2
		.amdhsa_user_sgpr_dispatch_ptr 0
		.amdhsa_user_sgpr_queue_ptr 0
		.amdhsa_user_sgpr_kernarg_segment_ptr 1
		.amdhsa_user_sgpr_dispatch_id 0
		.amdhsa_user_sgpr_kernarg_preload_length 0
		.amdhsa_user_sgpr_kernarg_preload_offset 0
		.amdhsa_user_sgpr_private_segment_size 0
		.amdhsa_uses_dynamic_stack 0
		.amdhsa_enable_private_segment 0
		.amdhsa_system_sgpr_workgroup_id_x 1
		.amdhsa_system_sgpr_workgroup_id_y 0
		.amdhsa_system_sgpr_workgroup_id_z 0
		.amdhsa_system_sgpr_workgroup_info 0
		.amdhsa_system_vgpr_workitem_id 0
		.amdhsa_next_free_vgpr 1
		.amdhsa_next_free_sgpr 0
		.amdhsa_accum_offset 4
		.amdhsa_reserve_vcc 0
		.amdhsa_float_round_mode_32 0
		.amdhsa_float_round_mode_16_64 0
		.amdhsa_float_denorm_mode_32 3
		.amdhsa_float_denorm_mode_16_64 3
		.amdhsa_dx10_clamp 1
		.amdhsa_ieee_mode 1
		.amdhsa_fp16_overflow 0
		.amdhsa_tg_split 0
		.amdhsa_exception_fp_ieee_invalid_op 0
		.amdhsa_exception_fp_denorm_src 0
		.amdhsa_exception_fp_ieee_div_zero 0
		.amdhsa_exception_fp_ieee_overflow 0
		.amdhsa_exception_fp_ieee_underflow 0
		.amdhsa_exception_fp_ieee_inexact 0
		.amdhsa_exception_int_div_zero 0
	.end_amdhsa_kernel
	.section	.text._ZN7rocprim17ROCPRIM_400000_NS6detail17trampoline_kernelINS0_14default_configENS1_20scan_config_selectorIN3c104HalfEEEZZNS1_9scan_implILNS1_25lookback_scan_determinismE0ELb0ELb0ES3_PKS6_PS6_S6_ZZZN2at6native31launch_logcumsumexp_cuda_kernelERKNSD_10TensorBaseESH_lENKUlvE_clEvENKUlvE3_clEvEUlS6_S6_E_S6_EEDaPvRmT3_T4_T5_mT6_P12ihipStream_tbENKUlT_T0_E_clISt17integral_constantIbLb1EESX_IbLb0EEEEDaST_SU_EUlST_E_NS1_11comp_targetILNS1_3genE4ELNS1_11target_archE910ELNS1_3gpuE8ELNS1_3repE0EEENS1_30default_config_static_selectorELNS0_4arch9wavefront6targetE1EEEvT1_,"axG",@progbits,_ZN7rocprim17ROCPRIM_400000_NS6detail17trampoline_kernelINS0_14default_configENS1_20scan_config_selectorIN3c104HalfEEEZZNS1_9scan_implILNS1_25lookback_scan_determinismE0ELb0ELb0ES3_PKS6_PS6_S6_ZZZN2at6native31launch_logcumsumexp_cuda_kernelERKNSD_10TensorBaseESH_lENKUlvE_clEvENKUlvE3_clEvEUlS6_S6_E_S6_EEDaPvRmT3_T4_T5_mT6_P12ihipStream_tbENKUlT_T0_E_clISt17integral_constantIbLb1EESX_IbLb0EEEEDaST_SU_EUlST_E_NS1_11comp_targetILNS1_3genE4ELNS1_11target_archE910ELNS1_3gpuE8ELNS1_3repE0EEENS1_30default_config_static_selectorELNS0_4arch9wavefront6targetE1EEEvT1_,comdat
.Lfunc_end410:
	.size	_ZN7rocprim17ROCPRIM_400000_NS6detail17trampoline_kernelINS0_14default_configENS1_20scan_config_selectorIN3c104HalfEEEZZNS1_9scan_implILNS1_25lookback_scan_determinismE0ELb0ELb0ES3_PKS6_PS6_S6_ZZZN2at6native31launch_logcumsumexp_cuda_kernelERKNSD_10TensorBaseESH_lENKUlvE_clEvENKUlvE3_clEvEUlS6_S6_E_S6_EEDaPvRmT3_T4_T5_mT6_P12ihipStream_tbENKUlT_T0_E_clISt17integral_constantIbLb1EESX_IbLb0EEEEDaST_SU_EUlST_E_NS1_11comp_targetILNS1_3genE4ELNS1_11target_archE910ELNS1_3gpuE8ELNS1_3repE0EEENS1_30default_config_static_selectorELNS0_4arch9wavefront6targetE1EEEvT1_, .Lfunc_end410-_ZN7rocprim17ROCPRIM_400000_NS6detail17trampoline_kernelINS0_14default_configENS1_20scan_config_selectorIN3c104HalfEEEZZNS1_9scan_implILNS1_25lookback_scan_determinismE0ELb0ELb0ES3_PKS6_PS6_S6_ZZZN2at6native31launch_logcumsumexp_cuda_kernelERKNSD_10TensorBaseESH_lENKUlvE_clEvENKUlvE3_clEvEUlS6_S6_E_S6_EEDaPvRmT3_T4_T5_mT6_P12ihipStream_tbENKUlT_T0_E_clISt17integral_constantIbLb1EESX_IbLb0EEEEDaST_SU_EUlST_E_NS1_11comp_targetILNS1_3genE4ELNS1_11target_archE910ELNS1_3gpuE8ELNS1_3repE0EEENS1_30default_config_static_selectorELNS0_4arch9wavefront6targetE1EEEvT1_
                                        ; -- End function
	.section	.AMDGPU.csdata,"",@progbits
; Kernel info:
; codeLenInByte = 0
; NumSgprs: 6
; NumVgprs: 0
; NumAgprs: 0
; TotalNumVgprs: 0
; ScratchSize: 0
; MemoryBound: 0
; FloatMode: 240
; IeeeMode: 1
; LDSByteSize: 0 bytes/workgroup (compile time only)
; SGPRBlocks: 0
; VGPRBlocks: 0
; NumSGPRsForWavesPerEU: 6
; NumVGPRsForWavesPerEU: 1
; AccumOffset: 4
; Occupancy: 8
; WaveLimiterHint : 0
; COMPUTE_PGM_RSRC2:SCRATCH_EN: 0
; COMPUTE_PGM_RSRC2:USER_SGPR: 2
; COMPUTE_PGM_RSRC2:TRAP_HANDLER: 0
; COMPUTE_PGM_RSRC2:TGID_X_EN: 1
; COMPUTE_PGM_RSRC2:TGID_Y_EN: 0
; COMPUTE_PGM_RSRC2:TGID_Z_EN: 0
; COMPUTE_PGM_RSRC2:TIDIG_COMP_CNT: 0
; COMPUTE_PGM_RSRC3_GFX90A:ACCUM_OFFSET: 0
; COMPUTE_PGM_RSRC3_GFX90A:TG_SPLIT: 0
	.section	.text._ZN7rocprim17ROCPRIM_400000_NS6detail17trampoline_kernelINS0_14default_configENS1_20scan_config_selectorIN3c104HalfEEEZZNS1_9scan_implILNS1_25lookback_scan_determinismE0ELb0ELb0ES3_PKS6_PS6_S6_ZZZN2at6native31launch_logcumsumexp_cuda_kernelERKNSD_10TensorBaseESH_lENKUlvE_clEvENKUlvE3_clEvEUlS6_S6_E_S6_EEDaPvRmT3_T4_T5_mT6_P12ihipStream_tbENKUlT_T0_E_clISt17integral_constantIbLb1EESX_IbLb0EEEEDaST_SU_EUlST_E_NS1_11comp_targetILNS1_3genE3ELNS1_11target_archE908ELNS1_3gpuE7ELNS1_3repE0EEENS1_30default_config_static_selectorELNS0_4arch9wavefront6targetE1EEEvT1_,"axG",@progbits,_ZN7rocprim17ROCPRIM_400000_NS6detail17trampoline_kernelINS0_14default_configENS1_20scan_config_selectorIN3c104HalfEEEZZNS1_9scan_implILNS1_25lookback_scan_determinismE0ELb0ELb0ES3_PKS6_PS6_S6_ZZZN2at6native31launch_logcumsumexp_cuda_kernelERKNSD_10TensorBaseESH_lENKUlvE_clEvENKUlvE3_clEvEUlS6_S6_E_S6_EEDaPvRmT3_T4_T5_mT6_P12ihipStream_tbENKUlT_T0_E_clISt17integral_constantIbLb1EESX_IbLb0EEEEDaST_SU_EUlST_E_NS1_11comp_targetILNS1_3genE3ELNS1_11target_archE908ELNS1_3gpuE7ELNS1_3repE0EEENS1_30default_config_static_selectorELNS0_4arch9wavefront6targetE1EEEvT1_,comdat
	.globl	_ZN7rocprim17ROCPRIM_400000_NS6detail17trampoline_kernelINS0_14default_configENS1_20scan_config_selectorIN3c104HalfEEEZZNS1_9scan_implILNS1_25lookback_scan_determinismE0ELb0ELb0ES3_PKS6_PS6_S6_ZZZN2at6native31launch_logcumsumexp_cuda_kernelERKNSD_10TensorBaseESH_lENKUlvE_clEvENKUlvE3_clEvEUlS6_S6_E_S6_EEDaPvRmT3_T4_T5_mT6_P12ihipStream_tbENKUlT_T0_E_clISt17integral_constantIbLb1EESX_IbLb0EEEEDaST_SU_EUlST_E_NS1_11comp_targetILNS1_3genE3ELNS1_11target_archE908ELNS1_3gpuE7ELNS1_3repE0EEENS1_30default_config_static_selectorELNS0_4arch9wavefront6targetE1EEEvT1_ ; -- Begin function _ZN7rocprim17ROCPRIM_400000_NS6detail17trampoline_kernelINS0_14default_configENS1_20scan_config_selectorIN3c104HalfEEEZZNS1_9scan_implILNS1_25lookback_scan_determinismE0ELb0ELb0ES3_PKS6_PS6_S6_ZZZN2at6native31launch_logcumsumexp_cuda_kernelERKNSD_10TensorBaseESH_lENKUlvE_clEvENKUlvE3_clEvEUlS6_S6_E_S6_EEDaPvRmT3_T4_T5_mT6_P12ihipStream_tbENKUlT_T0_E_clISt17integral_constantIbLb1EESX_IbLb0EEEEDaST_SU_EUlST_E_NS1_11comp_targetILNS1_3genE3ELNS1_11target_archE908ELNS1_3gpuE7ELNS1_3repE0EEENS1_30default_config_static_selectorELNS0_4arch9wavefront6targetE1EEEvT1_
	.p2align	8
	.type	_ZN7rocprim17ROCPRIM_400000_NS6detail17trampoline_kernelINS0_14default_configENS1_20scan_config_selectorIN3c104HalfEEEZZNS1_9scan_implILNS1_25lookback_scan_determinismE0ELb0ELb0ES3_PKS6_PS6_S6_ZZZN2at6native31launch_logcumsumexp_cuda_kernelERKNSD_10TensorBaseESH_lENKUlvE_clEvENKUlvE3_clEvEUlS6_S6_E_S6_EEDaPvRmT3_T4_T5_mT6_P12ihipStream_tbENKUlT_T0_E_clISt17integral_constantIbLb1EESX_IbLb0EEEEDaST_SU_EUlST_E_NS1_11comp_targetILNS1_3genE3ELNS1_11target_archE908ELNS1_3gpuE7ELNS1_3repE0EEENS1_30default_config_static_selectorELNS0_4arch9wavefront6targetE1EEEvT1_,@function
_ZN7rocprim17ROCPRIM_400000_NS6detail17trampoline_kernelINS0_14default_configENS1_20scan_config_selectorIN3c104HalfEEEZZNS1_9scan_implILNS1_25lookback_scan_determinismE0ELb0ELb0ES3_PKS6_PS6_S6_ZZZN2at6native31launch_logcumsumexp_cuda_kernelERKNSD_10TensorBaseESH_lENKUlvE_clEvENKUlvE3_clEvEUlS6_S6_E_S6_EEDaPvRmT3_T4_T5_mT6_P12ihipStream_tbENKUlT_T0_E_clISt17integral_constantIbLb1EESX_IbLb0EEEEDaST_SU_EUlST_E_NS1_11comp_targetILNS1_3genE3ELNS1_11target_archE908ELNS1_3gpuE7ELNS1_3repE0EEENS1_30default_config_static_selectorELNS0_4arch9wavefront6targetE1EEEvT1_: ; @_ZN7rocprim17ROCPRIM_400000_NS6detail17trampoline_kernelINS0_14default_configENS1_20scan_config_selectorIN3c104HalfEEEZZNS1_9scan_implILNS1_25lookback_scan_determinismE0ELb0ELb0ES3_PKS6_PS6_S6_ZZZN2at6native31launch_logcumsumexp_cuda_kernelERKNSD_10TensorBaseESH_lENKUlvE_clEvENKUlvE3_clEvEUlS6_S6_E_S6_EEDaPvRmT3_T4_T5_mT6_P12ihipStream_tbENKUlT_T0_E_clISt17integral_constantIbLb1EESX_IbLb0EEEEDaST_SU_EUlST_E_NS1_11comp_targetILNS1_3genE3ELNS1_11target_archE908ELNS1_3gpuE7ELNS1_3repE0EEENS1_30default_config_static_selectorELNS0_4arch9wavefront6targetE1EEEvT1_
; %bb.0:
	.section	.rodata,"a",@progbits
	.p2align	6, 0x0
	.amdhsa_kernel _ZN7rocprim17ROCPRIM_400000_NS6detail17trampoline_kernelINS0_14default_configENS1_20scan_config_selectorIN3c104HalfEEEZZNS1_9scan_implILNS1_25lookback_scan_determinismE0ELb0ELb0ES3_PKS6_PS6_S6_ZZZN2at6native31launch_logcumsumexp_cuda_kernelERKNSD_10TensorBaseESH_lENKUlvE_clEvENKUlvE3_clEvEUlS6_S6_E_S6_EEDaPvRmT3_T4_T5_mT6_P12ihipStream_tbENKUlT_T0_E_clISt17integral_constantIbLb1EESX_IbLb0EEEEDaST_SU_EUlST_E_NS1_11comp_targetILNS1_3genE3ELNS1_11target_archE908ELNS1_3gpuE7ELNS1_3repE0EEENS1_30default_config_static_selectorELNS0_4arch9wavefront6targetE1EEEvT1_
		.amdhsa_group_segment_fixed_size 0
		.amdhsa_private_segment_fixed_size 0
		.amdhsa_kernarg_size 96
		.amdhsa_user_sgpr_count 2
		.amdhsa_user_sgpr_dispatch_ptr 0
		.amdhsa_user_sgpr_queue_ptr 0
		.amdhsa_user_sgpr_kernarg_segment_ptr 1
		.amdhsa_user_sgpr_dispatch_id 0
		.amdhsa_user_sgpr_kernarg_preload_length 0
		.amdhsa_user_sgpr_kernarg_preload_offset 0
		.amdhsa_user_sgpr_private_segment_size 0
		.amdhsa_uses_dynamic_stack 0
		.amdhsa_enable_private_segment 0
		.amdhsa_system_sgpr_workgroup_id_x 1
		.amdhsa_system_sgpr_workgroup_id_y 0
		.amdhsa_system_sgpr_workgroup_id_z 0
		.amdhsa_system_sgpr_workgroup_info 0
		.amdhsa_system_vgpr_workitem_id 0
		.amdhsa_next_free_vgpr 1
		.amdhsa_next_free_sgpr 0
		.amdhsa_accum_offset 4
		.amdhsa_reserve_vcc 0
		.amdhsa_float_round_mode_32 0
		.amdhsa_float_round_mode_16_64 0
		.amdhsa_float_denorm_mode_32 3
		.amdhsa_float_denorm_mode_16_64 3
		.amdhsa_dx10_clamp 1
		.amdhsa_ieee_mode 1
		.amdhsa_fp16_overflow 0
		.amdhsa_tg_split 0
		.amdhsa_exception_fp_ieee_invalid_op 0
		.amdhsa_exception_fp_denorm_src 0
		.amdhsa_exception_fp_ieee_div_zero 0
		.amdhsa_exception_fp_ieee_overflow 0
		.amdhsa_exception_fp_ieee_underflow 0
		.amdhsa_exception_fp_ieee_inexact 0
		.amdhsa_exception_int_div_zero 0
	.end_amdhsa_kernel
	.section	.text._ZN7rocprim17ROCPRIM_400000_NS6detail17trampoline_kernelINS0_14default_configENS1_20scan_config_selectorIN3c104HalfEEEZZNS1_9scan_implILNS1_25lookback_scan_determinismE0ELb0ELb0ES3_PKS6_PS6_S6_ZZZN2at6native31launch_logcumsumexp_cuda_kernelERKNSD_10TensorBaseESH_lENKUlvE_clEvENKUlvE3_clEvEUlS6_S6_E_S6_EEDaPvRmT3_T4_T5_mT6_P12ihipStream_tbENKUlT_T0_E_clISt17integral_constantIbLb1EESX_IbLb0EEEEDaST_SU_EUlST_E_NS1_11comp_targetILNS1_3genE3ELNS1_11target_archE908ELNS1_3gpuE7ELNS1_3repE0EEENS1_30default_config_static_selectorELNS0_4arch9wavefront6targetE1EEEvT1_,"axG",@progbits,_ZN7rocprim17ROCPRIM_400000_NS6detail17trampoline_kernelINS0_14default_configENS1_20scan_config_selectorIN3c104HalfEEEZZNS1_9scan_implILNS1_25lookback_scan_determinismE0ELb0ELb0ES3_PKS6_PS6_S6_ZZZN2at6native31launch_logcumsumexp_cuda_kernelERKNSD_10TensorBaseESH_lENKUlvE_clEvENKUlvE3_clEvEUlS6_S6_E_S6_EEDaPvRmT3_T4_T5_mT6_P12ihipStream_tbENKUlT_T0_E_clISt17integral_constantIbLb1EESX_IbLb0EEEEDaST_SU_EUlST_E_NS1_11comp_targetILNS1_3genE3ELNS1_11target_archE908ELNS1_3gpuE7ELNS1_3repE0EEENS1_30default_config_static_selectorELNS0_4arch9wavefront6targetE1EEEvT1_,comdat
.Lfunc_end411:
	.size	_ZN7rocprim17ROCPRIM_400000_NS6detail17trampoline_kernelINS0_14default_configENS1_20scan_config_selectorIN3c104HalfEEEZZNS1_9scan_implILNS1_25lookback_scan_determinismE0ELb0ELb0ES3_PKS6_PS6_S6_ZZZN2at6native31launch_logcumsumexp_cuda_kernelERKNSD_10TensorBaseESH_lENKUlvE_clEvENKUlvE3_clEvEUlS6_S6_E_S6_EEDaPvRmT3_T4_T5_mT6_P12ihipStream_tbENKUlT_T0_E_clISt17integral_constantIbLb1EESX_IbLb0EEEEDaST_SU_EUlST_E_NS1_11comp_targetILNS1_3genE3ELNS1_11target_archE908ELNS1_3gpuE7ELNS1_3repE0EEENS1_30default_config_static_selectorELNS0_4arch9wavefront6targetE1EEEvT1_, .Lfunc_end411-_ZN7rocprim17ROCPRIM_400000_NS6detail17trampoline_kernelINS0_14default_configENS1_20scan_config_selectorIN3c104HalfEEEZZNS1_9scan_implILNS1_25lookback_scan_determinismE0ELb0ELb0ES3_PKS6_PS6_S6_ZZZN2at6native31launch_logcumsumexp_cuda_kernelERKNSD_10TensorBaseESH_lENKUlvE_clEvENKUlvE3_clEvEUlS6_S6_E_S6_EEDaPvRmT3_T4_T5_mT6_P12ihipStream_tbENKUlT_T0_E_clISt17integral_constantIbLb1EESX_IbLb0EEEEDaST_SU_EUlST_E_NS1_11comp_targetILNS1_3genE3ELNS1_11target_archE908ELNS1_3gpuE7ELNS1_3repE0EEENS1_30default_config_static_selectorELNS0_4arch9wavefront6targetE1EEEvT1_
                                        ; -- End function
	.section	.AMDGPU.csdata,"",@progbits
; Kernel info:
; codeLenInByte = 0
; NumSgprs: 6
; NumVgprs: 0
; NumAgprs: 0
; TotalNumVgprs: 0
; ScratchSize: 0
; MemoryBound: 0
; FloatMode: 240
; IeeeMode: 1
; LDSByteSize: 0 bytes/workgroup (compile time only)
; SGPRBlocks: 0
; VGPRBlocks: 0
; NumSGPRsForWavesPerEU: 6
; NumVGPRsForWavesPerEU: 1
; AccumOffset: 4
; Occupancy: 8
; WaveLimiterHint : 0
; COMPUTE_PGM_RSRC2:SCRATCH_EN: 0
; COMPUTE_PGM_RSRC2:USER_SGPR: 2
; COMPUTE_PGM_RSRC2:TRAP_HANDLER: 0
; COMPUTE_PGM_RSRC2:TGID_X_EN: 1
; COMPUTE_PGM_RSRC2:TGID_Y_EN: 0
; COMPUTE_PGM_RSRC2:TGID_Z_EN: 0
; COMPUTE_PGM_RSRC2:TIDIG_COMP_CNT: 0
; COMPUTE_PGM_RSRC3_GFX90A:ACCUM_OFFSET: 0
; COMPUTE_PGM_RSRC3_GFX90A:TG_SPLIT: 0
	.section	.text._ZN7rocprim17ROCPRIM_400000_NS6detail17trampoline_kernelINS0_14default_configENS1_20scan_config_selectorIN3c104HalfEEEZZNS1_9scan_implILNS1_25lookback_scan_determinismE0ELb0ELb0ES3_PKS6_PS6_S6_ZZZN2at6native31launch_logcumsumexp_cuda_kernelERKNSD_10TensorBaseESH_lENKUlvE_clEvENKUlvE3_clEvEUlS6_S6_E_S6_EEDaPvRmT3_T4_T5_mT6_P12ihipStream_tbENKUlT_T0_E_clISt17integral_constantIbLb1EESX_IbLb0EEEEDaST_SU_EUlST_E_NS1_11comp_targetILNS1_3genE2ELNS1_11target_archE906ELNS1_3gpuE6ELNS1_3repE0EEENS1_30default_config_static_selectorELNS0_4arch9wavefront6targetE1EEEvT1_,"axG",@progbits,_ZN7rocprim17ROCPRIM_400000_NS6detail17trampoline_kernelINS0_14default_configENS1_20scan_config_selectorIN3c104HalfEEEZZNS1_9scan_implILNS1_25lookback_scan_determinismE0ELb0ELb0ES3_PKS6_PS6_S6_ZZZN2at6native31launch_logcumsumexp_cuda_kernelERKNSD_10TensorBaseESH_lENKUlvE_clEvENKUlvE3_clEvEUlS6_S6_E_S6_EEDaPvRmT3_T4_T5_mT6_P12ihipStream_tbENKUlT_T0_E_clISt17integral_constantIbLb1EESX_IbLb0EEEEDaST_SU_EUlST_E_NS1_11comp_targetILNS1_3genE2ELNS1_11target_archE906ELNS1_3gpuE6ELNS1_3repE0EEENS1_30default_config_static_selectorELNS0_4arch9wavefront6targetE1EEEvT1_,comdat
	.globl	_ZN7rocprim17ROCPRIM_400000_NS6detail17trampoline_kernelINS0_14default_configENS1_20scan_config_selectorIN3c104HalfEEEZZNS1_9scan_implILNS1_25lookback_scan_determinismE0ELb0ELb0ES3_PKS6_PS6_S6_ZZZN2at6native31launch_logcumsumexp_cuda_kernelERKNSD_10TensorBaseESH_lENKUlvE_clEvENKUlvE3_clEvEUlS6_S6_E_S6_EEDaPvRmT3_T4_T5_mT6_P12ihipStream_tbENKUlT_T0_E_clISt17integral_constantIbLb1EESX_IbLb0EEEEDaST_SU_EUlST_E_NS1_11comp_targetILNS1_3genE2ELNS1_11target_archE906ELNS1_3gpuE6ELNS1_3repE0EEENS1_30default_config_static_selectorELNS0_4arch9wavefront6targetE1EEEvT1_ ; -- Begin function _ZN7rocprim17ROCPRIM_400000_NS6detail17trampoline_kernelINS0_14default_configENS1_20scan_config_selectorIN3c104HalfEEEZZNS1_9scan_implILNS1_25lookback_scan_determinismE0ELb0ELb0ES3_PKS6_PS6_S6_ZZZN2at6native31launch_logcumsumexp_cuda_kernelERKNSD_10TensorBaseESH_lENKUlvE_clEvENKUlvE3_clEvEUlS6_S6_E_S6_EEDaPvRmT3_T4_T5_mT6_P12ihipStream_tbENKUlT_T0_E_clISt17integral_constantIbLb1EESX_IbLb0EEEEDaST_SU_EUlST_E_NS1_11comp_targetILNS1_3genE2ELNS1_11target_archE906ELNS1_3gpuE6ELNS1_3repE0EEENS1_30default_config_static_selectorELNS0_4arch9wavefront6targetE1EEEvT1_
	.p2align	8
	.type	_ZN7rocprim17ROCPRIM_400000_NS6detail17trampoline_kernelINS0_14default_configENS1_20scan_config_selectorIN3c104HalfEEEZZNS1_9scan_implILNS1_25lookback_scan_determinismE0ELb0ELb0ES3_PKS6_PS6_S6_ZZZN2at6native31launch_logcumsumexp_cuda_kernelERKNSD_10TensorBaseESH_lENKUlvE_clEvENKUlvE3_clEvEUlS6_S6_E_S6_EEDaPvRmT3_T4_T5_mT6_P12ihipStream_tbENKUlT_T0_E_clISt17integral_constantIbLb1EESX_IbLb0EEEEDaST_SU_EUlST_E_NS1_11comp_targetILNS1_3genE2ELNS1_11target_archE906ELNS1_3gpuE6ELNS1_3repE0EEENS1_30default_config_static_selectorELNS0_4arch9wavefront6targetE1EEEvT1_,@function
_ZN7rocprim17ROCPRIM_400000_NS6detail17trampoline_kernelINS0_14default_configENS1_20scan_config_selectorIN3c104HalfEEEZZNS1_9scan_implILNS1_25lookback_scan_determinismE0ELb0ELb0ES3_PKS6_PS6_S6_ZZZN2at6native31launch_logcumsumexp_cuda_kernelERKNSD_10TensorBaseESH_lENKUlvE_clEvENKUlvE3_clEvEUlS6_S6_E_S6_EEDaPvRmT3_T4_T5_mT6_P12ihipStream_tbENKUlT_T0_E_clISt17integral_constantIbLb1EESX_IbLb0EEEEDaST_SU_EUlST_E_NS1_11comp_targetILNS1_3genE2ELNS1_11target_archE906ELNS1_3gpuE6ELNS1_3repE0EEENS1_30default_config_static_selectorELNS0_4arch9wavefront6targetE1EEEvT1_: ; @_ZN7rocprim17ROCPRIM_400000_NS6detail17trampoline_kernelINS0_14default_configENS1_20scan_config_selectorIN3c104HalfEEEZZNS1_9scan_implILNS1_25lookback_scan_determinismE0ELb0ELb0ES3_PKS6_PS6_S6_ZZZN2at6native31launch_logcumsumexp_cuda_kernelERKNSD_10TensorBaseESH_lENKUlvE_clEvENKUlvE3_clEvEUlS6_S6_E_S6_EEDaPvRmT3_T4_T5_mT6_P12ihipStream_tbENKUlT_T0_E_clISt17integral_constantIbLb1EESX_IbLb0EEEEDaST_SU_EUlST_E_NS1_11comp_targetILNS1_3genE2ELNS1_11target_archE906ELNS1_3gpuE6ELNS1_3repE0EEENS1_30default_config_static_selectorELNS0_4arch9wavefront6targetE1EEEvT1_
; %bb.0:
	.section	.rodata,"a",@progbits
	.p2align	6, 0x0
	.amdhsa_kernel _ZN7rocprim17ROCPRIM_400000_NS6detail17trampoline_kernelINS0_14default_configENS1_20scan_config_selectorIN3c104HalfEEEZZNS1_9scan_implILNS1_25lookback_scan_determinismE0ELb0ELb0ES3_PKS6_PS6_S6_ZZZN2at6native31launch_logcumsumexp_cuda_kernelERKNSD_10TensorBaseESH_lENKUlvE_clEvENKUlvE3_clEvEUlS6_S6_E_S6_EEDaPvRmT3_T4_T5_mT6_P12ihipStream_tbENKUlT_T0_E_clISt17integral_constantIbLb1EESX_IbLb0EEEEDaST_SU_EUlST_E_NS1_11comp_targetILNS1_3genE2ELNS1_11target_archE906ELNS1_3gpuE6ELNS1_3repE0EEENS1_30default_config_static_selectorELNS0_4arch9wavefront6targetE1EEEvT1_
		.amdhsa_group_segment_fixed_size 0
		.amdhsa_private_segment_fixed_size 0
		.amdhsa_kernarg_size 96
		.amdhsa_user_sgpr_count 2
		.amdhsa_user_sgpr_dispatch_ptr 0
		.amdhsa_user_sgpr_queue_ptr 0
		.amdhsa_user_sgpr_kernarg_segment_ptr 1
		.amdhsa_user_sgpr_dispatch_id 0
		.amdhsa_user_sgpr_kernarg_preload_length 0
		.amdhsa_user_sgpr_kernarg_preload_offset 0
		.amdhsa_user_sgpr_private_segment_size 0
		.amdhsa_uses_dynamic_stack 0
		.amdhsa_enable_private_segment 0
		.amdhsa_system_sgpr_workgroup_id_x 1
		.amdhsa_system_sgpr_workgroup_id_y 0
		.amdhsa_system_sgpr_workgroup_id_z 0
		.amdhsa_system_sgpr_workgroup_info 0
		.amdhsa_system_vgpr_workitem_id 0
		.amdhsa_next_free_vgpr 1
		.amdhsa_next_free_sgpr 0
		.amdhsa_accum_offset 4
		.amdhsa_reserve_vcc 0
		.amdhsa_float_round_mode_32 0
		.amdhsa_float_round_mode_16_64 0
		.amdhsa_float_denorm_mode_32 3
		.amdhsa_float_denorm_mode_16_64 3
		.amdhsa_dx10_clamp 1
		.amdhsa_ieee_mode 1
		.amdhsa_fp16_overflow 0
		.amdhsa_tg_split 0
		.amdhsa_exception_fp_ieee_invalid_op 0
		.amdhsa_exception_fp_denorm_src 0
		.amdhsa_exception_fp_ieee_div_zero 0
		.amdhsa_exception_fp_ieee_overflow 0
		.amdhsa_exception_fp_ieee_underflow 0
		.amdhsa_exception_fp_ieee_inexact 0
		.amdhsa_exception_int_div_zero 0
	.end_amdhsa_kernel
	.section	.text._ZN7rocprim17ROCPRIM_400000_NS6detail17trampoline_kernelINS0_14default_configENS1_20scan_config_selectorIN3c104HalfEEEZZNS1_9scan_implILNS1_25lookback_scan_determinismE0ELb0ELb0ES3_PKS6_PS6_S6_ZZZN2at6native31launch_logcumsumexp_cuda_kernelERKNSD_10TensorBaseESH_lENKUlvE_clEvENKUlvE3_clEvEUlS6_S6_E_S6_EEDaPvRmT3_T4_T5_mT6_P12ihipStream_tbENKUlT_T0_E_clISt17integral_constantIbLb1EESX_IbLb0EEEEDaST_SU_EUlST_E_NS1_11comp_targetILNS1_3genE2ELNS1_11target_archE906ELNS1_3gpuE6ELNS1_3repE0EEENS1_30default_config_static_selectorELNS0_4arch9wavefront6targetE1EEEvT1_,"axG",@progbits,_ZN7rocprim17ROCPRIM_400000_NS6detail17trampoline_kernelINS0_14default_configENS1_20scan_config_selectorIN3c104HalfEEEZZNS1_9scan_implILNS1_25lookback_scan_determinismE0ELb0ELb0ES3_PKS6_PS6_S6_ZZZN2at6native31launch_logcumsumexp_cuda_kernelERKNSD_10TensorBaseESH_lENKUlvE_clEvENKUlvE3_clEvEUlS6_S6_E_S6_EEDaPvRmT3_T4_T5_mT6_P12ihipStream_tbENKUlT_T0_E_clISt17integral_constantIbLb1EESX_IbLb0EEEEDaST_SU_EUlST_E_NS1_11comp_targetILNS1_3genE2ELNS1_11target_archE906ELNS1_3gpuE6ELNS1_3repE0EEENS1_30default_config_static_selectorELNS0_4arch9wavefront6targetE1EEEvT1_,comdat
.Lfunc_end412:
	.size	_ZN7rocprim17ROCPRIM_400000_NS6detail17trampoline_kernelINS0_14default_configENS1_20scan_config_selectorIN3c104HalfEEEZZNS1_9scan_implILNS1_25lookback_scan_determinismE0ELb0ELb0ES3_PKS6_PS6_S6_ZZZN2at6native31launch_logcumsumexp_cuda_kernelERKNSD_10TensorBaseESH_lENKUlvE_clEvENKUlvE3_clEvEUlS6_S6_E_S6_EEDaPvRmT3_T4_T5_mT6_P12ihipStream_tbENKUlT_T0_E_clISt17integral_constantIbLb1EESX_IbLb0EEEEDaST_SU_EUlST_E_NS1_11comp_targetILNS1_3genE2ELNS1_11target_archE906ELNS1_3gpuE6ELNS1_3repE0EEENS1_30default_config_static_selectorELNS0_4arch9wavefront6targetE1EEEvT1_, .Lfunc_end412-_ZN7rocprim17ROCPRIM_400000_NS6detail17trampoline_kernelINS0_14default_configENS1_20scan_config_selectorIN3c104HalfEEEZZNS1_9scan_implILNS1_25lookback_scan_determinismE0ELb0ELb0ES3_PKS6_PS6_S6_ZZZN2at6native31launch_logcumsumexp_cuda_kernelERKNSD_10TensorBaseESH_lENKUlvE_clEvENKUlvE3_clEvEUlS6_S6_E_S6_EEDaPvRmT3_T4_T5_mT6_P12ihipStream_tbENKUlT_T0_E_clISt17integral_constantIbLb1EESX_IbLb0EEEEDaST_SU_EUlST_E_NS1_11comp_targetILNS1_3genE2ELNS1_11target_archE906ELNS1_3gpuE6ELNS1_3repE0EEENS1_30default_config_static_selectorELNS0_4arch9wavefront6targetE1EEEvT1_
                                        ; -- End function
	.section	.AMDGPU.csdata,"",@progbits
; Kernel info:
; codeLenInByte = 0
; NumSgprs: 6
; NumVgprs: 0
; NumAgprs: 0
; TotalNumVgprs: 0
; ScratchSize: 0
; MemoryBound: 0
; FloatMode: 240
; IeeeMode: 1
; LDSByteSize: 0 bytes/workgroup (compile time only)
; SGPRBlocks: 0
; VGPRBlocks: 0
; NumSGPRsForWavesPerEU: 6
; NumVGPRsForWavesPerEU: 1
; AccumOffset: 4
; Occupancy: 8
; WaveLimiterHint : 0
; COMPUTE_PGM_RSRC2:SCRATCH_EN: 0
; COMPUTE_PGM_RSRC2:USER_SGPR: 2
; COMPUTE_PGM_RSRC2:TRAP_HANDLER: 0
; COMPUTE_PGM_RSRC2:TGID_X_EN: 1
; COMPUTE_PGM_RSRC2:TGID_Y_EN: 0
; COMPUTE_PGM_RSRC2:TGID_Z_EN: 0
; COMPUTE_PGM_RSRC2:TIDIG_COMP_CNT: 0
; COMPUTE_PGM_RSRC3_GFX90A:ACCUM_OFFSET: 0
; COMPUTE_PGM_RSRC3_GFX90A:TG_SPLIT: 0
	.section	.text._ZN7rocprim17ROCPRIM_400000_NS6detail17trampoline_kernelINS0_14default_configENS1_20scan_config_selectorIN3c104HalfEEEZZNS1_9scan_implILNS1_25lookback_scan_determinismE0ELb0ELb0ES3_PKS6_PS6_S6_ZZZN2at6native31launch_logcumsumexp_cuda_kernelERKNSD_10TensorBaseESH_lENKUlvE_clEvENKUlvE3_clEvEUlS6_S6_E_S6_EEDaPvRmT3_T4_T5_mT6_P12ihipStream_tbENKUlT_T0_E_clISt17integral_constantIbLb1EESX_IbLb0EEEEDaST_SU_EUlST_E_NS1_11comp_targetILNS1_3genE10ELNS1_11target_archE1201ELNS1_3gpuE5ELNS1_3repE0EEENS1_30default_config_static_selectorELNS0_4arch9wavefront6targetE1EEEvT1_,"axG",@progbits,_ZN7rocprim17ROCPRIM_400000_NS6detail17trampoline_kernelINS0_14default_configENS1_20scan_config_selectorIN3c104HalfEEEZZNS1_9scan_implILNS1_25lookback_scan_determinismE0ELb0ELb0ES3_PKS6_PS6_S6_ZZZN2at6native31launch_logcumsumexp_cuda_kernelERKNSD_10TensorBaseESH_lENKUlvE_clEvENKUlvE3_clEvEUlS6_S6_E_S6_EEDaPvRmT3_T4_T5_mT6_P12ihipStream_tbENKUlT_T0_E_clISt17integral_constantIbLb1EESX_IbLb0EEEEDaST_SU_EUlST_E_NS1_11comp_targetILNS1_3genE10ELNS1_11target_archE1201ELNS1_3gpuE5ELNS1_3repE0EEENS1_30default_config_static_selectorELNS0_4arch9wavefront6targetE1EEEvT1_,comdat
	.globl	_ZN7rocprim17ROCPRIM_400000_NS6detail17trampoline_kernelINS0_14default_configENS1_20scan_config_selectorIN3c104HalfEEEZZNS1_9scan_implILNS1_25lookback_scan_determinismE0ELb0ELb0ES3_PKS6_PS6_S6_ZZZN2at6native31launch_logcumsumexp_cuda_kernelERKNSD_10TensorBaseESH_lENKUlvE_clEvENKUlvE3_clEvEUlS6_S6_E_S6_EEDaPvRmT3_T4_T5_mT6_P12ihipStream_tbENKUlT_T0_E_clISt17integral_constantIbLb1EESX_IbLb0EEEEDaST_SU_EUlST_E_NS1_11comp_targetILNS1_3genE10ELNS1_11target_archE1201ELNS1_3gpuE5ELNS1_3repE0EEENS1_30default_config_static_selectorELNS0_4arch9wavefront6targetE1EEEvT1_ ; -- Begin function _ZN7rocprim17ROCPRIM_400000_NS6detail17trampoline_kernelINS0_14default_configENS1_20scan_config_selectorIN3c104HalfEEEZZNS1_9scan_implILNS1_25lookback_scan_determinismE0ELb0ELb0ES3_PKS6_PS6_S6_ZZZN2at6native31launch_logcumsumexp_cuda_kernelERKNSD_10TensorBaseESH_lENKUlvE_clEvENKUlvE3_clEvEUlS6_S6_E_S6_EEDaPvRmT3_T4_T5_mT6_P12ihipStream_tbENKUlT_T0_E_clISt17integral_constantIbLb1EESX_IbLb0EEEEDaST_SU_EUlST_E_NS1_11comp_targetILNS1_3genE10ELNS1_11target_archE1201ELNS1_3gpuE5ELNS1_3repE0EEENS1_30default_config_static_selectorELNS0_4arch9wavefront6targetE1EEEvT1_
	.p2align	8
	.type	_ZN7rocprim17ROCPRIM_400000_NS6detail17trampoline_kernelINS0_14default_configENS1_20scan_config_selectorIN3c104HalfEEEZZNS1_9scan_implILNS1_25lookback_scan_determinismE0ELb0ELb0ES3_PKS6_PS6_S6_ZZZN2at6native31launch_logcumsumexp_cuda_kernelERKNSD_10TensorBaseESH_lENKUlvE_clEvENKUlvE3_clEvEUlS6_S6_E_S6_EEDaPvRmT3_T4_T5_mT6_P12ihipStream_tbENKUlT_T0_E_clISt17integral_constantIbLb1EESX_IbLb0EEEEDaST_SU_EUlST_E_NS1_11comp_targetILNS1_3genE10ELNS1_11target_archE1201ELNS1_3gpuE5ELNS1_3repE0EEENS1_30default_config_static_selectorELNS0_4arch9wavefront6targetE1EEEvT1_,@function
_ZN7rocprim17ROCPRIM_400000_NS6detail17trampoline_kernelINS0_14default_configENS1_20scan_config_selectorIN3c104HalfEEEZZNS1_9scan_implILNS1_25lookback_scan_determinismE0ELb0ELb0ES3_PKS6_PS6_S6_ZZZN2at6native31launch_logcumsumexp_cuda_kernelERKNSD_10TensorBaseESH_lENKUlvE_clEvENKUlvE3_clEvEUlS6_S6_E_S6_EEDaPvRmT3_T4_T5_mT6_P12ihipStream_tbENKUlT_T0_E_clISt17integral_constantIbLb1EESX_IbLb0EEEEDaST_SU_EUlST_E_NS1_11comp_targetILNS1_3genE10ELNS1_11target_archE1201ELNS1_3gpuE5ELNS1_3repE0EEENS1_30default_config_static_selectorELNS0_4arch9wavefront6targetE1EEEvT1_: ; @_ZN7rocprim17ROCPRIM_400000_NS6detail17trampoline_kernelINS0_14default_configENS1_20scan_config_selectorIN3c104HalfEEEZZNS1_9scan_implILNS1_25lookback_scan_determinismE0ELb0ELb0ES3_PKS6_PS6_S6_ZZZN2at6native31launch_logcumsumexp_cuda_kernelERKNSD_10TensorBaseESH_lENKUlvE_clEvENKUlvE3_clEvEUlS6_S6_E_S6_EEDaPvRmT3_T4_T5_mT6_P12ihipStream_tbENKUlT_T0_E_clISt17integral_constantIbLb1EESX_IbLb0EEEEDaST_SU_EUlST_E_NS1_11comp_targetILNS1_3genE10ELNS1_11target_archE1201ELNS1_3gpuE5ELNS1_3repE0EEENS1_30default_config_static_selectorELNS0_4arch9wavefront6targetE1EEEvT1_
; %bb.0:
	.section	.rodata,"a",@progbits
	.p2align	6, 0x0
	.amdhsa_kernel _ZN7rocprim17ROCPRIM_400000_NS6detail17trampoline_kernelINS0_14default_configENS1_20scan_config_selectorIN3c104HalfEEEZZNS1_9scan_implILNS1_25lookback_scan_determinismE0ELb0ELb0ES3_PKS6_PS6_S6_ZZZN2at6native31launch_logcumsumexp_cuda_kernelERKNSD_10TensorBaseESH_lENKUlvE_clEvENKUlvE3_clEvEUlS6_S6_E_S6_EEDaPvRmT3_T4_T5_mT6_P12ihipStream_tbENKUlT_T0_E_clISt17integral_constantIbLb1EESX_IbLb0EEEEDaST_SU_EUlST_E_NS1_11comp_targetILNS1_3genE10ELNS1_11target_archE1201ELNS1_3gpuE5ELNS1_3repE0EEENS1_30default_config_static_selectorELNS0_4arch9wavefront6targetE1EEEvT1_
		.amdhsa_group_segment_fixed_size 0
		.amdhsa_private_segment_fixed_size 0
		.amdhsa_kernarg_size 96
		.amdhsa_user_sgpr_count 2
		.amdhsa_user_sgpr_dispatch_ptr 0
		.amdhsa_user_sgpr_queue_ptr 0
		.amdhsa_user_sgpr_kernarg_segment_ptr 1
		.amdhsa_user_sgpr_dispatch_id 0
		.amdhsa_user_sgpr_kernarg_preload_length 0
		.amdhsa_user_sgpr_kernarg_preload_offset 0
		.amdhsa_user_sgpr_private_segment_size 0
		.amdhsa_uses_dynamic_stack 0
		.amdhsa_enable_private_segment 0
		.amdhsa_system_sgpr_workgroup_id_x 1
		.amdhsa_system_sgpr_workgroup_id_y 0
		.amdhsa_system_sgpr_workgroup_id_z 0
		.amdhsa_system_sgpr_workgroup_info 0
		.amdhsa_system_vgpr_workitem_id 0
		.amdhsa_next_free_vgpr 1
		.amdhsa_next_free_sgpr 0
		.amdhsa_accum_offset 4
		.amdhsa_reserve_vcc 0
		.amdhsa_float_round_mode_32 0
		.amdhsa_float_round_mode_16_64 0
		.amdhsa_float_denorm_mode_32 3
		.amdhsa_float_denorm_mode_16_64 3
		.amdhsa_dx10_clamp 1
		.amdhsa_ieee_mode 1
		.amdhsa_fp16_overflow 0
		.amdhsa_tg_split 0
		.amdhsa_exception_fp_ieee_invalid_op 0
		.amdhsa_exception_fp_denorm_src 0
		.amdhsa_exception_fp_ieee_div_zero 0
		.amdhsa_exception_fp_ieee_overflow 0
		.amdhsa_exception_fp_ieee_underflow 0
		.amdhsa_exception_fp_ieee_inexact 0
		.amdhsa_exception_int_div_zero 0
	.end_amdhsa_kernel
	.section	.text._ZN7rocprim17ROCPRIM_400000_NS6detail17trampoline_kernelINS0_14default_configENS1_20scan_config_selectorIN3c104HalfEEEZZNS1_9scan_implILNS1_25lookback_scan_determinismE0ELb0ELb0ES3_PKS6_PS6_S6_ZZZN2at6native31launch_logcumsumexp_cuda_kernelERKNSD_10TensorBaseESH_lENKUlvE_clEvENKUlvE3_clEvEUlS6_S6_E_S6_EEDaPvRmT3_T4_T5_mT6_P12ihipStream_tbENKUlT_T0_E_clISt17integral_constantIbLb1EESX_IbLb0EEEEDaST_SU_EUlST_E_NS1_11comp_targetILNS1_3genE10ELNS1_11target_archE1201ELNS1_3gpuE5ELNS1_3repE0EEENS1_30default_config_static_selectorELNS0_4arch9wavefront6targetE1EEEvT1_,"axG",@progbits,_ZN7rocprim17ROCPRIM_400000_NS6detail17trampoline_kernelINS0_14default_configENS1_20scan_config_selectorIN3c104HalfEEEZZNS1_9scan_implILNS1_25lookback_scan_determinismE0ELb0ELb0ES3_PKS6_PS6_S6_ZZZN2at6native31launch_logcumsumexp_cuda_kernelERKNSD_10TensorBaseESH_lENKUlvE_clEvENKUlvE3_clEvEUlS6_S6_E_S6_EEDaPvRmT3_T4_T5_mT6_P12ihipStream_tbENKUlT_T0_E_clISt17integral_constantIbLb1EESX_IbLb0EEEEDaST_SU_EUlST_E_NS1_11comp_targetILNS1_3genE10ELNS1_11target_archE1201ELNS1_3gpuE5ELNS1_3repE0EEENS1_30default_config_static_selectorELNS0_4arch9wavefront6targetE1EEEvT1_,comdat
.Lfunc_end413:
	.size	_ZN7rocprim17ROCPRIM_400000_NS6detail17trampoline_kernelINS0_14default_configENS1_20scan_config_selectorIN3c104HalfEEEZZNS1_9scan_implILNS1_25lookback_scan_determinismE0ELb0ELb0ES3_PKS6_PS6_S6_ZZZN2at6native31launch_logcumsumexp_cuda_kernelERKNSD_10TensorBaseESH_lENKUlvE_clEvENKUlvE3_clEvEUlS6_S6_E_S6_EEDaPvRmT3_T4_T5_mT6_P12ihipStream_tbENKUlT_T0_E_clISt17integral_constantIbLb1EESX_IbLb0EEEEDaST_SU_EUlST_E_NS1_11comp_targetILNS1_3genE10ELNS1_11target_archE1201ELNS1_3gpuE5ELNS1_3repE0EEENS1_30default_config_static_selectorELNS0_4arch9wavefront6targetE1EEEvT1_, .Lfunc_end413-_ZN7rocprim17ROCPRIM_400000_NS6detail17trampoline_kernelINS0_14default_configENS1_20scan_config_selectorIN3c104HalfEEEZZNS1_9scan_implILNS1_25lookback_scan_determinismE0ELb0ELb0ES3_PKS6_PS6_S6_ZZZN2at6native31launch_logcumsumexp_cuda_kernelERKNSD_10TensorBaseESH_lENKUlvE_clEvENKUlvE3_clEvEUlS6_S6_E_S6_EEDaPvRmT3_T4_T5_mT6_P12ihipStream_tbENKUlT_T0_E_clISt17integral_constantIbLb1EESX_IbLb0EEEEDaST_SU_EUlST_E_NS1_11comp_targetILNS1_3genE10ELNS1_11target_archE1201ELNS1_3gpuE5ELNS1_3repE0EEENS1_30default_config_static_selectorELNS0_4arch9wavefront6targetE1EEEvT1_
                                        ; -- End function
	.section	.AMDGPU.csdata,"",@progbits
; Kernel info:
; codeLenInByte = 0
; NumSgprs: 6
; NumVgprs: 0
; NumAgprs: 0
; TotalNumVgprs: 0
; ScratchSize: 0
; MemoryBound: 0
; FloatMode: 240
; IeeeMode: 1
; LDSByteSize: 0 bytes/workgroup (compile time only)
; SGPRBlocks: 0
; VGPRBlocks: 0
; NumSGPRsForWavesPerEU: 6
; NumVGPRsForWavesPerEU: 1
; AccumOffset: 4
; Occupancy: 8
; WaveLimiterHint : 0
; COMPUTE_PGM_RSRC2:SCRATCH_EN: 0
; COMPUTE_PGM_RSRC2:USER_SGPR: 2
; COMPUTE_PGM_RSRC2:TRAP_HANDLER: 0
; COMPUTE_PGM_RSRC2:TGID_X_EN: 1
; COMPUTE_PGM_RSRC2:TGID_Y_EN: 0
; COMPUTE_PGM_RSRC2:TGID_Z_EN: 0
; COMPUTE_PGM_RSRC2:TIDIG_COMP_CNT: 0
; COMPUTE_PGM_RSRC3_GFX90A:ACCUM_OFFSET: 0
; COMPUTE_PGM_RSRC3_GFX90A:TG_SPLIT: 0
	.section	.text._ZN7rocprim17ROCPRIM_400000_NS6detail17trampoline_kernelINS0_14default_configENS1_20scan_config_selectorIN3c104HalfEEEZZNS1_9scan_implILNS1_25lookback_scan_determinismE0ELb0ELb0ES3_PKS6_PS6_S6_ZZZN2at6native31launch_logcumsumexp_cuda_kernelERKNSD_10TensorBaseESH_lENKUlvE_clEvENKUlvE3_clEvEUlS6_S6_E_S6_EEDaPvRmT3_T4_T5_mT6_P12ihipStream_tbENKUlT_T0_E_clISt17integral_constantIbLb1EESX_IbLb0EEEEDaST_SU_EUlST_E_NS1_11comp_targetILNS1_3genE10ELNS1_11target_archE1200ELNS1_3gpuE4ELNS1_3repE0EEENS1_30default_config_static_selectorELNS0_4arch9wavefront6targetE1EEEvT1_,"axG",@progbits,_ZN7rocprim17ROCPRIM_400000_NS6detail17trampoline_kernelINS0_14default_configENS1_20scan_config_selectorIN3c104HalfEEEZZNS1_9scan_implILNS1_25lookback_scan_determinismE0ELb0ELb0ES3_PKS6_PS6_S6_ZZZN2at6native31launch_logcumsumexp_cuda_kernelERKNSD_10TensorBaseESH_lENKUlvE_clEvENKUlvE3_clEvEUlS6_S6_E_S6_EEDaPvRmT3_T4_T5_mT6_P12ihipStream_tbENKUlT_T0_E_clISt17integral_constantIbLb1EESX_IbLb0EEEEDaST_SU_EUlST_E_NS1_11comp_targetILNS1_3genE10ELNS1_11target_archE1200ELNS1_3gpuE4ELNS1_3repE0EEENS1_30default_config_static_selectorELNS0_4arch9wavefront6targetE1EEEvT1_,comdat
	.globl	_ZN7rocprim17ROCPRIM_400000_NS6detail17trampoline_kernelINS0_14default_configENS1_20scan_config_selectorIN3c104HalfEEEZZNS1_9scan_implILNS1_25lookback_scan_determinismE0ELb0ELb0ES3_PKS6_PS6_S6_ZZZN2at6native31launch_logcumsumexp_cuda_kernelERKNSD_10TensorBaseESH_lENKUlvE_clEvENKUlvE3_clEvEUlS6_S6_E_S6_EEDaPvRmT3_T4_T5_mT6_P12ihipStream_tbENKUlT_T0_E_clISt17integral_constantIbLb1EESX_IbLb0EEEEDaST_SU_EUlST_E_NS1_11comp_targetILNS1_3genE10ELNS1_11target_archE1200ELNS1_3gpuE4ELNS1_3repE0EEENS1_30default_config_static_selectorELNS0_4arch9wavefront6targetE1EEEvT1_ ; -- Begin function _ZN7rocprim17ROCPRIM_400000_NS6detail17trampoline_kernelINS0_14default_configENS1_20scan_config_selectorIN3c104HalfEEEZZNS1_9scan_implILNS1_25lookback_scan_determinismE0ELb0ELb0ES3_PKS6_PS6_S6_ZZZN2at6native31launch_logcumsumexp_cuda_kernelERKNSD_10TensorBaseESH_lENKUlvE_clEvENKUlvE3_clEvEUlS6_S6_E_S6_EEDaPvRmT3_T4_T5_mT6_P12ihipStream_tbENKUlT_T0_E_clISt17integral_constantIbLb1EESX_IbLb0EEEEDaST_SU_EUlST_E_NS1_11comp_targetILNS1_3genE10ELNS1_11target_archE1200ELNS1_3gpuE4ELNS1_3repE0EEENS1_30default_config_static_selectorELNS0_4arch9wavefront6targetE1EEEvT1_
	.p2align	8
	.type	_ZN7rocprim17ROCPRIM_400000_NS6detail17trampoline_kernelINS0_14default_configENS1_20scan_config_selectorIN3c104HalfEEEZZNS1_9scan_implILNS1_25lookback_scan_determinismE0ELb0ELb0ES3_PKS6_PS6_S6_ZZZN2at6native31launch_logcumsumexp_cuda_kernelERKNSD_10TensorBaseESH_lENKUlvE_clEvENKUlvE3_clEvEUlS6_S6_E_S6_EEDaPvRmT3_T4_T5_mT6_P12ihipStream_tbENKUlT_T0_E_clISt17integral_constantIbLb1EESX_IbLb0EEEEDaST_SU_EUlST_E_NS1_11comp_targetILNS1_3genE10ELNS1_11target_archE1200ELNS1_3gpuE4ELNS1_3repE0EEENS1_30default_config_static_selectorELNS0_4arch9wavefront6targetE1EEEvT1_,@function
_ZN7rocprim17ROCPRIM_400000_NS6detail17trampoline_kernelINS0_14default_configENS1_20scan_config_selectorIN3c104HalfEEEZZNS1_9scan_implILNS1_25lookback_scan_determinismE0ELb0ELb0ES3_PKS6_PS6_S6_ZZZN2at6native31launch_logcumsumexp_cuda_kernelERKNSD_10TensorBaseESH_lENKUlvE_clEvENKUlvE3_clEvEUlS6_S6_E_S6_EEDaPvRmT3_T4_T5_mT6_P12ihipStream_tbENKUlT_T0_E_clISt17integral_constantIbLb1EESX_IbLb0EEEEDaST_SU_EUlST_E_NS1_11comp_targetILNS1_3genE10ELNS1_11target_archE1200ELNS1_3gpuE4ELNS1_3repE0EEENS1_30default_config_static_selectorELNS0_4arch9wavefront6targetE1EEEvT1_: ; @_ZN7rocprim17ROCPRIM_400000_NS6detail17trampoline_kernelINS0_14default_configENS1_20scan_config_selectorIN3c104HalfEEEZZNS1_9scan_implILNS1_25lookback_scan_determinismE0ELb0ELb0ES3_PKS6_PS6_S6_ZZZN2at6native31launch_logcumsumexp_cuda_kernelERKNSD_10TensorBaseESH_lENKUlvE_clEvENKUlvE3_clEvEUlS6_S6_E_S6_EEDaPvRmT3_T4_T5_mT6_P12ihipStream_tbENKUlT_T0_E_clISt17integral_constantIbLb1EESX_IbLb0EEEEDaST_SU_EUlST_E_NS1_11comp_targetILNS1_3genE10ELNS1_11target_archE1200ELNS1_3gpuE4ELNS1_3repE0EEENS1_30default_config_static_selectorELNS0_4arch9wavefront6targetE1EEEvT1_
; %bb.0:
	.section	.rodata,"a",@progbits
	.p2align	6, 0x0
	.amdhsa_kernel _ZN7rocprim17ROCPRIM_400000_NS6detail17trampoline_kernelINS0_14default_configENS1_20scan_config_selectorIN3c104HalfEEEZZNS1_9scan_implILNS1_25lookback_scan_determinismE0ELb0ELb0ES3_PKS6_PS6_S6_ZZZN2at6native31launch_logcumsumexp_cuda_kernelERKNSD_10TensorBaseESH_lENKUlvE_clEvENKUlvE3_clEvEUlS6_S6_E_S6_EEDaPvRmT3_T4_T5_mT6_P12ihipStream_tbENKUlT_T0_E_clISt17integral_constantIbLb1EESX_IbLb0EEEEDaST_SU_EUlST_E_NS1_11comp_targetILNS1_3genE10ELNS1_11target_archE1200ELNS1_3gpuE4ELNS1_3repE0EEENS1_30default_config_static_selectorELNS0_4arch9wavefront6targetE1EEEvT1_
		.amdhsa_group_segment_fixed_size 0
		.amdhsa_private_segment_fixed_size 0
		.amdhsa_kernarg_size 96
		.amdhsa_user_sgpr_count 2
		.amdhsa_user_sgpr_dispatch_ptr 0
		.amdhsa_user_sgpr_queue_ptr 0
		.amdhsa_user_sgpr_kernarg_segment_ptr 1
		.amdhsa_user_sgpr_dispatch_id 0
		.amdhsa_user_sgpr_kernarg_preload_length 0
		.amdhsa_user_sgpr_kernarg_preload_offset 0
		.amdhsa_user_sgpr_private_segment_size 0
		.amdhsa_uses_dynamic_stack 0
		.amdhsa_enable_private_segment 0
		.amdhsa_system_sgpr_workgroup_id_x 1
		.amdhsa_system_sgpr_workgroup_id_y 0
		.amdhsa_system_sgpr_workgroup_id_z 0
		.amdhsa_system_sgpr_workgroup_info 0
		.amdhsa_system_vgpr_workitem_id 0
		.amdhsa_next_free_vgpr 1
		.amdhsa_next_free_sgpr 0
		.amdhsa_accum_offset 4
		.amdhsa_reserve_vcc 0
		.amdhsa_float_round_mode_32 0
		.amdhsa_float_round_mode_16_64 0
		.amdhsa_float_denorm_mode_32 3
		.amdhsa_float_denorm_mode_16_64 3
		.amdhsa_dx10_clamp 1
		.amdhsa_ieee_mode 1
		.amdhsa_fp16_overflow 0
		.amdhsa_tg_split 0
		.amdhsa_exception_fp_ieee_invalid_op 0
		.amdhsa_exception_fp_denorm_src 0
		.amdhsa_exception_fp_ieee_div_zero 0
		.amdhsa_exception_fp_ieee_overflow 0
		.amdhsa_exception_fp_ieee_underflow 0
		.amdhsa_exception_fp_ieee_inexact 0
		.amdhsa_exception_int_div_zero 0
	.end_amdhsa_kernel
	.section	.text._ZN7rocprim17ROCPRIM_400000_NS6detail17trampoline_kernelINS0_14default_configENS1_20scan_config_selectorIN3c104HalfEEEZZNS1_9scan_implILNS1_25lookback_scan_determinismE0ELb0ELb0ES3_PKS6_PS6_S6_ZZZN2at6native31launch_logcumsumexp_cuda_kernelERKNSD_10TensorBaseESH_lENKUlvE_clEvENKUlvE3_clEvEUlS6_S6_E_S6_EEDaPvRmT3_T4_T5_mT6_P12ihipStream_tbENKUlT_T0_E_clISt17integral_constantIbLb1EESX_IbLb0EEEEDaST_SU_EUlST_E_NS1_11comp_targetILNS1_3genE10ELNS1_11target_archE1200ELNS1_3gpuE4ELNS1_3repE0EEENS1_30default_config_static_selectorELNS0_4arch9wavefront6targetE1EEEvT1_,"axG",@progbits,_ZN7rocprim17ROCPRIM_400000_NS6detail17trampoline_kernelINS0_14default_configENS1_20scan_config_selectorIN3c104HalfEEEZZNS1_9scan_implILNS1_25lookback_scan_determinismE0ELb0ELb0ES3_PKS6_PS6_S6_ZZZN2at6native31launch_logcumsumexp_cuda_kernelERKNSD_10TensorBaseESH_lENKUlvE_clEvENKUlvE3_clEvEUlS6_S6_E_S6_EEDaPvRmT3_T4_T5_mT6_P12ihipStream_tbENKUlT_T0_E_clISt17integral_constantIbLb1EESX_IbLb0EEEEDaST_SU_EUlST_E_NS1_11comp_targetILNS1_3genE10ELNS1_11target_archE1200ELNS1_3gpuE4ELNS1_3repE0EEENS1_30default_config_static_selectorELNS0_4arch9wavefront6targetE1EEEvT1_,comdat
.Lfunc_end414:
	.size	_ZN7rocprim17ROCPRIM_400000_NS6detail17trampoline_kernelINS0_14default_configENS1_20scan_config_selectorIN3c104HalfEEEZZNS1_9scan_implILNS1_25lookback_scan_determinismE0ELb0ELb0ES3_PKS6_PS6_S6_ZZZN2at6native31launch_logcumsumexp_cuda_kernelERKNSD_10TensorBaseESH_lENKUlvE_clEvENKUlvE3_clEvEUlS6_S6_E_S6_EEDaPvRmT3_T4_T5_mT6_P12ihipStream_tbENKUlT_T0_E_clISt17integral_constantIbLb1EESX_IbLb0EEEEDaST_SU_EUlST_E_NS1_11comp_targetILNS1_3genE10ELNS1_11target_archE1200ELNS1_3gpuE4ELNS1_3repE0EEENS1_30default_config_static_selectorELNS0_4arch9wavefront6targetE1EEEvT1_, .Lfunc_end414-_ZN7rocprim17ROCPRIM_400000_NS6detail17trampoline_kernelINS0_14default_configENS1_20scan_config_selectorIN3c104HalfEEEZZNS1_9scan_implILNS1_25lookback_scan_determinismE0ELb0ELb0ES3_PKS6_PS6_S6_ZZZN2at6native31launch_logcumsumexp_cuda_kernelERKNSD_10TensorBaseESH_lENKUlvE_clEvENKUlvE3_clEvEUlS6_S6_E_S6_EEDaPvRmT3_T4_T5_mT6_P12ihipStream_tbENKUlT_T0_E_clISt17integral_constantIbLb1EESX_IbLb0EEEEDaST_SU_EUlST_E_NS1_11comp_targetILNS1_3genE10ELNS1_11target_archE1200ELNS1_3gpuE4ELNS1_3repE0EEENS1_30default_config_static_selectorELNS0_4arch9wavefront6targetE1EEEvT1_
                                        ; -- End function
	.section	.AMDGPU.csdata,"",@progbits
; Kernel info:
; codeLenInByte = 0
; NumSgprs: 6
; NumVgprs: 0
; NumAgprs: 0
; TotalNumVgprs: 0
; ScratchSize: 0
; MemoryBound: 0
; FloatMode: 240
; IeeeMode: 1
; LDSByteSize: 0 bytes/workgroup (compile time only)
; SGPRBlocks: 0
; VGPRBlocks: 0
; NumSGPRsForWavesPerEU: 6
; NumVGPRsForWavesPerEU: 1
; AccumOffset: 4
; Occupancy: 8
; WaveLimiterHint : 0
; COMPUTE_PGM_RSRC2:SCRATCH_EN: 0
; COMPUTE_PGM_RSRC2:USER_SGPR: 2
; COMPUTE_PGM_RSRC2:TRAP_HANDLER: 0
; COMPUTE_PGM_RSRC2:TGID_X_EN: 1
; COMPUTE_PGM_RSRC2:TGID_Y_EN: 0
; COMPUTE_PGM_RSRC2:TGID_Z_EN: 0
; COMPUTE_PGM_RSRC2:TIDIG_COMP_CNT: 0
; COMPUTE_PGM_RSRC3_GFX90A:ACCUM_OFFSET: 0
; COMPUTE_PGM_RSRC3_GFX90A:TG_SPLIT: 0
	.section	.text._ZN7rocprim17ROCPRIM_400000_NS6detail17trampoline_kernelINS0_14default_configENS1_20scan_config_selectorIN3c104HalfEEEZZNS1_9scan_implILNS1_25lookback_scan_determinismE0ELb0ELb0ES3_PKS6_PS6_S6_ZZZN2at6native31launch_logcumsumexp_cuda_kernelERKNSD_10TensorBaseESH_lENKUlvE_clEvENKUlvE3_clEvEUlS6_S6_E_S6_EEDaPvRmT3_T4_T5_mT6_P12ihipStream_tbENKUlT_T0_E_clISt17integral_constantIbLb1EESX_IbLb0EEEEDaST_SU_EUlST_E_NS1_11comp_targetILNS1_3genE9ELNS1_11target_archE1100ELNS1_3gpuE3ELNS1_3repE0EEENS1_30default_config_static_selectorELNS0_4arch9wavefront6targetE1EEEvT1_,"axG",@progbits,_ZN7rocprim17ROCPRIM_400000_NS6detail17trampoline_kernelINS0_14default_configENS1_20scan_config_selectorIN3c104HalfEEEZZNS1_9scan_implILNS1_25lookback_scan_determinismE0ELb0ELb0ES3_PKS6_PS6_S6_ZZZN2at6native31launch_logcumsumexp_cuda_kernelERKNSD_10TensorBaseESH_lENKUlvE_clEvENKUlvE3_clEvEUlS6_S6_E_S6_EEDaPvRmT3_T4_T5_mT6_P12ihipStream_tbENKUlT_T0_E_clISt17integral_constantIbLb1EESX_IbLb0EEEEDaST_SU_EUlST_E_NS1_11comp_targetILNS1_3genE9ELNS1_11target_archE1100ELNS1_3gpuE3ELNS1_3repE0EEENS1_30default_config_static_selectorELNS0_4arch9wavefront6targetE1EEEvT1_,comdat
	.globl	_ZN7rocprim17ROCPRIM_400000_NS6detail17trampoline_kernelINS0_14default_configENS1_20scan_config_selectorIN3c104HalfEEEZZNS1_9scan_implILNS1_25lookback_scan_determinismE0ELb0ELb0ES3_PKS6_PS6_S6_ZZZN2at6native31launch_logcumsumexp_cuda_kernelERKNSD_10TensorBaseESH_lENKUlvE_clEvENKUlvE3_clEvEUlS6_S6_E_S6_EEDaPvRmT3_T4_T5_mT6_P12ihipStream_tbENKUlT_T0_E_clISt17integral_constantIbLb1EESX_IbLb0EEEEDaST_SU_EUlST_E_NS1_11comp_targetILNS1_3genE9ELNS1_11target_archE1100ELNS1_3gpuE3ELNS1_3repE0EEENS1_30default_config_static_selectorELNS0_4arch9wavefront6targetE1EEEvT1_ ; -- Begin function _ZN7rocprim17ROCPRIM_400000_NS6detail17trampoline_kernelINS0_14default_configENS1_20scan_config_selectorIN3c104HalfEEEZZNS1_9scan_implILNS1_25lookback_scan_determinismE0ELb0ELb0ES3_PKS6_PS6_S6_ZZZN2at6native31launch_logcumsumexp_cuda_kernelERKNSD_10TensorBaseESH_lENKUlvE_clEvENKUlvE3_clEvEUlS6_S6_E_S6_EEDaPvRmT3_T4_T5_mT6_P12ihipStream_tbENKUlT_T0_E_clISt17integral_constantIbLb1EESX_IbLb0EEEEDaST_SU_EUlST_E_NS1_11comp_targetILNS1_3genE9ELNS1_11target_archE1100ELNS1_3gpuE3ELNS1_3repE0EEENS1_30default_config_static_selectorELNS0_4arch9wavefront6targetE1EEEvT1_
	.p2align	8
	.type	_ZN7rocprim17ROCPRIM_400000_NS6detail17trampoline_kernelINS0_14default_configENS1_20scan_config_selectorIN3c104HalfEEEZZNS1_9scan_implILNS1_25lookback_scan_determinismE0ELb0ELb0ES3_PKS6_PS6_S6_ZZZN2at6native31launch_logcumsumexp_cuda_kernelERKNSD_10TensorBaseESH_lENKUlvE_clEvENKUlvE3_clEvEUlS6_S6_E_S6_EEDaPvRmT3_T4_T5_mT6_P12ihipStream_tbENKUlT_T0_E_clISt17integral_constantIbLb1EESX_IbLb0EEEEDaST_SU_EUlST_E_NS1_11comp_targetILNS1_3genE9ELNS1_11target_archE1100ELNS1_3gpuE3ELNS1_3repE0EEENS1_30default_config_static_selectorELNS0_4arch9wavefront6targetE1EEEvT1_,@function
_ZN7rocprim17ROCPRIM_400000_NS6detail17trampoline_kernelINS0_14default_configENS1_20scan_config_selectorIN3c104HalfEEEZZNS1_9scan_implILNS1_25lookback_scan_determinismE0ELb0ELb0ES3_PKS6_PS6_S6_ZZZN2at6native31launch_logcumsumexp_cuda_kernelERKNSD_10TensorBaseESH_lENKUlvE_clEvENKUlvE3_clEvEUlS6_S6_E_S6_EEDaPvRmT3_T4_T5_mT6_P12ihipStream_tbENKUlT_T0_E_clISt17integral_constantIbLb1EESX_IbLb0EEEEDaST_SU_EUlST_E_NS1_11comp_targetILNS1_3genE9ELNS1_11target_archE1100ELNS1_3gpuE3ELNS1_3repE0EEENS1_30default_config_static_selectorELNS0_4arch9wavefront6targetE1EEEvT1_: ; @_ZN7rocprim17ROCPRIM_400000_NS6detail17trampoline_kernelINS0_14default_configENS1_20scan_config_selectorIN3c104HalfEEEZZNS1_9scan_implILNS1_25lookback_scan_determinismE0ELb0ELb0ES3_PKS6_PS6_S6_ZZZN2at6native31launch_logcumsumexp_cuda_kernelERKNSD_10TensorBaseESH_lENKUlvE_clEvENKUlvE3_clEvEUlS6_S6_E_S6_EEDaPvRmT3_T4_T5_mT6_P12ihipStream_tbENKUlT_T0_E_clISt17integral_constantIbLb1EESX_IbLb0EEEEDaST_SU_EUlST_E_NS1_11comp_targetILNS1_3genE9ELNS1_11target_archE1100ELNS1_3gpuE3ELNS1_3repE0EEENS1_30default_config_static_selectorELNS0_4arch9wavefront6targetE1EEEvT1_
; %bb.0:
	.section	.rodata,"a",@progbits
	.p2align	6, 0x0
	.amdhsa_kernel _ZN7rocprim17ROCPRIM_400000_NS6detail17trampoline_kernelINS0_14default_configENS1_20scan_config_selectorIN3c104HalfEEEZZNS1_9scan_implILNS1_25lookback_scan_determinismE0ELb0ELb0ES3_PKS6_PS6_S6_ZZZN2at6native31launch_logcumsumexp_cuda_kernelERKNSD_10TensorBaseESH_lENKUlvE_clEvENKUlvE3_clEvEUlS6_S6_E_S6_EEDaPvRmT3_T4_T5_mT6_P12ihipStream_tbENKUlT_T0_E_clISt17integral_constantIbLb1EESX_IbLb0EEEEDaST_SU_EUlST_E_NS1_11comp_targetILNS1_3genE9ELNS1_11target_archE1100ELNS1_3gpuE3ELNS1_3repE0EEENS1_30default_config_static_selectorELNS0_4arch9wavefront6targetE1EEEvT1_
		.amdhsa_group_segment_fixed_size 0
		.amdhsa_private_segment_fixed_size 0
		.amdhsa_kernarg_size 96
		.amdhsa_user_sgpr_count 2
		.amdhsa_user_sgpr_dispatch_ptr 0
		.amdhsa_user_sgpr_queue_ptr 0
		.amdhsa_user_sgpr_kernarg_segment_ptr 1
		.amdhsa_user_sgpr_dispatch_id 0
		.amdhsa_user_sgpr_kernarg_preload_length 0
		.amdhsa_user_sgpr_kernarg_preload_offset 0
		.amdhsa_user_sgpr_private_segment_size 0
		.amdhsa_uses_dynamic_stack 0
		.amdhsa_enable_private_segment 0
		.amdhsa_system_sgpr_workgroup_id_x 1
		.amdhsa_system_sgpr_workgroup_id_y 0
		.amdhsa_system_sgpr_workgroup_id_z 0
		.amdhsa_system_sgpr_workgroup_info 0
		.amdhsa_system_vgpr_workitem_id 0
		.amdhsa_next_free_vgpr 1
		.amdhsa_next_free_sgpr 0
		.amdhsa_accum_offset 4
		.amdhsa_reserve_vcc 0
		.amdhsa_float_round_mode_32 0
		.amdhsa_float_round_mode_16_64 0
		.amdhsa_float_denorm_mode_32 3
		.amdhsa_float_denorm_mode_16_64 3
		.amdhsa_dx10_clamp 1
		.amdhsa_ieee_mode 1
		.amdhsa_fp16_overflow 0
		.amdhsa_tg_split 0
		.amdhsa_exception_fp_ieee_invalid_op 0
		.amdhsa_exception_fp_denorm_src 0
		.amdhsa_exception_fp_ieee_div_zero 0
		.amdhsa_exception_fp_ieee_overflow 0
		.amdhsa_exception_fp_ieee_underflow 0
		.amdhsa_exception_fp_ieee_inexact 0
		.amdhsa_exception_int_div_zero 0
	.end_amdhsa_kernel
	.section	.text._ZN7rocprim17ROCPRIM_400000_NS6detail17trampoline_kernelINS0_14default_configENS1_20scan_config_selectorIN3c104HalfEEEZZNS1_9scan_implILNS1_25lookback_scan_determinismE0ELb0ELb0ES3_PKS6_PS6_S6_ZZZN2at6native31launch_logcumsumexp_cuda_kernelERKNSD_10TensorBaseESH_lENKUlvE_clEvENKUlvE3_clEvEUlS6_S6_E_S6_EEDaPvRmT3_T4_T5_mT6_P12ihipStream_tbENKUlT_T0_E_clISt17integral_constantIbLb1EESX_IbLb0EEEEDaST_SU_EUlST_E_NS1_11comp_targetILNS1_3genE9ELNS1_11target_archE1100ELNS1_3gpuE3ELNS1_3repE0EEENS1_30default_config_static_selectorELNS0_4arch9wavefront6targetE1EEEvT1_,"axG",@progbits,_ZN7rocprim17ROCPRIM_400000_NS6detail17trampoline_kernelINS0_14default_configENS1_20scan_config_selectorIN3c104HalfEEEZZNS1_9scan_implILNS1_25lookback_scan_determinismE0ELb0ELb0ES3_PKS6_PS6_S6_ZZZN2at6native31launch_logcumsumexp_cuda_kernelERKNSD_10TensorBaseESH_lENKUlvE_clEvENKUlvE3_clEvEUlS6_S6_E_S6_EEDaPvRmT3_T4_T5_mT6_P12ihipStream_tbENKUlT_T0_E_clISt17integral_constantIbLb1EESX_IbLb0EEEEDaST_SU_EUlST_E_NS1_11comp_targetILNS1_3genE9ELNS1_11target_archE1100ELNS1_3gpuE3ELNS1_3repE0EEENS1_30default_config_static_selectorELNS0_4arch9wavefront6targetE1EEEvT1_,comdat
.Lfunc_end415:
	.size	_ZN7rocprim17ROCPRIM_400000_NS6detail17trampoline_kernelINS0_14default_configENS1_20scan_config_selectorIN3c104HalfEEEZZNS1_9scan_implILNS1_25lookback_scan_determinismE0ELb0ELb0ES3_PKS6_PS6_S6_ZZZN2at6native31launch_logcumsumexp_cuda_kernelERKNSD_10TensorBaseESH_lENKUlvE_clEvENKUlvE3_clEvEUlS6_S6_E_S6_EEDaPvRmT3_T4_T5_mT6_P12ihipStream_tbENKUlT_T0_E_clISt17integral_constantIbLb1EESX_IbLb0EEEEDaST_SU_EUlST_E_NS1_11comp_targetILNS1_3genE9ELNS1_11target_archE1100ELNS1_3gpuE3ELNS1_3repE0EEENS1_30default_config_static_selectorELNS0_4arch9wavefront6targetE1EEEvT1_, .Lfunc_end415-_ZN7rocprim17ROCPRIM_400000_NS6detail17trampoline_kernelINS0_14default_configENS1_20scan_config_selectorIN3c104HalfEEEZZNS1_9scan_implILNS1_25lookback_scan_determinismE0ELb0ELb0ES3_PKS6_PS6_S6_ZZZN2at6native31launch_logcumsumexp_cuda_kernelERKNSD_10TensorBaseESH_lENKUlvE_clEvENKUlvE3_clEvEUlS6_S6_E_S6_EEDaPvRmT3_T4_T5_mT6_P12ihipStream_tbENKUlT_T0_E_clISt17integral_constantIbLb1EESX_IbLb0EEEEDaST_SU_EUlST_E_NS1_11comp_targetILNS1_3genE9ELNS1_11target_archE1100ELNS1_3gpuE3ELNS1_3repE0EEENS1_30default_config_static_selectorELNS0_4arch9wavefront6targetE1EEEvT1_
                                        ; -- End function
	.section	.AMDGPU.csdata,"",@progbits
; Kernel info:
; codeLenInByte = 0
; NumSgprs: 6
; NumVgprs: 0
; NumAgprs: 0
; TotalNumVgprs: 0
; ScratchSize: 0
; MemoryBound: 0
; FloatMode: 240
; IeeeMode: 1
; LDSByteSize: 0 bytes/workgroup (compile time only)
; SGPRBlocks: 0
; VGPRBlocks: 0
; NumSGPRsForWavesPerEU: 6
; NumVGPRsForWavesPerEU: 1
; AccumOffset: 4
; Occupancy: 8
; WaveLimiterHint : 0
; COMPUTE_PGM_RSRC2:SCRATCH_EN: 0
; COMPUTE_PGM_RSRC2:USER_SGPR: 2
; COMPUTE_PGM_RSRC2:TRAP_HANDLER: 0
; COMPUTE_PGM_RSRC2:TGID_X_EN: 1
; COMPUTE_PGM_RSRC2:TGID_Y_EN: 0
; COMPUTE_PGM_RSRC2:TGID_Z_EN: 0
; COMPUTE_PGM_RSRC2:TIDIG_COMP_CNT: 0
; COMPUTE_PGM_RSRC3_GFX90A:ACCUM_OFFSET: 0
; COMPUTE_PGM_RSRC3_GFX90A:TG_SPLIT: 0
	.section	.text._ZN7rocprim17ROCPRIM_400000_NS6detail17trampoline_kernelINS0_14default_configENS1_20scan_config_selectorIN3c104HalfEEEZZNS1_9scan_implILNS1_25lookback_scan_determinismE0ELb0ELb0ES3_PKS6_PS6_S6_ZZZN2at6native31launch_logcumsumexp_cuda_kernelERKNSD_10TensorBaseESH_lENKUlvE_clEvENKUlvE3_clEvEUlS6_S6_E_S6_EEDaPvRmT3_T4_T5_mT6_P12ihipStream_tbENKUlT_T0_E_clISt17integral_constantIbLb1EESX_IbLb0EEEEDaST_SU_EUlST_E_NS1_11comp_targetILNS1_3genE8ELNS1_11target_archE1030ELNS1_3gpuE2ELNS1_3repE0EEENS1_30default_config_static_selectorELNS0_4arch9wavefront6targetE1EEEvT1_,"axG",@progbits,_ZN7rocprim17ROCPRIM_400000_NS6detail17trampoline_kernelINS0_14default_configENS1_20scan_config_selectorIN3c104HalfEEEZZNS1_9scan_implILNS1_25lookback_scan_determinismE0ELb0ELb0ES3_PKS6_PS6_S6_ZZZN2at6native31launch_logcumsumexp_cuda_kernelERKNSD_10TensorBaseESH_lENKUlvE_clEvENKUlvE3_clEvEUlS6_S6_E_S6_EEDaPvRmT3_T4_T5_mT6_P12ihipStream_tbENKUlT_T0_E_clISt17integral_constantIbLb1EESX_IbLb0EEEEDaST_SU_EUlST_E_NS1_11comp_targetILNS1_3genE8ELNS1_11target_archE1030ELNS1_3gpuE2ELNS1_3repE0EEENS1_30default_config_static_selectorELNS0_4arch9wavefront6targetE1EEEvT1_,comdat
	.globl	_ZN7rocprim17ROCPRIM_400000_NS6detail17trampoline_kernelINS0_14default_configENS1_20scan_config_selectorIN3c104HalfEEEZZNS1_9scan_implILNS1_25lookback_scan_determinismE0ELb0ELb0ES3_PKS6_PS6_S6_ZZZN2at6native31launch_logcumsumexp_cuda_kernelERKNSD_10TensorBaseESH_lENKUlvE_clEvENKUlvE3_clEvEUlS6_S6_E_S6_EEDaPvRmT3_T4_T5_mT6_P12ihipStream_tbENKUlT_T0_E_clISt17integral_constantIbLb1EESX_IbLb0EEEEDaST_SU_EUlST_E_NS1_11comp_targetILNS1_3genE8ELNS1_11target_archE1030ELNS1_3gpuE2ELNS1_3repE0EEENS1_30default_config_static_selectorELNS0_4arch9wavefront6targetE1EEEvT1_ ; -- Begin function _ZN7rocprim17ROCPRIM_400000_NS6detail17trampoline_kernelINS0_14default_configENS1_20scan_config_selectorIN3c104HalfEEEZZNS1_9scan_implILNS1_25lookback_scan_determinismE0ELb0ELb0ES3_PKS6_PS6_S6_ZZZN2at6native31launch_logcumsumexp_cuda_kernelERKNSD_10TensorBaseESH_lENKUlvE_clEvENKUlvE3_clEvEUlS6_S6_E_S6_EEDaPvRmT3_T4_T5_mT6_P12ihipStream_tbENKUlT_T0_E_clISt17integral_constantIbLb1EESX_IbLb0EEEEDaST_SU_EUlST_E_NS1_11comp_targetILNS1_3genE8ELNS1_11target_archE1030ELNS1_3gpuE2ELNS1_3repE0EEENS1_30default_config_static_selectorELNS0_4arch9wavefront6targetE1EEEvT1_
	.p2align	8
	.type	_ZN7rocprim17ROCPRIM_400000_NS6detail17trampoline_kernelINS0_14default_configENS1_20scan_config_selectorIN3c104HalfEEEZZNS1_9scan_implILNS1_25lookback_scan_determinismE0ELb0ELb0ES3_PKS6_PS6_S6_ZZZN2at6native31launch_logcumsumexp_cuda_kernelERKNSD_10TensorBaseESH_lENKUlvE_clEvENKUlvE3_clEvEUlS6_S6_E_S6_EEDaPvRmT3_T4_T5_mT6_P12ihipStream_tbENKUlT_T0_E_clISt17integral_constantIbLb1EESX_IbLb0EEEEDaST_SU_EUlST_E_NS1_11comp_targetILNS1_3genE8ELNS1_11target_archE1030ELNS1_3gpuE2ELNS1_3repE0EEENS1_30default_config_static_selectorELNS0_4arch9wavefront6targetE1EEEvT1_,@function
_ZN7rocprim17ROCPRIM_400000_NS6detail17trampoline_kernelINS0_14default_configENS1_20scan_config_selectorIN3c104HalfEEEZZNS1_9scan_implILNS1_25lookback_scan_determinismE0ELb0ELb0ES3_PKS6_PS6_S6_ZZZN2at6native31launch_logcumsumexp_cuda_kernelERKNSD_10TensorBaseESH_lENKUlvE_clEvENKUlvE3_clEvEUlS6_S6_E_S6_EEDaPvRmT3_T4_T5_mT6_P12ihipStream_tbENKUlT_T0_E_clISt17integral_constantIbLb1EESX_IbLb0EEEEDaST_SU_EUlST_E_NS1_11comp_targetILNS1_3genE8ELNS1_11target_archE1030ELNS1_3gpuE2ELNS1_3repE0EEENS1_30default_config_static_selectorELNS0_4arch9wavefront6targetE1EEEvT1_: ; @_ZN7rocprim17ROCPRIM_400000_NS6detail17trampoline_kernelINS0_14default_configENS1_20scan_config_selectorIN3c104HalfEEEZZNS1_9scan_implILNS1_25lookback_scan_determinismE0ELb0ELb0ES3_PKS6_PS6_S6_ZZZN2at6native31launch_logcumsumexp_cuda_kernelERKNSD_10TensorBaseESH_lENKUlvE_clEvENKUlvE3_clEvEUlS6_S6_E_S6_EEDaPvRmT3_T4_T5_mT6_P12ihipStream_tbENKUlT_T0_E_clISt17integral_constantIbLb1EESX_IbLb0EEEEDaST_SU_EUlST_E_NS1_11comp_targetILNS1_3genE8ELNS1_11target_archE1030ELNS1_3gpuE2ELNS1_3repE0EEENS1_30default_config_static_selectorELNS0_4arch9wavefront6targetE1EEEvT1_
; %bb.0:
	.section	.rodata,"a",@progbits
	.p2align	6, 0x0
	.amdhsa_kernel _ZN7rocprim17ROCPRIM_400000_NS6detail17trampoline_kernelINS0_14default_configENS1_20scan_config_selectorIN3c104HalfEEEZZNS1_9scan_implILNS1_25lookback_scan_determinismE0ELb0ELb0ES3_PKS6_PS6_S6_ZZZN2at6native31launch_logcumsumexp_cuda_kernelERKNSD_10TensorBaseESH_lENKUlvE_clEvENKUlvE3_clEvEUlS6_S6_E_S6_EEDaPvRmT3_T4_T5_mT6_P12ihipStream_tbENKUlT_T0_E_clISt17integral_constantIbLb1EESX_IbLb0EEEEDaST_SU_EUlST_E_NS1_11comp_targetILNS1_3genE8ELNS1_11target_archE1030ELNS1_3gpuE2ELNS1_3repE0EEENS1_30default_config_static_selectorELNS0_4arch9wavefront6targetE1EEEvT1_
		.amdhsa_group_segment_fixed_size 0
		.amdhsa_private_segment_fixed_size 0
		.amdhsa_kernarg_size 96
		.amdhsa_user_sgpr_count 2
		.amdhsa_user_sgpr_dispatch_ptr 0
		.amdhsa_user_sgpr_queue_ptr 0
		.amdhsa_user_sgpr_kernarg_segment_ptr 1
		.amdhsa_user_sgpr_dispatch_id 0
		.amdhsa_user_sgpr_kernarg_preload_length 0
		.amdhsa_user_sgpr_kernarg_preload_offset 0
		.amdhsa_user_sgpr_private_segment_size 0
		.amdhsa_uses_dynamic_stack 0
		.amdhsa_enable_private_segment 0
		.amdhsa_system_sgpr_workgroup_id_x 1
		.amdhsa_system_sgpr_workgroup_id_y 0
		.amdhsa_system_sgpr_workgroup_id_z 0
		.amdhsa_system_sgpr_workgroup_info 0
		.amdhsa_system_vgpr_workitem_id 0
		.amdhsa_next_free_vgpr 1
		.amdhsa_next_free_sgpr 0
		.amdhsa_accum_offset 4
		.amdhsa_reserve_vcc 0
		.amdhsa_float_round_mode_32 0
		.amdhsa_float_round_mode_16_64 0
		.amdhsa_float_denorm_mode_32 3
		.amdhsa_float_denorm_mode_16_64 3
		.amdhsa_dx10_clamp 1
		.amdhsa_ieee_mode 1
		.amdhsa_fp16_overflow 0
		.amdhsa_tg_split 0
		.amdhsa_exception_fp_ieee_invalid_op 0
		.amdhsa_exception_fp_denorm_src 0
		.amdhsa_exception_fp_ieee_div_zero 0
		.amdhsa_exception_fp_ieee_overflow 0
		.amdhsa_exception_fp_ieee_underflow 0
		.amdhsa_exception_fp_ieee_inexact 0
		.amdhsa_exception_int_div_zero 0
	.end_amdhsa_kernel
	.section	.text._ZN7rocprim17ROCPRIM_400000_NS6detail17trampoline_kernelINS0_14default_configENS1_20scan_config_selectorIN3c104HalfEEEZZNS1_9scan_implILNS1_25lookback_scan_determinismE0ELb0ELb0ES3_PKS6_PS6_S6_ZZZN2at6native31launch_logcumsumexp_cuda_kernelERKNSD_10TensorBaseESH_lENKUlvE_clEvENKUlvE3_clEvEUlS6_S6_E_S6_EEDaPvRmT3_T4_T5_mT6_P12ihipStream_tbENKUlT_T0_E_clISt17integral_constantIbLb1EESX_IbLb0EEEEDaST_SU_EUlST_E_NS1_11comp_targetILNS1_3genE8ELNS1_11target_archE1030ELNS1_3gpuE2ELNS1_3repE0EEENS1_30default_config_static_selectorELNS0_4arch9wavefront6targetE1EEEvT1_,"axG",@progbits,_ZN7rocprim17ROCPRIM_400000_NS6detail17trampoline_kernelINS0_14default_configENS1_20scan_config_selectorIN3c104HalfEEEZZNS1_9scan_implILNS1_25lookback_scan_determinismE0ELb0ELb0ES3_PKS6_PS6_S6_ZZZN2at6native31launch_logcumsumexp_cuda_kernelERKNSD_10TensorBaseESH_lENKUlvE_clEvENKUlvE3_clEvEUlS6_S6_E_S6_EEDaPvRmT3_T4_T5_mT6_P12ihipStream_tbENKUlT_T0_E_clISt17integral_constantIbLb1EESX_IbLb0EEEEDaST_SU_EUlST_E_NS1_11comp_targetILNS1_3genE8ELNS1_11target_archE1030ELNS1_3gpuE2ELNS1_3repE0EEENS1_30default_config_static_selectorELNS0_4arch9wavefront6targetE1EEEvT1_,comdat
.Lfunc_end416:
	.size	_ZN7rocprim17ROCPRIM_400000_NS6detail17trampoline_kernelINS0_14default_configENS1_20scan_config_selectorIN3c104HalfEEEZZNS1_9scan_implILNS1_25lookback_scan_determinismE0ELb0ELb0ES3_PKS6_PS6_S6_ZZZN2at6native31launch_logcumsumexp_cuda_kernelERKNSD_10TensorBaseESH_lENKUlvE_clEvENKUlvE3_clEvEUlS6_S6_E_S6_EEDaPvRmT3_T4_T5_mT6_P12ihipStream_tbENKUlT_T0_E_clISt17integral_constantIbLb1EESX_IbLb0EEEEDaST_SU_EUlST_E_NS1_11comp_targetILNS1_3genE8ELNS1_11target_archE1030ELNS1_3gpuE2ELNS1_3repE0EEENS1_30default_config_static_selectorELNS0_4arch9wavefront6targetE1EEEvT1_, .Lfunc_end416-_ZN7rocprim17ROCPRIM_400000_NS6detail17trampoline_kernelINS0_14default_configENS1_20scan_config_selectorIN3c104HalfEEEZZNS1_9scan_implILNS1_25lookback_scan_determinismE0ELb0ELb0ES3_PKS6_PS6_S6_ZZZN2at6native31launch_logcumsumexp_cuda_kernelERKNSD_10TensorBaseESH_lENKUlvE_clEvENKUlvE3_clEvEUlS6_S6_E_S6_EEDaPvRmT3_T4_T5_mT6_P12ihipStream_tbENKUlT_T0_E_clISt17integral_constantIbLb1EESX_IbLb0EEEEDaST_SU_EUlST_E_NS1_11comp_targetILNS1_3genE8ELNS1_11target_archE1030ELNS1_3gpuE2ELNS1_3repE0EEENS1_30default_config_static_selectorELNS0_4arch9wavefront6targetE1EEEvT1_
                                        ; -- End function
	.section	.AMDGPU.csdata,"",@progbits
; Kernel info:
; codeLenInByte = 0
; NumSgprs: 6
; NumVgprs: 0
; NumAgprs: 0
; TotalNumVgprs: 0
; ScratchSize: 0
; MemoryBound: 0
; FloatMode: 240
; IeeeMode: 1
; LDSByteSize: 0 bytes/workgroup (compile time only)
; SGPRBlocks: 0
; VGPRBlocks: 0
; NumSGPRsForWavesPerEU: 6
; NumVGPRsForWavesPerEU: 1
; AccumOffset: 4
; Occupancy: 8
; WaveLimiterHint : 0
; COMPUTE_PGM_RSRC2:SCRATCH_EN: 0
; COMPUTE_PGM_RSRC2:USER_SGPR: 2
; COMPUTE_PGM_RSRC2:TRAP_HANDLER: 0
; COMPUTE_PGM_RSRC2:TGID_X_EN: 1
; COMPUTE_PGM_RSRC2:TGID_Y_EN: 0
; COMPUTE_PGM_RSRC2:TGID_Z_EN: 0
; COMPUTE_PGM_RSRC2:TIDIG_COMP_CNT: 0
; COMPUTE_PGM_RSRC3_GFX90A:ACCUM_OFFSET: 0
; COMPUTE_PGM_RSRC3_GFX90A:TG_SPLIT: 0
	.section	.text._ZN7rocprim17ROCPRIM_400000_NS6detail17trampoline_kernelINS0_14default_configENS1_20scan_config_selectorIN3c104HalfEEEZZNS1_9scan_implILNS1_25lookback_scan_determinismE0ELb0ELb0ES3_PKS6_PS6_S6_ZZZN2at6native31launch_logcumsumexp_cuda_kernelERKNSD_10TensorBaseESH_lENKUlvE_clEvENKUlvE3_clEvEUlS6_S6_E_S6_EEDaPvRmT3_T4_T5_mT6_P12ihipStream_tbENKUlT_T0_E_clISt17integral_constantIbLb1EESX_IbLb0EEEEDaST_SU_EUlST_E0_NS1_11comp_targetILNS1_3genE0ELNS1_11target_archE4294967295ELNS1_3gpuE0ELNS1_3repE0EEENS1_30default_config_static_selectorELNS0_4arch9wavefront6targetE1EEEvT1_,"axG",@progbits,_ZN7rocprim17ROCPRIM_400000_NS6detail17trampoline_kernelINS0_14default_configENS1_20scan_config_selectorIN3c104HalfEEEZZNS1_9scan_implILNS1_25lookback_scan_determinismE0ELb0ELb0ES3_PKS6_PS6_S6_ZZZN2at6native31launch_logcumsumexp_cuda_kernelERKNSD_10TensorBaseESH_lENKUlvE_clEvENKUlvE3_clEvEUlS6_S6_E_S6_EEDaPvRmT3_T4_T5_mT6_P12ihipStream_tbENKUlT_T0_E_clISt17integral_constantIbLb1EESX_IbLb0EEEEDaST_SU_EUlST_E0_NS1_11comp_targetILNS1_3genE0ELNS1_11target_archE4294967295ELNS1_3gpuE0ELNS1_3repE0EEENS1_30default_config_static_selectorELNS0_4arch9wavefront6targetE1EEEvT1_,comdat
	.globl	_ZN7rocprim17ROCPRIM_400000_NS6detail17trampoline_kernelINS0_14default_configENS1_20scan_config_selectorIN3c104HalfEEEZZNS1_9scan_implILNS1_25lookback_scan_determinismE0ELb0ELb0ES3_PKS6_PS6_S6_ZZZN2at6native31launch_logcumsumexp_cuda_kernelERKNSD_10TensorBaseESH_lENKUlvE_clEvENKUlvE3_clEvEUlS6_S6_E_S6_EEDaPvRmT3_T4_T5_mT6_P12ihipStream_tbENKUlT_T0_E_clISt17integral_constantIbLb1EESX_IbLb0EEEEDaST_SU_EUlST_E0_NS1_11comp_targetILNS1_3genE0ELNS1_11target_archE4294967295ELNS1_3gpuE0ELNS1_3repE0EEENS1_30default_config_static_selectorELNS0_4arch9wavefront6targetE1EEEvT1_ ; -- Begin function _ZN7rocprim17ROCPRIM_400000_NS6detail17trampoline_kernelINS0_14default_configENS1_20scan_config_selectorIN3c104HalfEEEZZNS1_9scan_implILNS1_25lookback_scan_determinismE0ELb0ELb0ES3_PKS6_PS6_S6_ZZZN2at6native31launch_logcumsumexp_cuda_kernelERKNSD_10TensorBaseESH_lENKUlvE_clEvENKUlvE3_clEvEUlS6_S6_E_S6_EEDaPvRmT3_T4_T5_mT6_P12ihipStream_tbENKUlT_T0_E_clISt17integral_constantIbLb1EESX_IbLb0EEEEDaST_SU_EUlST_E0_NS1_11comp_targetILNS1_3genE0ELNS1_11target_archE4294967295ELNS1_3gpuE0ELNS1_3repE0EEENS1_30default_config_static_selectorELNS0_4arch9wavefront6targetE1EEEvT1_
	.p2align	8
	.type	_ZN7rocprim17ROCPRIM_400000_NS6detail17trampoline_kernelINS0_14default_configENS1_20scan_config_selectorIN3c104HalfEEEZZNS1_9scan_implILNS1_25lookback_scan_determinismE0ELb0ELb0ES3_PKS6_PS6_S6_ZZZN2at6native31launch_logcumsumexp_cuda_kernelERKNSD_10TensorBaseESH_lENKUlvE_clEvENKUlvE3_clEvEUlS6_S6_E_S6_EEDaPvRmT3_T4_T5_mT6_P12ihipStream_tbENKUlT_T0_E_clISt17integral_constantIbLb1EESX_IbLb0EEEEDaST_SU_EUlST_E0_NS1_11comp_targetILNS1_3genE0ELNS1_11target_archE4294967295ELNS1_3gpuE0ELNS1_3repE0EEENS1_30default_config_static_selectorELNS0_4arch9wavefront6targetE1EEEvT1_,@function
_ZN7rocprim17ROCPRIM_400000_NS6detail17trampoline_kernelINS0_14default_configENS1_20scan_config_selectorIN3c104HalfEEEZZNS1_9scan_implILNS1_25lookback_scan_determinismE0ELb0ELb0ES3_PKS6_PS6_S6_ZZZN2at6native31launch_logcumsumexp_cuda_kernelERKNSD_10TensorBaseESH_lENKUlvE_clEvENKUlvE3_clEvEUlS6_S6_E_S6_EEDaPvRmT3_T4_T5_mT6_P12ihipStream_tbENKUlT_T0_E_clISt17integral_constantIbLb1EESX_IbLb0EEEEDaST_SU_EUlST_E0_NS1_11comp_targetILNS1_3genE0ELNS1_11target_archE4294967295ELNS1_3gpuE0ELNS1_3repE0EEENS1_30default_config_static_selectorELNS0_4arch9wavefront6targetE1EEEvT1_: ; @_ZN7rocprim17ROCPRIM_400000_NS6detail17trampoline_kernelINS0_14default_configENS1_20scan_config_selectorIN3c104HalfEEEZZNS1_9scan_implILNS1_25lookback_scan_determinismE0ELb0ELb0ES3_PKS6_PS6_S6_ZZZN2at6native31launch_logcumsumexp_cuda_kernelERKNSD_10TensorBaseESH_lENKUlvE_clEvENKUlvE3_clEvEUlS6_S6_E_S6_EEDaPvRmT3_T4_T5_mT6_P12ihipStream_tbENKUlT_T0_E_clISt17integral_constantIbLb1EESX_IbLb0EEEEDaST_SU_EUlST_E0_NS1_11comp_targetILNS1_3genE0ELNS1_11target_archE4294967295ELNS1_3gpuE0ELNS1_3repE0EEENS1_30default_config_static_selectorELNS0_4arch9wavefront6targetE1EEEvT1_
; %bb.0:
	.section	.rodata,"a",@progbits
	.p2align	6, 0x0
	.amdhsa_kernel _ZN7rocprim17ROCPRIM_400000_NS6detail17trampoline_kernelINS0_14default_configENS1_20scan_config_selectorIN3c104HalfEEEZZNS1_9scan_implILNS1_25lookback_scan_determinismE0ELb0ELb0ES3_PKS6_PS6_S6_ZZZN2at6native31launch_logcumsumexp_cuda_kernelERKNSD_10TensorBaseESH_lENKUlvE_clEvENKUlvE3_clEvEUlS6_S6_E_S6_EEDaPvRmT3_T4_T5_mT6_P12ihipStream_tbENKUlT_T0_E_clISt17integral_constantIbLb1EESX_IbLb0EEEEDaST_SU_EUlST_E0_NS1_11comp_targetILNS1_3genE0ELNS1_11target_archE4294967295ELNS1_3gpuE0ELNS1_3repE0EEENS1_30default_config_static_selectorELNS0_4arch9wavefront6targetE1EEEvT1_
		.amdhsa_group_segment_fixed_size 0
		.amdhsa_private_segment_fixed_size 0
		.amdhsa_kernarg_size 32
		.amdhsa_user_sgpr_count 2
		.amdhsa_user_sgpr_dispatch_ptr 0
		.amdhsa_user_sgpr_queue_ptr 0
		.amdhsa_user_sgpr_kernarg_segment_ptr 1
		.amdhsa_user_sgpr_dispatch_id 0
		.amdhsa_user_sgpr_kernarg_preload_length 0
		.amdhsa_user_sgpr_kernarg_preload_offset 0
		.amdhsa_user_sgpr_private_segment_size 0
		.amdhsa_uses_dynamic_stack 0
		.amdhsa_enable_private_segment 0
		.amdhsa_system_sgpr_workgroup_id_x 1
		.amdhsa_system_sgpr_workgroup_id_y 0
		.amdhsa_system_sgpr_workgroup_id_z 0
		.amdhsa_system_sgpr_workgroup_info 0
		.amdhsa_system_vgpr_workitem_id 0
		.amdhsa_next_free_vgpr 1
		.amdhsa_next_free_sgpr 0
		.amdhsa_accum_offset 4
		.amdhsa_reserve_vcc 0
		.amdhsa_float_round_mode_32 0
		.amdhsa_float_round_mode_16_64 0
		.amdhsa_float_denorm_mode_32 3
		.amdhsa_float_denorm_mode_16_64 3
		.amdhsa_dx10_clamp 1
		.amdhsa_ieee_mode 1
		.amdhsa_fp16_overflow 0
		.amdhsa_tg_split 0
		.amdhsa_exception_fp_ieee_invalid_op 0
		.amdhsa_exception_fp_denorm_src 0
		.amdhsa_exception_fp_ieee_div_zero 0
		.amdhsa_exception_fp_ieee_overflow 0
		.amdhsa_exception_fp_ieee_underflow 0
		.amdhsa_exception_fp_ieee_inexact 0
		.amdhsa_exception_int_div_zero 0
	.end_amdhsa_kernel
	.section	.text._ZN7rocprim17ROCPRIM_400000_NS6detail17trampoline_kernelINS0_14default_configENS1_20scan_config_selectorIN3c104HalfEEEZZNS1_9scan_implILNS1_25lookback_scan_determinismE0ELb0ELb0ES3_PKS6_PS6_S6_ZZZN2at6native31launch_logcumsumexp_cuda_kernelERKNSD_10TensorBaseESH_lENKUlvE_clEvENKUlvE3_clEvEUlS6_S6_E_S6_EEDaPvRmT3_T4_T5_mT6_P12ihipStream_tbENKUlT_T0_E_clISt17integral_constantIbLb1EESX_IbLb0EEEEDaST_SU_EUlST_E0_NS1_11comp_targetILNS1_3genE0ELNS1_11target_archE4294967295ELNS1_3gpuE0ELNS1_3repE0EEENS1_30default_config_static_selectorELNS0_4arch9wavefront6targetE1EEEvT1_,"axG",@progbits,_ZN7rocprim17ROCPRIM_400000_NS6detail17trampoline_kernelINS0_14default_configENS1_20scan_config_selectorIN3c104HalfEEEZZNS1_9scan_implILNS1_25lookback_scan_determinismE0ELb0ELb0ES3_PKS6_PS6_S6_ZZZN2at6native31launch_logcumsumexp_cuda_kernelERKNSD_10TensorBaseESH_lENKUlvE_clEvENKUlvE3_clEvEUlS6_S6_E_S6_EEDaPvRmT3_T4_T5_mT6_P12ihipStream_tbENKUlT_T0_E_clISt17integral_constantIbLb1EESX_IbLb0EEEEDaST_SU_EUlST_E0_NS1_11comp_targetILNS1_3genE0ELNS1_11target_archE4294967295ELNS1_3gpuE0ELNS1_3repE0EEENS1_30default_config_static_selectorELNS0_4arch9wavefront6targetE1EEEvT1_,comdat
.Lfunc_end417:
	.size	_ZN7rocprim17ROCPRIM_400000_NS6detail17trampoline_kernelINS0_14default_configENS1_20scan_config_selectorIN3c104HalfEEEZZNS1_9scan_implILNS1_25lookback_scan_determinismE0ELb0ELb0ES3_PKS6_PS6_S6_ZZZN2at6native31launch_logcumsumexp_cuda_kernelERKNSD_10TensorBaseESH_lENKUlvE_clEvENKUlvE3_clEvEUlS6_S6_E_S6_EEDaPvRmT3_T4_T5_mT6_P12ihipStream_tbENKUlT_T0_E_clISt17integral_constantIbLb1EESX_IbLb0EEEEDaST_SU_EUlST_E0_NS1_11comp_targetILNS1_3genE0ELNS1_11target_archE4294967295ELNS1_3gpuE0ELNS1_3repE0EEENS1_30default_config_static_selectorELNS0_4arch9wavefront6targetE1EEEvT1_, .Lfunc_end417-_ZN7rocprim17ROCPRIM_400000_NS6detail17trampoline_kernelINS0_14default_configENS1_20scan_config_selectorIN3c104HalfEEEZZNS1_9scan_implILNS1_25lookback_scan_determinismE0ELb0ELb0ES3_PKS6_PS6_S6_ZZZN2at6native31launch_logcumsumexp_cuda_kernelERKNSD_10TensorBaseESH_lENKUlvE_clEvENKUlvE3_clEvEUlS6_S6_E_S6_EEDaPvRmT3_T4_T5_mT6_P12ihipStream_tbENKUlT_T0_E_clISt17integral_constantIbLb1EESX_IbLb0EEEEDaST_SU_EUlST_E0_NS1_11comp_targetILNS1_3genE0ELNS1_11target_archE4294967295ELNS1_3gpuE0ELNS1_3repE0EEENS1_30default_config_static_selectorELNS0_4arch9wavefront6targetE1EEEvT1_
                                        ; -- End function
	.section	.AMDGPU.csdata,"",@progbits
; Kernel info:
; codeLenInByte = 0
; NumSgprs: 6
; NumVgprs: 0
; NumAgprs: 0
; TotalNumVgprs: 0
; ScratchSize: 0
; MemoryBound: 0
; FloatMode: 240
; IeeeMode: 1
; LDSByteSize: 0 bytes/workgroup (compile time only)
; SGPRBlocks: 0
; VGPRBlocks: 0
; NumSGPRsForWavesPerEU: 6
; NumVGPRsForWavesPerEU: 1
; AccumOffset: 4
; Occupancy: 8
; WaveLimiterHint : 0
; COMPUTE_PGM_RSRC2:SCRATCH_EN: 0
; COMPUTE_PGM_RSRC2:USER_SGPR: 2
; COMPUTE_PGM_RSRC2:TRAP_HANDLER: 0
; COMPUTE_PGM_RSRC2:TGID_X_EN: 1
; COMPUTE_PGM_RSRC2:TGID_Y_EN: 0
; COMPUTE_PGM_RSRC2:TGID_Z_EN: 0
; COMPUTE_PGM_RSRC2:TIDIG_COMP_CNT: 0
; COMPUTE_PGM_RSRC3_GFX90A:ACCUM_OFFSET: 0
; COMPUTE_PGM_RSRC3_GFX90A:TG_SPLIT: 0
	.section	.text._ZN7rocprim17ROCPRIM_400000_NS6detail17trampoline_kernelINS0_14default_configENS1_20scan_config_selectorIN3c104HalfEEEZZNS1_9scan_implILNS1_25lookback_scan_determinismE0ELb0ELb0ES3_PKS6_PS6_S6_ZZZN2at6native31launch_logcumsumexp_cuda_kernelERKNSD_10TensorBaseESH_lENKUlvE_clEvENKUlvE3_clEvEUlS6_S6_E_S6_EEDaPvRmT3_T4_T5_mT6_P12ihipStream_tbENKUlT_T0_E_clISt17integral_constantIbLb1EESX_IbLb0EEEEDaST_SU_EUlST_E0_NS1_11comp_targetILNS1_3genE5ELNS1_11target_archE942ELNS1_3gpuE9ELNS1_3repE0EEENS1_30default_config_static_selectorELNS0_4arch9wavefront6targetE1EEEvT1_,"axG",@progbits,_ZN7rocprim17ROCPRIM_400000_NS6detail17trampoline_kernelINS0_14default_configENS1_20scan_config_selectorIN3c104HalfEEEZZNS1_9scan_implILNS1_25lookback_scan_determinismE0ELb0ELb0ES3_PKS6_PS6_S6_ZZZN2at6native31launch_logcumsumexp_cuda_kernelERKNSD_10TensorBaseESH_lENKUlvE_clEvENKUlvE3_clEvEUlS6_S6_E_S6_EEDaPvRmT3_T4_T5_mT6_P12ihipStream_tbENKUlT_T0_E_clISt17integral_constantIbLb1EESX_IbLb0EEEEDaST_SU_EUlST_E0_NS1_11comp_targetILNS1_3genE5ELNS1_11target_archE942ELNS1_3gpuE9ELNS1_3repE0EEENS1_30default_config_static_selectorELNS0_4arch9wavefront6targetE1EEEvT1_,comdat
	.globl	_ZN7rocprim17ROCPRIM_400000_NS6detail17trampoline_kernelINS0_14default_configENS1_20scan_config_selectorIN3c104HalfEEEZZNS1_9scan_implILNS1_25lookback_scan_determinismE0ELb0ELb0ES3_PKS6_PS6_S6_ZZZN2at6native31launch_logcumsumexp_cuda_kernelERKNSD_10TensorBaseESH_lENKUlvE_clEvENKUlvE3_clEvEUlS6_S6_E_S6_EEDaPvRmT3_T4_T5_mT6_P12ihipStream_tbENKUlT_T0_E_clISt17integral_constantIbLb1EESX_IbLb0EEEEDaST_SU_EUlST_E0_NS1_11comp_targetILNS1_3genE5ELNS1_11target_archE942ELNS1_3gpuE9ELNS1_3repE0EEENS1_30default_config_static_selectorELNS0_4arch9wavefront6targetE1EEEvT1_ ; -- Begin function _ZN7rocprim17ROCPRIM_400000_NS6detail17trampoline_kernelINS0_14default_configENS1_20scan_config_selectorIN3c104HalfEEEZZNS1_9scan_implILNS1_25lookback_scan_determinismE0ELb0ELb0ES3_PKS6_PS6_S6_ZZZN2at6native31launch_logcumsumexp_cuda_kernelERKNSD_10TensorBaseESH_lENKUlvE_clEvENKUlvE3_clEvEUlS6_S6_E_S6_EEDaPvRmT3_T4_T5_mT6_P12ihipStream_tbENKUlT_T0_E_clISt17integral_constantIbLb1EESX_IbLb0EEEEDaST_SU_EUlST_E0_NS1_11comp_targetILNS1_3genE5ELNS1_11target_archE942ELNS1_3gpuE9ELNS1_3repE0EEENS1_30default_config_static_selectorELNS0_4arch9wavefront6targetE1EEEvT1_
	.p2align	8
	.type	_ZN7rocprim17ROCPRIM_400000_NS6detail17trampoline_kernelINS0_14default_configENS1_20scan_config_selectorIN3c104HalfEEEZZNS1_9scan_implILNS1_25lookback_scan_determinismE0ELb0ELb0ES3_PKS6_PS6_S6_ZZZN2at6native31launch_logcumsumexp_cuda_kernelERKNSD_10TensorBaseESH_lENKUlvE_clEvENKUlvE3_clEvEUlS6_S6_E_S6_EEDaPvRmT3_T4_T5_mT6_P12ihipStream_tbENKUlT_T0_E_clISt17integral_constantIbLb1EESX_IbLb0EEEEDaST_SU_EUlST_E0_NS1_11comp_targetILNS1_3genE5ELNS1_11target_archE942ELNS1_3gpuE9ELNS1_3repE0EEENS1_30default_config_static_selectorELNS0_4arch9wavefront6targetE1EEEvT1_,@function
_ZN7rocprim17ROCPRIM_400000_NS6detail17trampoline_kernelINS0_14default_configENS1_20scan_config_selectorIN3c104HalfEEEZZNS1_9scan_implILNS1_25lookback_scan_determinismE0ELb0ELb0ES3_PKS6_PS6_S6_ZZZN2at6native31launch_logcumsumexp_cuda_kernelERKNSD_10TensorBaseESH_lENKUlvE_clEvENKUlvE3_clEvEUlS6_S6_E_S6_EEDaPvRmT3_T4_T5_mT6_P12ihipStream_tbENKUlT_T0_E_clISt17integral_constantIbLb1EESX_IbLb0EEEEDaST_SU_EUlST_E0_NS1_11comp_targetILNS1_3genE5ELNS1_11target_archE942ELNS1_3gpuE9ELNS1_3repE0EEENS1_30default_config_static_selectorELNS0_4arch9wavefront6targetE1EEEvT1_: ; @_ZN7rocprim17ROCPRIM_400000_NS6detail17trampoline_kernelINS0_14default_configENS1_20scan_config_selectorIN3c104HalfEEEZZNS1_9scan_implILNS1_25lookback_scan_determinismE0ELb0ELb0ES3_PKS6_PS6_S6_ZZZN2at6native31launch_logcumsumexp_cuda_kernelERKNSD_10TensorBaseESH_lENKUlvE_clEvENKUlvE3_clEvEUlS6_S6_E_S6_EEDaPvRmT3_T4_T5_mT6_P12ihipStream_tbENKUlT_T0_E_clISt17integral_constantIbLb1EESX_IbLb0EEEEDaST_SU_EUlST_E0_NS1_11comp_targetILNS1_3genE5ELNS1_11target_archE942ELNS1_3gpuE9ELNS1_3repE0EEENS1_30default_config_static_selectorELNS0_4arch9wavefront6targetE1EEEvT1_
; %bb.0:
	s_load_dwordx4 s[48:51], s[0:1], 0x0
	v_mov_b32_e32 v1, 0
	v_lshlrev_b32_e32 v14, 1, v0
	s_waitcnt lgkmcnt(0)
	global_load_ushort v1, v1, s[48:49]
	v_cmp_gt_u32_e64 s[4:5], s50, v0
	s_waitcnt vmcnt(0)
	v_mov_b32_e32 v2, v1
	s_mov_b64 s[2:3], exec
                                        ; implicit-def: $vgpr53 : SGPR spill to VGPR lane
	v_writelane_b32 v53, s4, 0
	s_nop 1
	v_writelane_b32 v53, s5, 1
	s_and_b64 s[4:5], s[2:3], s[4:5]
	s_mov_b64 exec, s[4:5]
	s_cbranch_execz .LBB418_2
; %bb.1:
	global_load_ushort v2, v14, s[48:49]
.LBB418_2:
	s_or_b64 exec, exec, s[2:3]
	v_or_b32_e32 v3, 0x100, v0
	v_cmp_gt_u32_e64 s[4:5], s50, v3
	v_mov_b32_e32 v3, v1
	s_mov_b64 s[2:3], exec
	v_writelane_b32 v53, s4, 2
	s_nop 1
	v_writelane_b32 v53, s5, 3
	s_and_b64 s[4:5], s[2:3], s[4:5]
	s_mov_b64 exec, s[4:5]
	s_cbranch_execz .LBB418_4
; %bb.3:
	global_load_ushort v3, v14, s[48:49] offset:512
.LBB418_4:
	s_or_b64 exec, exec, s[2:3]
	v_or_b32_e32 v4, 0x200, v0
	v_cmp_gt_u32_e64 s[2:3], s50, v4
	v_mov_b32_e32 v4, v1
	s_nop 0
	v_writelane_b32 v53, s2, 4
	s_nop 1
	v_writelane_b32 v53, s3, 5
	s_and_saveexec_b64 s[4:5], s[2:3]
	s_cbranch_execz .LBB418_6
; %bb.5:
	global_load_ushort v4, v14, s[48:49] offset:1024
.LBB418_6:
	s_or_b64 exec, exec, s[4:5]
	v_or_b32_e32 v5, 0x300, v0
	v_cmp_gt_u32_e64 s[4:5], s50, v5
	v_mov_b32_e32 v5, v1
	s_and_saveexec_b64 s[6:7], s[4:5]
	s_cbranch_execz .LBB418_8
; %bb.7:
	global_load_ushort v5, v14, s[48:49] offset:1536
.LBB418_8:
	s_or_b64 exec, exec, s[6:7]
	v_or_b32_e32 v6, 0x400, v0
	v_cmp_gt_u32_e64 s[6:7], s50, v6
	v_mov_b32_e32 v6, v1
	s_and_saveexec_b64 s[8:9], s[6:7]
	s_cbranch_execz .LBB418_10
; %bb.9:
	global_load_ushort v6, v14, s[48:49] offset:2048
.LBB418_10:
	s_or_b64 exec, exec, s[8:9]
	v_or_b32_e32 v7, 0x500, v0
	v_cmp_gt_u32_e64 s[8:9], s50, v7
	v_mov_b32_e32 v7, v1
	s_and_saveexec_b64 s[10:11], s[8:9]
	s_cbranch_execz .LBB418_12
; %bb.11:
	global_load_ushort v7, v14, s[48:49] offset:2560
.LBB418_12:
	s_or_b64 exec, exec, s[10:11]
	v_or_b32_e32 v8, 0x600, v0
	v_cmp_gt_u32_e64 s[10:11], s50, v8
	v_mov_b32_e32 v8, v1
	s_and_saveexec_b64 s[12:13], s[10:11]
	s_cbranch_execz .LBB418_14
; %bb.13:
	global_load_ushort v8, v14, s[48:49] offset:3072
.LBB418_14:
	s_or_b64 exec, exec, s[12:13]
	v_or_b32_e32 v9, 0x700, v0
	v_cmp_gt_u32_e64 s[12:13], s50, v9
	v_mov_b32_e32 v9, v1
	s_and_saveexec_b64 s[14:15], s[12:13]
	s_cbranch_execz .LBB418_16
; %bb.15:
	global_load_ushort v9, v14, s[48:49] offset:3584
.LBB418_16:
	s_or_b64 exec, exec, s[14:15]
	v_or_b32_e32 v11, 0x800, v0
	v_cmp_gt_u32_e64 s[14:15], s50, v11
	v_mov_b32_e32 v10, v1
	s_and_saveexec_b64 s[16:17], s[14:15]
	s_cbranch_execz .LBB418_18
; %bb.17:
	v_lshlrev_b32_e32 v10, 1, v11
	global_load_ushort v10, v10, s[48:49]
.LBB418_18:
	s_or_b64 exec, exec, s[16:17]
	v_or_b32_e32 v12, 0x900, v0
	v_cmp_gt_u32_e64 s[16:17], s50, v12
	v_mov_b32_e32 v11, v1
	s_and_saveexec_b64 s[18:19], s[16:17]
	s_cbranch_execz .LBB418_20
; %bb.19:
	v_lshlrev_b32_e32 v11, 1, v12
	global_load_ushort v11, v11, s[48:49]
.LBB418_20:
	s_or_b64 exec, exec, s[18:19]
	v_or_b32_e32 v13, 0xa00, v0
	v_cmp_gt_u32_e64 s[18:19], s50, v13
	v_mov_b32_e32 v12, v1
	;; [unrolled: 10-line block ×14, first 2 shown]
	s_and_saveexec_b64 s[46:47], s[44:45]
	s_cbranch_execz .LBB418_46
; %bb.45:
	v_lshlrev_b32_e32 v25, 1, v26
	global_load_ushort v25, v25, s[48:49]
.LBB418_46:
	s_or_b64 exec, exec, s[46:47]
	v_or_b32_e32 v26, 0x1700, v0
	v_cmp_gt_u32_e64 s[46:47], s50, v26
	s_and_saveexec_b64 s[50:51], s[46:47]
	s_cbranch_execz .LBB418_48
; %bb.47:
	v_lshlrev_b32_e32 v1, 1, v26
	global_load_ushort v1, v1, s[48:49]
.LBB418_48:
	s_or_b64 exec, exec, s[50:51]
	s_waitcnt vmcnt(0)
	ds_write_b16 v14, v2
	ds_write_b16 v14, v3 offset:512
	ds_write_b16 v14, v4 offset:1024
	;; [unrolled: 1-line block ×23, first 2 shown]
	v_mad_u32_u24 v1, v0, 46, v14
	s_waitcnt lgkmcnt(0)
	s_barrier
	ds_read_b128 v[2:5], v1
	ds_read_b128 v[10:13], v1 offset:16
	ds_read_b128 v[6:9], v1 offset:32
	s_movk_i32 s33, 0x1f8
	s_waitcnt lgkmcnt(0)
	v_cvt_f32_f16_e32 v1, v2
	v_cvt_f32_f16_sdwa v15, v2 dst_sel:DWORD dst_unused:UNUSED_PAD src0_sel:WORD_1
	v_cmp_u_f16_e64 s[94:95], v2, v2
	v_cmp_u_f16_sdwa s[48:49], v2, v2 src0_sel:WORD_1 src1_sel:WORD_1
	v_mov_b32_e32 v32, v1
	v_min_f32_e32 v28, v1, v15
	v_cndmask_b32_e64 v16, v28, v1, s[94:95]
	v_max_f32_e32 v29, v1, v15
	v_cndmask_b32_e64 v17, v16, v15, s[48:49]
	v_cndmask_b32_e64 v16, v29, v1, s[94:95]
	;; [unrolled: 1-line block ×3, first 2 shown]
	v_cmp_neq_f32_e64 s[50:51], v17, v16
	v_cmp_class_f32_e64 s[52:53], v17, s33
	s_or_b64 s[50:51], s[50:51], s[52:53]
	v_mov_b32_e32 v30, v2
	v_mov_b32_e32 v31, v2
	s_barrier
	s_and_saveexec_b64 s[52:53], s[50:51]
	s_cbranch_execz .LBB418_50
; %bb.49:
	v_sub_f32_e32 v17, v17, v16
	s_mov_b32 s2, 0x3fb8aa3b
	v_mul_f32_e32 v18, 0x3fb8aa3b, v17
	v_fma_f32 v19, v17, s2, -v18
	v_rndne_f32_e32 v20, v18
	v_fmamk_f32 v19, v17, 0x32a5705f, v19
	v_sub_f32_e32 v18, v18, v20
	v_add_f32_e32 v18, v18, v19
	v_exp_f32_e32 v18, v18
	v_cvt_i32_f32_e32 v19, v20
	s_mov_b32 s2, 0xc2ce8ed0
	v_cmp_ngt_f32_e64 s[50:51], s2, v17
	s_mov_b32 s2, 0x42b17218
	v_ldexp_f32 v18, v18, v19
	v_cndmask_b32_e64 v18, 0, v18, s[50:51]
	v_mov_b32_e32 v19, 0x7f800000
	v_cmp_nlt_f32_e64 s[50:51], s2, v17
	s_mov_b32 s2, 0x3f2aaaab
	s_mov_b32 s3, 0x7f800000
	v_cndmask_b32_e64 v36, v19, v18, s[50:51]
	v_add_f32_e32 v17, 1.0, v36
	v_add_f32_e32 v18, -1.0, v17
	v_sub_f32_e32 v19, v18, v17
	v_add_f32_e32 v19, 1.0, v19
	v_sub_f32_e32 v18, v36, v18
	v_add_f32_e32 v20, v18, v19
	v_frexp_mant_f32_e32 v21, v17
	v_cvt_f64_f32_e32 v[18:19], v17
	v_frexp_exp_i32_f64_e32 v18, v[18:19]
	v_cmp_gt_f32_e64 s[50:51], s2, v21
	s_mov_b32 s2, 0x3f317218
	s_nop 0
	v_subbrev_co_u32_e64 v26, s[50:51], 0, v18, s[50:51]
	v_sub_u32_e32 v18, 0, v26
	v_ldexp_f32 v17, v17, v18
	v_ldexp_f32 v18, v20, v18
	v_add_f32_e32 v20, -1.0, v17
	v_add_f32_e32 v19, 1.0, v20
	v_sub_f32_e32 v19, v17, v19
	v_add_f32_e32 v21, v18, v19
	v_add_f32_e32 v19, 1.0, v17
	v_add_f32_e32 v22, -1.0, v19
	v_sub_f32_e32 v17, v17, v22
	v_add_f32_e32 v17, v18, v17
	v_add_f32_e32 v27, v19, v17
	v_rcp_f32_e32 v30, v27
	v_sub_f32_e32 v18, v19, v27
	v_add_f32_e32 v19, v20, v21
	v_add_f32_e32 v17, v17, v18
	v_mul_f32_e32 v32, v19, v30
	v_sub_f32_e32 v18, v20, v19
	v_mul_f32_e32 v20, v27, v32
	v_fma_f32 v22, v32, v27, -v20
	v_fmac_f32_e32 v22, v32, v17
	v_add_f32_e32 v31, v21, v18
	v_add_f32_e32 v18, v20, v22
	v_sub_f32_e32 v21, v19, v18
	v_pk_add_f32 v[24:25], v[18:19], v[20:21] neg_lo:[0,1] neg_hi:[0,1]
	v_mov_b32_e32 v23, v18
	v_pk_add_f32 v[18:19], v[24:25], v[22:23] neg_lo:[0,1] neg_hi:[0,1]
	v_cmp_eq_f32_e64 s[50:51], s3, v36
	v_add_f32_e32 v19, v31, v19
	v_add_f32_e32 v18, v18, v19
	v_add_f32_e32 v19, v21, v18
	v_mul_f32_e32 v31, v30, v19
	v_mul_f32_e32 v20, v27, v31
	v_fma_f32 v22, v31, v27, -v20
	v_fmac_f32_e32 v22, v31, v17
	v_sub_f32_e32 v17, v21, v19
	v_add_f32_e32 v17, v18, v17
	v_add_f32_e32 v18, v20, v22
	v_sub_f32_e32 v21, v19, v18
	v_pk_add_f32 v[24:25], v[18:19], v[20:21] neg_lo:[0,1] neg_hi:[0,1]
	v_mov_b32_e32 v23, v18
	v_pk_add_f32 v[18:19], v[24:25], v[22:23] neg_lo:[0,1] neg_hi:[0,1]
	v_cvt_f32_i32_e32 v20, v26
	v_add_f32_e32 v17, v17, v19
	v_add_f32_e32 v17, v18, v17
	;; [unrolled: 1-line block ×4, first 2 shown]
	v_sub_f32_e32 v19, v18, v32
	v_mul_f32_e32 v17, v30, v17
	v_sub_f32_e32 v19, v31, v19
	v_add_f32_e32 v17, v19, v17
	v_add_f32_e32 v21, v18, v17
	v_mul_f32_e32 v22, v21, v21
	v_mov_b32_e32 v19, 0x3ecc95a3
	v_fmac_f32_e32 v19, 0x3e9b6dac, v22
	v_sub_f32_e32 v18, v21, v18
	v_fmaak_f32 v19, v22, v19, 0x3f2aaada
	v_sub_f32_e32 v17, v17, v18
	v_ldexp_f32 v23, v21, 1
	v_mul_f32_e32 v21, v21, v22
	v_mov_b32_e32 v18, 0x3f317218
	v_pk_mul_f32 v[18:19], v[20:21], v[18:19]
	v_ldexp_f32 v17, v17, 1
	v_fma_f32 v21, v20, s2, -v18
	v_fmamk_f32 v22, v20, 0xb102e308, v21
	v_pk_add_f32 v[20:21], v[18:19], v[22:23]
	v_mov_b32_e32 v24, v18
	v_sub_f32_e32 v23, v21, v23
	v_sub_f32_e32 v23, v19, v23
	v_add_f32_e32 v25, v17, v23
	v_pk_add_f32 v[18:19], v[20:21], v[18:19] neg_lo:[0,1] neg_hi:[0,1]
	v_pk_add_f32 v[26:27], v[20:21], v[24:25]
	v_mov_b32_e32 v23, v20
	v_mov_b32_e32 v19, v27
	v_pk_add_f32 v[30:31], v[22:23], v[18:19] neg_lo:[0,1] neg_hi:[0,1]
	v_pk_add_f32 v[18:19], v[22:23], v[18:19]
	v_mov_b32_e32 v24, v25
	v_mov_b32_e32 v22, v19
	v_pk_add_f32 v[32:33], v[22:23], v[20:21] neg_lo:[0,1] neg_hi:[0,1]
	v_mov_b32_e32 v18, v27
	v_mov_b32_e32 v17, v32
	v_pk_add_f32 v[34:35], v[26:27], v[16:17] neg_lo:[0,1] neg_hi:[0,1]
	v_mov_b32_e32 v26, v21
	v_mov_b32_e32 v27, v32
	;; [unrolled: 1-line block ×3, first 2 shown]
	v_pk_add_f32 v[18:19], v[18:19], v[26:27] neg_lo:[0,1] neg_hi:[0,1]
	v_mov_b32_e32 v25, v20
	v_pk_add_f32 v[18:19], v[24:25], v[18:19] neg_lo:[0,1] neg_hi:[0,1]
	v_mov_b32_e32 v34, v30
	v_pk_add_f32 v[20:21], v[34:35], v[18:19]
	s_mov_b32 s2, 0x33800000
	v_mov_b32_e32 v24, v21
	v_pk_add_f32 v[24:25], v[20:21], v[24:25]
	v_cmp_lt_f32_e64 s[54:55], |v36|, s2
	v_pk_add_f32 v[22:23], v[22:23], v[24:25]
	v_mov_b32_e32 v19, v24
	v_mov_b32_e32 v21, v22
	v_pk_add_f32 v[26:27], v[20:21], v[30:31] neg_lo:[0,1] neg_hi:[0,1]
	s_or_b64 s[50:51], s[50:51], s[54:55]
	v_sub_f32_e32 v17, v20, v26
	v_pk_add_f32 v[18:19], v[18:19], v[26:27] neg_lo:[0,1] neg_hi:[0,1]
	v_sub_f32_e32 v17, v30, v17
	v_add_f32_e32 v17, v18, v17
	v_add_f32_e32 v17, v17, v19
	;; [unrolled: 1-line block ×3, first 2 shown]
	v_cndmask_b32_e64 v17, v17, v36, s[50:51]
	v_add_f32_e32 v16, v16, v17
	v_cvt_f16_f32_e32 v30, v16
	v_cvt_f32_f16_e32 v32, v30
	v_mov_b32_e32 v31, v30
.LBB418_50:
	s_or_b64 exec, exec, s[52:53]
	v_cvt_f32_f16_e32 v16, v3
	v_max_f32_e32 v17, v32, v32
	v_cmp_u_f16_e64 s[52:53], v30, v30
	v_cmp_u_f16_e64 s[50:51], v3, v3
	v_min_f32_e32 v18, v17, v16
	v_max_f32_e32 v17, v17, v16
	v_cndmask_b32_e64 v18, v18, v32, s[52:53]
	v_cndmask_b32_e64 v17, v17, v32, s[52:53]
	;; [unrolled: 1-line block ×4, first 2 shown]
	v_cmp_neq_f32_e64 s[52:53], v18, v17
	v_cmp_class_f32_e64 s[54:55], v18, s33
	s_or_b64 s[52:53], s[52:53], s[54:55]
	s_and_saveexec_b64 s[54:55], s[52:53]
	s_cbranch_execz .LBB418_52
; %bb.51:
	v_sub_f32_e32 v18, v18, v17
	s_mov_b32 s2, 0x3fb8aa3b
	v_mul_f32_e32 v19, 0x3fb8aa3b, v18
	v_fma_f32 v20, v18, s2, -v19
	v_rndne_f32_e32 v21, v19
	v_fmamk_f32 v20, v18, 0x32a5705f, v20
	v_sub_f32_e32 v19, v19, v21
	v_add_f32_e32 v19, v19, v20
	v_exp_f32_e32 v19, v19
	v_cvt_i32_f32_e32 v20, v21
	s_mov_b32 s2, 0xc2ce8ed0
	v_cmp_ngt_f32_e64 s[52:53], s2, v18
	s_mov_b32 s2, 0x42b17218
	v_ldexp_f32 v19, v19, v20
	v_cndmask_b32_e64 v19, 0, v19, s[52:53]
	v_mov_b32_e32 v20, 0x7f800000
	v_cmp_nlt_f32_e64 s[52:53], s2, v18
	s_mov_b32 s2, 0x3f2aaaab
	s_mov_b32 s3, 0x7f800000
	v_cndmask_b32_e64 v36, v20, v19, s[52:53]
	v_add_f32_e32 v20, 1.0, v36
	v_add_f32_e32 v18, -1.0, v20
	v_sub_f32_e32 v19, v18, v20
	v_add_f32_e32 v19, 1.0, v19
	v_sub_f32_e32 v18, v36, v18
	v_add_f32_e32 v21, v18, v19
	v_frexp_mant_f32_e32 v22, v20
	v_cvt_f64_f32_e32 v[18:19], v20
	v_frexp_exp_i32_f64_e32 v18, v[18:19]
	v_cmp_gt_f32_e64 s[52:53], s2, v22
	s_mov_b32 s2, 0x3f317218
	s_nop 0
	v_subbrev_co_u32_e64 v26, s[52:53], 0, v18, s[52:53]
	v_sub_u32_e32 v18, 0, v26
	v_ldexp_f32 v19, v20, v18
	v_add_f32_e32 v20, -1.0, v19
	v_add_f32_e32 v22, 1.0, v19
	v_ldexp_f32 v18, v21, v18
	v_add_f32_e32 v21, 1.0, v20
	v_add_f32_e32 v23, -1.0, v22
	v_sub_f32_e32 v21, v19, v21
	v_sub_f32_e32 v19, v19, v23
	v_add_f32_e32 v21, v18, v21
	v_add_f32_e32 v18, v18, v19
	;; [unrolled: 1-line block ×3, first 2 shown]
	v_rcp_f32_e32 v31, v27
	v_sub_f32_e32 v19, v22, v27
	v_add_f32_e32 v30, v18, v19
	v_add_f32_e32 v19, v20, v21
	v_mul_f32_e32 v33, v19, v31
	v_sub_f32_e32 v18, v20, v19
	v_mul_f32_e32 v20, v27, v33
	v_fma_f32 v22, v33, v27, -v20
	v_fmac_f32_e32 v22, v33, v30
	v_add_f32_e32 v32, v21, v18
	v_add_f32_e32 v18, v20, v22
	v_sub_f32_e32 v21, v19, v18
	v_pk_add_f32 v[24:25], v[18:19], v[20:21] neg_lo:[0,1] neg_hi:[0,1]
	v_mov_b32_e32 v23, v18
	v_pk_add_f32 v[18:19], v[24:25], v[22:23] neg_lo:[0,1] neg_hi:[0,1]
	v_cmp_eq_f32_e64 s[52:53], s3, v36
	v_add_f32_e32 v19, v32, v19
	v_add_f32_e32 v18, v18, v19
	v_add_f32_e32 v19, v21, v18
	v_mul_f32_e32 v32, v31, v19
	v_mul_f32_e32 v20, v27, v32
	v_fma_f32 v22, v32, v27, -v20
	v_fmac_f32_e32 v22, v32, v30
	v_sub_f32_e32 v21, v21, v19
	v_add_f32_e32 v27, v18, v21
	v_add_f32_e32 v18, v20, v22
	v_sub_f32_e32 v21, v19, v18
	v_pk_add_f32 v[24:25], v[18:19], v[20:21] neg_lo:[0,1] neg_hi:[0,1]
	v_mov_b32_e32 v23, v18
	v_pk_add_f32 v[18:19], v[24:25], v[22:23] neg_lo:[0,1] neg_hi:[0,1]
	v_cvt_f32_i32_e32 v20, v26
	v_add_f32_e32 v19, v27, v19
	v_add_f32_e32 v18, v18, v19
	;; [unrolled: 1-line block ×4, first 2 shown]
	v_sub_f32_e32 v19, v21, v33
	v_mul_f32_e32 v18, v31, v18
	v_sub_f32_e32 v19, v32, v19
	v_add_f32_e32 v18, v19, v18
	v_add_f32_e32 v22, v21, v18
	v_mul_f32_e32 v24, v22, v22
	v_mov_b32_e32 v19, 0x3ecc95a3
	v_sub_f32_e32 v21, v22, v21
	v_fmac_f32_e32 v19, 0x3e9b6dac, v24
	v_sub_f32_e32 v18, v18, v21
	v_fmaak_f32 v19, v24, v19, 0x3f2aaada
	v_ldexp_f32 v25, v18, 1
	v_mul_f32_e32 v21, v22, v24
	v_mov_b32_e32 v18, 0x3f317218
	v_pk_mul_f32 v[18:19], v[20:21], v[18:19]
	v_ldexp_f32 v23, v22, 1
	v_fma_f32 v21, v20, s2, -v18
	v_fmamk_f32 v22, v20, 0xb102e308, v21
	v_pk_add_f32 v[20:21], v[18:19], v[22:23]
	v_mov_b32_e32 v24, v18
	v_sub_f32_e32 v23, v21, v23
	v_sub_f32_e32 v23, v19, v23
	v_add_f32_e32 v25, v25, v23
	v_pk_add_f32 v[18:19], v[20:21], v[18:19] neg_lo:[0,1] neg_hi:[0,1]
	v_pk_add_f32 v[26:27], v[20:21], v[24:25]
	v_mov_b32_e32 v23, v20
	v_mov_b32_e32 v19, v27
	v_pk_add_f32 v[30:31], v[22:23], v[18:19] neg_lo:[0,1] neg_hi:[0,1]
	v_pk_add_f32 v[18:19], v[22:23], v[18:19]
	v_mov_b32_e32 v24, v25
	v_mov_b32_e32 v22, v19
	v_pk_add_f32 v[32:33], v[22:23], v[20:21] neg_lo:[0,1] neg_hi:[0,1]
	v_mov_b32_e32 v18, v27
	v_mov_b32_e32 v23, v32
	v_pk_add_f32 v[34:35], v[26:27], v[22:23] neg_lo:[0,1] neg_hi:[0,1]
	v_mov_b32_e32 v26, v21
	v_mov_b32_e32 v27, v32
	v_mov_b32_e32 v31, v19
	v_pk_add_f32 v[18:19], v[18:19], v[26:27] neg_lo:[0,1] neg_hi:[0,1]
	v_mov_b32_e32 v25, v20
	v_pk_add_f32 v[18:19], v[24:25], v[18:19] neg_lo:[0,1] neg_hi:[0,1]
	v_mov_b32_e32 v34, v30
	v_pk_add_f32 v[20:21], v[34:35], v[18:19]
	s_mov_b32 s2, 0x33800000
	v_mov_b32_e32 v24, v21
	v_pk_add_f32 v[24:25], v[20:21], v[24:25]
	v_cmp_lt_f32_e64 s[56:57], |v36|, s2
	v_pk_add_f32 v[22:23], v[22:23], v[24:25]
	v_mov_b32_e32 v19, v24
	v_mov_b32_e32 v21, v22
	v_pk_add_f32 v[26:27], v[20:21], v[30:31] neg_lo:[0,1] neg_hi:[0,1]
	s_or_b64 s[52:53], s[52:53], s[56:57]
	v_sub_f32_e32 v20, v20, v26
	v_pk_add_f32 v[18:19], v[18:19], v[26:27] neg_lo:[0,1] neg_hi:[0,1]
	v_sub_f32_e32 v20, v30, v20
	v_add_f32_e32 v18, v18, v20
	v_add_f32_e32 v18, v18, v19
	;; [unrolled: 1-line block ×3, first 2 shown]
	v_cndmask_b32_e64 v18, v18, v36, s[52:53]
	v_add_f32_e32 v17, v17, v18
	v_cvt_f16_f32_e32 v30, v17
	v_cvt_f32_f16_e32 v32, v30
	v_mov_b32_e32 v31, v30
.LBB418_52:
	s_or_b64 exec, exec, s[54:55]
	v_cvt_f32_f16_sdwa v17, v3 dst_sel:DWORD dst_unused:UNUSED_PAD src0_sel:WORD_1
	v_max_f32_e32 v19, v32, v32
	v_cmp_u_f16_e64 s[54:55], v30, v30
	v_cmp_u_f16_sdwa s[52:53], v3, v3 src0_sel:WORD_1 src1_sel:WORD_1
	v_min_f32_e32 v18, v19, v17
	v_max_f32_e32 v3, v19, v17
	v_cndmask_b32_e64 v18, v18, v32, s[54:55]
	v_cndmask_b32_e64 v3, v3, v32, s[54:55]
	;; [unrolled: 1-line block ×4, first 2 shown]
	v_cmp_neq_f32_e64 s[54:55], v18, v3
	v_cmp_class_f32_e64 s[56:57], v18, s33
	s_or_b64 s[54:55], s[54:55], s[56:57]
	s_and_saveexec_b64 s[56:57], s[54:55]
	s_cbranch_execz .LBB418_54
; %bb.53:
	v_sub_f32_e32 v18, v18, v3
	s_mov_b32 s2, 0x3fb8aa3b
	v_mul_f32_e32 v19, 0x3fb8aa3b, v18
	v_fma_f32 v20, v18, s2, -v19
	v_rndne_f32_e32 v21, v19
	v_fmamk_f32 v20, v18, 0x32a5705f, v20
	v_sub_f32_e32 v19, v19, v21
	v_add_f32_e32 v19, v19, v20
	v_exp_f32_e32 v19, v19
	v_cvt_i32_f32_e32 v20, v21
	s_mov_b32 s2, 0xc2ce8ed0
	v_cmp_ngt_f32_e64 s[54:55], s2, v18
	s_mov_b32 s2, 0x42b17218
	v_ldexp_f32 v19, v19, v20
	v_cndmask_b32_e64 v19, 0, v19, s[54:55]
	v_mov_b32_e32 v20, 0x7f800000
	v_cmp_nlt_f32_e64 s[54:55], s2, v18
	s_mov_b32 s2, 0x3f2aaaab
	s_mov_b32 s3, 0x7f800000
	v_cndmask_b32_e64 v36, v20, v19, s[54:55]
	v_add_f32_e32 v20, 1.0, v36
	v_add_f32_e32 v18, -1.0, v20
	v_sub_f32_e32 v19, v18, v20
	v_add_f32_e32 v19, 1.0, v19
	v_sub_f32_e32 v18, v36, v18
	v_add_f32_e32 v21, v18, v19
	v_frexp_mant_f32_e32 v22, v20
	v_cvt_f64_f32_e32 v[18:19], v20
	v_frexp_exp_i32_f64_e32 v18, v[18:19]
	v_cmp_gt_f32_e64 s[54:55], s2, v22
	s_mov_b32 s2, 0x3f317218
	s_nop 0
	v_subbrev_co_u32_e64 v26, s[54:55], 0, v18, s[54:55]
	v_sub_u32_e32 v18, 0, v26
	v_ldexp_f32 v19, v20, v18
	v_add_f32_e32 v20, -1.0, v19
	v_add_f32_e32 v22, 1.0, v19
	v_ldexp_f32 v18, v21, v18
	v_add_f32_e32 v21, 1.0, v20
	v_add_f32_e32 v23, -1.0, v22
	v_sub_f32_e32 v21, v19, v21
	v_sub_f32_e32 v19, v19, v23
	v_add_f32_e32 v21, v18, v21
	v_add_f32_e32 v18, v18, v19
	;; [unrolled: 1-line block ×3, first 2 shown]
	v_rcp_f32_e32 v31, v27
	v_sub_f32_e32 v19, v22, v27
	v_add_f32_e32 v30, v18, v19
	v_add_f32_e32 v19, v20, v21
	v_mul_f32_e32 v33, v19, v31
	v_sub_f32_e32 v18, v20, v19
	v_mul_f32_e32 v20, v27, v33
	v_fma_f32 v22, v33, v27, -v20
	v_fmac_f32_e32 v22, v33, v30
	v_add_f32_e32 v32, v21, v18
	v_add_f32_e32 v18, v20, v22
	v_sub_f32_e32 v21, v19, v18
	v_pk_add_f32 v[24:25], v[18:19], v[20:21] neg_lo:[0,1] neg_hi:[0,1]
	v_mov_b32_e32 v23, v18
	v_pk_add_f32 v[18:19], v[24:25], v[22:23] neg_lo:[0,1] neg_hi:[0,1]
	v_cmp_eq_f32_e64 s[54:55], s3, v36
	v_add_f32_e32 v19, v32, v19
	v_add_f32_e32 v18, v18, v19
	;; [unrolled: 1-line block ×3, first 2 shown]
	v_mul_f32_e32 v32, v31, v19
	v_mul_f32_e32 v20, v27, v32
	v_fma_f32 v22, v32, v27, -v20
	v_fmac_f32_e32 v22, v32, v30
	v_sub_f32_e32 v21, v21, v19
	v_add_f32_e32 v27, v18, v21
	v_add_f32_e32 v18, v20, v22
	v_sub_f32_e32 v21, v19, v18
	v_pk_add_f32 v[24:25], v[18:19], v[20:21] neg_lo:[0,1] neg_hi:[0,1]
	v_mov_b32_e32 v23, v18
	v_pk_add_f32 v[18:19], v[24:25], v[22:23] neg_lo:[0,1] neg_hi:[0,1]
	v_cvt_f32_i32_e32 v20, v26
	v_add_f32_e32 v19, v27, v19
	v_add_f32_e32 v18, v18, v19
	;; [unrolled: 1-line block ×4, first 2 shown]
	v_sub_f32_e32 v19, v21, v33
	v_mul_f32_e32 v18, v31, v18
	v_sub_f32_e32 v19, v32, v19
	v_add_f32_e32 v18, v19, v18
	v_add_f32_e32 v22, v21, v18
	v_mul_f32_e32 v24, v22, v22
	v_mov_b32_e32 v19, 0x3ecc95a3
	v_sub_f32_e32 v21, v22, v21
	v_fmac_f32_e32 v19, 0x3e9b6dac, v24
	v_sub_f32_e32 v18, v18, v21
	v_fmaak_f32 v19, v24, v19, 0x3f2aaada
	v_ldexp_f32 v25, v18, 1
	v_mul_f32_e32 v21, v22, v24
	v_mov_b32_e32 v18, 0x3f317218
	v_pk_mul_f32 v[18:19], v[20:21], v[18:19]
	v_ldexp_f32 v23, v22, 1
	v_fma_f32 v21, v20, s2, -v18
	v_fmamk_f32 v22, v20, 0xb102e308, v21
	v_pk_add_f32 v[20:21], v[18:19], v[22:23]
	v_mov_b32_e32 v24, v18
	v_sub_f32_e32 v23, v21, v23
	v_sub_f32_e32 v23, v19, v23
	v_add_f32_e32 v25, v25, v23
	v_pk_add_f32 v[18:19], v[20:21], v[18:19] neg_lo:[0,1] neg_hi:[0,1]
	v_pk_add_f32 v[26:27], v[20:21], v[24:25]
	v_mov_b32_e32 v23, v20
	v_mov_b32_e32 v19, v27
	v_pk_add_f32 v[30:31], v[22:23], v[18:19] neg_lo:[0,1] neg_hi:[0,1]
	v_pk_add_f32 v[18:19], v[22:23], v[18:19]
	v_mov_b32_e32 v24, v25
	v_mov_b32_e32 v22, v19
	v_pk_add_f32 v[32:33], v[22:23], v[20:21] neg_lo:[0,1] neg_hi:[0,1]
	v_mov_b32_e32 v18, v27
	v_mov_b32_e32 v23, v32
	v_pk_add_f32 v[34:35], v[26:27], v[22:23] neg_lo:[0,1] neg_hi:[0,1]
	v_mov_b32_e32 v26, v21
	v_mov_b32_e32 v27, v32
	;; [unrolled: 1-line block ×3, first 2 shown]
	v_pk_add_f32 v[18:19], v[18:19], v[26:27] neg_lo:[0,1] neg_hi:[0,1]
	v_mov_b32_e32 v25, v20
	v_pk_add_f32 v[18:19], v[24:25], v[18:19] neg_lo:[0,1] neg_hi:[0,1]
	v_mov_b32_e32 v34, v30
	v_pk_add_f32 v[20:21], v[34:35], v[18:19]
	s_mov_b32 s2, 0x33800000
	v_mov_b32_e32 v24, v21
	v_pk_add_f32 v[24:25], v[20:21], v[24:25]
	v_cmp_lt_f32_e64 s[58:59], |v36|, s2
	v_pk_add_f32 v[22:23], v[22:23], v[24:25]
	v_mov_b32_e32 v19, v24
	v_mov_b32_e32 v21, v22
	v_pk_add_f32 v[26:27], v[20:21], v[30:31] neg_lo:[0,1] neg_hi:[0,1]
	s_or_b64 s[54:55], s[54:55], s[58:59]
	v_sub_f32_e32 v20, v20, v26
	v_pk_add_f32 v[18:19], v[18:19], v[26:27] neg_lo:[0,1] neg_hi:[0,1]
	v_sub_f32_e32 v20, v30, v20
	v_add_f32_e32 v18, v18, v20
	v_add_f32_e32 v18, v18, v19
	;; [unrolled: 1-line block ×3, first 2 shown]
	v_cndmask_b32_e64 v18, v18, v36, s[54:55]
	v_add_f32_e32 v3, v3, v18
	v_cvt_f16_f32_e32 v30, v3
	v_cvt_f32_f16_e32 v32, v30
	v_mov_b32_e32 v31, v30
.LBB418_54:
	s_or_b64 exec, exec, s[56:57]
	v_cvt_f32_f16_e32 v3, v4
	v_max_f32_e32 v18, v32, v32
	v_cmp_u_f16_e64 s[56:57], v30, v30
	v_cmp_u_f16_e64 s[54:55], v4, v4
	v_min_f32_e32 v19, v18, v3
	v_max_f32_e32 v18, v18, v3
	v_cndmask_b32_e64 v19, v19, v32, s[56:57]
	v_cndmask_b32_e64 v18, v18, v32, s[56:57]
	;; [unrolled: 1-line block ×4, first 2 shown]
	v_cmp_neq_f32_e64 s[56:57], v19, v18
	v_cmp_class_f32_e64 s[58:59], v19, s33
	s_or_b64 s[56:57], s[56:57], s[58:59]
	s_and_saveexec_b64 s[58:59], s[56:57]
	s_cbranch_execz .LBB418_56
; %bb.55:
	v_sub_f32_e32 v19, v19, v18
	s_mov_b32 s2, 0x3fb8aa3b
	v_mul_f32_e32 v20, 0x3fb8aa3b, v19
	v_fma_f32 v21, v19, s2, -v20
	v_rndne_f32_e32 v22, v20
	v_fmamk_f32 v21, v19, 0x32a5705f, v21
	v_sub_f32_e32 v20, v20, v22
	v_add_f32_e32 v20, v20, v21
	v_exp_f32_e32 v20, v20
	v_cvt_i32_f32_e32 v21, v22
	s_mov_b32 s2, 0xc2ce8ed0
	v_cmp_ngt_f32_e64 s[56:57], s2, v19
	s_mov_b32 s2, 0x42b17218
	v_ldexp_f32 v20, v20, v21
	v_cndmask_b32_e64 v20, 0, v20, s[56:57]
	v_mov_b32_e32 v21, 0x7f800000
	v_cmp_nlt_f32_e64 s[56:57], s2, v19
	s_mov_b32 s2, 0x3f2aaaab
	s_mov_b32 s3, 0x7f800000
	v_cndmask_b32_e64 v38, v21, v20, s[56:57]
	v_add_f32_e32 v19, 1.0, v38
	v_add_f32_e32 v20, -1.0, v19
	v_sub_f32_e32 v21, v20, v19
	v_add_f32_e32 v21, 1.0, v21
	v_sub_f32_e32 v20, v38, v20
	v_add_f32_e32 v22, v20, v21
	v_frexp_mant_f32_e32 v23, v19
	v_cvt_f64_f32_e32 v[20:21], v19
	v_frexp_exp_i32_f64_e32 v20, v[20:21]
	v_cmp_gt_f32_e64 s[56:57], s2, v23
	s_mov_b32 s2, 0x3f317218
	s_nop 0
	v_subbrev_co_u32_e64 v30, s[56:57], 0, v20, s[56:57]
	v_sub_u32_e32 v20, 0, v30
	v_ldexp_f32 v19, v19, v20
	v_ldexp_f32 v20, v22, v20
	v_add_f32_e32 v22, -1.0, v19
	v_add_f32_e32 v21, 1.0, v22
	v_sub_f32_e32 v21, v19, v21
	v_add_f32_e32 v23, v20, v21
	v_add_f32_e32 v21, 1.0, v19
	v_add_f32_e32 v24, -1.0, v21
	v_sub_f32_e32 v19, v19, v24
	v_add_f32_e32 v19, v20, v19
	v_add_f32_e32 v31, v21, v19
	v_rcp_f32_e32 v32, v31
	v_sub_f32_e32 v20, v21, v31
	v_add_f32_e32 v21, v22, v23
	v_add_f32_e32 v19, v19, v20
	v_mul_f32_e32 v34, v21, v32
	v_sub_f32_e32 v20, v22, v21
	v_mul_f32_e32 v22, v31, v34
	v_fma_f32 v24, v34, v31, -v22
	v_fmac_f32_e32 v24, v34, v19
	v_add_f32_e32 v33, v23, v20
	v_add_f32_e32 v20, v22, v24
	v_sub_f32_e32 v23, v21, v20
	v_pk_add_f32 v[26:27], v[20:21], v[22:23] neg_lo:[0,1] neg_hi:[0,1]
	v_mov_b32_e32 v25, v20
	v_pk_add_f32 v[20:21], v[26:27], v[24:25] neg_lo:[0,1] neg_hi:[0,1]
	v_cmp_eq_f32_e64 s[56:57], s3, v38
	v_add_f32_e32 v21, v33, v21
	v_add_f32_e32 v20, v20, v21
	;; [unrolled: 1-line block ×3, first 2 shown]
	v_mul_f32_e32 v33, v32, v21
	v_mul_f32_e32 v22, v31, v33
	v_fma_f32 v24, v33, v31, -v22
	v_fmac_f32_e32 v24, v33, v19
	v_sub_f32_e32 v19, v23, v21
	v_add_f32_e32 v19, v20, v19
	v_add_f32_e32 v20, v22, v24
	v_sub_f32_e32 v23, v21, v20
	v_pk_add_f32 v[26:27], v[20:21], v[22:23] neg_lo:[0,1] neg_hi:[0,1]
	v_mov_b32_e32 v25, v20
	v_pk_add_f32 v[20:21], v[26:27], v[24:25] neg_lo:[0,1] neg_hi:[0,1]
	v_cvt_f32_i32_e32 v22, v30
	v_add_f32_e32 v19, v19, v21
	v_add_f32_e32 v19, v20, v19
	;; [unrolled: 1-line block ×4, first 2 shown]
	v_sub_f32_e32 v21, v20, v34
	v_mul_f32_e32 v19, v32, v19
	v_sub_f32_e32 v21, v33, v21
	v_add_f32_e32 v19, v21, v19
	v_add_f32_e32 v23, v20, v19
	v_mul_f32_e32 v24, v23, v23
	v_mov_b32_e32 v21, 0x3ecc95a3
	v_fmac_f32_e32 v21, 0x3e9b6dac, v24
	v_sub_f32_e32 v20, v23, v20
	v_fmaak_f32 v21, v24, v21, 0x3f2aaada
	v_sub_f32_e32 v19, v19, v20
	v_ldexp_f32 v25, v23, 1
	v_mul_f32_e32 v23, v23, v24
	v_mov_b32_e32 v20, 0x3f317218
	v_pk_mul_f32 v[20:21], v[22:23], v[20:21]
	v_ldexp_f32 v19, v19, 1
	v_fma_f32 v23, v22, s2, -v20
	v_fmamk_f32 v24, v22, 0xb102e308, v23
	v_pk_add_f32 v[22:23], v[20:21], v[24:25]
	v_mov_b32_e32 v26, v20
	v_sub_f32_e32 v25, v23, v25
	v_sub_f32_e32 v25, v21, v25
	v_add_f32_e32 v27, v19, v25
	v_pk_add_f32 v[20:21], v[22:23], v[20:21] neg_lo:[0,1] neg_hi:[0,1]
	v_pk_add_f32 v[30:31], v[22:23], v[26:27]
	v_mov_b32_e32 v25, v22
	v_mov_b32_e32 v21, v31
	v_pk_add_f32 v[32:33], v[24:25], v[20:21] neg_lo:[0,1] neg_hi:[0,1]
	v_pk_add_f32 v[20:21], v[24:25], v[20:21]
	v_mov_b32_e32 v26, v27
	v_mov_b32_e32 v24, v21
	v_pk_add_f32 v[34:35], v[24:25], v[22:23] neg_lo:[0,1] neg_hi:[0,1]
	v_mov_b32_e32 v20, v31
	v_mov_b32_e32 v19, v34
	v_pk_add_f32 v[36:37], v[30:31], v[18:19] neg_lo:[0,1] neg_hi:[0,1]
	v_mov_b32_e32 v30, v23
	v_mov_b32_e32 v31, v34
	;; [unrolled: 1-line block ×3, first 2 shown]
	v_pk_add_f32 v[20:21], v[20:21], v[30:31] neg_lo:[0,1] neg_hi:[0,1]
	v_mov_b32_e32 v27, v22
	v_pk_add_f32 v[20:21], v[26:27], v[20:21] neg_lo:[0,1] neg_hi:[0,1]
	v_mov_b32_e32 v36, v32
	v_pk_add_f32 v[22:23], v[36:37], v[20:21]
	s_mov_b32 s2, 0x33800000
	v_mov_b32_e32 v26, v23
	v_pk_add_f32 v[26:27], v[22:23], v[26:27]
	v_cmp_lt_f32_e64 s[60:61], |v38|, s2
	v_pk_add_f32 v[24:25], v[24:25], v[26:27]
	v_mov_b32_e32 v21, v26
	v_mov_b32_e32 v23, v24
	v_pk_add_f32 v[30:31], v[22:23], v[32:33] neg_lo:[0,1] neg_hi:[0,1]
	s_or_b64 s[56:57], s[56:57], s[60:61]
	v_sub_f32_e32 v19, v22, v30
	v_pk_add_f32 v[20:21], v[20:21], v[30:31] neg_lo:[0,1] neg_hi:[0,1]
	v_sub_f32_e32 v19, v32, v19
	v_add_f32_e32 v19, v20, v19
	v_add_f32_e32 v19, v19, v21
	;; [unrolled: 1-line block ×3, first 2 shown]
	v_cndmask_b32_e64 v19, v19, v38, s[56:57]
	v_add_f32_e32 v18, v18, v19
	v_cvt_f16_f32_e32 v30, v18
	v_cvt_f32_f16_e32 v32, v30
	v_mov_b32_e32 v31, v30
.LBB418_56:
	s_or_b64 exec, exec, s[58:59]
	v_cvt_f32_f16_sdwa v18, v4 dst_sel:DWORD dst_unused:UNUSED_PAD src0_sel:WORD_1
	v_max_f32_e32 v20, v32, v32
	v_cmp_u_f16_e64 s[58:59], v30, v30
	v_cmp_u_f16_sdwa s[56:57], v4, v4 src0_sel:WORD_1 src1_sel:WORD_1
	v_min_f32_e32 v19, v20, v18
	v_max_f32_e32 v4, v20, v18
	v_cndmask_b32_e64 v19, v19, v32, s[58:59]
	v_cndmask_b32_e64 v4, v4, v32, s[58:59]
	;; [unrolled: 1-line block ×4, first 2 shown]
	v_cmp_neq_f32_e64 s[58:59], v19, v4
	v_cmp_class_f32_e64 s[60:61], v19, s33
	s_or_b64 s[58:59], s[58:59], s[60:61]
	s_and_saveexec_b64 s[60:61], s[58:59]
	s_cbranch_execz .LBB418_58
; %bb.57:
	v_sub_f32_e32 v19, v19, v4
	s_mov_b32 s2, 0x3fb8aa3b
	v_mul_f32_e32 v20, 0x3fb8aa3b, v19
	v_fma_f32 v21, v19, s2, -v20
	v_rndne_f32_e32 v22, v20
	v_fmamk_f32 v21, v19, 0x32a5705f, v21
	v_sub_f32_e32 v20, v20, v22
	v_add_f32_e32 v20, v20, v21
	v_exp_f32_e32 v20, v20
	v_cvt_i32_f32_e32 v21, v22
	s_mov_b32 s2, 0xc2ce8ed0
	v_cmp_ngt_f32_e64 s[58:59], s2, v19
	s_mov_b32 s2, 0x42b17218
	v_ldexp_f32 v20, v20, v21
	v_cndmask_b32_e64 v20, 0, v20, s[58:59]
	v_mov_b32_e32 v21, 0x7f800000
	v_cmp_nlt_f32_e64 s[58:59], s2, v19
	s_mov_b32 s2, 0x3f2aaaab
	s_mov_b32 s3, 0x7f800000
	v_cndmask_b32_e64 v38, v21, v20, s[58:59]
	v_add_f32_e32 v19, 1.0, v38
	v_add_f32_e32 v20, -1.0, v19
	v_sub_f32_e32 v21, v20, v19
	v_add_f32_e32 v21, 1.0, v21
	v_sub_f32_e32 v20, v38, v20
	v_add_f32_e32 v22, v20, v21
	v_frexp_mant_f32_e32 v23, v19
	v_cvt_f64_f32_e32 v[20:21], v19
	v_frexp_exp_i32_f64_e32 v20, v[20:21]
	v_cmp_gt_f32_e64 s[58:59], s2, v23
	s_mov_b32 s2, 0x3f317218
	s_nop 0
	v_subbrev_co_u32_e64 v30, s[58:59], 0, v20, s[58:59]
	v_sub_u32_e32 v20, 0, v30
	v_ldexp_f32 v19, v19, v20
	v_ldexp_f32 v20, v22, v20
	v_add_f32_e32 v22, -1.0, v19
	v_add_f32_e32 v21, 1.0, v22
	v_sub_f32_e32 v21, v19, v21
	v_add_f32_e32 v23, v20, v21
	v_add_f32_e32 v21, 1.0, v19
	v_add_f32_e32 v24, -1.0, v21
	v_sub_f32_e32 v19, v19, v24
	v_add_f32_e32 v19, v20, v19
	v_add_f32_e32 v31, v21, v19
	v_rcp_f32_e32 v32, v31
	v_sub_f32_e32 v20, v21, v31
	v_add_f32_e32 v21, v22, v23
	v_add_f32_e32 v19, v19, v20
	v_mul_f32_e32 v34, v21, v32
	v_sub_f32_e32 v20, v22, v21
	v_mul_f32_e32 v22, v31, v34
	v_fma_f32 v24, v34, v31, -v22
	v_fmac_f32_e32 v24, v34, v19
	v_add_f32_e32 v33, v23, v20
	v_add_f32_e32 v20, v22, v24
	v_sub_f32_e32 v23, v21, v20
	v_pk_add_f32 v[26:27], v[20:21], v[22:23] neg_lo:[0,1] neg_hi:[0,1]
	v_mov_b32_e32 v25, v20
	v_pk_add_f32 v[20:21], v[26:27], v[24:25] neg_lo:[0,1] neg_hi:[0,1]
	v_cmp_eq_f32_e64 s[58:59], s3, v38
	v_add_f32_e32 v21, v33, v21
	v_add_f32_e32 v20, v20, v21
	;; [unrolled: 1-line block ×3, first 2 shown]
	v_mul_f32_e32 v33, v32, v21
	v_mul_f32_e32 v22, v31, v33
	v_fma_f32 v24, v33, v31, -v22
	v_fmac_f32_e32 v24, v33, v19
	v_sub_f32_e32 v19, v23, v21
	v_add_f32_e32 v19, v20, v19
	v_add_f32_e32 v20, v22, v24
	v_sub_f32_e32 v23, v21, v20
	v_pk_add_f32 v[26:27], v[20:21], v[22:23] neg_lo:[0,1] neg_hi:[0,1]
	v_mov_b32_e32 v25, v20
	v_pk_add_f32 v[20:21], v[26:27], v[24:25] neg_lo:[0,1] neg_hi:[0,1]
	v_cvt_f32_i32_e32 v22, v30
	v_add_f32_e32 v19, v19, v21
	v_add_f32_e32 v19, v20, v19
	;; [unrolled: 1-line block ×4, first 2 shown]
	v_sub_f32_e32 v21, v20, v34
	v_mul_f32_e32 v19, v32, v19
	v_sub_f32_e32 v21, v33, v21
	v_add_f32_e32 v19, v21, v19
	v_add_f32_e32 v23, v20, v19
	v_mul_f32_e32 v24, v23, v23
	v_mov_b32_e32 v21, 0x3ecc95a3
	v_fmac_f32_e32 v21, 0x3e9b6dac, v24
	v_sub_f32_e32 v20, v23, v20
	v_fmaak_f32 v21, v24, v21, 0x3f2aaada
	v_sub_f32_e32 v19, v19, v20
	v_ldexp_f32 v25, v23, 1
	v_mul_f32_e32 v23, v23, v24
	v_mov_b32_e32 v20, 0x3f317218
	v_pk_mul_f32 v[20:21], v[22:23], v[20:21]
	v_ldexp_f32 v19, v19, 1
	v_fma_f32 v23, v22, s2, -v20
	v_fmamk_f32 v24, v22, 0xb102e308, v23
	v_pk_add_f32 v[22:23], v[20:21], v[24:25]
	v_mov_b32_e32 v26, v20
	v_sub_f32_e32 v25, v23, v25
	v_sub_f32_e32 v25, v21, v25
	v_add_f32_e32 v27, v19, v25
	v_pk_add_f32 v[20:21], v[22:23], v[20:21] neg_lo:[0,1] neg_hi:[0,1]
	v_pk_add_f32 v[30:31], v[22:23], v[26:27]
	v_mov_b32_e32 v25, v22
	v_mov_b32_e32 v21, v31
	v_pk_add_f32 v[32:33], v[24:25], v[20:21] neg_lo:[0,1] neg_hi:[0,1]
	v_pk_add_f32 v[20:21], v[24:25], v[20:21]
	v_mov_b32_e32 v26, v27
	v_mov_b32_e32 v24, v21
	v_pk_add_f32 v[34:35], v[24:25], v[22:23] neg_lo:[0,1] neg_hi:[0,1]
	v_mov_b32_e32 v20, v31
	v_mov_b32_e32 v19, v34
	v_pk_add_f32 v[36:37], v[30:31], v[18:19] neg_lo:[0,1] neg_hi:[0,1]
	v_mov_b32_e32 v30, v23
	v_mov_b32_e32 v31, v34
	;; [unrolled: 1-line block ×3, first 2 shown]
	v_pk_add_f32 v[20:21], v[20:21], v[30:31] neg_lo:[0,1] neg_hi:[0,1]
	v_mov_b32_e32 v27, v22
	v_pk_add_f32 v[20:21], v[26:27], v[20:21] neg_lo:[0,1] neg_hi:[0,1]
	v_mov_b32_e32 v36, v32
	v_pk_add_f32 v[22:23], v[36:37], v[20:21]
	s_mov_b32 s2, 0x33800000
	v_mov_b32_e32 v26, v23
	v_pk_add_f32 v[26:27], v[22:23], v[26:27]
	v_cmp_lt_f32_e64 s[62:63], |v38|, s2
	v_pk_add_f32 v[24:25], v[24:25], v[26:27]
	v_mov_b32_e32 v21, v26
	v_mov_b32_e32 v23, v24
	v_pk_add_f32 v[30:31], v[22:23], v[32:33] neg_lo:[0,1] neg_hi:[0,1]
	s_or_b64 s[58:59], s[58:59], s[62:63]
	v_sub_f32_e32 v19, v22, v30
	v_pk_add_f32 v[20:21], v[20:21], v[30:31] neg_lo:[0,1] neg_hi:[0,1]
	v_sub_f32_e32 v19, v32, v19
	v_add_f32_e32 v19, v20, v19
	v_add_f32_e32 v19, v19, v21
	;; [unrolled: 1-line block ×3, first 2 shown]
	v_cndmask_b32_e64 v19, v19, v38, s[58:59]
	v_add_f32_e32 v4, v4, v19
	v_cvt_f16_f32_e32 v30, v4
	v_cvt_f32_f16_e32 v32, v30
	v_mov_b32_e32 v31, v30
.LBB418_58:
	s_or_b64 exec, exec, s[60:61]
	v_cvt_f32_f16_e32 v4, v5
	v_max_f32_e32 v19, v32, v32
	v_cmp_u_f16_e64 s[60:61], v30, v30
	v_cmp_u_f16_e64 s[58:59], v5, v5
	v_min_f32_e32 v20, v19, v4
	v_max_f32_e32 v19, v19, v4
	v_cndmask_b32_e64 v20, v20, v32, s[60:61]
	v_cndmask_b32_e64 v19, v19, v32, s[60:61]
	;; [unrolled: 1-line block ×4, first 2 shown]
	v_cmp_neq_f32_e64 s[60:61], v20, v19
	v_cmp_class_f32_e64 s[62:63], v20, s33
	s_or_b64 s[60:61], s[60:61], s[62:63]
	s_and_saveexec_b64 s[62:63], s[60:61]
	s_cbranch_execz .LBB418_60
; %bb.59:
	v_sub_f32_e32 v20, v20, v19
	s_mov_b32 s2, 0x3fb8aa3b
	v_mul_f32_e32 v21, 0x3fb8aa3b, v20
	v_fma_f32 v22, v20, s2, -v21
	v_rndne_f32_e32 v23, v21
	v_fmamk_f32 v22, v20, 0x32a5705f, v22
	v_sub_f32_e32 v21, v21, v23
	v_add_f32_e32 v21, v21, v22
	v_exp_f32_e32 v21, v21
	v_cvt_i32_f32_e32 v22, v23
	s_mov_b32 s2, 0xc2ce8ed0
	v_cmp_ngt_f32_e64 s[60:61], s2, v20
	s_mov_b32 s2, 0x42b17218
	v_ldexp_f32 v21, v21, v22
	v_cndmask_b32_e64 v21, 0, v21, s[60:61]
	v_mov_b32_e32 v22, 0x7f800000
	v_cmp_nlt_f32_e64 s[60:61], s2, v20
	s_mov_b32 s2, 0x3f2aaaab
	s_mov_b32 s3, 0x7f800000
	v_cndmask_b32_e64 v38, v22, v21, s[60:61]
	v_add_f32_e32 v22, 1.0, v38
	v_add_f32_e32 v20, -1.0, v22
	v_sub_f32_e32 v21, v20, v22
	v_add_f32_e32 v21, 1.0, v21
	v_sub_f32_e32 v20, v38, v20
	v_add_f32_e32 v23, v20, v21
	v_frexp_mant_f32_e32 v24, v22
	v_cvt_f64_f32_e32 v[20:21], v22
	v_frexp_exp_i32_f64_e32 v20, v[20:21]
	v_cmp_gt_f32_e64 s[60:61], s2, v24
	s_mov_b32 s2, 0x3f317218
	s_nop 0
	v_subbrev_co_u32_e64 v30, s[60:61], 0, v20, s[60:61]
	v_sub_u32_e32 v20, 0, v30
	v_ldexp_f32 v21, v22, v20
	v_add_f32_e32 v22, -1.0, v21
	v_add_f32_e32 v24, 1.0, v21
	v_ldexp_f32 v20, v23, v20
	v_add_f32_e32 v23, 1.0, v22
	v_add_f32_e32 v25, -1.0, v24
	v_sub_f32_e32 v23, v21, v23
	v_sub_f32_e32 v21, v21, v25
	v_add_f32_e32 v23, v20, v23
	v_add_f32_e32 v20, v20, v21
	v_add_f32_e32 v31, v24, v20
	v_rcp_f32_e32 v33, v31
	v_sub_f32_e32 v21, v24, v31
	v_add_f32_e32 v32, v20, v21
	v_add_f32_e32 v21, v22, v23
	v_mul_f32_e32 v35, v21, v33
	v_sub_f32_e32 v20, v22, v21
	v_mul_f32_e32 v22, v31, v35
	v_fma_f32 v24, v35, v31, -v22
	v_fmac_f32_e32 v24, v35, v32
	v_add_f32_e32 v34, v23, v20
	v_add_f32_e32 v20, v22, v24
	v_sub_f32_e32 v23, v21, v20
	v_pk_add_f32 v[26:27], v[20:21], v[22:23] neg_lo:[0,1] neg_hi:[0,1]
	v_mov_b32_e32 v25, v20
	v_pk_add_f32 v[20:21], v[26:27], v[24:25] neg_lo:[0,1] neg_hi:[0,1]
	v_cmp_eq_f32_e64 s[60:61], s3, v38
	v_add_f32_e32 v21, v34, v21
	v_add_f32_e32 v20, v20, v21
	;; [unrolled: 1-line block ×3, first 2 shown]
	v_mul_f32_e32 v34, v33, v21
	v_mul_f32_e32 v22, v31, v34
	v_fma_f32 v24, v34, v31, -v22
	v_fmac_f32_e32 v24, v34, v32
	v_sub_f32_e32 v23, v23, v21
	v_add_f32_e32 v31, v20, v23
	v_add_f32_e32 v20, v22, v24
	v_sub_f32_e32 v23, v21, v20
	v_pk_add_f32 v[26:27], v[20:21], v[22:23] neg_lo:[0,1] neg_hi:[0,1]
	v_mov_b32_e32 v25, v20
	v_pk_add_f32 v[20:21], v[26:27], v[24:25] neg_lo:[0,1] neg_hi:[0,1]
	v_cvt_f32_i32_e32 v22, v30
	v_add_f32_e32 v21, v31, v21
	v_add_f32_e32 v20, v20, v21
	;; [unrolled: 1-line block ×4, first 2 shown]
	v_sub_f32_e32 v21, v23, v35
	v_mul_f32_e32 v20, v33, v20
	v_sub_f32_e32 v21, v34, v21
	v_add_f32_e32 v20, v21, v20
	v_add_f32_e32 v24, v23, v20
	v_mul_f32_e32 v26, v24, v24
	v_mov_b32_e32 v21, 0x3ecc95a3
	v_sub_f32_e32 v23, v24, v23
	v_fmac_f32_e32 v21, 0x3e9b6dac, v26
	v_sub_f32_e32 v20, v20, v23
	v_fmaak_f32 v21, v26, v21, 0x3f2aaada
	v_ldexp_f32 v27, v20, 1
	v_mul_f32_e32 v23, v24, v26
	v_mov_b32_e32 v20, 0x3f317218
	v_pk_mul_f32 v[20:21], v[22:23], v[20:21]
	v_ldexp_f32 v25, v24, 1
	v_fma_f32 v23, v22, s2, -v20
	v_fmamk_f32 v24, v22, 0xb102e308, v23
	v_pk_add_f32 v[22:23], v[20:21], v[24:25]
	v_mov_b32_e32 v26, v20
	v_sub_f32_e32 v25, v23, v25
	v_sub_f32_e32 v25, v21, v25
	v_add_f32_e32 v27, v27, v25
	v_pk_add_f32 v[20:21], v[22:23], v[20:21] neg_lo:[0,1] neg_hi:[0,1]
	v_pk_add_f32 v[30:31], v[22:23], v[26:27]
	v_mov_b32_e32 v25, v22
	v_mov_b32_e32 v21, v31
	v_pk_add_f32 v[32:33], v[24:25], v[20:21] neg_lo:[0,1] neg_hi:[0,1]
	v_pk_add_f32 v[20:21], v[24:25], v[20:21]
	v_mov_b32_e32 v26, v27
	v_mov_b32_e32 v24, v21
	v_pk_add_f32 v[34:35], v[24:25], v[22:23] neg_lo:[0,1] neg_hi:[0,1]
	v_mov_b32_e32 v20, v31
	v_mov_b32_e32 v25, v34
	v_pk_add_f32 v[36:37], v[30:31], v[24:25] neg_lo:[0,1] neg_hi:[0,1]
	v_mov_b32_e32 v30, v23
	v_mov_b32_e32 v31, v34
	;; [unrolled: 1-line block ×3, first 2 shown]
	v_pk_add_f32 v[20:21], v[20:21], v[30:31] neg_lo:[0,1] neg_hi:[0,1]
	v_mov_b32_e32 v27, v22
	v_pk_add_f32 v[20:21], v[26:27], v[20:21] neg_lo:[0,1] neg_hi:[0,1]
	v_mov_b32_e32 v36, v32
	v_pk_add_f32 v[22:23], v[36:37], v[20:21]
	s_mov_b32 s2, 0x33800000
	v_mov_b32_e32 v26, v23
	v_pk_add_f32 v[26:27], v[22:23], v[26:27]
	v_cmp_lt_f32_e64 s[64:65], |v38|, s2
	v_pk_add_f32 v[24:25], v[24:25], v[26:27]
	v_mov_b32_e32 v21, v26
	v_mov_b32_e32 v23, v24
	v_pk_add_f32 v[30:31], v[22:23], v[32:33] neg_lo:[0,1] neg_hi:[0,1]
	s_or_b64 s[60:61], s[60:61], s[64:65]
	v_sub_f32_e32 v22, v22, v30
	v_pk_add_f32 v[20:21], v[20:21], v[30:31] neg_lo:[0,1] neg_hi:[0,1]
	v_sub_f32_e32 v22, v32, v22
	v_add_f32_e32 v20, v20, v22
	v_add_f32_e32 v20, v20, v21
	v_add_f32_e32 v20, v24, v20
	v_cndmask_b32_e64 v20, v20, v38, s[60:61]
	v_add_f32_e32 v19, v19, v20
	v_cvt_f16_f32_e32 v30, v19
	v_cvt_f32_f16_e32 v32, v30
	v_mov_b32_e32 v31, v30
.LBB418_60:
	s_or_b64 exec, exec, s[62:63]
	v_cvt_f32_f16_sdwa v19, v5 dst_sel:DWORD dst_unused:UNUSED_PAD src0_sel:WORD_1
	v_max_f32_e32 v21, v32, v32
	v_cmp_u_f16_e64 s[62:63], v30, v30
	v_cmp_u_f16_sdwa s[60:61], v5, v5 src0_sel:WORD_1 src1_sel:WORD_1
	v_min_f32_e32 v20, v21, v19
	v_max_f32_e32 v5, v21, v19
	v_cndmask_b32_e64 v20, v20, v32, s[62:63]
	v_cndmask_b32_e64 v5, v5, v32, s[62:63]
	;; [unrolled: 1-line block ×4, first 2 shown]
	v_cmp_neq_f32_e64 s[62:63], v20, v5
	v_cmp_class_f32_e64 s[64:65], v20, s33
	s_or_b64 s[62:63], s[62:63], s[64:65]
	s_and_saveexec_b64 s[64:65], s[62:63]
	s_cbranch_execz .LBB418_62
; %bb.61:
	v_sub_f32_e32 v20, v20, v5
	s_mov_b32 s2, 0x3fb8aa3b
	v_mul_f32_e32 v21, 0x3fb8aa3b, v20
	v_fma_f32 v22, v20, s2, -v21
	v_rndne_f32_e32 v23, v21
	v_fmamk_f32 v22, v20, 0x32a5705f, v22
	v_sub_f32_e32 v21, v21, v23
	v_add_f32_e32 v21, v21, v22
	v_exp_f32_e32 v21, v21
	v_cvt_i32_f32_e32 v22, v23
	s_mov_b32 s2, 0xc2ce8ed0
	v_cmp_ngt_f32_e64 s[62:63], s2, v20
	s_mov_b32 s2, 0x42b17218
	v_ldexp_f32 v21, v21, v22
	v_cndmask_b32_e64 v21, 0, v21, s[62:63]
	v_mov_b32_e32 v22, 0x7f800000
	v_cmp_nlt_f32_e64 s[62:63], s2, v20
	s_mov_b32 s2, 0x3f2aaaab
	s_mov_b32 s3, 0x7f800000
	v_cndmask_b32_e64 v38, v22, v21, s[62:63]
	v_add_f32_e32 v22, 1.0, v38
	v_add_f32_e32 v20, -1.0, v22
	v_sub_f32_e32 v21, v20, v22
	v_add_f32_e32 v21, 1.0, v21
	v_sub_f32_e32 v20, v38, v20
	v_add_f32_e32 v23, v20, v21
	v_frexp_mant_f32_e32 v24, v22
	v_cvt_f64_f32_e32 v[20:21], v22
	v_frexp_exp_i32_f64_e32 v20, v[20:21]
	v_cmp_gt_f32_e64 s[62:63], s2, v24
	s_mov_b32 s2, 0x3f317218
	s_nop 0
	v_subbrev_co_u32_e64 v30, s[62:63], 0, v20, s[62:63]
	v_sub_u32_e32 v20, 0, v30
	v_ldexp_f32 v21, v22, v20
	v_add_f32_e32 v22, -1.0, v21
	v_add_f32_e32 v24, 1.0, v21
	v_ldexp_f32 v20, v23, v20
	v_add_f32_e32 v23, 1.0, v22
	v_add_f32_e32 v25, -1.0, v24
	v_sub_f32_e32 v23, v21, v23
	v_sub_f32_e32 v21, v21, v25
	v_add_f32_e32 v23, v20, v23
	v_add_f32_e32 v20, v20, v21
	;; [unrolled: 1-line block ×3, first 2 shown]
	v_rcp_f32_e32 v33, v31
	v_sub_f32_e32 v21, v24, v31
	v_add_f32_e32 v32, v20, v21
	v_add_f32_e32 v21, v22, v23
	v_mul_f32_e32 v35, v21, v33
	v_sub_f32_e32 v20, v22, v21
	v_mul_f32_e32 v22, v31, v35
	v_fma_f32 v24, v35, v31, -v22
	v_fmac_f32_e32 v24, v35, v32
	v_add_f32_e32 v34, v23, v20
	v_add_f32_e32 v20, v22, v24
	v_sub_f32_e32 v23, v21, v20
	v_pk_add_f32 v[26:27], v[20:21], v[22:23] neg_lo:[0,1] neg_hi:[0,1]
	v_mov_b32_e32 v25, v20
	v_pk_add_f32 v[20:21], v[26:27], v[24:25] neg_lo:[0,1] neg_hi:[0,1]
	v_cmp_eq_f32_e64 s[62:63], s3, v38
	v_add_f32_e32 v21, v34, v21
	v_add_f32_e32 v20, v20, v21
	v_add_f32_e32 v21, v23, v20
	v_mul_f32_e32 v34, v33, v21
	v_mul_f32_e32 v22, v31, v34
	v_fma_f32 v24, v34, v31, -v22
	v_fmac_f32_e32 v24, v34, v32
	v_sub_f32_e32 v23, v23, v21
	v_add_f32_e32 v31, v20, v23
	v_add_f32_e32 v20, v22, v24
	v_sub_f32_e32 v23, v21, v20
	v_pk_add_f32 v[26:27], v[20:21], v[22:23] neg_lo:[0,1] neg_hi:[0,1]
	v_mov_b32_e32 v25, v20
	v_pk_add_f32 v[20:21], v[26:27], v[24:25] neg_lo:[0,1] neg_hi:[0,1]
	v_cvt_f32_i32_e32 v22, v30
	v_add_f32_e32 v21, v31, v21
	v_add_f32_e32 v20, v20, v21
	;; [unrolled: 1-line block ×4, first 2 shown]
	v_sub_f32_e32 v21, v23, v35
	v_mul_f32_e32 v20, v33, v20
	v_sub_f32_e32 v21, v34, v21
	v_add_f32_e32 v20, v21, v20
	v_add_f32_e32 v24, v23, v20
	v_mul_f32_e32 v26, v24, v24
	v_mov_b32_e32 v21, 0x3ecc95a3
	v_sub_f32_e32 v23, v24, v23
	v_fmac_f32_e32 v21, 0x3e9b6dac, v26
	v_sub_f32_e32 v20, v20, v23
	v_fmaak_f32 v21, v26, v21, 0x3f2aaada
	v_ldexp_f32 v27, v20, 1
	v_mul_f32_e32 v23, v24, v26
	v_mov_b32_e32 v20, 0x3f317218
	v_pk_mul_f32 v[20:21], v[22:23], v[20:21]
	v_ldexp_f32 v25, v24, 1
	v_fma_f32 v23, v22, s2, -v20
	v_fmamk_f32 v24, v22, 0xb102e308, v23
	v_pk_add_f32 v[22:23], v[20:21], v[24:25]
	v_mov_b32_e32 v26, v20
	v_sub_f32_e32 v25, v23, v25
	v_sub_f32_e32 v25, v21, v25
	v_add_f32_e32 v27, v27, v25
	v_pk_add_f32 v[20:21], v[22:23], v[20:21] neg_lo:[0,1] neg_hi:[0,1]
	v_pk_add_f32 v[30:31], v[22:23], v[26:27]
	v_mov_b32_e32 v25, v22
	v_mov_b32_e32 v21, v31
	v_pk_add_f32 v[32:33], v[24:25], v[20:21] neg_lo:[0,1] neg_hi:[0,1]
	v_pk_add_f32 v[20:21], v[24:25], v[20:21]
	v_mov_b32_e32 v26, v27
	v_mov_b32_e32 v24, v21
	v_pk_add_f32 v[34:35], v[24:25], v[22:23] neg_lo:[0,1] neg_hi:[0,1]
	v_mov_b32_e32 v20, v31
	v_mov_b32_e32 v25, v34
	v_pk_add_f32 v[36:37], v[30:31], v[24:25] neg_lo:[0,1] neg_hi:[0,1]
	v_mov_b32_e32 v30, v23
	v_mov_b32_e32 v31, v34
	;; [unrolled: 1-line block ×3, first 2 shown]
	v_pk_add_f32 v[20:21], v[20:21], v[30:31] neg_lo:[0,1] neg_hi:[0,1]
	v_mov_b32_e32 v27, v22
	v_pk_add_f32 v[20:21], v[26:27], v[20:21] neg_lo:[0,1] neg_hi:[0,1]
	v_mov_b32_e32 v36, v32
	v_pk_add_f32 v[22:23], v[36:37], v[20:21]
	s_mov_b32 s2, 0x33800000
	v_mov_b32_e32 v26, v23
	v_pk_add_f32 v[26:27], v[22:23], v[26:27]
	v_cmp_lt_f32_e64 s[66:67], |v38|, s2
	v_pk_add_f32 v[24:25], v[24:25], v[26:27]
	v_mov_b32_e32 v21, v26
	v_mov_b32_e32 v23, v24
	v_pk_add_f32 v[30:31], v[22:23], v[32:33] neg_lo:[0,1] neg_hi:[0,1]
	s_or_b64 s[62:63], s[62:63], s[66:67]
	v_sub_f32_e32 v22, v22, v30
	v_pk_add_f32 v[20:21], v[20:21], v[30:31] neg_lo:[0,1] neg_hi:[0,1]
	v_sub_f32_e32 v22, v32, v22
	v_add_f32_e32 v20, v20, v22
	v_add_f32_e32 v20, v20, v21
	;; [unrolled: 1-line block ×3, first 2 shown]
	v_cndmask_b32_e64 v20, v20, v38, s[62:63]
	v_add_f32_e32 v5, v5, v20
	v_cvt_f16_f32_e32 v30, v5
	v_cvt_f32_f16_e32 v32, v30
	v_mov_b32_e32 v31, v30
.LBB418_62:
	s_or_b64 exec, exec, s[64:65]
	v_cvt_f32_f16_e32 v5, v10
	v_max_f32_e32 v20, v32, v32
	v_cmp_u_f16_e64 s[64:65], v30, v30
	v_cmp_u_f16_e64 s[62:63], v10, v10
	v_min_f32_e32 v21, v20, v5
	v_max_f32_e32 v20, v20, v5
	v_cndmask_b32_e64 v21, v21, v32, s[64:65]
	v_cndmask_b32_e64 v20, v20, v32, s[64:65]
	;; [unrolled: 1-line block ×4, first 2 shown]
	v_cmp_neq_f32_e64 s[64:65], v21, v20
	v_cmp_class_f32_e64 s[66:67], v21, s33
	s_or_b64 s[64:65], s[64:65], s[66:67]
	s_and_saveexec_b64 s[66:67], s[64:65]
	s_cbranch_execz .LBB418_64
; %bb.63:
	v_sub_f32_e32 v21, v21, v20
	s_mov_b32 s2, 0x3fb8aa3b
	v_mul_f32_e32 v22, 0x3fb8aa3b, v21
	v_fma_f32 v23, v21, s2, -v22
	v_rndne_f32_e32 v24, v22
	v_fmamk_f32 v23, v21, 0x32a5705f, v23
	v_sub_f32_e32 v22, v22, v24
	v_add_f32_e32 v22, v22, v23
	v_exp_f32_e32 v22, v22
	v_cvt_i32_f32_e32 v23, v24
	s_mov_b32 s2, 0xc2ce8ed0
	v_cmp_ngt_f32_e64 s[64:65], s2, v21
	s_mov_b32 s2, 0x42b17218
	v_ldexp_f32 v22, v22, v23
	v_cndmask_b32_e64 v22, 0, v22, s[64:65]
	v_mov_b32_e32 v23, 0x7f800000
	v_cmp_nlt_f32_e64 s[64:65], s2, v21
	s_mov_b32 s2, 0x3f2aaaab
	s_mov_b32 s3, 0x7f800000
	v_cndmask_b32_e64 v40, v23, v22, s[64:65]
	v_add_f32_e32 v21, 1.0, v40
	v_add_f32_e32 v22, -1.0, v21
	v_sub_f32_e32 v23, v22, v21
	v_add_f32_e32 v23, 1.0, v23
	v_sub_f32_e32 v22, v40, v22
	v_add_f32_e32 v24, v22, v23
	v_frexp_mant_f32_e32 v25, v21
	v_cvt_f64_f32_e32 v[22:23], v21
	v_frexp_exp_i32_f64_e32 v22, v[22:23]
	v_cmp_gt_f32_e64 s[64:65], s2, v25
	s_mov_b32 s2, 0x3f317218
	s_nop 0
	v_subbrev_co_u32_e64 v32, s[64:65], 0, v22, s[64:65]
	v_sub_u32_e32 v22, 0, v32
	v_ldexp_f32 v21, v21, v22
	v_ldexp_f32 v22, v24, v22
	v_add_f32_e32 v24, -1.0, v21
	v_add_f32_e32 v23, 1.0, v24
	v_sub_f32_e32 v23, v21, v23
	v_add_f32_e32 v25, v22, v23
	v_add_f32_e32 v23, 1.0, v21
	v_add_f32_e32 v26, -1.0, v23
	v_sub_f32_e32 v21, v21, v26
	v_add_f32_e32 v21, v22, v21
	v_add_f32_e32 v33, v23, v21
	v_rcp_f32_e32 v34, v33
	v_sub_f32_e32 v22, v23, v33
	v_add_f32_e32 v23, v24, v25
	v_add_f32_e32 v21, v21, v22
	v_mul_f32_e32 v36, v23, v34
	v_sub_f32_e32 v22, v24, v23
	v_mul_f32_e32 v24, v33, v36
	v_fma_f32 v26, v36, v33, -v24
	v_fmac_f32_e32 v26, v36, v21
	v_add_f32_e32 v35, v25, v22
	v_add_f32_e32 v22, v24, v26
	v_sub_f32_e32 v25, v23, v22
	v_pk_add_f32 v[30:31], v[22:23], v[24:25] neg_lo:[0,1] neg_hi:[0,1]
	v_mov_b32_e32 v27, v22
	v_pk_add_f32 v[22:23], v[30:31], v[26:27] neg_lo:[0,1] neg_hi:[0,1]
	v_cmp_eq_f32_e64 s[64:65], s3, v40
	v_add_f32_e32 v23, v35, v23
	v_add_f32_e32 v22, v22, v23
	;; [unrolled: 1-line block ×3, first 2 shown]
	v_mul_f32_e32 v35, v34, v23
	v_mul_f32_e32 v24, v33, v35
	v_fma_f32 v26, v35, v33, -v24
	v_fmac_f32_e32 v26, v35, v21
	v_sub_f32_e32 v21, v25, v23
	v_add_f32_e32 v21, v22, v21
	v_add_f32_e32 v22, v24, v26
	v_sub_f32_e32 v25, v23, v22
	v_pk_add_f32 v[30:31], v[22:23], v[24:25] neg_lo:[0,1] neg_hi:[0,1]
	v_mov_b32_e32 v27, v22
	v_pk_add_f32 v[22:23], v[30:31], v[26:27] neg_lo:[0,1] neg_hi:[0,1]
	v_cvt_f32_i32_e32 v24, v32
	v_add_f32_e32 v21, v21, v23
	v_add_f32_e32 v21, v22, v21
	;; [unrolled: 1-line block ×4, first 2 shown]
	v_sub_f32_e32 v23, v22, v36
	v_mul_f32_e32 v21, v34, v21
	v_sub_f32_e32 v23, v35, v23
	v_add_f32_e32 v21, v23, v21
	v_add_f32_e32 v25, v22, v21
	v_mul_f32_e32 v26, v25, v25
	v_mov_b32_e32 v23, 0x3ecc95a3
	v_fmac_f32_e32 v23, 0x3e9b6dac, v26
	v_sub_f32_e32 v22, v25, v22
	v_fmaak_f32 v23, v26, v23, 0x3f2aaada
	v_sub_f32_e32 v21, v21, v22
	v_ldexp_f32 v27, v25, 1
	v_mul_f32_e32 v25, v25, v26
	v_mov_b32_e32 v22, 0x3f317218
	v_pk_mul_f32 v[22:23], v[24:25], v[22:23]
	v_ldexp_f32 v21, v21, 1
	v_fma_f32 v25, v24, s2, -v22
	v_fmamk_f32 v26, v24, 0xb102e308, v25
	v_pk_add_f32 v[24:25], v[22:23], v[26:27]
	v_mov_b32_e32 v30, v22
	v_sub_f32_e32 v27, v25, v27
	v_sub_f32_e32 v27, v23, v27
	v_add_f32_e32 v31, v21, v27
	v_pk_add_f32 v[22:23], v[24:25], v[22:23] neg_lo:[0,1] neg_hi:[0,1]
	v_pk_add_f32 v[32:33], v[24:25], v[30:31]
	v_mov_b32_e32 v27, v24
	v_mov_b32_e32 v23, v33
	v_pk_add_f32 v[34:35], v[26:27], v[22:23] neg_lo:[0,1] neg_hi:[0,1]
	v_pk_add_f32 v[22:23], v[26:27], v[22:23]
	v_mov_b32_e32 v30, v31
	v_mov_b32_e32 v26, v23
	v_pk_add_f32 v[36:37], v[26:27], v[24:25] neg_lo:[0,1] neg_hi:[0,1]
	v_mov_b32_e32 v22, v33
	v_mov_b32_e32 v21, v36
	v_pk_add_f32 v[38:39], v[32:33], v[20:21] neg_lo:[0,1] neg_hi:[0,1]
	v_mov_b32_e32 v32, v25
	v_mov_b32_e32 v33, v36
	v_mov_b32_e32 v35, v23
	v_pk_add_f32 v[22:23], v[22:23], v[32:33] neg_lo:[0,1] neg_hi:[0,1]
	v_mov_b32_e32 v31, v24
	v_pk_add_f32 v[22:23], v[30:31], v[22:23] neg_lo:[0,1] neg_hi:[0,1]
	v_mov_b32_e32 v38, v34
	v_pk_add_f32 v[24:25], v[38:39], v[22:23]
	s_mov_b32 s2, 0x33800000
	v_mov_b32_e32 v30, v25
	v_pk_add_f32 v[30:31], v[24:25], v[30:31]
	v_cmp_lt_f32_e64 s[68:69], |v40|, s2
	v_pk_add_f32 v[26:27], v[26:27], v[30:31]
	v_mov_b32_e32 v23, v30
	v_mov_b32_e32 v25, v26
	v_pk_add_f32 v[32:33], v[24:25], v[34:35] neg_lo:[0,1] neg_hi:[0,1]
	s_or_b64 s[64:65], s[64:65], s[68:69]
	v_sub_f32_e32 v21, v24, v32
	v_pk_add_f32 v[22:23], v[22:23], v[32:33] neg_lo:[0,1] neg_hi:[0,1]
	v_sub_f32_e32 v21, v34, v21
	v_add_f32_e32 v21, v22, v21
	v_add_f32_e32 v21, v21, v23
	;; [unrolled: 1-line block ×3, first 2 shown]
	v_cndmask_b32_e64 v21, v21, v40, s[64:65]
	v_add_f32_e32 v20, v20, v21
	v_cvt_f16_f32_e32 v30, v20
	v_cvt_f32_f16_e32 v32, v30
	v_mov_b32_e32 v31, v30
.LBB418_64:
	s_or_b64 exec, exec, s[66:67]
	v_cvt_f32_f16_sdwa v20, v10 dst_sel:DWORD dst_unused:UNUSED_PAD src0_sel:WORD_1
	v_max_f32_e32 v22, v32, v32
	v_cmp_u_f16_e64 s[66:67], v30, v30
	v_cmp_u_f16_sdwa s[64:65], v10, v10 src0_sel:WORD_1 src1_sel:WORD_1
	v_min_f32_e32 v21, v22, v20
	v_max_f32_e32 v10, v22, v20
	v_cndmask_b32_e64 v21, v21, v32, s[66:67]
	v_cndmask_b32_e64 v10, v10, v32, s[66:67]
	;; [unrolled: 1-line block ×4, first 2 shown]
	v_cmp_neq_f32_e64 s[66:67], v21, v10
	v_cmp_class_f32_e64 s[68:69], v21, s33
	s_or_b64 s[66:67], s[66:67], s[68:69]
	s_and_saveexec_b64 s[68:69], s[66:67]
	s_cbranch_execz .LBB418_66
; %bb.65:
	v_sub_f32_e32 v21, v21, v10
	s_mov_b32 s2, 0x3fb8aa3b
	v_mul_f32_e32 v22, 0x3fb8aa3b, v21
	v_fma_f32 v23, v21, s2, -v22
	v_rndne_f32_e32 v24, v22
	v_fmamk_f32 v23, v21, 0x32a5705f, v23
	v_sub_f32_e32 v22, v22, v24
	v_add_f32_e32 v22, v22, v23
	v_exp_f32_e32 v22, v22
	v_cvt_i32_f32_e32 v23, v24
	s_mov_b32 s2, 0xc2ce8ed0
	v_cmp_ngt_f32_e64 s[66:67], s2, v21
	s_mov_b32 s2, 0x42b17218
	v_ldexp_f32 v22, v22, v23
	v_cndmask_b32_e64 v22, 0, v22, s[66:67]
	v_mov_b32_e32 v23, 0x7f800000
	v_cmp_nlt_f32_e64 s[66:67], s2, v21
	s_mov_b32 s2, 0x3f2aaaab
	s_mov_b32 s3, 0x7f800000
	v_cndmask_b32_e64 v40, v23, v22, s[66:67]
	v_add_f32_e32 v21, 1.0, v40
	v_add_f32_e32 v22, -1.0, v21
	v_sub_f32_e32 v23, v22, v21
	v_add_f32_e32 v23, 1.0, v23
	v_sub_f32_e32 v22, v40, v22
	v_add_f32_e32 v24, v22, v23
	v_frexp_mant_f32_e32 v25, v21
	v_cvt_f64_f32_e32 v[22:23], v21
	v_frexp_exp_i32_f64_e32 v22, v[22:23]
	v_cmp_gt_f32_e64 s[66:67], s2, v25
	s_mov_b32 s2, 0x3f317218
	s_nop 0
	v_subbrev_co_u32_e64 v32, s[66:67], 0, v22, s[66:67]
	v_sub_u32_e32 v22, 0, v32
	v_ldexp_f32 v21, v21, v22
	v_ldexp_f32 v22, v24, v22
	v_add_f32_e32 v24, -1.0, v21
	v_add_f32_e32 v23, 1.0, v24
	v_sub_f32_e32 v23, v21, v23
	v_add_f32_e32 v25, v22, v23
	v_add_f32_e32 v23, 1.0, v21
	v_add_f32_e32 v26, -1.0, v23
	v_sub_f32_e32 v21, v21, v26
	v_add_f32_e32 v21, v22, v21
	v_add_f32_e32 v33, v23, v21
	v_rcp_f32_e32 v34, v33
	v_sub_f32_e32 v22, v23, v33
	v_add_f32_e32 v23, v24, v25
	v_add_f32_e32 v21, v21, v22
	v_mul_f32_e32 v36, v23, v34
	v_sub_f32_e32 v22, v24, v23
	v_mul_f32_e32 v24, v33, v36
	v_fma_f32 v26, v36, v33, -v24
	v_fmac_f32_e32 v26, v36, v21
	v_add_f32_e32 v35, v25, v22
	v_add_f32_e32 v22, v24, v26
	v_sub_f32_e32 v25, v23, v22
	v_pk_add_f32 v[30:31], v[22:23], v[24:25] neg_lo:[0,1] neg_hi:[0,1]
	v_mov_b32_e32 v27, v22
	v_pk_add_f32 v[22:23], v[30:31], v[26:27] neg_lo:[0,1] neg_hi:[0,1]
	v_cmp_eq_f32_e64 s[66:67], s3, v40
	v_add_f32_e32 v23, v35, v23
	v_add_f32_e32 v22, v22, v23
	;; [unrolled: 1-line block ×3, first 2 shown]
	v_mul_f32_e32 v35, v34, v23
	v_mul_f32_e32 v24, v33, v35
	v_fma_f32 v26, v35, v33, -v24
	v_fmac_f32_e32 v26, v35, v21
	v_sub_f32_e32 v21, v25, v23
	v_add_f32_e32 v21, v22, v21
	v_add_f32_e32 v22, v24, v26
	v_sub_f32_e32 v25, v23, v22
	v_pk_add_f32 v[30:31], v[22:23], v[24:25] neg_lo:[0,1] neg_hi:[0,1]
	v_mov_b32_e32 v27, v22
	v_pk_add_f32 v[22:23], v[30:31], v[26:27] neg_lo:[0,1] neg_hi:[0,1]
	v_cvt_f32_i32_e32 v24, v32
	v_add_f32_e32 v21, v21, v23
	v_add_f32_e32 v21, v22, v21
	;; [unrolled: 1-line block ×4, first 2 shown]
	v_sub_f32_e32 v23, v22, v36
	v_mul_f32_e32 v21, v34, v21
	v_sub_f32_e32 v23, v35, v23
	v_add_f32_e32 v21, v23, v21
	v_add_f32_e32 v25, v22, v21
	v_mul_f32_e32 v26, v25, v25
	v_mov_b32_e32 v23, 0x3ecc95a3
	v_fmac_f32_e32 v23, 0x3e9b6dac, v26
	v_sub_f32_e32 v22, v25, v22
	v_fmaak_f32 v23, v26, v23, 0x3f2aaada
	v_sub_f32_e32 v21, v21, v22
	v_ldexp_f32 v27, v25, 1
	v_mul_f32_e32 v25, v25, v26
	v_mov_b32_e32 v22, 0x3f317218
	v_pk_mul_f32 v[22:23], v[24:25], v[22:23]
	v_ldexp_f32 v21, v21, 1
	v_fma_f32 v25, v24, s2, -v22
	v_fmamk_f32 v26, v24, 0xb102e308, v25
	v_pk_add_f32 v[24:25], v[22:23], v[26:27]
	v_mov_b32_e32 v30, v22
	v_sub_f32_e32 v27, v25, v27
	v_sub_f32_e32 v27, v23, v27
	v_add_f32_e32 v31, v21, v27
	v_pk_add_f32 v[22:23], v[24:25], v[22:23] neg_lo:[0,1] neg_hi:[0,1]
	v_pk_add_f32 v[32:33], v[24:25], v[30:31]
	v_mov_b32_e32 v27, v24
	v_mov_b32_e32 v23, v33
	v_pk_add_f32 v[34:35], v[26:27], v[22:23] neg_lo:[0,1] neg_hi:[0,1]
	v_pk_add_f32 v[22:23], v[26:27], v[22:23]
	v_mov_b32_e32 v30, v31
	v_mov_b32_e32 v26, v23
	v_pk_add_f32 v[36:37], v[26:27], v[24:25] neg_lo:[0,1] neg_hi:[0,1]
	v_mov_b32_e32 v22, v33
	v_mov_b32_e32 v21, v36
	v_pk_add_f32 v[38:39], v[32:33], v[20:21] neg_lo:[0,1] neg_hi:[0,1]
	v_mov_b32_e32 v32, v25
	v_mov_b32_e32 v33, v36
	;; [unrolled: 1-line block ×3, first 2 shown]
	v_pk_add_f32 v[22:23], v[22:23], v[32:33] neg_lo:[0,1] neg_hi:[0,1]
	v_mov_b32_e32 v31, v24
	v_pk_add_f32 v[22:23], v[30:31], v[22:23] neg_lo:[0,1] neg_hi:[0,1]
	v_mov_b32_e32 v38, v34
	v_pk_add_f32 v[24:25], v[38:39], v[22:23]
	s_mov_b32 s2, 0x33800000
	v_mov_b32_e32 v30, v25
	v_pk_add_f32 v[30:31], v[24:25], v[30:31]
	v_cmp_lt_f32_e64 s[70:71], |v40|, s2
	v_pk_add_f32 v[26:27], v[26:27], v[30:31]
	v_mov_b32_e32 v23, v30
	v_mov_b32_e32 v25, v26
	v_pk_add_f32 v[32:33], v[24:25], v[34:35] neg_lo:[0,1] neg_hi:[0,1]
	s_or_b64 s[66:67], s[66:67], s[70:71]
	v_sub_f32_e32 v21, v24, v32
	v_pk_add_f32 v[22:23], v[22:23], v[32:33] neg_lo:[0,1] neg_hi:[0,1]
	v_sub_f32_e32 v21, v34, v21
	v_add_f32_e32 v21, v22, v21
	v_add_f32_e32 v21, v21, v23
	;; [unrolled: 1-line block ×3, first 2 shown]
	v_cndmask_b32_e64 v21, v21, v40, s[66:67]
	v_add_f32_e32 v10, v10, v21
	v_cvt_f16_f32_e32 v30, v10
	v_cvt_f32_f16_e32 v32, v30
	v_mov_b32_e32 v31, v30
.LBB418_66:
	s_or_b64 exec, exec, s[68:69]
	v_cvt_f32_f16_e32 v10, v11
	v_max_f32_e32 v21, v32, v32
	v_cmp_u_f16_e64 s[68:69], v30, v30
	v_cmp_u_f16_e64 s[66:67], v11, v11
	v_min_f32_e32 v22, v21, v10
	v_max_f32_e32 v21, v21, v10
	v_cndmask_b32_e64 v22, v22, v32, s[68:69]
	v_cndmask_b32_e64 v21, v21, v32, s[68:69]
	;; [unrolled: 1-line block ×4, first 2 shown]
	v_cmp_neq_f32_e64 s[68:69], v22, v21
	v_cmp_class_f32_e64 s[70:71], v22, s33
	s_or_b64 s[68:69], s[68:69], s[70:71]
	s_and_saveexec_b64 s[70:71], s[68:69]
	s_cbranch_execz .LBB418_68
; %bb.67:
	v_sub_f32_e32 v22, v22, v21
	s_mov_b32 s2, 0x3fb8aa3b
	v_mul_f32_e32 v23, 0x3fb8aa3b, v22
	v_fma_f32 v24, v22, s2, -v23
	v_rndne_f32_e32 v25, v23
	v_fmamk_f32 v24, v22, 0x32a5705f, v24
	v_sub_f32_e32 v23, v23, v25
	v_add_f32_e32 v23, v23, v24
	v_exp_f32_e32 v23, v23
	v_cvt_i32_f32_e32 v24, v25
	s_mov_b32 s2, 0xc2ce8ed0
	v_cmp_ngt_f32_e64 s[68:69], s2, v22
	s_mov_b32 s2, 0x42b17218
	v_ldexp_f32 v23, v23, v24
	v_cndmask_b32_e64 v23, 0, v23, s[68:69]
	v_mov_b32_e32 v24, 0x7f800000
	v_cmp_nlt_f32_e64 s[68:69], s2, v22
	s_mov_b32 s2, 0x3f2aaaab
	s_mov_b32 s3, 0x7f800000
	v_cndmask_b32_e64 v40, v24, v23, s[68:69]
	v_add_f32_e32 v24, 1.0, v40
	v_add_f32_e32 v22, -1.0, v24
	v_sub_f32_e32 v23, v22, v24
	v_add_f32_e32 v23, 1.0, v23
	v_sub_f32_e32 v22, v40, v22
	v_add_f32_e32 v25, v22, v23
	v_frexp_mant_f32_e32 v26, v24
	v_cvt_f64_f32_e32 v[22:23], v24
	v_frexp_exp_i32_f64_e32 v22, v[22:23]
	v_cmp_gt_f32_e64 s[68:69], s2, v26
	s_mov_b32 s2, 0x3f317218
	s_nop 0
	v_subbrev_co_u32_e64 v32, s[68:69], 0, v22, s[68:69]
	v_sub_u32_e32 v22, 0, v32
	v_ldexp_f32 v23, v24, v22
	v_add_f32_e32 v24, -1.0, v23
	v_add_f32_e32 v26, 1.0, v23
	v_ldexp_f32 v22, v25, v22
	v_add_f32_e32 v25, 1.0, v24
	v_add_f32_e32 v27, -1.0, v26
	v_sub_f32_e32 v25, v23, v25
	v_sub_f32_e32 v23, v23, v27
	v_add_f32_e32 v25, v22, v25
	v_add_f32_e32 v22, v22, v23
	;; [unrolled: 1-line block ×3, first 2 shown]
	v_rcp_f32_e32 v35, v33
	v_sub_f32_e32 v23, v26, v33
	v_add_f32_e32 v34, v22, v23
	v_add_f32_e32 v23, v24, v25
	v_mul_f32_e32 v37, v23, v35
	v_sub_f32_e32 v22, v24, v23
	v_mul_f32_e32 v24, v33, v37
	v_fma_f32 v26, v37, v33, -v24
	v_fmac_f32_e32 v26, v37, v34
	v_add_f32_e32 v36, v25, v22
	v_add_f32_e32 v22, v24, v26
	v_sub_f32_e32 v25, v23, v22
	v_pk_add_f32 v[30:31], v[22:23], v[24:25] neg_lo:[0,1] neg_hi:[0,1]
	v_mov_b32_e32 v27, v22
	v_pk_add_f32 v[22:23], v[30:31], v[26:27] neg_lo:[0,1] neg_hi:[0,1]
	v_cmp_eq_f32_e64 s[68:69], s3, v40
	v_add_f32_e32 v23, v36, v23
	v_add_f32_e32 v22, v22, v23
	v_add_f32_e32 v23, v25, v22
	v_mul_f32_e32 v36, v35, v23
	v_mul_f32_e32 v24, v33, v36
	v_fma_f32 v26, v36, v33, -v24
	v_fmac_f32_e32 v26, v36, v34
	v_sub_f32_e32 v25, v25, v23
	v_add_f32_e32 v33, v22, v25
	v_add_f32_e32 v22, v24, v26
	v_sub_f32_e32 v25, v23, v22
	v_pk_add_f32 v[30:31], v[22:23], v[24:25] neg_lo:[0,1] neg_hi:[0,1]
	v_mov_b32_e32 v27, v22
	v_pk_add_f32 v[22:23], v[30:31], v[26:27] neg_lo:[0,1] neg_hi:[0,1]
	v_cvt_f32_i32_e32 v24, v32
	v_add_f32_e32 v23, v33, v23
	v_add_f32_e32 v22, v22, v23
	;; [unrolled: 1-line block ×4, first 2 shown]
	v_sub_f32_e32 v23, v25, v37
	v_mul_f32_e32 v22, v35, v22
	v_sub_f32_e32 v23, v36, v23
	v_add_f32_e32 v22, v23, v22
	v_add_f32_e32 v26, v25, v22
	v_mul_f32_e32 v30, v26, v26
	v_mov_b32_e32 v23, 0x3ecc95a3
	v_sub_f32_e32 v25, v26, v25
	v_fmac_f32_e32 v23, 0x3e9b6dac, v30
	v_sub_f32_e32 v22, v22, v25
	v_fmaak_f32 v23, v30, v23, 0x3f2aaada
	v_ldexp_f32 v31, v22, 1
	v_mul_f32_e32 v25, v26, v30
	v_mov_b32_e32 v22, 0x3f317218
	v_pk_mul_f32 v[22:23], v[24:25], v[22:23]
	v_ldexp_f32 v27, v26, 1
	v_fma_f32 v25, v24, s2, -v22
	v_fmamk_f32 v26, v24, 0xb102e308, v25
	v_pk_add_f32 v[24:25], v[22:23], v[26:27]
	v_mov_b32_e32 v30, v22
	v_sub_f32_e32 v27, v25, v27
	v_sub_f32_e32 v27, v23, v27
	v_add_f32_e32 v31, v31, v27
	v_pk_add_f32 v[22:23], v[24:25], v[22:23] neg_lo:[0,1] neg_hi:[0,1]
	v_pk_add_f32 v[32:33], v[24:25], v[30:31]
	v_mov_b32_e32 v27, v24
	v_mov_b32_e32 v23, v33
	v_pk_add_f32 v[34:35], v[26:27], v[22:23] neg_lo:[0,1] neg_hi:[0,1]
	v_pk_add_f32 v[22:23], v[26:27], v[22:23]
	v_mov_b32_e32 v30, v31
	v_mov_b32_e32 v26, v23
	v_pk_add_f32 v[36:37], v[26:27], v[24:25] neg_lo:[0,1] neg_hi:[0,1]
	v_mov_b32_e32 v22, v33
	v_mov_b32_e32 v27, v36
	v_pk_add_f32 v[38:39], v[32:33], v[26:27] neg_lo:[0,1] neg_hi:[0,1]
	v_mov_b32_e32 v32, v25
	v_mov_b32_e32 v33, v36
	v_mov_b32_e32 v35, v23
	v_pk_add_f32 v[22:23], v[22:23], v[32:33] neg_lo:[0,1] neg_hi:[0,1]
	v_mov_b32_e32 v31, v24
	v_pk_add_f32 v[22:23], v[30:31], v[22:23] neg_lo:[0,1] neg_hi:[0,1]
	v_mov_b32_e32 v38, v34
	v_pk_add_f32 v[24:25], v[38:39], v[22:23]
	s_mov_b32 s2, 0x33800000
	v_mov_b32_e32 v30, v25
	v_pk_add_f32 v[30:31], v[24:25], v[30:31]
	v_cmp_lt_f32_e64 s[72:73], |v40|, s2
	v_pk_add_f32 v[26:27], v[26:27], v[30:31]
	v_mov_b32_e32 v23, v30
	v_mov_b32_e32 v25, v26
	v_pk_add_f32 v[32:33], v[24:25], v[34:35] neg_lo:[0,1] neg_hi:[0,1]
	s_or_b64 s[68:69], s[68:69], s[72:73]
	v_sub_f32_e32 v24, v24, v32
	v_pk_add_f32 v[22:23], v[22:23], v[32:33] neg_lo:[0,1] neg_hi:[0,1]
	v_sub_f32_e32 v24, v34, v24
	v_add_f32_e32 v22, v22, v24
	v_add_f32_e32 v22, v22, v23
	;; [unrolled: 1-line block ×3, first 2 shown]
	v_cndmask_b32_e64 v22, v22, v40, s[68:69]
	v_add_f32_e32 v21, v21, v22
	v_cvt_f16_f32_e32 v30, v21
	v_cvt_f32_f16_e32 v32, v30
	v_mov_b32_e32 v31, v30
.LBB418_68:
	s_or_b64 exec, exec, s[70:71]
	v_cvt_f32_f16_sdwa v21, v11 dst_sel:DWORD dst_unused:UNUSED_PAD src0_sel:WORD_1
	v_max_f32_e32 v23, v32, v32
	v_cmp_u_f16_e64 s[70:71], v30, v30
	v_cmp_u_f16_sdwa s[68:69], v11, v11 src0_sel:WORD_1 src1_sel:WORD_1
	v_min_f32_e32 v22, v23, v21
	v_max_f32_e32 v11, v23, v21
	v_cndmask_b32_e64 v22, v22, v32, s[70:71]
	v_cndmask_b32_e64 v11, v11, v32, s[70:71]
	;; [unrolled: 1-line block ×4, first 2 shown]
	v_cmp_neq_f32_e64 s[70:71], v22, v11
	v_cmp_class_f32_e64 s[72:73], v22, s33
	s_or_b64 s[70:71], s[70:71], s[72:73]
	s_and_saveexec_b64 s[72:73], s[70:71]
	s_cbranch_execz .LBB418_70
; %bb.69:
	v_sub_f32_e32 v22, v22, v11
	s_mov_b32 s2, 0x3fb8aa3b
	v_mul_f32_e32 v23, 0x3fb8aa3b, v22
	v_fma_f32 v24, v22, s2, -v23
	v_rndne_f32_e32 v25, v23
	v_fmamk_f32 v24, v22, 0x32a5705f, v24
	v_sub_f32_e32 v23, v23, v25
	v_add_f32_e32 v23, v23, v24
	v_exp_f32_e32 v23, v23
	v_cvt_i32_f32_e32 v24, v25
	s_mov_b32 s2, 0xc2ce8ed0
	v_cmp_ngt_f32_e64 s[70:71], s2, v22
	s_mov_b32 s2, 0x42b17218
	v_ldexp_f32 v23, v23, v24
	v_cndmask_b32_e64 v23, 0, v23, s[70:71]
	v_mov_b32_e32 v24, 0x7f800000
	v_cmp_nlt_f32_e64 s[70:71], s2, v22
	s_mov_b32 s2, 0x3f2aaaab
	s_mov_b32 s3, 0x7f800000
	v_cndmask_b32_e64 v40, v24, v23, s[70:71]
	v_add_f32_e32 v24, 1.0, v40
	v_add_f32_e32 v22, -1.0, v24
	v_sub_f32_e32 v23, v22, v24
	v_add_f32_e32 v23, 1.0, v23
	v_sub_f32_e32 v22, v40, v22
	v_add_f32_e32 v25, v22, v23
	v_frexp_mant_f32_e32 v26, v24
	v_cvt_f64_f32_e32 v[22:23], v24
	v_frexp_exp_i32_f64_e32 v22, v[22:23]
	v_cmp_gt_f32_e64 s[70:71], s2, v26
	s_mov_b32 s2, 0x3f317218
	s_nop 0
	v_subbrev_co_u32_e64 v32, s[70:71], 0, v22, s[70:71]
	v_sub_u32_e32 v22, 0, v32
	v_ldexp_f32 v23, v24, v22
	v_add_f32_e32 v24, -1.0, v23
	v_add_f32_e32 v26, 1.0, v23
	v_ldexp_f32 v22, v25, v22
	v_add_f32_e32 v25, 1.0, v24
	v_add_f32_e32 v27, -1.0, v26
	v_sub_f32_e32 v25, v23, v25
	v_sub_f32_e32 v23, v23, v27
	v_add_f32_e32 v25, v22, v25
	v_add_f32_e32 v22, v22, v23
	;; [unrolled: 1-line block ×3, first 2 shown]
	v_rcp_f32_e32 v35, v33
	v_sub_f32_e32 v23, v26, v33
	v_add_f32_e32 v34, v22, v23
	v_add_f32_e32 v23, v24, v25
	v_mul_f32_e32 v37, v23, v35
	v_sub_f32_e32 v22, v24, v23
	v_mul_f32_e32 v24, v33, v37
	v_fma_f32 v26, v37, v33, -v24
	v_fmac_f32_e32 v26, v37, v34
	v_add_f32_e32 v36, v25, v22
	v_add_f32_e32 v22, v24, v26
	v_sub_f32_e32 v25, v23, v22
	v_pk_add_f32 v[30:31], v[22:23], v[24:25] neg_lo:[0,1] neg_hi:[0,1]
	v_mov_b32_e32 v27, v22
	v_pk_add_f32 v[22:23], v[30:31], v[26:27] neg_lo:[0,1] neg_hi:[0,1]
	v_cmp_eq_f32_e64 s[70:71], s3, v40
	v_add_f32_e32 v23, v36, v23
	v_add_f32_e32 v22, v22, v23
	;; [unrolled: 1-line block ×3, first 2 shown]
	v_mul_f32_e32 v36, v35, v23
	v_mul_f32_e32 v24, v33, v36
	v_fma_f32 v26, v36, v33, -v24
	v_fmac_f32_e32 v26, v36, v34
	v_sub_f32_e32 v25, v25, v23
	v_add_f32_e32 v33, v22, v25
	v_add_f32_e32 v22, v24, v26
	v_sub_f32_e32 v25, v23, v22
	v_pk_add_f32 v[30:31], v[22:23], v[24:25] neg_lo:[0,1] neg_hi:[0,1]
	v_mov_b32_e32 v27, v22
	v_pk_add_f32 v[22:23], v[30:31], v[26:27] neg_lo:[0,1] neg_hi:[0,1]
	v_cvt_f32_i32_e32 v24, v32
	v_add_f32_e32 v23, v33, v23
	v_add_f32_e32 v22, v22, v23
	;; [unrolled: 1-line block ×4, first 2 shown]
	v_sub_f32_e32 v23, v25, v37
	v_mul_f32_e32 v22, v35, v22
	v_sub_f32_e32 v23, v36, v23
	v_add_f32_e32 v22, v23, v22
	v_add_f32_e32 v26, v25, v22
	v_mul_f32_e32 v30, v26, v26
	v_mov_b32_e32 v23, 0x3ecc95a3
	v_sub_f32_e32 v25, v26, v25
	v_fmac_f32_e32 v23, 0x3e9b6dac, v30
	v_sub_f32_e32 v22, v22, v25
	v_fmaak_f32 v23, v30, v23, 0x3f2aaada
	v_ldexp_f32 v31, v22, 1
	v_mul_f32_e32 v25, v26, v30
	v_mov_b32_e32 v22, 0x3f317218
	v_pk_mul_f32 v[22:23], v[24:25], v[22:23]
	v_ldexp_f32 v27, v26, 1
	v_fma_f32 v25, v24, s2, -v22
	v_fmamk_f32 v26, v24, 0xb102e308, v25
	v_pk_add_f32 v[24:25], v[22:23], v[26:27]
	v_mov_b32_e32 v30, v22
	v_sub_f32_e32 v27, v25, v27
	v_sub_f32_e32 v27, v23, v27
	v_add_f32_e32 v31, v31, v27
	v_pk_add_f32 v[22:23], v[24:25], v[22:23] neg_lo:[0,1] neg_hi:[0,1]
	v_pk_add_f32 v[32:33], v[24:25], v[30:31]
	v_mov_b32_e32 v27, v24
	v_mov_b32_e32 v23, v33
	v_pk_add_f32 v[34:35], v[26:27], v[22:23] neg_lo:[0,1] neg_hi:[0,1]
	v_pk_add_f32 v[22:23], v[26:27], v[22:23]
	v_mov_b32_e32 v30, v31
	v_mov_b32_e32 v26, v23
	v_pk_add_f32 v[36:37], v[26:27], v[24:25] neg_lo:[0,1] neg_hi:[0,1]
	v_mov_b32_e32 v22, v33
	v_mov_b32_e32 v27, v36
	v_pk_add_f32 v[38:39], v[32:33], v[26:27] neg_lo:[0,1] neg_hi:[0,1]
	v_mov_b32_e32 v32, v25
	v_mov_b32_e32 v33, v36
	;; [unrolled: 1-line block ×3, first 2 shown]
	v_pk_add_f32 v[22:23], v[22:23], v[32:33] neg_lo:[0,1] neg_hi:[0,1]
	v_mov_b32_e32 v31, v24
	v_pk_add_f32 v[22:23], v[30:31], v[22:23] neg_lo:[0,1] neg_hi:[0,1]
	v_mov_b32_e32 v38, v34
	v_pk_add_f32 v[24:25], v[38:39], v[22:23]
	s_mov_b32 s2, 0x33800000
	v_mov_b32_e32 v30, v25
	v_pk_add_f32 v[30:31], v[24:25], v[30:31]
	v_cmp_lt_f32_e64 s[74:75], |v40|, s2
	v_pk_add_f32 v[26:27], v[26:27], v[30:31]
	v_mov_b32_e32 v23, v30
	v_mov_b32_e32 v25, v26
	v_pk_add_f32 v[32:33], v[24:25], v[34:35] neg_lo:[0,1] neg_hi:[0,1]
	s_or_b64 s[70:71], s[70:71], s[74:75]
	v_sub_f32_e32 v24, v24, v32
	v_pk_add_f32 v[22:23], v[22:23], v[32:33] neg_lo:[0,1] neg_hi:[0,1]
	v_sub_f32_e32 v24, v34, v24
	v_add_f32_e32 v22, v22, v24
	v_add_f32_e32 v22, v22, v23
	;; [unrolled: 1-line block ×3, first 2 shown]
	v_cndmask_b32_e64 v22, v22, v40, s[70:71]
	v_add_f32_e32 v11, v11, v22
	v_cvt_f16_f32_e32 v30, v11
	v_cvt_f32_f16_e32 v32, v30
	v_mov_b32_e32 v31, v30
.LBB418_70:
	s_or_b64 exec, exec, s[72:73]
	v_cvt_f32_f16_e32 v11, v12
	v_max_f32_e32 v22, v32, v32
	v_cmp_u_f16_e64 s[72:73], v30, v30
	v_cmp_u_f16_e64 s[70:71], v12, v12
	v_min_f32_e32 v23, v22, v11
	v_max_f32_e32 v22, v22, v11
	v_cndmask_b32_e64 v23, v23, v32, s[72:73]
	v_cndmask_b32_e64 v22, v22, v32, s[72:73]
	v_cndmask_b32_e64 v23, v23, v11, s[70:71]
	v_cndmask_b32_e64 v22, v22, v11, s[70:71]
	v_cmp_neq_f32_e64 s[72:73], v23, v22
	v_cmp_class_f32_e64 s[74:75], v23, s33
	s_or_b64 s[72:73], s[72:73], s[74:75]
	s_and_saveexec_b64 s[74:75], s[72:73]
	s_cbranch_execz .LBB418_72
; %bb.71:
	v_sub_f32_e32 v23, v23, v22
	s_mov_b32 s2, 0x3fb8aa3b
	v_mul_f32_e32 v24, 0x3fb8aa3b, v23
	v_fma_f32 v25, v23, s2, -v24
	v_rndne_f32_e32 v26, v24
	v_fmamk_f32 v25, v23, 0x32a5705f, v25
	v_sub_f32_e32 v24, v24, v26
	v_add_f32_e32 v24, v24, v25
	v_exp_f32_e32 v24, v24
	v_cvt_i32_f32_e32 v25, v26
	s_mov_b32 s2, 0xc2ce8ed0
	v_cmp_ngt_f32_e64 s[72:73], s2, v23
	s_mov_b32 s2, 0x42b17218
	v_ldexp_f32 v24, v24, v25
	v_cndmask_b32_e64 v24, 0, v24, s[72:73]
	v_mov_b32_e32 v25, 0x7f800000
	v_cmp_nlt_f32_e64 s[72:73], s2, v23
	s_mov_b32 s2, 0x3f2aaaab
	s_mov_b32 s3, 0x7f800000
	v_cndmask_b32_e64 v42, v25, v24, s[72:73]
	v_add_f32_e32 v23, 1.0, v42
	v_add_f32_e32 v24, -1.0, v23
	v_sub_f32_e32 v25, v24, v23
	v_add_f32_e32 v25, 1.0, v25
	v_sub_f32_e32 v24, v42, v24
	v_add_f32_e32 v26, v24, v25
	v_frexp_mant_f32_e32 v27, v23
	v_cvt_f64_f32_e32 v[24:25], v23
	v_frexp_exp_i32_f64_e32 v24, v[24:25]
	v_cmp_gt_f32_e64 s[72:73], s2, v27
	s_mov_b32 s2, 0x3f317218
	s_nop 0
	v_subbrev_co_u32_e64 v34, s[72:73], 0, v24, s[72:73]
	v_sub_u32_e32 v24, 0, v34
	v_ldexp_f32 v23, v23, v24
	v_ldexp_f32 v24, v26, v24
	v_add_f32_e32 v26, -1.0, v23
	v_add_f32_e32 v25, 1.0, v26
	v_sub_f32_e32 v25, v23, v25
	v_add_f32_e32 v27, v24, v25
	v_add_f32_e32 v25, 1.0, v23
	v_add_f32_e32 v30, -1.0, v25
	v_sub_f32_e32 v23, v23, v30
	v_add_f32_e32 v23, v24, v23
	v_add_f32_e32 v35, v25, v23
	v_rcp_f32_e32 v36, v35
	v_sub_f32_e32 v24, v25, v35
	v_add_f32_e32 v25, v26, v27
	v_add_f32_e32 v23, v23, v24
	v_mul_f32_e32 v38, v25, v36
	v_sub_f32_e32 v24, v26, v25
	v_mul_f32_e32 v26, v35, v38
	v_fma_f32 v30, v38, v35, -v26
	v_fmac_f32_e32 v30, v38, v23
	v_add_f32_e32 v37, v27, v24
	v_add_f32_e32 v24, v26, v30
	v_sub_f32_e32 v27, v25, v24
	v_pk_add_f32 v[32:33], v[24:25], v[26:27] neg_lo:[0,1] neg_hi:[0,1]
	v_mov_b32_e32 v31, v24
	v_pk_add_f32 v[24:25], v[32:33], v[30:31] neg_lo:[0,1] neg_hi:[0,1]
	v_cmp_eq_f32_e64 s[72:73], s3, v42
	v_add_f32_e32 v25, v37, v25
	v_add_f32_e32 v24, v24, v25
	;; [unrolled: 1-line block ×3, first 2 shown]
	v_mul_f32_e32 v37, v36, v25
	v_mul_f32_e32 v26, v35, v37
	v_fma_f32 v30, v37, v35, -v26
	v_fmac_f32_e32 v30, v37, v23
	v_sub_f32_e32 v23, v27, v25
	v_add_f32_e32 v23, v24, v23
	v_add_f32_e32 v24, v26, v30
	v_sub_f32_e32 v27, v25, v24
	v_pk_add_f32 v[32:33], v[24:25], v[26:27] neg_lo:[0,1] neg_hi:[0,1]
	v_mov_b32_e32 v31, v24
	v_pk_add_f32 v[24:25], v[32:33], v[30:31] neg_lo:[0,1] neg_hi:[0,1]
	v_cvt_f32_i32_e32 v26, v34
	v_add_f32_e32 v23, v23, v25
	v_add_f32_e32 v23, v24, v23
	v_add_f32_e32 v24, v38, v37
	v_add_f32_e32 v23, v27, v23
	v_sub_f32_e32 v25, v24, v38
	v_mul_f32_e32 v23, v36, v23
	v_sub_f32_e32 v25, v37, v25
	v_add_f32_e32 v23, v25, v23
	v_add_f32_e32 v27, v24, v23
	v_mul_f32_e32 v30, v27, v27
	v_mov_b32_e32 v25, 0x3ecc95a3
	v_fmac_f32_e32 v25, 0x3e9b6dac, v30
	v_sub_f32_e32 v24, v27, v24
	v_fmaak_f32 v25, v30, v25, 0x3f2aaada
	v_sub_f32_e32 v23, v23, v24
	v_ldexp_f32 v31, v27, 1
	v_mul_f32_e32 v27, v27, v30
	v_mov_b32_e32 v24, 0x3f317218
	v_pk_mul_f32 v[24:25], v[26:27], v[24:25]
	v_ldexp_f32 v23, v23, 1
	v_fma_f32 v27, v26, s2, -v24
	v_fmamk_f32 v30, v26, 0xb102e308, v27
	v_pk_add_f32 v[26:27], v[24:25], v[30:31]
	v_mov_b32_e32 v32, v24
	v_sub_f32_e32 v31, v27, v31
	v_sub_f32_e32 v31, v25, v31
	v_add_f32_e32 v33, v23, v31
	v_pk_add_f32 v[24:25], v[26:27], v[24:25] neg_lo:[0,1] neg_hi:[0,1]
	v_pk_add_f32 v[34:35], v[26:27], v[32:33]
	v_mov_b32_e32 v31, v26
	v_mov_b32_e32 v25, v35
	v_pk_add_f32 v[36:37], v[30:31], v[24:25] neg_lo:[0,1] neg_hi:[0,1]
	v_pk_add_f32 v[24:25], v[30:31], v[24:25]
	v_mov_b32_e32 v32, v33
	v_mov_b32_e32 v30, v25
	v_pk_add_f32 v[38:39], v[30:31], v[26:27] neg_lo:[0,1] neg_hi:[0,1]
	v_mov_b32_e32 v24, v35
	v_mov_b32_e32 v23, v38
	v_pk_add_f32 v[40:41], v[34:35], v[22:23] neg_lo:[0,1] neg_hi:[0,1]
	v_mov_b32_e32 v34, v27
	v_mov_b32_e32 v35, v38
	;; [unrolled: 1-line block ×3, first 2 shown]
	v_pk_add_f32 v[24:25], v[24:25], v[34:35] neg_lo:[0,1] neg_hi:[0,1]
	v_mov_b32_e32 v33, v26
	v_pk_add_f32 v[24:25], v[32:33], v[24:25] neg_lo:[0,1] neg_hi:[0,1]
	v_mov_b32_e32 v40, v36
	v_pk_add_f32 v[26:27], v[40:41], v[24:25]
	s_mov_b32 s2, 0x33800000
	v_mov_b32_e32 v32, v27
	v_pk_add_f32 v[32:33], v[26:27], v[32:33]
	v_cmp_lt_f32_e64 s[76:77], |v42|, s2
	v_pk_add_f32 v[30:31], v[30:31], v[32:33]
	v_mov_b32_e32 v25, v32
	v_mov_b32_e32 v27, v30
	v_pk_add_f32 v[34:35], v[26:27], v[36:37] neg_lo:[0,1] neg_hi:[0,1]
	s_or_b64 s[72:73], s[72:73], s[76:77]
	v_sub_f32_e32 v23, v26, v34
	v_pk_add_f32 v[24:25], v[24:25], v[34:35] neg_lo:[0,1] neg_hi:[0,1]
	v_sub_f32_e32 v23, v36, v23
	v_add_f32_e32 v23, v24, v23
	v_add_f32_e32 v23, v23, v25
	;; [unrolled: 1-line block ×3, first 2 shown]
	v_cndmask_b32_e64 v23, v23, v42, s[72:73]
	v_add_f32_e32 v22, v22, v23
	v_cvt_f16_f32_e32 v30, v22
	v_cvt_f32_f16_e32 v32, v30
	v_mov_b32_e32 v31, v30
.LBB418_72:
	s_or_b64 exec, exec, s[74:75]
	v_cvt_f32_f16_sdwa v22, v12 dst_sel:DWORD dst_unused:UNUSED_PAD src0_sel:WORD_1
	v_max_f32_e32 v24, v32, v32
	v_cmp_u_f16_e64 s[74:75], v30, v30
	v_cmp_u_f16_sdwa s[72:73], v12, v12 src0_sel:WORD_1 src1_sel:WORD_1
	v_min_f32_e32 v23, v24, v22
	v_max_f32_e32 v12, v24, v22
	v_cndmask_b32_e64 v23, v23, v32, s[74:75]
	v_cndmask_b32_e64 v12, v12, v32, s[74:75]
	;; [unrolled: 1-line block ×4, first 2 shown]
	v_cmp_neq_f32_e64 s[74:75], v23, v12
	v_cmp_class_f32_e64 s[76:77], v23, s33
	s_or_b64 s[74:75], s[74:75], s[76:77]
	s_and_saveexec_b64 s[76:77], s[74:75]
	s_cbranch_execz .LBB418_74
; %bb.73:
	v_sub_f32_e32 v23, v23, v12
	s_mov_b32 s2, 0x3fb8aa3b
	v_mul_f32_e32 v24, 0x3fb8aa3b, v23
	v_fma_f32 v25, v23, s2, -v24
	v_rndne_f32_e32 v26, v24
	v_fmamk_f32 v25, v23, 0x32a5705f, v25
	v_sub_f32_e32 v24, v24, v26
	v_add_f32_e32 v24, v24, v25
	v_exp_f32_e32 v24, v24
	v_cvt_i32_f32_e32 v25, v26
	s_mov_b32 s2, 0xc2ce8ed0
	v_cmp_ngt_f32_e64 s[74:75], s2, v23
	s_mov_b32 s2, 0x42b17218
	v_ldexp_f32 v24, v24, v25
	v_cndmask_b32_e64 v24, 0, v24, s[74:75]
	v_mov_b32_e32 v25, 0x7f800000
	v_cmp_nlt_f32_e64 s[74:75], s2, v23
	s_mov_b32 s2, 0x3f2aaaab
	s_mov_b32 s3, 0x7f800000
	v_cndmask_b32_e64 v42, v25, v24, s[74:75]
	v_add_f32_e32 v23, 1.0, v42
	v_add_f32_e32 v24, -1.0, v23
	v_sub_f32_e32 v25, v24, v23
	v_add_f32_e32 v25, 1.0, v25
	v_sub_f32_e32 v24, v42, v24
	v_add_f32_e32 v26, v24, v25
	v_frexp_mant_f32_e32 v27, v23
	v_cvt_f64_f32_e32 v[24:25], v23
	v_frexp_exp_i32_f64_e32 v24, v[24:25]
	v_cmp_gt_f32_e64 s[74:75], s2, v27
	s_mov_b32 s2, 0x3f317218
	s_nop 0
	v_subbrev_co_u32_e64 v34, s[74:75], 0, v24, s[74:75]
	v_sub_u32_e32 v24, 0, v34
	v_ldexp_f32 v23, v23, v24
	v_ldexp_f32 v24, v26, v24
	v_add_f32_e32 v26, -1.0, v23
	v_add_f32_e32 v25, 1.0, v26
	v_sub_f32_e32 v25, v23, v25
	v_add_f32_e32 v27, v24, v25
	v_add_f32_e32 v25, 1.0, v23
	v_add_f32_e32 v30, -1.0, v25
	v_sub_f32_e32 v23, v23, v30
	v_add_f32_e32 v23, v24, v23
	v_add_f32_e32 v35, v25, v23
	v_rcp_f32_e32 v36, v35
	v_sub_f32_e32 v24, v25, v35
	v_add_f32_e32 v25, v26, v27
	v_add_f32_e32 v23, v23, v24
	v_mul_f32_e32 v38, v25, v36
	v_sub_f32_e32 v24, v26, v25
	v_mul_f32_e32 v26, v35, v38
	v_fma_f32 v30, v38, v35, -v26
	v_fmac_f32_e32 v30, v38, v23
	v_add_f32_e32 v37, v27, v24
	v_add_f32_e32 v24, v26, v30
	v_sub_f32_e32 v27, v25, v24
	v_pk_add_f32 v[32:33], v[24:25], v[26:27] neg_lo:[0,1] neg_hi:[0,1]
	v_mov_b32_e32 v31, v24
	v_pk_add_f32 v[24:25], v[32:33], v[30:31] neg_lo:[0,1] neg_hi:[0,1]
	v_cmp_eq_f32_e64 s[74:75], s3, v42
	v_add_f32_e32 v25, v37, v25
	v_add_f32_e32 v24, v24, v25
	;; [unrolled: 1-line block ×3, first 2 shown]
	v_mul_f32_e32 v37, v36, v25
	v_mul_f32_e32 v26, v35, v37
	v_fma_f32 v30, v37, v35, -v26
	v_fmac_f32_e32 v30, v37, v23
	v_sub_f32_e32 v23, v27, v25
	v_add_f32_e32 v23, v24, v23
	v_add_f32_e32 v24, v26, v30
	v_sub_f32_e32 v27, v25, v24
	v_pk_add_f32 v[32:33], v[24:25], v[26:27] neg_lo:[0,1] neg_hi:[0,1]
	v_mov_b32_e32 v31, v24
	v_pk_add_f32 v[24:25], v[32:33], v[30:31] neg_lo:[0,1] neg_hi:[0,1]
	v_cvt_f32_i32_e32 v26, v34
	v_add_f32_e32 v23, v23, v25
	v_add_f32_e32 v23, v24, v23
	;; [unrolled: 1-line block ×4, first 2 shown]
	v_sub_f32_e32 v25, v24, v38
	v_mul_f32_e32 v23, v36, v23
	v_sub_f32_e32 v25, v37, v25
	v_add_f32_e32 v23, v25, v23
	v_add_f32_e32 v27, v24, v23
	v_mul_f32_e32 v30, v27, v27
	v_mov_b32_e32 v25, 0x3ecc95a3
	v_fmac_f32_e32 v25, 0x3e9b6dac, v30
	v_sub_f32_e32 v24, v27, v24
	v_fmaak_f32 v25, v30, v25, 0x3f2aaada
	v_sub_f32_e32 v23, v23, v24
	v_ldexp_f32 v31, v27, 1
	v_mul_f32_e32 v27, v27, v30
	v_mov_b32_e32 v24, 0x3f317218
	v_pk_mul_f32 v[24:25], v[26:27], v[24:25]
	v_ldexp_f32 v23, v23, 1
	v_fma_f32 v27, v26, s2, -v24
	v_fmamk_f32 v30, v26, 0xb102e308, v27
	v_pk_add_f32 v[26:27], v[24:25], v[30:31]
	v_mov_b32_e32 v32, v24
	v_sub_f32_e32 v31, v27, v31
	v_sub_f32_e32 v31, v25, v31
	v_add_f32_e32 v33, v23, v31
	v_pk_add_f32 v[24:25], v[26:27], v[24:25] neg_lo:[0,1] neg_hi:[0,1]
	v_pk_add_f32 v[34:35], v[26:27], v[32:33]
	v_mov_b32_e32 v31, v26
	v_mov_b32_e32 v25, v35
	v_pk_add_f32 v[36:37], v[30:31], v[24:25] neg_lo:[0,1] neg_hi:[0,1]
	v_pk_add_f32 v[24:25], v[30:31], v[24:25]
	v_mov_b32_e32 v32, v33
	v_mov_b32_e32 v30, v25
	v_pk_add_f32 v[38:39], v[30:31], v[26:27] neg_lo:[0,1] neg_hi:[0,1]
	v_mov_b32_e32 v24, v35
	v_mov_b32_e32 v23, v38
	v_pk_add_f32 v[40:41], v[34:35], v[22:23] neg_lo:[0,1] neg_hi:[0,1]
	v_mov_b32_e32 v34, v27
	v_mov_b32_e32 v35, v38
	;; [unrolled: 1-line block ×3, first 2 shown]
	v_pk_add_f32 v[24:25], v[24:25], v[34:35] neg_lo:[0,1] neg_hi:[0,1]
	v_mov_b32_e32 v33, v26
	v_pk_add_f32 v[24:25], v[32:33], v[24:25] neg_lo:[0,1] neg_hi:[0,1]
	v_mov_b32_e32 v40, v36
	v_pk_add_f32 v[26:27], v[40:41], v[24:25]
	s_mov_b32 s2, 0x33800000
	v_mov_b32_e32 v32, v27
	v_pk_add_f32 v[32:33], v[26:27], v[32:33]
	v_cmp_lt_f32_e64 s[78:79], |v42|, s2
	v_pk_add_f32 v[30:31], v[30:31], v[32:33]
	v_mov_b32_e32 v25, v32
	v_mov_b32_e32 v27, v30
	v_pk_add_f32 v[34:35], v[26:27], v[36:37] neg_lo:[0,1] neg_hi:[0,1]
	s_or_b64 s[74:75], s[74:75], s[78:79]
	v_sub_f32_e32 v23, v26, v34
	v_pk_add_f32 v[24:25], v[24:25], v[34:35] neg_lo:[0,1] neg_hi:[0,1]
	v_sub_f32_e32 v23, v36, v23
	v_add_f32_e32 v23, v24, v23
	v_add_f32_e32 v23, v23, v25
	;; [unrolled: 1-line block ×3, first 2 shown]
	v_cndmask_b32_e64 v23, v23, v42, s[74:75]
	v_add_f32_e32 v12, v12, v23
	v_cvt_f16_f32_e32 v30, v12
	v_cvt_f32_f16_e32 v32, v30
	v_mov_b32_e32 v31, v30
.LBB418_74:
	s_or_b64 exec, exec, s[76:77]
	v_cvt_f32_f16_e32 v12, v13
	v_max_f32_e32 v23, v32, v32
	v_cmp_u_f16_e64 s[76:77], v30, v30
	v_cmp_u_f16_e64 s[74:75], v13, v13
	v_min_f32_e32 v24, v23, v12
	v_max_f32_e32 v23, v23, v12
	v_cndmask_b32_e64 v24, v24, v32, s[76:77]
	v_cndmask_b32_e64 v23, v23, v32, s[76:77]
	;; [unrolled: 1-line block ×4, first 2 shown]
	v_cmp_neq_f32_e64 s[76:77], v24, v23
	v_cmp_class_f32_e64 s[78:79], v24, s33
	s_or_b64 s[76:77], s[76:77], s[78:79]
	s_and_saveexec_b64 s[78:79], s[76:77]
	s_cbranch_execz .LBB418_76
; %bb.75:
	v_sub_f32_e32 v24, v24, v23
	s_mov_b32 s2, 0x3fb8aa3b
	v_mul_f32_e32 v25, 0x3fb8aa3b, v24
	v_fma_f32 v26, v24, s2, -v25
	v_rndne_f32_e32 v27, v25
	v_fmamk_f32 v26, v24, 0x32a5705f, v26
	v_sub_f32_e32 v25, v25, v27
	v_add_f32_e32 v25, v25, v26
	v_exp_f32_e32 v25, v25
	v_cvt_i32_f32_e32 v26, v27
	s_mov_b32 s2, 0xc2ce8ed0
	v_cmp_ngt_f32_e64 s[76:77], s2, v24
	s_mov_b32 s2, 0x42b17218
	v_ldexp_f32 v25, v25, v26
	v_cndmask_b32_e64 v25, 0, v25, s[76:77]
	v_mov_b32_e32 v26, 0x7f800000
	v_cmp_nlt_f32_e64 s[76:77], s2, v24
	s_mov_b32 s2, 0x3f2aaaab
	s_mov_b32 s3, 0x7f800000
	v_cndmask_b32_e64 v42, v26, v25, s[76:77]
	v_add_f32_e32 v26, 1.0, v42
	v_add_f32_e32 v24, -1.0, v26
	v_sub_f32_e32 v25, v24, v26
	v_add_f32_e32 v25, 1.0, v25
	v_sub_f32_e32 v24, v42, v24
	v_add_f32_e32 v27, v24, v25
	v_frexp_mant_f32_e32 v30, v26
	v_cvt_f64_f32_e32 v[24:25], v26
	v_frexp_exp_i32_f64_e32 v24, v[24:25]
	v_cmp_gt_f32_e64 s[76:77], s2, v30
	s_mov_b32 s2, 0x3f317218
	s_nop 0
	v_subbrev_co_u32_e64 v34, s[76:77], 0, v24, s[76:77]
	v_sub_u32_e32 v24, 0, v34
	v_ldexp_f32 v25, v26, v24
	v_add_f32_e32 v26, -1.0, v25
	v_add_f32_e32 v30, 1.0, v25
	v_ldexp_f32 v24, v27, v24
	v_add_f32_e32 v27, 1.0, v26
	v_add_f32_e32 v31, -1.0, v30
	v_sub_f32_e32 v27, v25, v27
	v_sub_f32_e32 v25, v25, v31
	v_add_f32_e32 v27, v24, v27
	v_add_f32_e32 v24, v24, v25
	;; [unrolled: 1-line block ×3, first 2 shown]
	v_rcp_f32_e32 v37, v35
	v_sub_f32_e32 v25, v30, v35
	v_add_f32_e32 v36, v24, v25
	v_add_f32_e32 v25, v26, v27
	v_mul_f32_e32 v39, v25, v37
	v_sub_f32_e32 v24, v26, v25
	v_mul_f32_e32 v26, v35, v39
	v_fma_f32 v30, v39, v35, -v26
	v_fmac_f32_e32 v30, v39, v36
	v_add_f32_e32 v38, v27, v24
	v_add_f32_e32 v24, v26, v30
	v_sub_f32_e32 v27, v25, v24
	v_pk_add_f32 v[32:33], v[24:25], v[26:27] neg_lo:[0,1] neg_hi:[0,1]
	v_mov_b32_e32 v31, v24
	v_pk_add_f32 v[24:25], v[32:33], v[30:31] neg_lo:[0,1] neg_hi:[0,1]
	v_cmp_eq_f32_e64 s[76:77], s3, v42
	v_add_f32_e32 v25, v38, v25
	v_add_f32_e32 v24, v24, v25
	;; [unrolled: 1-line block ×3, first 2 shown]
	v_mul_f32_e32 v38, v37, v25
	v_mul_f32_e32 v26, v35, v38
	v_fma_f32 v30, v38, v35, -v26
	v_fmac_f32_e32 v30, v38, v36
	v_sub_f32_e32 v27, v27, v25
	v_add_f32_e32 v35, v24, v27
	v_add_f32_e32 v24, v26, v30
	v_sub_f32_e32 v27, v25, v24
	v_pk_add_f32 v[32:33], v[24:25], v[26:27] neg_lo:[0,1] neg_hi:[0,1]
	v_mov_b32_e32 v31, v24
	v_pk_add_f32 v[24:25], v[32:33], v[30:31] neg_lo:[0,1] neg_hi:[0,1]
	v_cvt_f32_i32_e32 v26, v34
	v_add_f32_e32 v25, v35, v25
	v_add_f32_e32 v24, v24, v25
	;; [unrolled: 1-line block ×4, first 2 shown]
	v_sub_f32_e32 v25, v27, v39
	v_mul_f32_e32 v24, v37, v24
	v_sub_f32_e32 v25, v38, v25
	v_add_f32_e32 v24, v25, v24
	v_add_f32_e32 v30, v27, v24
	v_mul_f32_e32 v32, v30, v30
	v_mov_b32_e32 v25, 0x3ecc95a3
	v_sub_f32_e32 v27, v30, v27
	v_fmac_f32_e32 v25, 0x3e9b6dac, v32
	v_sub_f32_e32 v24, v24, v27
	v_fmaak_f32 v25, v32, v25, 0x3f2aaada
	v_ldexp_f32 v33, v24, 1
	v_mul_f32_e32 v27, v30, v32
	v_mov_b32_e32 v24, 0x3f317218
	v_pk_mul_f32 v[24:25], v[26:27], v[24:25]
	v_ldexp_f32 v31, v30, 1
	v_fma_f32 v27, v26, s2, -v24
	v_fmamk_f32 v30, v26, 0xb102e308, v27
	v_pk_add_f32 v[26:27], v[24:25], v[30:31]
	v_mov_b32_e32 v32, v24
	v_sub_f32_e32 v31, v27, v31
	v_sub_f32_e32 v31, v25, v31
	v_add_f32_e32 v33, v33, v31
	v_pk_add_f32 v[24:25], v[26:27], v[24:25] neg_lo:[0,1] neg_hi:[0,1]
	v_pk_add_f32 v[34:35], v[26:27], v[32:33]
	v_mov_b32_e32 v31, v26
	v_mov_b32_e32 v25, v35
	v_pk_add_f32 v[36:37], v[30:31], v[24:25] neg_lo:[0,1] neg_hi:[0,1]
	v_pk_add_f32 v[24:25], v[30:31], v[24:25]
	v_mov_b32_e32 v32, v33
	v_mov_b32_e32 v30, v25
	v_pk_add_f32 v[38:39], v[30:31], v[26:27] neg_lo:[0,1] neg_hi:[0,1]
	v_mov_b32_e32 v24, v35
	v_mov_b32_e32 v31, v38
	v_pk_add_f32 v[40:41], v[34:35], v[30:31] neg_lo:[0,1] neg_hi:[0,1]
	v_mov_b32_e32 v34, v27
	v_mov_b32_e32 v35, v38
	;; [unrolled: 1-line block ×3, first 2 shown]
	v_pk_add_f32 v[24:25], v[24:25], v[34:35] neg_lo:[0,1] neg_hi:[0,1]
	v_mov_b32_e32 v33, v26
	v_pk_add_f32 v[24:25], v[32:33], v[24:25] neg_lo:[0,1] neg_hi:[0,1]
	v_mov_b32_e32 v40, v36
	v_pk_add_f32 v[26:27], v[40:41], v[24:25]
	s_mov_b32 s2, 0x33800000
	v_mov_b32_e32 v32, v27
	v_pk_add_f32 v[32:33], v[26:27], v[32:33]
	v_cmp_lt_f32_e64 s[80:81], |v42|, s2
	v_pk_add_f32 v[30:31], v[30:31], v[32:33]
	v_mov_b32_e32 v25, v32
	v_mov_b32_e32 v27, v30
	v_pk_add_f32 v[34:35], v[26:27], v[36:37] neg_lo:[0,1] neg_hi:[0,1]
	s_or_b64 s[76:77], s[76:77], s[80:81]
	v_sub_f32_e32 v26, v26, v34
	v_pk_add_f32 v[24:25], v[24:25], v[34:35] neg_lo:[0,1] neg_hi:[0,1]
	v_sub_f32_e32 v26, v36, v26
	v_add_f32_e32 v24, v24, v26
	v_add_f32_e32 v24, v24, v25
	;; [unrolled: 1-line block ×3, first 2 shown]
	v_cndmask_b32_e64 v24, v24, v42, s[76:77]
	v_add_f32_e32 v23, v23, v24
	v_cvt_f16_f32_e32 v30, v23
	v_cvt_f32_f16_e32 v32, v30
	v_mov_b32_e32 v31, v30
.LBB418_76:
	s_or_b64 exec, exec, s[78:79]
	v_cvt_f32_f16_sdwa v23, v13 dst_sel:DWORD dst_unused:UNUSED_PAD src0_sel:WORD_1
	v_max_f32_e32 v25, v32, v32
	v_cmp_u_f16_e64 s[78:79], v30, v30
	v_cmp_u_f16_sdwa s[76:77], v13, v13 src0_sel:WORD_1 src1_sel:WORD_1
	v_min_f32_e32 v24, v25, v23
	v_max_f32_e32 v13, v25, v23
	v_cndmask_b32_e64 v24, v24, v32, s[78:79]
	v_cndmask_b32_e64 v13, v13, v32, s[78:79]
	;; [unrolled: 1-line block ×4, first 2 shown]
	v_cmp_neq_f32_e64 s[78:79], v24, v13
	v_cmp_class_f32_e64 s[80:81], v24, s33
	s_or_b64 s[78:79], s[78:79], s[80:81]
	s_and_saveexec_b64 s[80:81], s[78:79]
	s_cbranch_execz .LBB418_78
; %bb.77:
	v_sub_f32_e32 v24, v24, v13
	s_mov_b32 s2, 0x3fb8aa3b
	v_mul_f32_e32 v25, 0x3fb8aa3b, v24
	v_fma_f32 v26, v24, s2, -v25
	v_rndne_f32_e32 v27, v25
	v_fmamk_f32 v26, v24, 0x32a5705f, v26
	v_sub_f32_e32 v25, v25, v27
	v_add_f32_e32 v25, v25, v26
	v_exp_f32_e32 v25, v25
	v_cvt_i32_f32_e32 v26, v27
	s_mov_b32 s2, 0xc2ce8ed0
	v_cmp_ngt_f32_e64 s[78:79], s2, v24
	s_mov_b32 s2, 0x42b17218
	v_ldexp_f32 v25, v25, v26
	v_cndmask_b32_e64 v25, 0, v25, s[78:79]
	v_mov_b32_e32 v26, 0x7f800000
	v_cmp_nlt_f32_e64 s[78:79], s2, v24
	s_mov_b32 s2, 0x3f2aaaab
	s_mov_b32 s3, 0x7f800000
	v_cndmask_b32_e64 v42, v26, v25, s[78:79]
	v_add_f32_e32 v26, 1.0, v42
	v_add_f32_e32 v24, -1.0, v26
	v_sub_f32_e32 v25, v24, v26
	v_add_f32_e32 v25, 1.0, v25
	v_sub_f32_e32 v24, v42, v24
	v_add_f32_e32 v27, v24, v25
	v_frexp_mant_f32_e32 v30, v26
	v_cvt_f64_f32_e32 v[24:25], v26
	v_frexp_exp_i32_f64_e32 v24, v[24:25]
	v_cmp_gt_f32_e64 s[78:79], s2, v30
	s_mov_b32 s2, 0x3f317218
	s_nop 0
	v_subbrev_co_u32_e64 v34, s[78:79], 0, v24, s[78:79]
	v_sub_u32_e32 v24, 0, v34
	v_ldexp_f32 v25, v26, v24
	v_add_f32_e32 v26, -1.0, v25
	v_add_f32_e32 v30, 1.0, v25
	v_ldexp_f32 v24, v27, v24
	v_add_f32_e32 v27, 1.0, v26
	v_add_f32_e32 v31, -1.0, v30
	v_sub_f32_e32 v27, v25, v27
	v_sub_f32_e32 v25, v25, v31
	v_add_f32_e32 v27, v24, v27
	v_add_f32_e32 v24, v24, v25
	;; [unrolled: 1-line block ×3, first 2 shown]
	v_rcp_f32_e32 v37, v35
	v_sub_f32_e32 v25, v30, v35
	v_add_f32_e32 v36, v24, v25
	v_add_f32_e32 v25, v26, v27
	v_mul_f32_e32 v39, v25, v37
	v_sub_f32_e32 v24, v26, v25
	v_mul_f32_e32 v26, v35, v39
	v_fma_f32 v30, v39, v35, -v26
	v_fmac_f32_e32 v30, v39, v36
	v_add_f32_e32 v38, v27, v24
	v_add_f32_e32 v24, v26, v30
	v_sub_f32_e32 v27, v25, v24
	v_pk_add_f32 v[32:33], v[24:25], v[26:27] neg_lo:[0,1] neg_hi:[0,1]
	v_mov_b32_e32 v31, v24
	v_pk_add_f32 v[24:25], v[32:33], v[30:31] neg_lo:[0,1] neg_hi:[0,1]
	v_cmp_eq_f32_e64 s[78:79], s3, v42
	v_add_f32_e32 v25, v38, v25
	v_add_f32_e32 v24, v24, v25
	;; [unrolled: 1-line block ×3, first 2 shown]
	v_mul_f32_e32 v38, v37, v25
	v_mul_f32_e32 v26, v35, v38
	v_fma_f32 v30, v38, v35, -v26
	v_fmac_f32_e32 v30, v38, v36
	v_sub_f32_e32 v27, v27, v25
	v_add_f32_e32 v35, v24, v27
	v_add_f32_e32 v24, v26, v30
	v_sub_f32_e32 v27, v25, v24
	v_pk_add_f32 v[32:33], v[24:25], v[26:27] neg_lo:[0,1] neg_hi:[0,1]
	v_mov_b32_e32 v31, v24
	v_pk_add_f32 v[24:25], v[32:33], v[30:31] neg_lo:[0,1] neg_hi:[0,1]
	v_cvt_f32_i32_e32 v26, v34
	v_add_f32_e32 v25, v35, v25
	v_add_f32_e32 v24, v24, v25
	;; [unrolled: 1-line block ×4, first 2 shown]
	v_sub_f32_e32 v25, v27, v39
	v_mul_f32_e32 v24, v37, v24
	v_sub_f32_e32 v25, v38, v25
	v_add_f32_e32 v24, v25, v24
	v_add_f32_e32 v30, v27, v24
	v_mul_f32_e32 v32, v30, v30
	v_mov_b32_e32 v25, 0x3ecc95a3
	v_sub_f32_e32 v27, v30, v27
	v_fmac_f32_e32 v25, 0x3e9b6dac, v32
	v_sub_f32_e32 v24, v24, v27
	v_fmaak_f32 v25, v32, v25, 0x3f2aaada
	v_ldexp_f32 v33, v24, 1
	v_mul_f32_e32 v27, v30, v32
	v_mov_b32_e32 v24, 0x3f317218
	v_pk_mul_f32 v[24:25], v[26:27], v[24:25]
	v_ldexp_f32 v31, v30, 1
	v_fma_f32 v27, v26, s2, -v24
	v_fmamk_f32 v30, v26, 0xb102e308, v27
	v_pk_add_f32 v[26:27], v[24:25], v[30:31]
	v_mov_b32_e32 v32, v24
	v_sub_f32_e32 v31, v27, v31
	v_sub_f32_e32 v31, v25, v31
	v_add_f32_e32 v33, v33, v31
	v_pk_add_f32 v[24:25], v[26:27], v[24:25] neg_lo:[0,1] neg_hi:[0,1]
	v_pk_add_f32 v[34:35], v[26:27], v[32:33]
	v_mov_b32_e32 v31, v26
	v_mov_b32_e32 v25, v35
	v_pk_add_f32 v[36:37], v[30:31], v[24:25] neg_lo:[0,1] neg_hi:[0,1]
	v_pk_add_f32 v[24:25], v[30:31], v[24:25]
	v_mov_b32_e32 v32, v33
	v_mov_b32_e32 v30, v25
	v_pk_add_f32 v[38:39], v[30:31], v[26:27] neg_lo:[0,1] neg_hi:[0,1]
	v_mov_b32_e32 v24, v35
	v_mov_b32_e32 v31, v38
	v_pk_add_f32 v[40:41], v[34:35], v[30:31] neg_lo:[0,1] neg_hi:[0,1]
	v_mov_b32_e32 v34, v27
	v_mov_b32_e32 v35, v38
	;; [unrolled: 1-line block ×3, first 2 shown]
	v_pk_add_f32 v[24:25], v[24:25], v[34:35] neg_lo:[0,1] neg_hi:[0,1]
	v_mov_b32_e32 v33, v26
	v_pk_add_f32 v[24:25], v[32:33], v[24:25] neg_lo:[0,1] neg_hi:[0,1]
	v_mov_b32_e32 v40, v36
	v_pk_add_f32 v[26:27], v[40:41], v[24:25]
	s_mov_b32 s2, 0x33800000
	v_mov_b32_e32 v32, v27
	v_pk_add_f32 v[32:33], v[26:27], v[32:33]
	v_cmp_lt_f32_e64 s[82:83], |v42|, s2
	v_pk_add_f32 v[30:31], v[30:31], v[32:33]
	v_mov_b32_e32 v25, v32
	v_mov_b32_e32 v27, v30
	v_pk_add_f32 v[34:35], v[26:27], v[36:37] neg_lo:[0,1] neg_hi:[0,1]
	s_or_b64 s[78:79], s[78:79], s[82:83]
	v_sub_f32_e32 v26, v26, v34
	v_pk_add_f32 v[24:25], v[24:25], v[34:35] neg_lo:[0,1] neg_hi:[0,1]
	v_sub_f32_e32 v26, v36, v26
	v_add_f32_e32 v24, v24, v26
	v_add_f32_e32 v24, v24, v25
	;; [unrolled: 1-line block ×3, first 2 shown]
	v_cndmask_b32_e64 v24, v24, v42, s[78:79]
	v_add_f32_e32 v13, v13, v24
	v_cvt_f16_f32_e32 v30, v13
	v_cvt_f32_f16_e32 v32, v30
	v_mov_b32_e32 v31, v30
.LBB418_78:
	s_or_b64 exec, exec, s[80:81]
	v_cvt_f32_f16_e32 v13, v6
	v_max_f32_e32 v24, v32, v32
	v_cmp_u_f16_e64 s[80:81], v30, v30
	v_cmp_u_f16_e64 s[78:79], v6, v6
	v_min_f32_e32 v25, v24, v13
	v_max_f32_e32 v24, v24, v13
	v_cndmask_b32_e64 v25, v25, v32, s[80:81]
	v_cndmask_b32_e64 v24, v24, v32, s[80:81]
	;; [unrolled: 1-line block ×4, first 2 shown]
	v_cmp_neq_f32_e64 s[80:81], v25, v24
	v_cmp_class_f32_e64 s[82:83], v25, s33
	s_or_b64 s[80:81], s[80:81], s[82:83]
	s_and_saveexec_b64 s[82:83], s[80:81]
	s_cbranch_execz .LBB418_80
; %bb.79:
	v_sub_f32_e32 v25, v25, v24
	s_mov_b32 s2, 0x3fb8aa3b
	v_mul_f32_e32 v26, 0x3fb8aa3b, v25
	v_fma_f32 v27, v25, s2, -v26
	v_rndne_f32_e32 v30, v26
	v_fmamk_f32 v27, v25, 0x32a5705f, v27
	v_sub_f32_e32 v26, v26, v30
	v_add_f32_e32 v26, v26, v27
	v_exp_f32_e32 v26, v26
	v_cvt_i32_f32_e32 v27, v30
	s_mov_b32 s2, 0xc2ce8ed0
	v_cmp_ngt_f32_e64 s[80:81], s2, v25
	s_mov_b32 s2, 0x42b17218
	v_ldexp_f32 v26, v26, v27
	v_cndmask_b32_e64 v26, 0, v26, s[80:81]
	v_mov_b32_e32 v27, 0x7f800000
	v_cmp_nlt_f32_e64 s[80:81], s2, v25
	s_mov_b32 s2, 0x3f2aaaab
	s_mov_b32 s3, 0x7f800000
	v_cndmask_b32_e64 v44, v27, v26, s[80:81]
	v_add_f32_e32 v25, 1.0, v44
	v_add_f32_e32 v26, -1.0, v25
	v_sub_f32_e32 v27, v26, v25
	v_add_f32_e32 v27, 1.0, v27
	v_sub_f32_e32 v26, v44, v26
	v_add_f32_e32 v30, v26, v27
	v_frexp_mant_f32_e32 v31, v25
	v_cvt_f64_f32_e32 v[26:27], v25
	v_frexp_exp_i32_f64_e32 v26, v[26:27]
	v_cmp_gt_f32_e64 s[80:81], s2, v31
	s_mov_b32 s2, 0x3f317218
	s_nop 0
	v_subbrev_co_u32_e64 v36, s[80:81], 0, v26, s[80:81]
	v_sub_u32_e32 v26, 0, v36
	v_ldexp_f32 v25, v25, v26
	v_ldexp_f32 v26, v30, v26
	v_add_f32_e32 v30, -1.0, v25
	v_add_f32_e32 v27, 1.0, v30
	v_sub_f32_e32 v27, v25, v27
	v_add_f32_e32 v31, v26, v27
	v_add_f32_e32 v27, 1.0, v25
	v_add_f32_e32 v32, -1.0, v27
	v_sub_f32_e32 v25, v25, v32
	v_add_f32_e32 v25, v26, v25
	v_add_f32_e32 v37, v27, v25
	v_rcp_f32_e32 v38, v37
	v_sub_f32_e32 v26, v27, v37
	v_add_f32_e32 v27, v30, v31
	v_add_f32_e32 v25, v25, v26
	v_mul_f32_e32 v40, v27, v38
	v_sub_f32_e32 v26, v30, v27
	v_mul_f32_e32 v30, v37, v40
	v_fma_f32 v32, v40, v37, -v30
	v_fmac_f32_e32 v32, v40, v25
	v_add_f32_e32 v39, v31, v26
	v_add_f32_e32 v26, v30, v32
	v_sub_f32_e32 v31, v27, v26
	v_pk_add_f32 v[34:35], v[26:27], v[30:31] neg_lo:[0,1] neg_hi:[0,1]
	v_mov_b32_e32 v33, v26
	v_pk_add_f32 v[26:27], v[34:35], v[32:33] neg_lo:[0,1] neg_hi:[0,1]
	v_cmp_eq_f32_e64 s[80:81], s3, v44
	v_add_f32_e32 v27, v39, v27
	v_add_f32_e32 v26, v26, v27
	v_add_f32_e32 v27, v31, v26
	v_mul_f32_e32 v39, v38, v27
	v_mul_f32_e32 v30, v37, v39
	v_fma_f32 v32, v39, v37, -v30
	v_fmac_f32_e32 v32, v39, v25
	v_sub_f32_e32 v25, v31, v27
	v_add_f32_e32 v25, v26, v25
	v_add_f32_e32 v26, v30, v32
	v_sub_f32_e32 v31, v27, v26
	v_pk_add_f32 v[34:35], v[26:27], v[30:31] neg_lo:[0,1] neg_hi:[0,1]
	v_mov_b32_e32 v33, v26
	v_pk_add_f32 v[26:27], v[34:35], v[32:33] neg_lo:[0,1] neg_hi:[0,1]
	v_cvt_f32_i32_e32 v30, v36
	v_add_f32_e32 v25, v25, v27
	v_add_f32_e32 v25, v26, v25
	;; [unrolled: 1-line block ×4, first 2 shown]
	v_sub_f32_e32 v27, v26, v40
	v_mul_f32_e32 v25, v38, v25
	v_sub_f32_e32 v27, v39, v27
	v_add_f32_e32 v25, v27, v25
	v_add_f32_e32 v31, v26, v25
	v_mul_f32_e32 v32, v31, v31
	v_mov_b32_e32 v27, 0x3ecc95a3
	v_fmac_f32_e32 v27, 0x3e9b6dac, v32
	v_sub_f32_e32 v26, v31, v26
	v_fmaak_f32 v27, v32, v27, 0x3f2aaada
	v_sub_f32_e32 v25, v25, v26
	v_ldexp_f32 v33, v31, 1
	v_mul_f32_e32 v31, v31, v32
	v_mov_b32_e32 v26, 0x3f317218
	v_pk_mul_f32 v[26:27], v[30:31], v[26:27]
	v_ldexp_f32 v25, v25, 1
	v_fma_f32 v31, v30, s2, -v26
	v_fmamk_f32 v32, v30, 0xb102e308, v31
	v_pk_add_f32 v[30:31], v[26:27], v[32:33]
	v_mov_b32_e32 v34, v26
	v_sub_f32_e32 v33, v31, v33
	v_sub_f32_e32 v33, v27, v33
	v_add_f32_e32 v35, v25, v33
	v_pk_add_f32 v[26:27], v[30:31], v[26:27] neg_lo:[0,1] neg_hi:[0,1]
	v_pk_add_f32 v[36:37], v[30:31], v[34:35]
	v_mov_b32_e32 v33, v30
	v_mov_b32_e32 v27, v37
	v_pk_add_f32 v[38:39], v[32:33], v[26:27] neg_lo:[0,1] neg_hi:[0,1]
	v_pk_add_f32 v[26:27], v[32:33], v[26:27]
	v_mov_b32_e32 v34, v35
	v_mov_b32_e32 v32, v27
	v_pk_add_f32 v[40:41], v[32:33], v[30:31] neg_lo:[0,1] neg_hi:[0,1]
	v_mov_b32_e32 v26, v37
	v_mov_b32_e32 v25, v40
	v_pk_add_f32 v[42:43], v[36:37], v[24:25] neg_lo:[0,1] neg_hi:[0,1]
	v_mov_b32_e32 v36, v31
	v_mov_b32_e32 v37, v40
	;; [unrolled: 1-line block ×3, first 2 shown]
	v_pk_add_f32 v[26:27], v[26:27], v[36:37] neg_lo:[0,1] neg_hi:[0,1]
	v_mov_b32_e32 v35, v30
	v_pk_add_f32 v[26:27], v[34:35], v[26:27] neg_lo:[0,1] neg_hi:[0,1]
	v_mov_b32_e32 v42, v38
	v_pk_add_f32 v[30:31], v[42:43], v[26:27]
	s_mov_b32 s2, 0x33800000
	v_mov_b32_e32 v34, v31
	v_pk_add_f32 v[34:35], v[30:31], v[34:35]
	v_cmp_lt_f32_e64 s[84:85], |v44|, s2
	v_pk_add_f32 v[32:33], v[32:33], v[34:35]
	v_mov_b32_e32 v27, v34
	v_mov_b32_e32 v31, v32
	v_pk_add_f32 v[36:37], v[30:31], v[38:39] neg_lo:[0,1] neg_hi:[0,1]
	s_or_b64 s[80:81], s[80:81], s[84:85]
	v_sub_f32_e32 v25, v30, v36
	v_pk_add_f32 v[26:27], v[26:27], v[36:37] neg_lo:[0,1] neg_hi:[0,1]
	v_sub_f32_e32 v25, v38, v25
	v_add_f32_e32 v25, v26, v25
	v_add_f32_e32 v25, v25, v27
	;; [unrolled: 1-line block ×3, first 2 shown]
	v_cndmask_b32_e64 v25, v25, v44, s[80:81]
	v_add_f32_e32 v24, v24, v25
	v_cvt_f16_f32_e32 v30, v24
	v_cvt_f32_f16_e32 v32, v30
	v_mov_b32_e32 v31, v30
.LBB418_80:
	s_or_b64 exec, exec, s[82:83]
	v_cvt_f32_f16_sdwa v24, v6 dst_sel:DWORD dst_unused:UNUSED_PAD src0_sel:WORD_1
	v_max_f32_e32 v26, v32, v32
	v_cmp_u_f16_e64 s[82:83], v30, v30
	v_cmp_u_f16_sdwa s[80:81], v6, v6 src0_sel:WORD_1 src1_sel:WORD_1
	v_min_f32_e32 v25, v26, v24
	v_max_f32_e32 v6, v26, v24
	v_cndmask_b32_e64 v25, v25, v32, s[82:83]
	v_cndmask_b32_e64 v6, v6, v32, s[82:83]
	;; [unrolled: 1-line block ×4, first 2 shown]
	v_cmp_neq_f32_e64 s[82:83], v25, v6
	v_cmp_class_f32_e64 s[84:85], v25, s33
	s_or_b64 s[82:83], s[82:83], s[84:85]
	s_and_saveexec_b64 s[84:85], s[82:83]
	s_cbranch_execz .LBB418_82
; %bb.81:
	v_sub_f32_e32 v25, v25, v6
	s_mov_b32 s2, 0x3fb8aa3b
	v_mul_f32_e32 v26, 0x3fb8aa3b, v25
	v_fma_f32 v27, v25, s2, -v26
	v_rndne_f32_e32 v30, v26
	v_fmamk_f32 v27, v25, 0x32a5705f, v27
	v_sub_f32_e32 v26, v26, v30
	v_add_f32_e32 v26, v26, v27
	v_exp_f32_e32 v26, v26
	v_cvt_i32_f32_e32 v27, v30
	s_mov_b32 s2, 0xc2ce8ed0
	v_cmp_ngt_f32_e64 s[82:83], s2, v25
	s_mov_b32 s2, 0x42b17218
	v_ldexp_f32 v26, v26, v27
	v_cndmask_b32_e64 v26, 0, v26, s[82:83]
	v_mov_b32_e32 v27, 0x7f800000
	v_cmp_nlt_f32_e64 s[82:83], s2, v25
	s_mov_b32 s2, 0x3f2aaaab
	s_mov_b32 s3, 0x7f800000
	v_cndmask_b32_e64 v44, v27, v26, s[82:83]
	v_add_f32_e32 v25, 1.0, v44
	v_add_f32_e32 v26, -1.0, v25
	v_sub_f32_e32 v27, v26, v25
	v_add_f32_e32 v27, 1.0, v27
	v_sub_f32_e32 v26, v44, v26
	v_add_f32_e32 v30, v26, v27
	v_frexp_mant_f32_e32 v31, v25
	v_cvt_f64_f32_e32 v[26:27], v25
	v_frexp_exp_i32_f64_e32 v26, v[26:27]
	v_cmp_gt_f32_e64 s[82:83], s2, v31
	s_mov_b32 s2, 0x3f317218
	s_nop 0
	v_subbrev_co_u32_e64 v36, s[82:83], 0, v26, s[82:83]
	v_sub_u32_e32 v26, 0, v36
	v_ldexp_f32 v25, v25, v26
	v_ldexp_f32 v26, v30, v26
	v_add_f32_e32 v30, -1.0, v25
	v_add_f32_e32 v27, 1.0, v30
	v_sub_f32_e32 v27, v25, v27
	v_add_f32_e32 v31, v26, v27
	v_add_f32_e32 v27, 1.0, v25
	v_add_f32_e32 v32, -1.0, v27
	v_sub_f32_e32 v25, v25, v32
	v_add_f32_e32 v25, v26, v25
	v_add_f32_e32 v37, v27, v25
	v_rcp_f32_e32 v38, v37
	v_sub_f32_e32 v26, v27, v37
	v_add_f32_e32 v27, v30, v31
	v_add_f32_e32 v25, v25, v26
	v_mul_f32_e32 v40, v27, v38
	v_sub_f32_e32 v26, v30, v27
	v_mul_f32_e32 v30, v37, v40
	v_fma_f32 v32, v40, v37, -v30
	v_fmac_f32_e32 v32, v40, v25
	v_add_f32_e32 v39, v31, v26
	v_add_f32_e32 v26, v30, v32
	v_sub_f32_e32 v31, v27, v26
	v_pk_add_f32 v[34:35], v[26:27], v[30:31] neg_lo:[0,1] neg_hi:[0,1]
	v_mov_b32_e32 v33, v26
	v_pk_add_f32 v[26:27], v[34:35], v[32:33] neg_lo:[0,1] neg_hi:[0,1]
	v_cmp_eq_f32_e64 s[82:83], s3, v44
	v_add_f32_e32 v27, v39, v27
	v_add_f32_e32 v26, v26, v27
	;; [unrolled: 1-line block ×3, first 2 shown]
	v_mul_f32_e32 v39, v38, v27
	v_mul_f32_e32 v30, v37, v39
	v_fma_f32 v32, v39, v37, -v30
	v_fmac_f32_e32 v32, v39, v25
	v_sub_f32_e32 v25, v31, v27
	v_add_f32_e32 v25, v26, v25
	v_add_f32_e32 v26, v30, v32
	v_sub_f32_e32 v31, v27, v26
	v_pk_add_f32 v[34:35], v[26:27], v[30:31] neg_lo:[0,1] neg_hi:[0,1]
	v_mov_b32_e32 v33, v26
	v_pk_add_f32 v[26:27], v[34:35], v[32:33] neg_lo:[0,1] neg_hi:[0,1]
	v_cvt_f32_i32_e32 v30, v36
	v_add_f32_e32 v25, v25, v27
	v_add_f32_e32 v25, v26, v25
	;; [unrolled: 1-line block ×4, first 2 shown]
	v_sub_f32_e32 v27, v26, v40
	v_mul_f32_e32 v25, v38, v25
	v_sub_f32_e32 v27, v39, v27
	v_add_f32_e32 v25, v27, v25
	v_add_f32_e32 v31, v26, v25
	v_mul_f32_e32 v32, v31, v31
	v_mov_b32_e32 v27, 0x3ecc95a3
	v_fmac_f32_e32 v27, 0x3e9b6dac, v32
	v_sub_f32_e32 v26, v31, v26
	v_fmaak_f32 v27, v32, v27, 0x3f2aaada
	v_sub_f32_e32 v25, v25, v26
	v_ldexp_f32 v33, v31, 1
	v_mul_f32_e32 v31, v31, v32
	v_mov_b32_e32 v26, 0x3f317218
	v_pk_mul_f32 v[26:27], v[30:31], v[26:27]
	v_ldexp_f32 v25, v25, 1
	v_fma_f32 v31, v30, s2, -v26
	v_fmamk_f32 v32, v30, 0xb102e308, v31
	v_pk_add_f32 v[30:31], v[26:27], v[32:33]
	v_mov_b32_e32 v34, v26
	v_sub_f32_e32 v33, v31, v33
	v_sub_f32_e32 v33, v27, v33
	v_add_f32_e32 v35, v25, v33
	v_pk_add_f32 v[26:27], v[30:31], v[26:27] neg_lo:[0,1] neg_hi:[0,1]
	v_pk_add_f32 v[36:37], v[30:31], v[34:35]
	v_mov_b32_e32 v33, v30
	v_mov_b32_e32 v27, v37
	v_pk_add_f32 v[38:39], v[32:33], v[26:27] neg_lo:[0,1] neg_hi:[0,1]
	v_pk_add_f32 v[26:27], v[32:33], v[26:27]
	v_mov_b32_e32 v34, v35
	v_mov_b32_e32 v32, v27
	v_pk_add_f32 v[40:41], v[32:33], v[30:31] neg_lo:[0,1] neg_hi:[0,1]
	v_mov_b32_e32 v26, v37
	v_mov_b32_e32 v25, v40
	v_pk_add_f32 v[42:43], v[36:37], v[24:25] neg_lo:[0,1] neg_hi:[0,1]
	v_mov_b32_e32 v36, v31
	v_mov_b32_e32 v37, v40
	;; [unrolled: 1-line block ×3, first 2 shown]
	v_pk_add_f32 v[26:27], v[26:27], v[36:37] neg_lo:[0,1] neg_hi:[0,1]
	v_mov_b32_e32 v35, v30
	v_pk_add_f32 v[26:27], v[34:35], v[26:27] neg_lo:[0,1] neg_hi:[0,1]
	v_mov_b32_e32 v42, v38
	v_pk_add_f32 v[30:31], v[42:43], v[26:27]
	s_mov_b32 s2, 0x33800000
	v_mov_b32_e32 v34, v31
	v_pk_add_f32 v[34:35], v[30:31], v[34:35]
	v_cmp_lt_f32_e64 s[86:87], |v44|, s2
	v_pk_add_f32 v[32:33], v[32:33], v[34:35]
	v_mov_b32_e32 v27, v34
	v_mov_b32_e32 v31, v32
	v_pk_add_f32 v[36:37], v[30:31], v[38:39] neg_lo:[0,1] neg_hi:[0,1]
	s_or_b64 s[82:83], s[82:83], s[86:87]
	v_sub_f32_e32 v25, v30, v36
	v_pk_add_f32 v[26:27], v[26:27], v[36:37] neg_lo:[0,1] neg_hi:[0,1]
	v_sub_f32_e32 v25, v38, v25
	v_add_f32_e32 v25, v26, v25
	v_add_f32_e32 v25, v25, v27
	;; [unrolled: 1-line block ×3, first 2 shown]
	v_cndmask_b32_e64 v25, v25, v44, s[82:83]
	v_add_f32_e32 v6, v6, v25
	v_cvt_f16_f32_e32 v30, v6
	v_cvt_f32_f16_e32 v32, v30
	v_mov_b32_e32 v31, v30
.LBB418_82:
	s_or_b64 exec, exec, s[84:85]
	v_cvt_f32_f16_e32 v6, v7
	v_max_f32_e32 v25, v32, v32
	v_cmp_u_f16_e64 s[84:85], v30, v30
	v_cmp_u_f16_e64 s[82:83], v7, v7
	v_min_f32_e32 v26, v25, v6
	v_max_f32_e32 v25, v25, v6
	v_cndmask_b32_e64 v26, v26, v32, s[84:85]
	v_cndmask_b32_e64 v25, v25, v32, s[84:85]
	;; [unrolled: 1-line block ×4, first 2 shown]
	v_cmp_neq_f32_e64 s[84:85], v26, v25
	v_cmp_class_f32_e64 s[86:87], v26, s33
	s_or_b64 s[84:85], s[84:85], s[86:87]
	s_and_saveexec_b64 s[86:87], s[84:85]
	s_cbranch_execz .LBB418_84
; %bb.83:
	v_sub_f32_e32 v26, v26, v25
	s_mov_b32 s2, 0x3fb8aa3b
	v_mul_f32_e32 v27, 0x3fb8aa3b, v26
	v_fma_f32 v30, v26, s2, -v27
	v_rndne_f32_e32 v31, v27
	v_fmamk_f32 v30, v26, 0x32a5705f, v30
	v_sub_f32_e32 v27, v27, v31
	v_add_f32_e32 v27, v27, v30
	v_exp_f32_e32 v27, v27
	v_cvt_i32_f32_e32 v30, v31
	s_mov_b32 s2, 0xc2ce8ed0
	v_cmp_ngt_f32_e64 s[84:85], s2, v26
	s_mov_b32 s2, 0x42b17218
	v_ldexp_f32 v27, v27, v30
	v_cndmask_b32_e64 v27, 0, v27, s[84:85]
	v_mov_b32_e32 v30, 0x7f800000
	v_cmp_nlt_f32_e64 s[84:85], s2, v26
	s_mov_b32 s2, 0x3f2aaaab
	s_mov_b32 s3, 0x7f800000
	v_cndmask_b32_e64 v44, v30, v27, s[84:85]
	v_add_f32_e32 v30, 1.0, v44
	v_add_f32_e32 v26, -1.0, v30
	v_sub_f32_e32 v27, v26, v30
	v_add_f32_e32 v27, 1.0, v27
	v_sub_f32_e32 v26, v44, v26
	v_add_f32_e32 v31, v26, v27
	v_frexp_mant_f32_e32 v32, v30
	v_cvt_f64_f32_e32 v[26:27], v30
	v_frexp_exp_i32_f64_e32 v26, v[26:27]
	v_cmp_gt_f32_e64 s[84:85], s2, v32
	s_mov_b32 s2, 0x3f317218
	s_nop 0
	v_subbrev_co_u32_e64 v36, s[84:85], 0, v26, s[84:85]
	v_sub_u32_e32 v26, 0, v36
	v_ldexp_f32 v27, v30, v26
	v_add_f32_e32 v30, -1.0, v27
	v_add_f32_e32 v32, 1.0, v27
	v_ldexp_f32 v26, v31, v26
	v_add_f32_e32 v31, 1.0, v30
	v_add_f32_e32 v33, -1.0, v32
	v_sub_f32_e32 v31, v27, v31
	v_sub_f32_e32 v27, v27, v33
	v_add_f32_e32 v31, v26, v31
	v_add_f32_e32 v26, v26, v27
	;; [unrolled: 1-line block ×3, first 2 shown]
	v_rcp_f32_e32 v39, v37
	v_sub_f32_e32 v27, v32, v37
	v_add_f32_e32 v38, v26, v27
	v_add_f32_e32 v27, v30, v31
	v_mul_f32_e32 v41, v27, v39
	v_sub_f32_e32 v26, v30, v27
	v_mul_f32_e32 v30, v37, v41
	v_fma_f32 v32, v41, v37, -v30
	v_fmac_f32_e32 v32, v41, v38
	v_add_f32_e32 v40, v31, v26
	v_add_f32_e32 v26, v30, v32
	v_sub_f32_e32 v31, v27, v26
	v_pk_add_f32 v[34:35], v[26:27], v[30:31] neg_lo:[0,1] neg_hi:[0,1]
	v_mov_b32_e32 v33, v26
	v_pk_add_f32 v[26:27], v[34:35], v[32:33] neg_lo:[0,1] neg_hi:[0,1]
	v_cmp_eq_f32_e64 s[84:85], s3, v44
	v_add_f32_e32 v27, v40, v27
	v_add_f32_e32 v26, v26, v27
	;; [unrolled: 1-line block ×3, first 2 shown]
	v_mul_f32_e32 v40, v39, v27
	v_mul_f32_e32 v30, v37, v40
	v_fma_f32 v32, v40, v37, -v30
	v_fmac_f32_e32 v32, v40, v38
	v_sub_f32_e32 v31, v31, v27
	v_add_f32_e32 v37, v26, v31
	v_add_f32_e32 v26, v30, v32
	v_sub_f32_e32 v31, v27, v26
	v_pk_add_f32 v[34:35], v[26:27], v[30:31] neg_lo:[0,1] neg_hi:[0,1]
	v_mov_b32_e32 v33, v26
	v_pk_add_f32 v[26:27], v[34:35], v[32:33] neg_lo:[0,1] neg_hi:[0,1]
	v_cvt_f32_i32_e32 v30, v36
	v_add_f32_e32 v27, v37, v27
	v_add_f32_e32 v26, v26, v27
	;; [unrolled: 1-line block ×4, first 2 shown]
	v_sub_f32_e32 v27, v31, v41
	v_mul_f32_e32 v26, v39, v26
	v_sub_f32_e32 v27, v40, v27
	v_add_f32_e32 v26, v27, v26
	v_add_f32_e32 v32, v31, v26
	v_mul_f32_e32 v34, v32, v32
	v_mov_b32_e32 v27, 0x3ecc95a3
	v_sub_f32_e32 v31, v32, v31
	v_fmac_f32_e32 v27, 0x3e9b6dac, v34
	v_sub_f32_e32 v26, v26, v31
	v_fmaak_f32 v27, v34, v27, 0x3f2aaada
	v_ldexp_f32 v35, v26, 1
	v_mul_f32_e32 v31, v32, v34
	v_mov_b32_e32 v26, 0x3f317218
	v_pk_mul_f32 v[26:27], v[30:31], v[26:27]
	v_ldexp_f32 v33, v32, 1
	v_fma_f32 v31, v30, s2, -v26
	v_fmamk_f32 v32, v30, 0xb102e308, v31
	v_pk_add_f32 v[30:31], v[26:27], v[32:33]
	v_mov_b32_e32 v34, v26
	v_sub_f32_e32 v33, v31, v33
	v_sub_f32_e32 v33, v27, v33
	v_add_f32_e32 v35, v35, v33
	v_pk_add_f32 v[26:27], v[30:31], v[26:27] neg_lo:[0,1] neg_hi:[0,1]
	v_pk_add_f32 v[36:37], v[30:31], v[34:35]
	v_mov_b32_e32 v33, v30
	v_mov_b32_e32 v27, v37
	v_pk_add_f32 v[38:39], v[32:33], v[26:27] neg_lo:[0,1] neg_hi:[0,1]
	v_pk_add_f32 v[26:27], v[32:33], v[26:27]
	v_mov_b32_e32 v34, v35
	v_mov_b32_e32 v32, v27
	v_pk_add_f32 v[40:41], v[32:33], v[30:31] neg_lo:[0,1] neg_hi:[0,1]
	v_mov_b32_e32 v26, v37
	v_mov_b32_e32 v33, v40
	v_pk_add_f32 v[42:43], v[36:37], v[32:33] neg_lo:[0,1] neg_hi:[0,1]
	v_mov_b32_e32 v36, v31
	v_mov_b32_e32 v37, v40
	;; [unrolled: 1-line block ×3, first 2 shown]
	v_pk_add_f32 v[26:27], v[26:27], v[36:37] neg_lo:[0,1] neg_hi:[0,1]
	v_mov_b32_e32 v35, v30
	v_pk_add_f32 v[26:27], v[34:35], v[26:27] neg_lo:[0,1] neg_hi:[0,1]
	v_mov_b32_e32 v42, v38
	v_pk_add_f32 v[30:31], v[42:43], v[26:27]
	s_mov_b32 s2, 0x33800000
	v_mov_b32_e32 v34, v31
	v_pk_add_f32 v[34:35], v[30:31], v[34:35]
	v_cmp_lt_f32_e64 s[88:89], |v44|, s2
	v_pk_add_f32 v[32:33], v[32:33], v[34:35]
	v_mov_b32_e32 v27, v34
	v_mov_b32_e32 v31, v32
	v_pk_add_f32 v[36:37], v[30:31], v[38:39] neg_lo:[0,1] neg_hi:[0,1]
	s_or_b64 s[84:85], s[84:85], s[88:89]
	v_sub_f32_e32 v30, v30, v36
	v_pk_add_f32 v[26:27], v[26:27], v[36:37] neg_lo:[0,1] neg_hi:[0,1]
	v_sub_f32_e32 v30, v38, v30
	v_add_f32_e32 v26, v26, v30
	v_add_f32_e32 v26, v26, v27
	;; [unrolled: 1-line block ×3, first 2 shown]
	v_cndmask_b32_e64 v26, v26, v44, s[84:85]
	v_add_f32_e32 v25, v25, v26
	v_cvt_f16_f32_e32 v30, v25
	v_cvt_f32_f16_e32 v32, v30
	v_mov_b32_e32 v31, v30
.LBB418_84:
	s_or_b64 exec, exec, s[86:87]
	v_cvt_f32_f16_sdwa v25, v7 dst_sel:DWORD dst_unused:UNUSED_PAD src0_sel:WORD_1
	v_max_f32_e32 v27, v32, v32
	v_cmp_u_f16_e64 s[86:87], v30, v30
	v_cmp_u_f16_sdwa s[84:85], v7, v7 src0_sel:WORD_1 src1_sel:WORD_1
	v_min_f32_e32 v26, v27, v25
	v_max_f32_e32 v7, v27, v25
	v_cndmask_b32_e64 v26, v26, v32, s[86:87]
	v_cndmask_b32_e64 v7, v7, v32, s[86:87]
	;; [unrolled: 1-line block ×4, first 2 shown]
	v_cmp_neq_f32_e64 s[86:87], v26, v7
	v_cmp_class_f32_e64 s[88:89], v26, s33
	s_or_b64 s[86:87], s[86:87], s[88:89]
	s_and_saveexec_b64 s[88:89], s[86:87]
	s_cbranch_execz .LBB418_86
; %bb.85:
	v_sub_f32_e32 v26, v26, v7
	s_mov_b32 s2, 0x3fb8aa3b
	v_mul_f32_e32 v27, 0x3fb8aa3b, v26
	v_fma_f32 v30, v26, s2, -v27
	v_rndne_f32_e32 v31, v27
	v_fmamk_f32 v30, v26, 0x32a5705f, v30
	v_sub_f32_e32 v27, v27, v31
	v_add_f32_e32 v27, v27, v30
	v_exp_f32_e32 v27, v27
	v_cvt_i32_f32_e32 v30, v31
	s_mov_b32 s2, 0xc2ce8ed0
	v_cmp_ngt_f32_e64 s[86:87], s2, v26
	s_mov_b32 s2, 0x42b17218
	v_ldexp_f32 v27, v27, v30
	v_cndmask_b32_e64 v27, 0, v27, s[86:87]
	v_mov_b32_e32 v30, 0x7f800000
	v_cmp_nlt_f32_e64 s[86:87], s2, v26
	s_mov_b32 s2, 0x3f2aaaab
	s_mov_b32 s3, 0x7f800000
	v_cndmask_b32_e64 v44, v30, v27, s[86:87]
	v_add_f32_e32 v30, 1.0, v44
	v_add_f32_e32 v26, -1.0, v30
	v_sub_f32_e32 v27, v26, v30
	v_add_f32_e32 v27, 1.0, v27
	v_sub_f32_e32 v26, v44, v26
	v_add_f32_e32 v31, v26, v27
	v_frexp_mant_f32_e32 v32, v30
	v_cvt_f64_f32_e32 v[26:27], v30
	v_frexp_exp_i32_f64_e32 v26, v[26:27]
	v_cmp_gt_f32_e64 s[86:87], s2, v32
	s_mov_b32 s2, 0x3f317218
	s_nop 0
	v_subbrev_co_u32_e64 v36, s[86:87], 0, v26, s[86:87]
	v_sub_u32_e32 v26, 0, v36
	v_ldexp_f32 v27, v30, v26
	v_add_f32_e32 v30, -1.0, v27
	v_add_f32_e32 v32, 1.0, v27
	v_ldexp_f32 v26, v31, v26
	v_add_f32_e32 v31, 1.0, v30
	v_add_f32_e32 v33, -1.0, v32
	v_sub_f32_e32 v31, v27, v31
	v_sub_f32_e32 v27, v27, v33
	v_add_f32_e32 v31, v26, v31
	v_add_f32_e32 v26, v26, v27
	;; [unrolled: 1-line block ×3, first 2 shown]
	v_rcp_f32_e32 v39, v37
	v_sub_f32_e32 v27, v32, v37
	v_add_f32_e32 v38, v26, v27
	v_add_f32_e32 v27, v30, v31
	v_mul_f32_e32 v41, v27, v39
	v_sub_f32_e32 v26, v30, v27
	v_mul_f32_e32 v30, v37, v41
	v_fma_f32 v32, v41, v37, -v30
	v_fmac_f32_e32 v32, v41, v38
	v_add_f32_e32 v40, v31, v26
	v_add_f32_e32 v26, v30, v32
	v_sub_f32_e32 v31, v27, v26
	v_pk_add_f32 v[34:35], v[26:27], v[30:31] neg_lo:[0,1] neg_hi:[0,1]
	v_mov_b32_e32 v33, v26
	v_pk_add_f32 v[26:27], v[34:35], v[32:33] neg_lo:[0,1] neg_hi:[0,1]
	v_cmp_eq_f32_e64 s[86:87], s3, v44
	v_add_f32_e32 v27, v40, v27
	v_add_f32_e32 v26, v26, v27
	;; [unrolled: 1-line block ×3, first 2 shown]
	v_mul_f32_e32 v40, v39, v27
	v_mul_f32_e32 v30, v37, v40
	v_fma_f32 v32, v40, v37, -v30
	v_fmac_f32_e32 v32, v40, v38
	v_sub_f32_e32 v31, v31, v27
	v_add_f32_e32 v37, v26, v31
	v_add_f32_e32 v26, v30, v32
	v_sub_f32_e32 v31, v27, v26
	v_pk_add_f32 v[34:35], v[26:27], v[30:31] neg_lo:[0,1] neg_hi:[0,1]
	v_mov_b32_e32 v33, v26
	v_pk_add_f32 v[26:27], v[34:35], v[32:33] neg_lo:[0,1] neg_hi:[0,1]
	v_cvt_f32_i32_e32 v30, v36
	v_add_f32_e32 v27, v37, v27
	v_add_f32_e32 v26, v26, v27
	;; [unrolled: 1-line block ×4, first 2 shown]
	v_sub_f32_e32 v27, v31, v41
	v_mul_f32_e32 v26, v39, v26
	v_sub_f32_e32 v27, v40, v27
	v_add_f32_e32 v26, v27, v26
	v_add_f32_e32 v32, v31, v26
	v_mul_f32_e32 v34, v32, v32
	v_mov_b32_e32 v27, 0x3ecc95a3
	v_sub_f32_e32 v31, v32, v31
	v_fmac_f32_e32 v27, 0x3e9b6dac, v34
	v_sub_f32_e32 v26, v26, v31
	v_fmaak_f32 v27, v34, v27, 0x3f2aaada
	v_ldexp_f32 v35, v26, 1
	v_mul_f32_e32 v31, v32, v34
	v_mov_b32_e32 v26, 0x3f317218
	v_pk_mul_f32 v[26:27], v[30:31], v[26:27]
	v_ldexp_f32 v33, v32, 1
	v_fma_f32 v31, v30, s2, -v26
	v_fmamk_f32 v32, v30, 0xb102e308, v31
	v_pk_add_f32 v[30:31], v[26:27], v[32:33]
	v_mov_b32_e32 v34, v26
	v_sub_f32_e32 v33, v31, v33
	v_sub_f32_e32 v33, v27, v33
	v_add_f32_e32 v35, v35, v33
	v_pk_add_f32 v[26:27], v[30:31], v[26:27] neg_lo:[0,1] neg_hi:[0,1]
	v_pk_add_f32 v[36:37], v[30:31], v[34:35]
	v_mov_b32_e32 v33, v30
	v_mov_b32_e32 v27, v37
	v_pk_add_f32 v[38:39], v[32:33], v[26:27] neg_lo:[0,1] neg_hi:[0,1]
	v_pk_add_f32 v[26:27], v[32:33], v[26:27]
	v_mov_b32_e32 v34, v35
	v_mov_b32_e32 v32, v27
	v_pk_add_f32 v[40:41], v[32:33], v[30:31] neg_lo:[0,1] neg_hi:[0,1]
	v_mov_b32_e32 v26, v37
	v_mov_b32_e32 v33, v40
	v_pk_add_f32 v[42:43], v[36:37], v[32:33] neg_lo:[0,1] neg_hi:[0,1]
	v_mov_b32_e32 v36, v31
	v_mov_b32_e32 v37, v40
	;; [unrolled: 1-line block ×3, first 2 shown]
	v_pk_add_f32 v[26:27], v[26:27], v[36:37] neg_lo:[0,1] neg_hi:[0,1]
	v_mov_b32_e32 v35, v30
	v_pk_add_f32 v[26:27], v[34:35], v[26:27] neg_lo:[0,1] neg_hi:[0,1]
	v_mov_b32_e32 v42, v38
	v_pk_add_f32 v[30:31], v[42:43], v[26:27]
	s_mov_b32 s2, 0x33800000
	v_mov_b32_e32 v34, v31
	v_pk_add_f32 v[34:35], v[30:31], v[34:35]
	v_cmp_lt_f32_e64 s[90:91], |v44|, s2
	v_pk_add_f32 v[32:33], v[32:33], v[34:35]
	v_mov_b32_e32 v27, v34
	v_mov_b32_e32 v31, v32
	v_pk_add_f32 v[36:37], v[30:31], v[38:39] neg_lo:[0,1] neg_hi:[0,1]
	s_or_b64 s[86:87], s[86:87], s[90:91]
	v_sub_f32_e32 v30, v30, v36
	v_pk_add_f32 v[26:27], v[26:27], v[36:37] neg_lo:[0,1] neg_hi:[0,1]
	v_sub_f32_e32 v30, v38, v30
	v_add_f32_e32 v26, v26, v30
	v_add_f32_e32 v26, v26, v27
	;; [unrolled: 1-line block ×3, first 2 shown]
	v_cndmask_b32_e64 v26, v26, v44, s[86:87]
	v_add_f32_e32 v7, v7, v26
	v_cvt_f16_f32_e32 v30, v7
	v_cvt_f32_f16_e32 v32, v30
	v_mov_b32_e32 v31, v30
.LBB418_86:
	s_or_b64 exec, exec, s[88:89]
	v_cvt_f32_f16_e32 v7, v8
	v_max_f32_e32 v26, v32, v32
	v_cmp_u_f16_e64 s[88:89], v30, v30
	v_cmp_u_f16_e64 s[86:87], v8, v8
	v_min_f32_e32 v27, v26, v7
	v_max_f32_e32 v26, v26, v7
	v_cndmask_b32_e64 v27, v27, v32, s[88:89]
	v_cndmask_b32_e64 v26, v26, v32, s[88:89]
	;; [unrolled: 1-line block ×4, first 2 shown]
	v_cmp_neq_f32_e64 s[88:89], v27, v26
	v_cmp_class_f32_e64 s[90:91], v27, s33
	s_or_b64 s[88:89], s[88:89], s[90:91]
	s_and_saveexec_b64 s[90:91], s[88:89]
	s_cbranch_execz .LBB418_88
; %bb.87:
	v_sub_f32_e32 v27, v27, v26
	s_mov_b32 s2, 0x3fb8aa3b
	v_mul_f32_e32 v30, 0x3fb8aa3b, v27
	v_fma_f32 v31, v27, s2, -v30
	v_rndne_f32_e32 v32, v30
	v_fmamk_f32 v31, v27, 0x32a5705f, v31
	v_sub_f32_e32 v30, v30, v32
	v_add_f32_e32 v30, v30, v31
	v_exp_f32_e32 v30, v30
	v_cvt_i32_f32_e32 v31, v32
	s_mov_b32 s2, 0xc2ce8ed0
	v_cmp_ngt_f32_e64 s[88:89], s2, v27
	s_mov_b32 s2, 0x42b17218
	v_ldexp_f32 v30, v30, v31
	v_cndmask_b32_e64 v30, 0, v30, s[88:89]
	v_mov_b32_e32 v31, 0x7f800000
	v_cmp_nlt_f32_e64 s[88:89], s2, v27
	s_mov_b32 s2, 0x3f2aaaab
	s_mov_b32 s3, 0x7f800000
	v_cndmask_b32_e64 v46, v31, v30, s[88:89]
	v_add_f32_e32 v27, 1.0, v46
	v_add_f32_e32 v30, -1.0, v27
	v_sub_f32_e32 v31, v30, v27
	v_add_f32_e32 v31, 1.0, v31
	v_sub_f32_e32 v30, v46, v30
	v_add_f32_e32 v32, v30, v31
	v_frexp_mant_f32_e32 v33, v27
	v_cvt_f64_f32_e32 v[30:31], v27
	v_frexp_exp_i32_f64_e32 v30, v[30:31]
	v_cmp_gt_f32_e64 s[88:89], s2, v33
	s_mov_b32 s2, 0x3f317218
	s_nop 0
	v_subbrev_co_u32_e64 v38, s[88:89], 0, v30, s[88:89]
	v_sub_u32_e32 v30, 0, v38
	v_ldexp_f32 v27, v27, v30
	v_ldexp_f32 v30, v32, v30
	v_add_f32_e32 v32, -1.0, v27
	v_add_f32_e32 v31, 1.0, v32
	v_sub_f32_e32 v31, v27, v31
	v_add_f32_e32 v33, v30, v31
	v_add_f32_e32 v31, 1.0, v27
	v_add_f32_e32 v34, -1.0, v31
	v_sub_f32_e32 v27, v27, v34
	v_add_f32_e32 v27, v30, v27
	v_add_f32_e32 v39, v31, v27
	v_rcp_f32_e32 v40, v39
	v_sub_f32_e32 v30, v31, v39
	v_add_f32_e32 v31, v32, v33
	v_add_f32_e32 v27, v27, v30
	v_mul_f32_e32 v42, v31, v40
	v_sub_f32_e32 v30, v32, v31
	v_mul_f32_e32 v32, v39, v42
	v_fma_f32 v34, v42, v39, -v32
	v_fmac_f32_e32 v34, v42, v27
	v_add_f32_e32 v41, v33, v30
	v_add_f32_e32 v30, v32, v34
	v_sub_f32_e32 v33, v31, v30
	v_pk_add_f32 v[36:37], v[30:31], v[32:33] neg_lo:[0,1] neg_hi:[0,1]
	v_mov_b32_e32 v35, v30
	v_pk_add_f32 v[30:31], v[36:37], v[34:35] neg_lo:[0,1] neg_hi:[0,1]
	v_cmp_eq_f32_e64 s[88:89], s3, v46
	v_add_f32_e32 v31, v41, v31
	v_add_f32_e32 v30, v30, v31
	;; [unrolled: 1-line block ×3, first 2 shown]
	v_mul_f32_e32 v41, v40, v31
	v_mul_f32_e32 v32, v39, v41
	v_fma_f32 v34, v41, v39, -v32
	v_fmac_f32_e32 v34, v41, v27
	v_sub_f32_e32 v27, v33, v31
	v_add_f32_e32 v27, v30, v27
	v_add_f32_e32 v30, v32, v34
	v_sub_f32_e32 v33, v31, v30
	v_pk_add_f32 v[36:37], v[30:31], v[32:33] neg_lo:[0,1] neg_hi:[0,1]
	v_mov_b32_e32 v35, v30
	v_pk_add_f32 v[30:31], v[36:37], v[34:35] neg_lo:[0,1] neg_hi:[0,1]
	v_cvt_f32_i32_e32 v32, v38
	v_add_f32_e32 v27, v27, v31
	v_add_f32_e32 v27, v30, v27
	;; [unrolled: 1-line block ×4, first 2 shown]
	v_sub_f32_e32 v31, v30, v42
	v_mul_f32_e32 v27, v40, v27
	v_sub_f32_e32 v31, v41, v31
	v_add_f32_e32 v27, v31, v27
	v_add_f32_e32 v33, v30, v27
	v_mul_f32_e32 v34, v33, v33
	v_mov_b32_e32 v31, 0x3ecc95a3
	v_fmac_f32_e32 v31, 0x3e9b6dac, v34
	v_sub_f32_e32 v30, v33, v30
	v_fmaak_f32 v31, v34, v31, 0x3f2aaada
	v_sub_f32_e32 v27, v27, v30
	v_ldexp_f32 v35, v33, 1
	v_mul_f32_e32 v33, v33, v34
	v_mov_b32_e32 v30, 0x3f317218
	v_pk_mul_f32 v[30:31], v[32:33], v[30:31]
	v_ldexp_f32 v27, v27, 1
	v_fma_f32 v33, v32, s2, -v30
	v_fmamk_f32 v34, v32, 0xb102e308, v33
	v_pk_add_f32 v[32:33], v[30:31], v[34:35]
	v_mov_b32_e32 v36, v30
	v_sub_f32_e32 v35, v33, v35
	v_sub_f32_e32 v35, v31, v35
	v_add_f32_e32 v37, v27, v35
	v_pk_add_f32 v[30:31], v[32:33], v[30:31] neg_lo:[0,1] neg_hi:[0,1]
	v_pk_add_f32 v[38:39], v[32:33], v[36:37]
	v_mov_b32_e32 v35, v32
	v_mov_b32_e32 v31, v39
	v_pk_add_f32 v[40:41], v[34:35], v[30:31] neg_lo:[0,1] neg_hi:[0,1]
	v_pk_add_f32 v[30:31], v[34:35], v[30:31]
	v_mov_b32_e32 v36, v37
	v_mov_b32_e32 v34, v31
	v_pk_add_f32 v[42:43], v[34:35], v[32:33] neg_lo:[0,1] neg_hi:[0,1]
	v_mov_b32_e32 v30, v39
	v_mov_b32_e32 v27, v42
	v_pk_add_f32 v[44:45], v[38:39], v[26:27] neg_lo:[0,1] neg_hi:[0,1]
	v_mov_b32_e32 v38, v33
	v_mov_b32_e32 v39, v42
	;; [unrolled: 1-line block ×3, first 2 shown]
	v_pk_add_f32 v[30:31], v[30:31], v[38:39] neg_lo:[0,1] neg_hi:[0,1]
	v_mov_b32_e32 v37, v32
	v_pk_add_f32 v[30:31], v[36:37], v[30:31] neg_lo:[0,1] neg_hi:[0,1]
	v_mov_b32_e32 v44, v40
	v_pk_add_f32 v[32:33], v[44:45], v[30:31]
	s_mov_b32 s2, 0x33800000
	v_mov_b32_e32 v36, v33
	v_pk_add_f32 v[36:37], v[32:33], v[36:37]
	v_cmp_lt_f32_e64 s[92:93], |v46|, s2
	v_pk_add_f32 v[34:35], v[34:35], v[36:37]
	v_mov_b32_e32 v31, v36
	v_mov_b32_e32 v33, v34
	v_pk_add_f32 v[38:39], v[32:33], v[40:41] neg_lo:[0,1] neg_hi:[0,1]
	s_or_b64 s[88:89], s[88:89], s[92:93]
	v_sub_f32_e32 v27, v32, v38
	v_pk_add_f32 v[30:31], v[30:31], v[38:39] neg_lo:[0,1] neg_hi:[0,1]
	v_sub_f32_e32 v27, v40, v27
	v_add_f32_e32 v27, v30, v27
	v_add_f32_e32 v27, v27, v31
	;; [unrolled: 1-line block ×3, first 2 shown]
	v_cndmask_b32_e64 v27, v27, v46, s[88:89]
	v_add_f32_e32 v26, v26, v27
	v_cvt_f16_f32_e32 v30, v26
	v_cvt_f32_f16_e32 v32, v30
	v_mov_b32_e32 v31, v30
.LBB418_88:
	s_or_b64 exec, exec, s[90:91]
	v_cvt_f32_f16_sdwa v26, v8 dst_sel:DWORD dst_unused:UNUSED_PAD src0_sel:WORD_1
	v_max_f32_e32 v33, v32, v32
	v_cmp_u_f16_e64 s[90:91], v30, v30
	v_cmp_u_f16_sdwa s[88:89], v8, v8 src0_sel:WORD_1 src1_sel:WORD_1
	v_min_f32_e32 v27, v33, v26
	v_max_f32_e32 v8, v33, v26
	v_cndmask_b32_e64 v27, v27, v32, s[90:91]
	v_cndmask_b32_e64 v8, v8, v32, s[90:91]
	v_cndmask_b32_e64 v27, v27, v26, s[88:89]
	v_cndmask_b32_e64 v8, v8, v26, s[88:89]
	v_cmp_neq_f32_e64 s[90:91], v27, v8
	v_cmp_class_f32_e64 s[92:93], v27, s33
	s_or_b64 s[90:91], s[90:91], s[92:93]
	s_and_saveexec_b64 s[92:93], s[90:91]
	s_cbranch_execz .LBB418_90
; %bb.89:
	v_sub_f32_e32 v27, v27, v8
	s_mov_b32 s2, 0x3fb8aa3b
	v_mul_f32_e32 v30, 0x3fb8aa3b, v27
	v_fma_f32 v31, v27, s2, -v30
	v_rndne_f32_e32 v32, v30
	v_fmamk_f32 v31, v27, 0x32a5705f, v31
	v_sub_f32_e32 v30, v30, v32
	v_add_f32_e32 v30, v30, v31
	v_exp_f32_e32 v30, v30
	v_cvt_i32_f32_e32 v31, v32
	s_mov_b32 s2, 0xc2ce8ed0
	v_cmp_ngt_f32_e64 s[90:91], s2, v27
	s_mov_b32 s2, 0x42b17218
	v_ldexp_f32 v30, v30, v31
	v_cndmask_b32_e64 v30, 0, v30, s[90:91]
	v_mov_b32_e32 v31, 0x7f800000
	v_cmp_nlt_f32_e64 s[90:91], s2, v27
	s_mov_b32 s2, 0x3f2aaaab
	s_mov_b32 s3, 0x7f800000
	v_cndmask_b32_e64 v46, v31, v30, s[90:91]
	v_add_f32_e32 v27, 1.0, v46
	v_add_f32_e32 v30, -1.0, v27
	v_sub_f32_e32 v31, v30, v27
	v_add_f32_e32 v31, 1.0, v31
	v_sub_f32_e32 v30, v46, v30
	v_add_f32_e32 v32, v30, v31
	v_frexp_mant_f32_e32 v33, v27
	v_cvt_f64_f32_e32 v[30:31], v27
	v_frexp_exp_i32_f64_e32 v30, v[30:31]
	v_cmp_gt_f32_e64 s[90:91], s2, v33
	s_mov_b32 s2, 0x3f317218
	s_nop 0
	v_subbrev_co_u32_e64 v38, s[90:91], 0, v30, s[90:91]
	v_sub_u32_e32 v30, 0, v38
	v_ldexp_f32 v27, v27, v30
	v_ldexp_f32 v30, v32, v30
	v_add_f32_e32 v32, -1.0, v27
	v_add_f32_e32 v31, 1.0, v32
	v_sub_f32_e32 v31, v27, v31
	v_add_f32_e32 v33, v30, v31
	v_add_f32_e32 v31, 1.0, v27
	v_add_f32_e32 v34, -1.0, v31
	v_sub_f32_e32 v27, v27, v34
	v_add_f32_e32 v27, v30, v27
	v_add_f32_e32 v39, v31, v27
	v_rcp_f32_e32 v40, v39
	v_sub_f32_e32 v30, v31, v39
	v_add_f32_e32 v31, v32, v33
	v_add_f32_e32 v27, v27, v30
	v_mul_f32_e32 v42, v31, v40
	v_sub_f32_e32 v30, v32, v31
	v_mul_f32_e32 v32, v39, v42
	v_fma_f32 v34, v42, v39, -v32
	v_fmac_f32_e32 v34, v42, v27
	v_add_f32_e32 v41, v33, v30
	v_add_f32_e32 v30, v32, v34
	v_sub_f32_e32 v33, v31, v30
	v_pk_add_f32 v[36:37], v[30:31], v[32:33] neg_lo:[0,1] neg_hi:[0,1]
	v_mov_b32_e32 v35, v30
	v_pk_add_f32 v[30:31], v[36:37], v[34:35] neg_lo:[0,1] neg_hi:[0,1]
	v_cmp_eq_f32_e64 s[90:91], s3, v46
	v_add_f32_e32 v31, v41, v31
	v_add_f32_e32 v30, v30, v31
	;; [unrolled: 1-line block ×3, first 2 shown]
	v_mul_f32_e32 v41, v40, v31
	v_mul_f32_e32 v32, v39, v41
	v_fma_f32 v34, v41, v39, -v32
	v_fmac_f32_e32 v34, v41, v27
	v_sub_f32_e32 v27, v33, v31
	v_add_f32_e32 v27, v30, v27
	v_add_f32_e32 v30, v32, v34
	v_sub_f32_e32 v33, v31, v30
	v_pk_add_f32 v[36:37], v[30:31], v[32:33] neg_lo:[0,1] neg_hi:[0,1]
	v_mov_b32_e32 v35, v30
	v_pk_add_f32 v[30:31], v[36:37], v[34:35] neg_lo:[0,1] neg_hi:[0,1]
	v_cvt_f32_i32_e32 v32, v38
	v_add_f32_e32 v27, v27, v31
	v_add_f32_e32 v27, v30, v27
	;; [unrolled: 1-line block ×4, first 2 shown]
	v_sub_f32_e32 v31, v30, v42
	v_mul_f32_e32 v27, v40, v27
	v_sub_f32_e32 v31, v41, v31
	v_add_f32_e32 v27, v31, v27
	v_add_f32_e32 v33, v30, v27
	v_mul_f32_e32 v34, v33, v33
	v_mov_b32_e32 v31, 0x3ecc95a3
	v_fmac_f32_e32 v31, 0x3e9b6dac, v34
	v_sub_f32_e32 v30, v33, v30
	v_fmaak_f32 v31, v34, v31, 0x3f2aaada
	v_sub_f32_e32 v27, v27, v30
	v_ldexp_f32 v35, v33, 1
	v_mul_f32_e32 v33, v33, v34
	v_mov_b32_e32 v30, 0x3f317218
	v_pk_mul_f32 v[30:31], v[32:33], v[30:31]
	v_ldexp_f32 v27, v27, 1
	v_fma_f32 v33, v32, s2, -v30
	v_fmamk_f32 v34, v32, 0xb102e308, v33
	v_pk_add_f32 v[32:33], v[30:31], v[34:35]
	v_mov_b32_e32 v36, v30
	v_sub_f32_e32 v35, v33, v35
	v_sub_f32_e32 v35, v31, v35
	v_add_f32_e32 v37, v27, v35
	v_pk_add_f32 v[30:31], v[32:33], v[30:31] neg_lo:[0,1] neg_hi:[0,1]
	v_pk_add_f32 v[38:39], v[32:33], v[36:37]
	v_mov_b32_e32 v35, v32
	v_mov_b32_e32 v31, v39
	v_pk_add_f32 v[40:41], v[34:35], v[30:31] neg_lo:[0,1] neg_hi:[0,1]
	v_pk_add_f32 v[30:31], v[34:35], v[30:31]
	v_mov_b32_e32 v36, v37
	v_mov_b32_e32 v34, v31
	v_pk_add_f32 v[42:43], v[34:35], v[32:33] neg_lo:[0,1] neg_hi:[0,1]
	v_mov_b32_e32 v30, v39
	v_mov_b32_e32 v27, v42
	v_pk_add_f32 v[44:45], v[38:39], v[26:27] neg_lo:[0,1] neg_hi:[0,1]
	v_mov_b32_e32 v38, v33
	v_mov_b32_e32 v39, v42
	;; [unrolled: 1-line block ×3, first 2 shown]
	v_pk_add_f32 v[30:31], v[30:31], v[38:39] neg_lo:[0,1] neg_hi:[0,1]
	v_mov_b32_e32 v37, v32
	v_pk_add_f32 v[30:31], v[36:37], v[30:31] neg_lo:[0,1] neg_hi:[0,1]
	v_mov_b32_e32 v44, v40
	v_pk_add_f32 v[32:33], v[44:45], v[30:31]
	s_mov_b32 s2, 0x33800000
	v_mov_b32_e32 v36, v33
	v_pk_add_f32 v[36:37], v[32:33], v[36:37]
	v_cmp_lt_f32_e64 s[96:97], |v46|, s2
	v_pk_add_f32 v[34:35], v[34:35], v[36:37]
	v_mov_b32_e32 v31, v36
	v_mov_b32_e32 v33, v34
	v_pk_add_f32 v[38:39], v[32:33], v[40:41] neg_lo:[0,1] neg_hi:[0,1]
	s_or_b64 s[90:91], s[90:91], s[96:97]
	v_sub_f32_e32 v27, v32, v38
	v_pk_add_f32 v[30:31], v[30:31], v[38:39] neg_lo:[0,1] neg_hi:[0,1]
	v_sub_f32_e32 v27, v40, v27
	v_add_f32_e32 v27, v30, v27
	v_add_f32_e32 v27, v27, v31
	v_add_f32_e32 v27, v34, v27
	v_cndmask_b32_e64 v27, v27, v46, s[90:91]
	v_add_f32_e32 v8, v8, v27
	v_cvt_f16_f32_e32 v30, v8
	v_cvt_f32_f16_e32 v32, v30
	v_mov_b32_e32 v31, v30
.LBB418_90:
	s_or_b64 exec, exec, s[92:93]
	v_cvt_f32_f16_e32 v8, v9
	v_max_f32_e32 v27, v32, v32
	v_cmp_u_f16_e64 s[92:93], v30, v30
	v_cmp_u_f16_e64 s[90:91], v9, v9
	v_min_f32_e32 v33, v27, v8
	v_max_f32_e32 v27, v27, v8
	v_cndmask_b32_e64 v33, v33, v32, s[92:93]
	v_cndmask_b32_e64 v27, v27, v32, s[92:93]
	;; [unrolled: 1-line block ×4, first 2 shown]
	v_cmp_neq_f32_e64 s[92:93], v33, v27
	v_cmp_class_f32_e64 s[96:97], v33, s33
	s_or_b64 s[92:93], s[92:93], s[96:97]
	s_and_saveexec_b64 s[96:97], s[92:93]
	s_cbranch_execz .LBB418_92
; %bb.91:
	v_sub_f32_e32 v30, v33, v27
	s_mov_b32 s2, 0x3fb8aa3b
	v_mul_f32_e32 v31, 0x3fb8aa3b, v30
	v_fma_f32 v32, v30, s2, -v31
	v_rndne_f32_e32 v33, v31
	v_fmamk_f32 v32, v30, 0x32a5705f, v32
	v_sub_f32_e32 v31, v31, v33
	v_add_f32_e32 v31, v31, v32
	v_exp_f32_e32 v31, v31
	v_cvt_i32_f32_e32 v32, v33
	s_mov_b32 s2, 0xc2ce8ed0
	v_cmp_ngt_f32_e64 s[92:93], s2, v30
	s_mov_b32 s2, 0x42b17218
	v_ldexp_f32 v31, v31, v32
	v_cndmask_b32_e64 v31, 0, v31, s[92:93]
	v_mov_b32_e32 v32, 0x7f800000
	v_cmp_nlt_f32_e64 s[92:93], s2, v30
	s_mov_b32 s2, 0x3f2aaaab
	s_mov_b32 s3, 0x7f800000
	v_cndmask_b32_e64 v46, v32, v31, s[92:93]
	v_add_f32_e32 v32, 1.0, v46
	v_add_f32_e32 v30, -1.0, v32
	v_sub_f32_e32 v31, v30, v32
	v_add_f32_e32 v31, 1.0, v31
	v_sub_f32_e32 v30, v46, v30
	v_add_f32_e32 v33, v30, v31
	v_frexp_mant_f32_e32 v34, v32
	v_cvt_f64_f32_e32 v[30:31], v32
	v_frexp_exp_i32_f64_e32 v30, v[30:31]
	v_cmp_gt_f32_e64 s[92:93], s2, v34
	s_mov_b32 s2, 0x3f317218
	s_nop 0
	v_subbrev_co_u32_e64 v38, s[92:93], 0, v30, s[92:93]
	v_sub_u32_e32 v30, 0, v38
	v_ldexp_f32 v31, v32, v30
	v_add_f32_e32 v32, -1.0, v31
	v_add_f32_e32 v34, 1.0, v31
	v_ldexp_f32 v30, v33, v30
	v_add_f32_e32 v33, 1.0, v32
	v_add_f32_e32 v35, -1.0, v34
	v_sub_f32_e32 v33, v31, v33
	v_sub_f32_e32 v31, v31, v35
	v_add_f32_e32 v33, v30, v33
	v_add_f32_e32 v30, v30, v31
	;; [unrolled: 1-line block ×3, first 2 shown]
	v_rcp_f32_e32 v41, v39
	v_sub_f32_e32 v31, v34, v39
	v_add_f32_e32 v40, v30, v31
	v_add_f32_e32 v31, v32, v33
	v_mul_f32_e32 v43, v31, v41
	v_sub_f32_e32 v30, v32, v31
	v_mul_f32_e32 v32, v39, v43
	v_fma_f32 v34, v43, v39, -v32
	v_fmac_f32_e32 v34, v43, v40
	v_add_f32_e32 v42, v33, v30
	v_add_f32_e32 v30, v32, v34
	v_sub_f32_e32 v33, v31, v30
	v_pk_add_f32 v[36:37], v[30:31], v[32:33] neg_lo:[0,1] neg_hi:[0,1]
	v_mov_b32_e32 v35, v30
	v_pk_add_f32 v[30:31], v[36:37], v[34:35] neg_lo:[0,1] neg_hi:[0,1]
	v_cmp_eq_f32_e64 s[92:93], s3, v46
	v_add_f32_e32 v31, v42, v31
	v_add_f32_e32 v30, v30, v31
	;; [unrolled: 1-line block ×3, first 2 shown]
	v_mul_f32_e32 v42, v41, v31
	v_mul_f32_e32 v32, v39, v42
	v_fma_f32 v34, v42, v39, -v32
	v_fmac_f32_e32 v34, v42, v40
	v_sub_f32_e32 v33, v33, v31
	v_add_f32_e32 v39, v30, v33
	v_add_f32_e32 v30, v32, v34
	v_sub_f32_e32 v33, v31, v30
	v_pk_add_f32 v[36:37], v[30:31], v[32:33] neg_lo:[0,1] neg_hi:[0,1]
	v_mov_b32_e32 v35, v30
	v_pk_add_f32 v[30:31], v[36:37], v[34:35] neg_lo:[0,1] neg_hi:[0,1]
	v_cvt_f32_i32_e32 v32, v38
	v_add_f32_e32 v31, v39, v31
	v_add_f32_e32 v30, v30, v31
	;; [unrolled: 1-line block ×4, first 2 shown]
	v_sub_f32_e32 v31, v33, v43
	v_mul_f32_e32 v30, v41, v30
	v_sub_f32_e32 v31, v42, v31
	v_add_f32_e32 v30, v31, v30
	v_add_f32_e32 v34, v33, v30
	v_mul_f32_e32 v36, v34, v34
	v_mov_b32_e32 v31, 0x3ecc95a3
	v_sub_f32_e32 v33, v34, v33
	v_fmac_f32_e32 v31, 0x3e9b6dac, v36
	v_sub_f32_e32 v30, v30, v33
	v_fmaak_f32 v31, v36, v31, 0x3f2aaada
	v_ldexp_f32 v37, v30, 1
	v_mul_f32_e32 v33, v34, v36
	v_mov_b32_e32 v30, 0x3f317218
	v_pk_mul_f32 v[30:31], v[32:33], v[30:31]
	v_ldexp_f32 v35, v34, 1
	v_fma_f32 v33, v32, s2, -v30
	v_fmamk_f32 v34, v32, 0xb102e308, v33
	v_pk_add_f32 v[32:33], v[30:31], v[34:35]
	v_mov_b32_e32 v36, v30
	v_sub_f32_e32 v35, v33, v35
	v_sub_f32_e32 v35, v31, v35
	v_add_f32_e32 v37, v37, v35
	v_pk_add_f32 v[30:31], v[32:33], v[30:31] neg_lo:[0,1] neg_hi:[0,1]
	v_pk_add_f32 v[38:39], v[32:33], v[36:37]
	v_mov_b32_e32 v35, v32
	v_mov_b32_e32 v31, v39
	v_pk_add_f32 v[40:41], v[34:35], v[30:31] neg_lo:[0,1] neg_hi:[0,1]
	v_pk_add_f32 v[30:31], v[34:35], v[30:31]
	v_mov_b32_e32 v36, v37
	v_mov_b32_e32 v34, v31
	v_pk_add_f32 v[42:43], v[34:35], v[32:33] neg_lo:[0,1] neg_hi:[0,1]
	v_mov_b32_e32 v30, v39
	v_mov_b32_e32 v35, v42
	v_pk_add_f32 v[44:45], v[38:39], v[34:35] neg_lo:[0,1] neg_hi:[0,1]
	v_mov_b32_e32 v38, v33
	v_mov_b32_e32 v39, v42
	;; [unrolled: 1-line block ×3, first 2 shown]
	v_pk_add_f32 v[30:31], v[30:31], v[38:39] neg_lo:[0,1] neg_hi:[0,1]
	v_mov_b32_e32 v37, v32
	v_pk_add_f32 v[30:31], v[36:37], v[30:31] neg_lo:[0,1] neg_hi:[0,1]
	v_mov_b32_e32 v44, v40
	v_pk_add_f32 v[32:33], v[44:45], v[30:31]
	s_mov_b32 s2, 0x33800000
	v_mov_b32_e32 v36, v33
	v_pk_add_f32 v[36:37], v[32:33], v[36:37]
	v_cmp_lt_f32_e64 s[98:99], |v46|, s2
	v_pk_add_f32 v[34:35], v[34:35], v[36:37]
	v_mov_b32_e32 v31, v36
	v_mov_b32_e32 v33, v34
	v_pk_add_f32 v[38:39], v[32:33], v[40:41] neg_lo:[0,1] neg_hi:[0,1]
	s_or_b64 s[92:93], s[92:93], s[98:99]
	v_sub_f32_e32 v32, v32, v38
	v_pk_add_f32 v[30:31], v[30:31], v[38:39] neg_lo:[0,1] neg_hi:[0,1]
	v_sub_f32_e32 v32, v40, v32
	v_add_f32_e32 v30, v30, v32
	v_add_f32_e32 v30, v30, v31
	;; [unrolled: 1-line block ×3, first 2 shown]
	v_cndmask_b32_e64 v30, v30, v46, s[92:93]
	v_add_f32_e32 v27, v27, v30
	v_cvt_f16_f32_e32 v30, v27
	v_cvt_f32_f16_e32 v32, v30
	v_mov_b32_e32 v31, v30
.LBB418_92:
	s_or_b64 exec, exec, s[96:97]
	v_cvt_f32_f16_sdwa v27, v9 dst_sel:DWORD dst_unused:UNUSED_PAD src0_sel:WORD_1
	v_max_f32_e32 v33, v32, v32
	v_cmp_u_f16_e64 s[98:99], v30, v30
	v_cmp_u_f16_sdwa s[92:93], v9, v9 src0_sel:WORD_1 src1_sel:WORD_1
	v_min_f32_e32 v9, v33, v27
	v_cndmask_b32_e64 v9, v9, v32, s[98:99]
	v_cndmask_b32_e64 v30, v9, v27, s[92:93]
	v_max_f32_e32 v9, v33, v27
	v_cndmask_b32_e64 v9, v9, v32, s[98:99]
	v_cndmask_b32_e64 v9, v9, v27, s[92:93]
	s_movk_i32 s2, 0x1f8
	v_cmp_neq_f32_e64 s[98:99], v30, v9
	v_cmp_class_f32_e64 s[96:97], v30, s2
	s_or_b64 s[98:99], s[98:99], s[96:97]
	s_and_saveexec_b64 s[96:97], s[98:99]
	s_cbranch_execz .LBB418_94
; %bb.93:
	v_sub_f32_e32 v30, v30, v9
	s_mov_b32 s2, 0x3fb8aa3b
	v_mul_f32_e32 v31, 0x3fb8aa3b, v30
	v_fma_f32 v32, v30, s2, -v31
	v_rndne_f32_e32 v33, v31
	v_fmamk_f32 v32, v30, 0x32a5705f, v32
	v_sub_f32_e32 v31, v31, v33
	v_add_f32_e32 v31, v31, v32
	v_exp_f32_e32 v31, v31
	v_cvt_i32_f32_e32 v32, v33
	s_mov_b32 s2, 0xc2ce8ed0
	v_cmp_ngt_f32_e64 s[98:99], s2, v30
	s_mov_b32 s2, 0x42b17218
	v_ldexp_f32 v31, v31, v32
	v_cndmask_b32_e64 v31, 0, v31, s[98:99]
	v_mov_b32_e32 v32, 0x7f800000
	v_cmp_nlt_f32_e64 s[98:99], s2, v30
	s_mov_b32 s2, 0x3f2aaaab
	s_mov_b32 s3, 0x7f800000
	v_cndmask_b32_e64 v46, v32, v31, s[98:99]
	v_add_f32_e32 v32, 1.0, v46
	v_add_f32_e32 v30, -1.0, v32
	v_sub_f32_e32 v31, v30, v32
	v_add_f32_e32 v31, 1.0, v31
	v_sub_f32_e32 v30, v46, v30
	v_add_f32_e32 v33, v30, v31
	v_frexp_mant_f32_e32 v34, v32
	v_cvt_f64_f32_e32 v[30:31], v32
	v_frexp_exp_i32_f64_e32 v30, v[30:31]
	v_cmp_gt_f32_e64 s[98:99], s2, v34
	s_mov_b32 s2, 0x3f317218
	s_nop 0
	v_subbrev_co_u32_e64 v38, s[98:99], 0, v30, s[98:99]
	v_sub_u32_e32 v30, 0, v38
	v_ldexp_f32 v31, v32, v30
	v_add_f32_e32 v32, -1.0, v31
	v_add_f32_e32 v34, 1.0, v31
	v_ldexp_f32 v30, v33, v30
	v_add_f32_e32 v33, 1.0, v32
	v_add_f32_e32 v35, -1.0, v34
	v_sub_f32_e32 v33, v31, v33
	v_sub_f32_e32 v31, v31, v35
	v_add_f32_e32 v33, v30, v33
	v_add_f32_e32 v30, v30, v31
	;; [unrolled: 1-line block ×3, first 2 shown]
	v_rcp_f32_e32 v41, v39
	v_sub_f32_e32 v31, v34, v39
	v_add_f32_e32 v40, v30, v31
	v_add_f32_e32 v31, v32, v33
	v_mul_f32_e32 v43, v31, v41
	v_sub_f32_e32 v30, v32, v31
	v_mul_f32_e32 v32, v39, v43
	v_fma_f32 v34, v43, v39, -v32
	v_fmac_f32_e32 v34, v43, v40
	v_add_f32_e32 v42, v33, v30
	v_add_f32_e32 v30, v32, v34
	v_sub_f32_e32 v33, v31, v30
	v_pk_add_f32 v[36:37], v[30:31], v[32:33] neg_lo:[0,1] neg_hi:[0,1]
	v_mov_b32_e32 v35, v30
	v_pk_add_f32 v[30:31], v[36:37], v[34:35] neg_lo:[0,1] neg_hi:[0,1]
	v_cmp_eq_f32_e64 s[98:99], s3, v46
	v_add_f32_e32 v31, v42, v31
	v_add_f32_e32 v30, v30, v31
	;; [unrolled: 1-line block ×3, first 2 shown]
	v_mul_f32_e32 v42, v41, v31
	v_mul_f32_e32 v32, v39, v42
	v_fma_f32 v34, v42, v39, -v32
	v_fmac_f32_e32 v34, v42, v40
	v_sub_f32_e32 v33, v33, v31
	v_add_f32_e32 v39, v30, v33
	v_add_f32_e32 v30, v32, v34
	v_sub_f32_e32 v33, v31, v30
	v_pk_add_f32 v[36:37], v[30:31], v[32:33] neg_lo:[0,1] neg_hi:[0,1]
	v_mov_b32_e32 v35, v30
	v_pk_add_f32 v[30:31], v[36:37], v[34:35] neg_lo:[0,1] neg_hi:[0,1]
	v_cvt_f32_i32_e32 v32, v38
	v_add_f32_e32 v31, v39, v31
	v_add_f32_e32 v30, v30, v31
	;; [unrolled: 1-line block ×4, first 2 shown]
	v_sub_f32_e32 v31, v33, v43
	v_mul_f32_e32 v30, v41, v30
	v_sub_f32_e32 v31, v42, v31
	v_add_f32_e32 v30, v31, v30
	v_add_f32_e32 v34, v33, v30
	v_mul_f32_e32 v36, v34, v34
	v_mov_b32_e32 v31, 0x3ecc95a3
	v_sub_f32_e32 v33, v34, v33
	v_fmac_f32_e32 v31, 0x3e9b6dac, v36
	v_sub_f32_e32 v30, v30, v33
	v_fmaak_f32 v31, v36, v31, 0x3f2aaada
	v_ldexp_f32 v37, v30, 1
	v_mul_f32_e32 v33, v34, v36
	v_mov_b32_e32 v30, 0x3f317218
	v_pk_mul_f32 v[30:31], v[32:33], v[30:31]
	v_ldexp_f32 v35, v34, 1
	v_fma_f32 v33, v32, s2, -v30
	v_fmamk_f32 v34, v32, 0xb102e308, v33
	v_pk_add_f32 v[32:33], v[30:31], v[34:35]
	v_mov_b32_e32 v36, v30
	v_sub_f32_e32 v35, v33, v35
	v_sub_f32_e32 v35, v31, v35
	v_add_f32_e32 v37, v37, v35
	v_pk_add_f32 v[30:31], v[32:33], v[30:31] neg_lo:[0,1] neg_hi:[0,1]
	v_pk_add_f32 v[38:39], v[32:33], v[36:37]
	v_mov_b32_e32 v35, v32
	v_mov_b32_e32 v31, v39
	v_pk_add_f32 v[40:41], v[34:35], v[30:31] neg_lo:[0,1] neg_hi:[0,1]
	v_pk_add_f32 v[30:31], v[34:35], v[30:31]
	v_mov_b32_e32 v36, v37
	v_mov_b32_e32 v34, v31
	v_pk_add_f32 v[42:43], v[34:35], v[32:33] neg_lo:[0,1] neg_hi:[0,1]
	v_mov_b32_e32 v30, v39
	v_mov_b32_e32 v35, v42
	v_pk_add_f32 v[44:45], v[38:39], v[34:35] neg_lo:[0,1] neg_hi:[0,1]
	v_mov_b32_e32 v38, v33
	v_mov_b32_e32 v39, v42
	;; [unrolled: 1-line block ×3, first 2 shown]
	v_pk_add_f32 v[30:31], v[30:31], v[38:39] neg_lo:[0,1] neg_hi:[0,1]
	v_mov_b32_e32 v37, v32
	v_pk_add_f32 v[30:31], v[36:37], v[30:31] neg_lo:[0,1] neg_hi:[0,1]
	v_mov_b32_e32 v44, v40
	v_pk_add_f32 v[32:33], v[44:45], v[30:31]
	s_mov_b32 s2, 0x33800000
	v_mov_b32_e32 v36, v33
	v_pk_add_f32 v[36:37], v[32:33], v[36:37]
	v_cmp_lt_f32_e64 vcc, |v46|, s2
	v_pk_add_f32 v[34:35], v[34:35], v[36:37]
	v_mov_b32_e32 v31, v36
	v_mov_b32_e32 v33, v34
	v_pk_add_f32 v[38:39], v[32:33], v[40:41] neg_lo:[0,1] neg_hi:[0,1]
	s_or_b64 s[98:99], s[98:99], vcc
	v_sub_f32_e32 v32, v32, v38
	v_pk_add_f32 v[30:31], v[30:31], v[38:39] neg_lo:[0,1] neg_hi:[0,1]
	v_sub_f32_e32 v32, v40, v32
	v_add_f32_e32 v30, v30, v32
	v_add_f32_e32 v30, v30, v31
	;; [unrolled: 1-line block ×3, first 2 shown]
	v_cndmask_b32_e64 v30, v30, v46, s[98:99]
	v_add_f32_e32 v9, v9, v30
	v_cvt_f16_f32_e32 v31, v9
.LBB418_94:
	s_or_b64 exec, exec, s[96:97]
	v_mbcnt_lo_u32_b32 v9, -1, 0
	v_mbcnt_hi_u32_b32 v30, -1, v9
	v_and_b32_e32 v32, 15, v30
	v_and_b32_e32 v33, 0xffff, v31
	v_cmp_ne_u32_e64 s[98:99], 0, v32
	s_nop 0
	v_mov_b32_dpp v34, v33 row_shr:1 row_mask:0xf bank_mask:0xf
	s_and_saveexec_b64 s[96:97], s[98:99]
	s_cbranch_execz .LBB418_98
; %bb.95:
	v_cvt_f32_f16_e32 v9, v34
	v_cvt_f32_f16_e32 v33, v31
	v_cmp_u_f16_e64 s[98:99], v34, v34
	v_cmp_u_f16_e32 vcc, v31, v31
	s_movk_i32 s2, 0x1f8
	v_min_f32_e32 v31, v9, v33
	v_max_f32_e32 v35, v9, v33
	v_cndmask_b32_e64 v31, v31, v9, s[98:99]
	v_cndmask_b32_e64 v9, v35, v9, s[98:99]
	v_cndmask_b32_e32 v31, v31, v33, vcc
	v_cndmask_b32_e32 v9, v9, v33, vcc
	v_cmp_neq_f32_e32 vcc, v31, v9
	v_cmp_class_f32_e64 s[98:99], v31, s2
	s_or_b64 vcc, vcc, s[98:99]
	s_and_saveexec_b64 s[98:99], vcc
	s_cbranch_execz .LBB418_97
; %bb.96:
	v_sub_f32_e32 v31, v31, v9
	s_mov_b32 s2, 0x3fb8aa3b
	v_mul_f32_e32 v33, 0x3fb8aa3b, v31
	v_fma_f32 v34, v31, s2, -v33
	v_rndne_f32_e32 v35, v33
	v_fmamk_f32 v34, v31, 0x32a5705f, v34
	v_sub_f32_e32 v33, v33, v35
	v_add_f32_e32 v33, v33, v34
	v_exp_f32_e32 v33, v33
	v_cvt_i32_f32_e32 v34, v35
	s_mov_b32 s2, 0xc2ce8ed0
	v_cmp_ngt_f32_e32 vcc, s2, v31
	s_mov_b32 s2, 0x42b17218
	v_ldexp_f32 v33, v33, v34
	v_cndmask_b32_e32 v33, 0, v33, vcc
	v_mov_b32_e32 v34, 0x7f800000
	v_cmp_nlt_f32_e32 vcc, s2, v31
	s_mov_b32 s2, 0x3f2aaaab
	s_mov_b32 s3, 0x7f800000
	v_cndmask_b32_e32 v33, v34, v33, vcc
	v_add_f32_e32 v31, 1.0, v33
	v_add_f32_e32 v34, -1.0, v31
	v_sub_f32_e32 v35, v34, v31
	v_add_f32_e32 v35, 1.0, v35
	v_sub_f32_e32 v34, v33, v34
	v_add_f32_e32 v36, v34, v35
	v_frexp_mant_f32_e32 v37, v31
	v_cvt_f64_f32_e32 v[34:35], v31
	v_frexp_exp_i32_f64_e32 v34, v[34:35]
	v_cmp_gt_f32_e32 vcc, s2, v37
	s_mov_b32 s2, 0x3f317218
	s_nop 0
	v_subbrev_co_u32_e32 v42, vcc, 0, v34, vcc
	v_sub_u32_e32 v34, 0, v42
	v_ldexp_f32 v31, v31, v34
	v_ldexp_f32 v34, v36, v34
	v_add_f32_e32 v36, -1.0, v31
	v_add_f32_e32 v35, 1.0, v36
	v_sub_f32_e32 v35, v31, v35
	v_add_f32_e32 v37, v34, v35
	v_add_f32_e32 v35, 1.0, v31
	v_add_f32_e32 v38, -1.0, v35
	v_sub_f32_e32 v31, v31, v38
	v_add_f32_e32 v31, v34, v31
	v_add_f32_e32 v43, v35, v31
	v_rcp_f32_e32 v44, v43
	v_sub_f32_e32 v34, v35, v43
	v_add_f32_e32 v35, v36, v37
	v_add_f32_e32 v31, v31, v34
	v_mul_f32_e32 v46, v35, v44
	v_sub_f32_e32 v34, v36, v35
	v_mul_f32_e32 v36, v43, v46
	v_fma_f32 v38, v46, v43, -v36
	v_fmac_f32_e32 v38, v46, v31
	v_add_f32_e32 v45, v37, v34
	v_add_f32_e32 v34, v36, v38
	v_sub_f32_e32 v37, v35, v34
	v_pk_add_f32 v[40:41], v[34:35], v[36:37] neg_lo:[0,1] neg_hi:[0,1]
	v_mov_b32_e32 v39, v34
	v_pk_add_f32 v[34:35], v[40:41], v[38:39] neg_lo:[0,1] neg_hi:[0,1]
	v_cmp_eq_f32_e32 vcc, s3, v33
	v_add_f32_e32 v35, v45, v35
	v_add_f32_e32 v34, v34, v35
	;; [unrolled: 1-line block ×3, first 2 shown]
	v_mul_f32_e32 v45, v44, v35
	v_mul_f32_e32 v36, v43, v45
	v_fma_f32 v38, v45, v43, -v36
	v_fmac_f32_e32 v38, v45, v31
	v_sub_f32_e32 v31, v37, v35
	v_add_f32_e32 v31, v34, v31
	v_add_f32_e32 v34, v36, v38
	v_sub_f32_e32 v37, v35, v34
	v_pk_add_f32 v[40:41], v[34:35], v[36:37] neg_lo:[0,1] neg_hi:[0,1]
	v_mov_b32_e32 v39, v34
	v_pk_add_f32 v[34:35], v[40:41], v[38:39] neg_lo:[0,1] neg_hi:[0,1]
	v_cvt_f32_i32_e32 v36, v42
	v_add_f32_e32 v31, v31, v35
	v_add_f32_e32 v31, v34, v31
	;; [unrolled: 1-line block ×4, first 2 shown]
	v_sub_f32_e32 v35, v34, v46
	v_mul_f32_e32 v31, v44, v31
	v_sub_f32_e32 v35, v45, v35
	v_add_f32_e32 v31, v35, v31
	v_add_f32_e32 v37, v34, v31
	v_mul_f32_e32 v38, v37, v37
	v_mov_b32_e32 v35, 0x3ecc95a3
	v_fmac_f32_e32 v35, 0x3e9b6dac, v38
	v_sub_f32_e32 v34, v37, v34
	v_fmaak_f32 v35, v38, v35, 0x3f2aaada
	v_sub_f32_e32 v31, v31, v34
	v_ldexp_f32 v39, v37, 1
	v_mul_f32_e32 v37, v37, v38
	v_mov_b32_e32 v34, 0x3f317218
	v_pk_mul_f32 v[34:35], v[36:37], v[34:35]
	v_ldexp_f32 v31, v31, 1
	v_fma_f32 v37, v36, s2, -v34
	v_fmamk_f32 v38, v36, 0xb102e308, v37
	v_pk_add_f32 v[36:37], v[34:35], v[38:39]
	v_mov_b32_e32 v40, v34
	v_sub_f32_e32 v39, v37, v39
	v_sub_f32_e32 v39, v35, v39
	v_add_f32_e32 v41, v31, v39
	v_pk_add_f32 v[34:35], v[36:37], v[34:35] neg_lo:[0,1] neg_hi:[0,1]
	v_pk_add_f32 v[42:43], v[36:37], v[40:41]
	v_mov_b32_e32 v39, v36
	v_mov_b32_e32 v35, v43
	v_pk_add_f32 v[44:45], v[38:39], v[34:35] neg_lo:[0,1] neg_hi:[0,1]
	v_pk_add_f32 v[34:35], v[38:39], v[34:35]
	v_mov_b32_e32 v40, v41
	v_mov_b32_e32 v38, v35
	v_pk_add_f32 v[46:47], v[38:39], v[36:37] neg_lo:[0,1] neg_hi:[0,1]
	v_mov_b32_e32 v34, v43
	v_mov_b32_e32 v31, v46
	v_pk_add_f32 v[48:49], v[42:43], v[30:31] neg_lo:[0,1] neg_hi:[0,1]
	v_mov_b32_e32 v42, v37
	v_mov_b32_e32 v43, v46
	;; [unrolled: 1-line block ×3, first 2 shown]
	v_pk_add_f32 v[34:35], v[34:35], v[42:43] neg_lo:[0,1] neg_hi:[0,1]
	v_mov_b32_e32 v41, v36
	v_pk_add_f32 v[34:35], v[40:41], v[34:35] neg_lo:[0,1] neg_hi:[0,1]
	v_mov_b32_e32 v48, v44
	v_pk_add_f32 v[36:37], v[48:49], v[34:35]
	s_mov_b32 s2, 0x33800000
	v_mov_b32_e32 v40, v37
	v_pk_add_f32 v[40:41], v[36:37], v[40:41]
	v_cmp_lt_f32_e64 s[2:3], |v33|, s2
	v_pk_add_f32 v[38:39], v[38:39], v[40:41]
	v_mov_b32_e32 v35, v40
	v_mov_b32_e32 v37, v38
	v_pk_add_f32 v[42:43], v[36:37], v[44:45] neg_lo:[0,1] neg_hi:[0,1]
	s_or_b64 vcc, vcc, s[2:3]
	v_sub_f32_e32 v31, v36, v42
	v_pk_add_f32 v[34:35], v[34:35], v[42:43] neg_lo:[0,1] neg_hi:[0,1]
	v_sub_f32_e32 v31, v44, v31
	v_add_f32_e32 v31, v34, v31
	v_add_f32_e32 v31, v31, v35
	v_add_f32_e32 v31, v38, v31
	v_cndmask_b32_e32 v31, v31, v33, vcc
	v_add_f32_e32 v9, v9, v31
	v_cvt_f16_f32_e32 v34, v9
.LBB418_97:
	s_or_b64 exec, exec, s[98:99]
	v_and_b32_e32 v33, 0xffff, v34
	v_mov_b32_e32 v31, v34
.LBB418_98:
	s_or_b64 exec, exec, s[96:97]
	s_load_dwordx2 s[0:1], s[0:1], 0x18
	v_mul_u32_u24_e32 v9, 46, v0
	v_mov_b32_dpp v34, v33 row_shr:2 row_mask:0xf bank_mask:0xf
	v_cmp_lt_u32_e32 vcc, 1, v32
	s_waitcnt lgkmcnt(0)
	v_writelane_b32 v53, s0, 6
	s_nop 1
	v_writelane_b32 v53, s1, 7
	s_and_saveexec_b64 s[96:97], vcc
	s_cbranch_execz .LBB418_102
; %bb.99:
	v_cvt_f32_f16_e32 v35, v34
	v_cvt_f32_f16_e32 v36, v31
	v_cmp_u_f16_e32 vcc, v34, v34
	v_cmp_u_f16_e64 s[0:1], v31, v31
	v_min_f32_e32 v31, v35, v36
	v_cndmask_b32_e32 v31, v31, v35, vcc
	v_cndmask_b32_e64 v33, v31, v36, s[0:1]
	v_max_f32_e32 v31, v35, v36
	v_cndmask_b32_e32 v31, v31, v35, vcc
	v_cndmask_b32_e64 v31, v31, v36, s[0:1]
	s_movk_i32 s0, 0x1f8
	v_cmp_neq_f32_e32 vcc, v33, v31
	v_cmp_class_f32_e64 s[0:1], v33, s0
	s_or_b64 s[2:3], vcc, s[0:1]
	s_and_saveexec_b64 s[0:1], s[2:3]
	s_cbranch_execz .LBB418_101
; %bb.100:
	v_sub_f32_e32 v33, v33, v31
	s_mov_b32 s2, 0x3fb8aa3b
	v_mul_f32_e32 v34, 0x3fb8aa3b, v33
	v_fma_f32 v35, v33, s2, -v34
	v_rndne_f32_e32 v36, v34
	v_fmamk_f32 v35, v33, 0x32a5705f, v35
	v_sub_f32_e32 v34, v34, v36
	v_add_f32_e32 v34, v34, v35
	v_exp_f32_e32 v34, v34
	v_cvt_i32_f32_e32 v35, v36
	s_mov_b32 s2, 0xc2ce8ed0
	v_cmp_ngt_f32_e32 vcc, s2, v33
	s_mov_b32 s2, 0x42b17218
	v_ldexp_f32 v34, v34, v35
	v_cndmask_b32_e32 v34, 0, v34, vcc
	v_mov_b32_e32 v35, 0x7f800000
	v_cmp_nlt_f32_e32 vcc, s2, v33
	s_mov_b32 s2, 0x3f2aaaab
	s_mov_b32 s3, 0x7f800000
	v_cndmask_b32_e32 v50, v35, v34, vcc
	v_add_f32_e32 v33, 1.0, v50
	v_add_f32_e32 v34, -1.0, v33
	v_sub_f32_e32 v35, v34, v33
	v_add_f32_e32 v35, 1.0, v35
	v_sub_f32_e32 v34, v50, v34
	v_add_f32_e32 v36, v34, v35
	v_frexp_mant_f32_e32 v37, v33
	v_cvt_f64_f32_e32 v[34:35], v33
	v_frexp_exp_i32_f64_e32 v34, v[34:35]
	v_cmp_gt_f32_e32 vcc, s2, v37
	s_mov_b32 s2, 0x3f317218
	s_nop 0
	v_subbrev_co_u32_e32 v42, vcc, 0, v34, vcc
	v_sub_u32_e32 v34, 0, v42
	v_ldexp_f32 v33, v33, v34
	v_ldexp_f32 v34, v36, v34
	v_add_f32_e32 v36, -1.0, v33
	v_add_f32_e32 v35, 1.0, v36
	v_sub_f32_e32 v35, v33, v35
	v_add_f32_e32 v37, v34, v35
	v_add_f32_e32 v35, 1.0, v33
	v_add_f32_e32 v38, -1.0, v35
	v_sub_f32_e32 v33, v33, v38
	v_add_f32_e32 v33, v34, v33
	v_add_f32_e32 v43, v35, v33
	v_rcp_f32_e32 v44, v43
	v_sub_f32_e32 v34, v35, v43
	v_add_f32_e32 v35, v36, v37
	v_add_f32_e32 v33, v33, v34
	v_mul_f32_e32 v46, v35, v44
	v_sub_f32_e32 v34, v36, v35
	v_mul_f32_e32 v36, v43, v46
	v_fma_f32 v38, v46, v43, -v36
	v_fmac_f32_e32 v38, v46, v33
	v_add_f32_e32 v45, v37, v34
	v_add_f32_e32 v34, v36, v38
	v_sub_f32_e32 v37, v35, v34
	v_pk_add_f32 v[40:41], v[34:35], v[36:37] neg_lo:[0,1] neg_hi:[0,1]
	v_mov_b32_e32 v39, v34
	v_pk_add_f32 v[34:35], v[40:41], v[38:39] neg_lo:[0,1] neg_hi:[0,1]
	v_cmp_eq_f32_e32 vcc, s3, v50
	v_add_f32_e32 v35, v45, v35
	v_add_f32_e32 v34, v34, v35
	;; [unrolled: 1-line block ×3, first 2 shown]
	v_mul_f32_e32 v45, v44, v35
	v_mul_f32_e32 v36, v43, v45
	v_fma_f32 v38, v45, v43, -v36
	v_fmac_f32_e32 v38, v45, v33
	v_sub_f32_e32 v33, v37, v35
	v_add_f32_e32 v33, v34, v33
	v_add_f32_e32 v34, v36, v38
	v_sub_f32_e32 v37, v35, v34
	v_pk_add_f32 v[40:41], v[34:35], v[36:37] neg_lo:[0,1] neg_hi:[0,1]
	v_mov_b32_e32 v39, v34
	v_pk_add_f32 v[34:35], v[40:41], v[38:39] neg_lo:[0,1] neg_hi:[0,1]
	v_cvt_f32_i32_e32 v36, v42
	v_add_f32_e32 v33, v33, v35
	v_add_f32_e32 v33, v34, v33
	;; [unrolled: 1-line block ×4, first 2 shown]
	v_sub_f32_e32 v35, v34, v46
	v_mul_f32_e32 v33, v44, v33
	v_sub_f32_e32 v35, v45, v35
	v_add_f32_e32 v33, v35, v33
	v_add_f32_e32 v37, v34, v33
	v_mul_f32_e32 v38, v37, v37
	v_mov_b32_e32 v35, 0x3ecc95a3
	v_fmac_f32_e32 v35, 0x3e9b6dac, v38
	v_sub_f32_e32 v34, v37, v34
	v_fmaak_f32 v35, v38, v35, 0x3f2aaada
	v_sub_f32_e32 v33, v33, v34
	v_ldexp_f32 v39, v37, 1
	v_mul_f32_e32 v37, v37, v38
	v_mov_b32_e32 v34, 0x3f317218
	v_pk_mul_f32 v[34:35], v[36:37], v[34:35]
	v_ldexp_f32 v33, v33, 1
	v_fma_f32 v37, v36, s2, -v34
	v_fmamk_f32 v38, v36, 0xb102e308, v37
	v_pk_add_f32 v[36:37], v[34:35], v[38:39]
	v_mov_b32_e32 v40, v34
	v_sub_f32_e32 v39, v37, v39
	v_sub_f32_e32 v39, v35, v39
	v_add_f32_e32 v41, v33, v39
	v_pk_add_f32 v[34:35], v[36:37], v[34:35] neg_lo:[0,1] neg_hi:[0,1]
	v_pk_add_f32 v[42:43], v[36:37], v[40:41]
	v_mov_b32_e32 v39, v36
	v_mov_b32_e32 v35, v43
	v_pk_add_f32 v[44:45], v[38:39], v[34:35] neg_lo:[0,1] neg_hi:[0,1]
	v_pk_add_f32 v[34:35], v[38:39], v[34:35]
	v_mov_b32_e32 v40, v41
	v_mov_b32_e32 v38, v35
	v_pk_add_f32 v[46:47], v[38:39], v[36:37] neg_lo:[0,1] neg_hi:[0,1]
	v_mov_b32_e32 v34, v43
	v_mov_b32_e32 v33, v46
	v_pk_add_f32 v[48:49], v[42:43], v[32:33] neg_lo:[0,1] neg_hi:[0,1]
	v_mov_b32_e32 v42, v37
	v_mov_b32_e32 v43, v46
	;; [unrolled: 1-line block ×3, first 2 shown]
	v_pk_add_f32 v[34:35], v[34:35], v[42:43] neg_lo:[0,1] neg_hi:[0,1]
	v_mov_b32_e32 v41, v36
	v_pk_add_f32 v[34:35], v[40:41], v[34:35] neg_lo:[0,1] neg_hi:[0,1]
	v_mov_b32_e32 v48, v44
	v_pk_add_f32 v[36:37], v[48:49], v[34:35]
	s_mov_b32 s2, 0x33800000
	v_mov_b32_e32 v40, v37
	v_pk_add_f32 v[40:41], v[36:37], v[40:41]
	v_cmp_lt_f32_e64 s[2:3], |v50|, s2
	v_pk_add_f32 v[38:39], v[38:39], v[40:41]
	v_mov_b32_e32 v35, v40
	v_mov_b32_e32 v37, v38
	v_pk_add_f32 v[42:43], v[36:37], v[44:45] neg_lo:[0,1] neg_hi:[0,1]
	s_or_b64 vcc, vcc, s[2:3]
	v_sub_f32_e32 v33, v36, v42
	v_pk_add_f32 v[34:35], v[34:35], v[42:43] neg_lo:[0,1] neg_hi:[0,1]
	v_sub_f32_e32 v33, v44, v33
	v_add_f32_e32 v33, v34, v33
	v_add_f32_e32 v33, v33, v35
	;; [unrolled: 1-line block ×3, first 2 shown]
	v_cndmask_b32_e32 v33, v33, v50, vcc
	v_add_f32_e32 v31, v31, v33
	v_cvt_f16_f32_e32 v34, v31
.LBB418_101:
	s_or_b64 exec, exec, s[0:1]
	v_and_b32_e32 v33, 0xffff, v34
	v_mov_b32_e32 v31, v34
.LBB418_102:
	s_or_b64 exec, exec, s[96:97]
	v_mov_b32_dpp v34, v33 row_shr:4 row_mask:0xf bank_mask:0xf
	v_cmp_lt_u32_e32 vcc, 3, v32
	s_and_saveexec_b64 s[96:97], vcc
	s_cbranch_execz .LBB418_106
; %bb.103:
	v_cvt_f32_f16_e32 v35, v34
	v_cvt_f32_f16_e32 v36, v31
	v_cmp_u_f16_e32 vcc, v34, v34
	v_cmp_u_f16_e64 s[0:1], v31, v31
	v_min_f32_e32 v31, v35, v36
	v_cndmask_b32_e32 v31, v31, v35, vcc
	v_cndmask_b32_e64 v33, v31, v36, s[0:1]
	v_max_f32_e32 v31, v35, v36
	v_cndmask_b32_e32 v31, v31, v35, vcc
	v_cndmask_b32_e64 v31, v31, v36, s[0:1]
	s_movk_i32 s0, 0x1f8
	v_cmp_neq_f32_e32 vcc, v33, v31
	v_cmp_class_f32_e64 s[0:1], v33, s0
	s_or_b64 s[2:3], vcc, s[0:1]
	s_and_saveexec_b64 s[0:1], s[2:3]
	s_cbranch_execz .LBB418_105
; %bb.104:
	v_sub_f32_e32 v33, v33, v31
	s_mov_b32 s2, 0x3fb8aa3b
	v_mul_f32_e32 v34, 0x3fb8aa3b, v33
	v_fma_f32 v35, v33, s2, -v34
	v_rndne_f32_e32 v36, v34
	v_fmamk_f32 v35, v33, 0x32a5705f, v35
	v_sub_f32_e32 v34, v34, v36
	v_add_f32_e32 v34, v34, v35
	v_exp_f32_e32 v34, v34
	v_cvt_i32_f32_e32 v35, v36
	s_mov_b32 s2, 0xc2ce8ed0
	v_cmp_ngt_f32_e32 vcc, s2, v33
	s_mov_b32 s2, 0x42b17218
	v_ldexp_f32 v34, v34, v35
	v_cndmask_b32_e32 v34, 0, v34, vcc
	v_mov_b32_e32 v35, 0x7f800000
	v_cmp_nlt_f32_e32 vcc, s2, v33
	s_mov_b32 s2, 0x3f2aaaab
	s_mov_b32 s3, 0x7f800000
	v_cndmask_b32_e32 v50, v35, v34, vcc
	v_add_f32_e32 v33, 1.0, v50
	v_add_f32_e32 v34, -1.0, v33
	v_sub_f32_e32 v35, v34, v33
	v_add_f32_e32 v35, 1.0, v35
	v_sub_f32_e32 v34, v50, v34
	v_add_f32_e32 v36, v34, v35
	v_frexp_mant_f32_e32 v37, v33
	v_cvt_f64_f32_e32 v[34:35], v33
	v_frexp_exp_i32_f64_e32 v34, v[34:35]
	v_cmp_gt_f32_e32 vcc, s2, v37
	s_mov_b32 s2, 0x3f317218
	s_nop 0
	v_subbrev_co_u32_e32 v42, vcc, 0, v34, vcc
	v_sub_u32_e32 v34, 0, v42
	v_ldexp_f32 v33, v33, v34
	v_ldexp_f32 v34, v36, v34
	v_add_f32_e32 v36, -1.0, v33
	v_add_f32_e32 v35, 1.0, v36
	v_sub_f32_e32 v35, v33, v35
	v_add_f32_e32 v37, v34, v35
	v_add_f32_e32 v35, 1.0, v33
	v_add_f32_e32 v38, -1.0, v35
	v_sub_f32_e32 v33, v33, v38
	v_add_f32_e32 v33, v34, v33
	v_add_f32_e32 v43, v35, v33
	v_rcp_f32_e32 v44, v43
	v_sub_f32_e32 v34, v35, v43
	v_add_f32_e32 v35, v36, v37
	v_add_f32_e32 v33, v33, v34
	v_mul_f32_e32 v46, v35, v44
	v_sub_f32_e32 v34, v36, v35
	v_mul_f32_e32 v36, v43, v46
	v_fma_f32 v38, v46, v43, -v36
	v_fmac_f32_e32 v38, v46, v33
	v_add_f32_e32 v45, v37, v34
	v_add_f32_e32 v34, v36, v38
	v_sub_f32_e32 v37, v35, v34
	v_pk_add_f32 v[40:41], v[34:35], v[36:37] neg_lo:[0,1] neg_hi:[0,1]
	v_mov_b32_e32 v39, v34
	v_pk_add_f32 v[34:35], v[40:41], v[38:39] neg_lo:[0,1] neg_hi:[0,1]
	v_cmp_eq_f32_e32 vcc, s3, v50
	v_add_f32_e32 v35, v45, v35
	v_add_f32_e32 v34, v34, v35
	;; [unrolled: 1-line block ×3, first 2 shown]
	v_mul_f32_e32 v45, v44, v35
	v_mul_f32_e32 v36, v43, v45
	v_fma_f32 v38, v45, v43, -v36
	v_fmac_f32_e32 v38, v45, v33
	v_sub_f32_e32 v33, v37, v35
	v_add_f32_e32 v33, v34, v33
	v_add_f32_e32 v34, v36, v38
	v_sub_f32_e32 v37, v35, v34
	v_pk_add_f32 v[40:41], v[34:35], v[36:37] neg_lo:[0,1] neg_hi:[0,1]
	v_mov_b32_e32 v39, v34
	v_pk_add_f32 v[34:35], v[40:41], v[38:39] neg_lo:[0,1] neg_hi:[0,1]
	v_cvt_f32_i32_e32 v36, v42
	v_add_f32_e32 v33, v33, v35
	v_add_f32_e32 v33, v34, v33
	;; [unrolled: 1-line block ×4, first 2 shown]
	v_sub_f32_e32 v35, v34, v46
	v_mul_f32_e32 v33, v44, v33
	v_sub_f32_e32 v35, v45, v35
	v_add_f32_e32 v33, v35, v33
	v_add_f32_e32 v37, v34, v33
	v_mul_f32_e32 v38, v37, v37
	v_mov_b32_e32 v35, 0x3ecc95a3
	v_fmac_f32_e32 v35, 0x3e9b6dac, v38
	v_sub_f32_e32 v34, v37, v34
	v_fmaak_f32 v35, v38, v35, 0x3f2aaada
	v_sub_f32_e32 v33, v33, v34
	v_ldexp_f32 v39, v37, 1
	v_mul_f32_e32 v37, v37, v38
	v_mov_b32_e32 v34, 0x3f317218
	v_pk_mul_f32 v[34:35], v[36:37], v[34:35]
	v_ldexp_f32 v33, v33, 1
	v_fma_f32 v37, v36, s2, -v34
	v_fmamk_f32 v38, v36, 0xb102e308, v37
	v_pk_add_f32 v[36:37], v[34:35], v[38:39]
	v_mov_b32_e32 v40, v34
	v_sub_f32_e32 v39, v37, v39
	v_sub_f32_e32 v39, v35, v39
	v_add_f32_e32 v41, v33, v39
	v_pk_add_f32 v[34:35], v[36:37], v[34:35] neg_lo:[0,1] neg_hi:[0,1]
	v_pk_add_f32 v[42:43], v[36:37], v[40:41]
	v_mov_b32_e32 v39, v36
	v_mov_b32_e32 v35, v43
	v_pk_add_f32 v[44:45], v[38:39], v[34:35] neg_lo:[0,1] neg_hi:[0,1]
	v_pk_add_f32 v[34:35], v[38:39], v[34:35]
	v_mov_b32_e32 v40, v41
	v_mov_b32_e32 v38, v35
	v_pk_add_f32 v[46:47], v[38:39], v[36:37] neg_lo:[0,1] neg_hi:[0,1]
	v_mov_b32_e32 v34, v43
	v_mov_b32_e32 v33, v46
	v_pk_add_f32 v[48:49], v[42:43], v[32:33] neg_lo:[0,1] neg_hi:[0,1]
	v_mov_b32_e32 v42, v37
	v_mov_b32_e32 v43, v46
	;; [unrolled: 1-line block ×3, first 2 shown]
	v_pk_add_f32 v[34:35], v[34:35], v[42:43] neg_lo:[0,1] neg_hi:[0,1]
	v_mov_b32_e32 v41, v36
	v_pk_add_f32 v[34:35], v[40:41], v[34:35] neg_lo:[0,1] neg_hi:[0,1]
	v_mov_b32_e32 v48, v44
	v_pk_add_f32 v[36:37], v[48:49], v[34:35]
	s_mov_b32 s2, 0x33800000
	v_mov_b32_e32 v40, v37
	v_pk_add_f32 v[40:41], v[36:37], v[40:41]
	v_cmp_lt_f32_e64 s[2:3], |v50|, s2
	v_pk_add_f32 v[38:39], v[38:39], v[40:41]
	v_mov_b32_e32 v35, v40
	v_mov_b32_e32 v37, v38
	v_pk_add_f32 v[42:43], v[36:37], v[44:45] neg_lo:[0,1] neg_hi:[0,1]
	s_or_b64 vcc, vcc, s[2:3]
	v_sub_f32_e32 v33, v36, v42
	v_pk_add_f32 v[34:35], v[34:35], v[42:43] neg_lo:[0,1] neg_hi:[0,1]
	v_sub_f32_e32 v33, v44, v33
	v_add_f32_e32 v33, v34, v33
	v_add_f32_e32 v33, v33, v35
	;; [unrolled: 1-line block ×3, first 2 shown]
	v_cndmask_b32_e32 v33, v33, v50, vcc
	v_add_f32_e32 v31, v31, v33
	v_cvt_f16_f32_e32 v34, v31
.LBB418_105:
	s_or_b64 exec, exec, s[0:1]
	v_and_b32_e32 v33, 0xffff, v34
	v_mov_b32_e32 v31, v34
.LBB418_106:
	s_or_b64 exec, exec, s[96:97]
	v_mov_b32_dpp v34, v33 row_shr:8 row_mask:0xf bank_mask:0xf
	v_cmp_lt_u32_e32 vcc, 7, v32
	s_and_saveexec_b64 s[96:97], vcc
	s_cbranch_execz .LBB418_110
; %bb.107:
	v_cvt_f32_f16_e32 v33, v34
	v_cvt_f32_f16_e32 v35, v31
	v_cmp_u_f16_e32 vcc, v34, v34
	v_cmp_u_f16_e64 s[0:1], v31, v31
	v_min_f32_e32 v31, v33, v35
	v_cndmask_b32_e32 v31, v31, v33, vcc
	v_cndmask_b32_e64 v32, v31, v35, s[0:1]
	v_max_f32_e32 v31, v33, v35
	v_cndmask_b32_e32 v31, v31, v33, vcc
	v_cndmask_b32_e64 v31, v31, v35, s[0:1]
	s_movk_i32 s0, 0x1f8
	v_cmp_neq_f32_e32 vcc, v32, v31
	v_cmp_class_f32_e64 s[0:1], v32, s0
	s_or_b64 s[2:3], vcc, s[0:1]
	s_and_saveexec_b64 s[0:1], s[2:3]
	s_cbranch_execz .LBB418_109
; %bb.108:
	v_sub_f32_e32 v32, v32, v31
	s_mov_b32 s2, 0x3fb8aa3b
	v_mul_f32_e32 v33, 0x3fb8aa3b, v32
	v_fma_f32 v34, v32, s2, -v33
	v_rndne_f32_e32 v35, v33
	v_fmamk_f32 v34, v32, 0x32a5705f, v34
	v_sub_f32_e32 v33, v33, v35
	v_add_f32_e32 v33, v33, v34
	v_exp_f32_e32 v33, v33
	v_cvt_i32_f32_e32 v34, v35
	s_mov_b32 s2, 0xc2ce8ed0
	v_cmp_ngt_f32_e32 vcc, s2, v32
	s_mov_b32 s2, 0x42b17218
	v_ldexp_f32 v33, v33, v34
	v_cndmask_b32_e32 v33, 0, v33, vcc
	v_mov_b32_e32 v34, 0x7f800000
	v_cmp_nlt_f32_e32 vcc, s2, v32
	s_mov_b32 s2, 0x3f2aaaab
	s_mov_b32 s3, 0x7f800000
	v_cndmask_b32_e32 v48, v34, v33, vcc
	v_add_f32_e32 v34, 1.0, v48
	v_add_f32_e32 v32, -1.0, v34
	v_sub_f32_e32 v33, v32, v34
	v_add_f32_e32 v33, 1.0, v33
	v_sub_f32_e32 v32, v48, v32
	v_add_f32_e32 v35, v32, v33
	v_frexp_mant_f32_e32 v36, v34
	v_cvt_f64_f32_e32 v[32:33], v34
	v_frexp_exp_i32_f64_e32 v32, v[32:33]
	v_cmp_gt_f32_e32 vcc, s2, v36
	s_mov_b32 s2, 0x3f317218
	s_nop 0
	v_subbrev_co_u32_e32 v40, vcc, 0, v32, vcc
	v_sub_u32_e32 v32, 0, v40
	v_ldexp_f32 v33, v34, v32
	v_add_f32_e32 v34, -1.0, v33
	v_add_f32_e32 v36, 1.0, v33
	v_ldexp_f32 v32, v35, v32
	v_add_f32_e32 v35, 1.0, v34
	v_add_f32_e32 v37, -1.0, v36
	v_sub_f32_e32 v35, v33, v35
	v_sub_f32_e32 v33, v33, v37
	v_add_f32_e32 v35, v32, v35
	v_add_f32_e32 v32, v32, v33
	;; [unrolled: 1-line block ×3, first 2 shown]
	v_rcp_f32_e32 v43, v41
	v_sub_f32_e32 v33, v36, v41
	v_add_f32_e32 v42, v32, v33
	v_add_f32_e32 v33, v34, v35
	v_mul_f32_e32 v45, v33, v43
	v_sub_f32_e32 v32, v34, v33
	v_mul_f32_e32 v34, v41, v45
	v_fma_f32 v36, v45, v41, -v34
	v_fmac_f32_e32 v36, v45, v42
	v_add_f32_e32 v44, v35, v32
	v_add_f32_e32 v32, v34, v36
	v_sub_f32_e32 v35, v33, v32
	v_pk_add_f32 v[38:39], v[32:33], v[34:35] neg_lo:[0,1] neg_hi:[0,1]
	v_mov_b32_e32 v37, v32
	v_pk_add_f32 v[32:33], v[38:39], v[36:37] neg_lo:[0,1] neg_hi:[0,1]
	v_cmp_eq_f32_e32 vcc, s3, v48
	v_add_f32_e32 v33, v44, v33
	v_add_f32_e32 v32, v32, v33
	;; [unrolled: 1-line block ×3, first 2 shown]
	v_mul_f32_e32 v44, v43, v33
	v_mul_f32_e32 v34, v41, v44
	v_fma_f32 v36, v44, v41, -v34
	v_fmac_f32_e32 v36, v44, v42
	v_sub_f32_e32 v35, v35, v33
	v_add_f32_e32 v41, v32, v35
	v_add_f32_e32 v32, v34, v36
	v_sub_f32_e32 v35, v33, v32
	v_pk_add_f32 v[38:39], v[32:33], v[34:35] neg_lo:[0,1] neg_hi:[0,1]
	v_mov_b32_e32 v37, v32
	v_pk_add_f32 v[32:33], v[38:39], v[36:37] neg_lo:[0,1] neg_hi:[0,1]
	v_cvt_f32_i32_e32 v34, v40
	v_add_f32_e32 v33, v41, v33
	v_add_f32_e32 v32, v32, v33
	;; [unrolled: 1-line block ×4, first 2 shown]
	v_sub_f32_e32 v33, v35, v45
	v_mul_f32_e32 v32, v43, v32
	v_sub_f32_e32 v33, v44, v33
	v_add_f32_e32 v32, v33, v32
	v_add_f32_e32 v36, v35, v32
	v_mul_f32_e32 v38, v36, v36
	v_mov_b32_e32 v33, 0x3ecc95a3
	v_sub_f32_e32 v35, v36, v35
	v_fmac_f32_e32 v33, 0x3e9b6dac, v38
	v_sub_f32_e32 v32, v32, v35
	v_fmaak_f32 v33, v38, v33, 0x3f2aaada
	v_ldexp_f32 v39, v32, 1
	v_mul_f32_e32 v35, v36, v38
	v_mov_b32_e32 v32, 0x3f317218
	v_pk_mul_f32 v[32:33], v[34:35], v[32:33]
	v_ldexp_f32 v37, v36, 1
	v_fma_f32 v35, v34, s2, -v32
	v_fmamk_f32 v36, v34, 0xb102e308, v35
	v_pk_add_f32 v[34:35], v[32:33], v[36:37]
	v_mov_b32_e32 v38, v32
	v_sub_f32_e32 v37, v35, v37
	v_sub_f32_e32 v37, v33, v37
	v_add_f32_e32 v39, v39, v37
	v_pk_add_f32 v[32:33], v[34:35], v[32:33] neg_lo:[0,1] neg_hi:[0,1]
	v_pk_add_f32 v[40:41], v[34:35], v[38:39]
	v_mov_b32_e32 v37, v34
	v_mov_b32_e32 v33, v41
	v_pk_add_f32 v[42:43], v[36:37], v[32:33] neg_lo:[0,1] neg_hi:[0,1]
	v_pk_add_f32 v[32:33], v[36:37], v[32:33]
	v_mov_b32_e32 v38, v39
	v_mov_b32_e32 v36, v33
	v_pk_add_f32 v[44:45], v[36:37], v[34:35] neg_lo:[0,1] neg_hi:[0,1]
	v_mov_b32_e32 v32, v41
	v_mov_b32_e32 v37, v44
	v_pk_add_f32 v[46:47], v[40:41], v[36:37] neg_lo:[0,1] neg_hi:[0,1]
	v_mov_b32_e32 v40, v35
	v_mov_b32_e32 v41, v44
	;; [unrolled: 1-line block ×3, first 2 shown]
	v_pk_add_f32 v[32:33], v[32:33], v[40:41] neg_lo:[0,1] neg_hi:[0,1]
	v_mov_b32_e32 v39, v34
	v_pk_add_f32 v[32:33], v[38:39], v[32:33] neg_lo:[0,1] neg_hi:[0,1]
	v_mov_b32_e32 v46, v42
	v_pk_add_f32 v[34:35], v[46:47], v[32:33]
	s_mov_b32 s2, 0x33800000
	v_mov_b32_e32 v38, v35
	v_pk_add_f32 v[38:39], v[34:35], v[38:39]
	v_cmp_lt_f32_e64 s[2:3], |v48|, s2
	v_pk_add_f32 v[36:37], v[36:37], v[38:39]
	v_mov_b32_e32 v33, v38
	v_mov_b32_e32 v35, v36
	v_pk_add_f32 v[40:41], v[34:35], v[42:43] neg_lo:[0,1] neg_hi:[0,1]
	s_or_b64 vcc, vcc, s[2:3]
	v_sub_f32_e32 v34, v34, v40
	v_pk_add_f32 v[32:33], v[32:33], v[40:41] neg_lo:[0,1] neg_hi:[0,1]
	v_sub_f32_e32 v34, v42, v34
	v_add_f32_e32 v32, v32, v34
	v_add_f32_e32 v32, v32, v33
	;; [unrolled: 1-line block ×3, first 2 shown]
	v_cndmask_b32_e32 v32, v32, v48, vcc
	v_add_f32_e32 v31, v31, v32
	v_cvt_f16_f32_e32 v34, v31
.LBB418_109:
	s_or_b64 exec, exec, s[0:1]
	v_and_b32_e32 v33, 0xffff, v34
	v_mov_b32_e32 v31, v34
.LBB418_110:
	s_or_b64 exec, exec, s[96:97]
	v_and_b32_e32 v34, 16, v30
	v_mov_b32_dpp v32, v33 row_bcast:15 row_mask:0xf bank_mask:0xf
	v_cmp_ne_u32_e32 vcc, 0, v34
	s_and_saveexec_b64 s[96:97], vcc
	s_cbranch_execz .LBB418_114
; %bb.111:
	v_cvt_f32_f16_e32 v34, v32
	v_cvt_f32_f16_e32 v35, v31
	v_cmp_u_f16_e32 vcc, v32, v32
	v_cmp_u_f16_e64 s[0:1], v31, v31
	v_min_f32_e32 v31, v34, v35
	v_cndmask_b32_e32 v31, v31, v34, vcc
	v_cndmask_b32_e64 v33, v31, v35, s[0:1]
	v_max_f32_e32 v31, v34, v35
	v_cndmask_b32_e32 v31, v31, v34, vcc
	v_cndmask_b32_e64 v31, v31, v35, s[0:1]
	s_movk_i32 s0, 0x1f8
	v_cmp_neq_f32_e32 vcc, v33, v31
	v_cmp_class_f32_e64 s[0:1], v33, s0
	s_or_b64 s[2:3], vcc, s[0:1]
	s_and_saveexec_b64 s[0:1], s[2:3]
	s_cbranch_execz .LBB418_113
; %bb.112:
	v_sub_f32_e32 v32, v33, v31
	s_mov_b32 s2, 0x3fb8aa3b
	v_mul_f32_e32 v33, 0x3fb8aa3b, v32
	v_fma_f32 v34, v32, s2, -v33
	v_rndne_f32_e32 v35, v33
	v_fmamk_f32 v34, v32, 0x32a5705f, v34
	v_sub_f32_e32 v33, v33, v35
	v_add_f32_e32 v33, v33, v34
	v_exp_f32_e32 v33, v33
	v_cvt_i32_f32_e32 v34, v35
	s_mov_b32 s2, 0xc2ce8ed0
	v_cmp_ngt_f32_e32 vcc, s2, v32
	s_mov_b32 s2, 0x42b17218
	v_ldexp_f32 v33, v33, v34
	v_cndmask_b32_e32 v33, 0, v33, vcc
	v_mov_b32_e32 v34, 0x7f800000
	v_cmp_nlt_f32_e32 vcc, s2, v32
	s_mov_b32 s2, 0x3f2aaaab
	s_mov_b32 s3, 0x7f800000
	v_cndmask_b32_e32 v48, v34, v33, vcc
	v_add_f32_e32 v34, 1.0, v48
	v_add_f32_e32 v32, -1.0, v34
	v_sub_f32_e32 v33, v32, v34
	v_add_f32_e32 v33, 1.0, v33
	v_sub_f32_e32 v32, v48, v32
	v_add_f32_e32 v35, v32, v33
	v_frexp_mant_f32_e32 v36, v34
	v_cvt_f64_f32_e32 v[32:33], v34
	v_frexp_exp_i32_f64_e32 v32, v[32:33]
	v_cmp_gt_f32_e32 vcc, s2, v36
	s_mov_b32 s2, 0x3f317218
	s_nop 0
	v_subbrev_co_u32_e32 v40, vcc, 0, v32, vcc
	v_sub_u32_e32 v32, 0, v40
	v_ldexp_f32 v33, v34, v32
	v_add_f32_e32 v34, -1.0, v33
	v_add_f32_e32 v36, 1.0, v33
	v_ldexp_f32 v32, v35, v32
	v_add_f32_e32 v35, 1.0, v34
	v_add_f32_e32 v37, -1.0, v36
	v_sub_f32_e32 v35, v33, v35
	v_sub_f32_e32 v33, v33, v37
	v_add_f32_e32 v35, v32, v35
	v_add_f32_e32 v32, v32, v33
	;; [unrolled: 1-line block ×3, first 2 shown]
	v_rcp_f32_e32 v43, v41
	v_sub_f32_e32 v33, v36, v41
	v_add_f32_e32 v42, v32, v33
	v_add_f32_e32 v33, v34, v35
	v_mul_f32_e32 v45, v33, v43
	v_sub_f32_e32 v32, v34, v33
	v_mul_f32_e32 v34, v41, v45
	v_fma_f32 v36, v45, v41, -v34
	v_fmac_f32_e32 v36, v45, v42
	v_add_f32_e32 v44, v35, v32
	v_add_f32_e32 v32, v34, v36
	v_sub_f32_e32 v35, v33, v32
	v_pk_add_f32 v[38:39], v[32:33], v[34:35] neg_lo:[0,1] neg_hi:[0,1]
	v_mov_b32_e32 v37, v32
	v_pk_add_f32 v[32:33], v[38:39], v[36:37] neg_lo:[0,1] neg_hi:[0,1]
	v_cmp_eq_f32_e32 vcc, s3, v48
	v_add_f32_e32 v33, v44, v33
	v_add_f32_e32 v32, v32, v33
	;; [unrolled: 1-line block ×3, first 2 shown]
	v_mul_f32_e32 v44, v43, v33
	v_mul_f32_e32 v34, v41, v44
	v_fma_f32 v36, v44, v41, -v34
	v_fmac_f32_e32 v36, v44, v42
	v_sub_f32_e32 v35, v35, v33
	v_add_f32_e32 v41, v32, v35
	v_add_f32_e32 v32, v34, v36
	v_sub_f32_e32 v35, v33, v32
	v_pk_add_f32 v[38:39], v[32:33], v[34:35] neg_lo:[0,1] neg_hi:[0,1]
	v_mov_b32_e32 v37, v32
	v_pk_add_f32 v[32:33], v[38:39], v[36:37] neg_lo:[0,1] neg_hi:[0,1]
	v_cvt_f32_i32_e32 v34, v40
	v_add_f32_e32 v33, v41, v33
	v_add_f32_e32 v32, v32, v33
	;; [unrolled: 1-line block ×4, first 2 shown]
	v_sub_f32_e32 v33, v35, v45
	v_mul_f32_e32 v32, v43, v32
	v_sub_f32_e32 v33, v44, v33
	v_add_f32_e32 v32, v33, v32
	v_add_f32_e32 v36, v35, v32
	v_mul_f32_e32 v38, v36, v36
	v_mov_b32_e32 v33, 0x3ecc95a3
	v_sub_f32_e32 v35, v36, v35
	v_fmac_f32_e32 v33, 0x3e9b6dac, v38
	v_sub_f32_e32 v32, v32, v35
	v_fmaak_f32 v33, v38, v33, 0x3f2aaada
	v_ldexp_f32 v39, v32, 1
	v_mul_f32_e32 v35, v36, v38
	v_mov_b32_e32 v32, 0x3f317218
	v_pk_mul_f32 v[32:33], v[34:35], v[32:33]
	v_ldexp_f32 v37, v36, 1
	v_fma_f32 v35, v34, s2, -v32
	v_fmamk_f32 v36, v34, 0xb102e308, v35
	v_pk_add_f32 v[34:35], v[32:33], v[36:37]
	v_mov_b32_e32 v38, v32
	v_sub_f32_e32 v37, v35, v37
	v_sub_f32_e32 v37, v33, v37
	v_add_f32_e32 v39, v39, v37
	v_pk_add_f32 v[32:33], v[34:35], v[32:33] neg_lo:[0,1] neg_hi:[0,1]
	v_pk_add_f32 v[40:41], v[34:35], v[38:39]
	v_mov_b32_e32 v37, v34
	v_mov_b32_e32 v33, v41
	v_pk_add_f32 v[42:43], v[36:37], v[32:33] neg_lo:[0,1] neg_hi:[0,1]
	v_pk_add_f32 v[32:33], v[36:37], v[32:33]
	v_mov_b32_e32 v38, v39
	v_mov_b32_e32 v36, v33
	v_pk_add_f32 v[44:45], v[36:37], v[34:35] neg_lo:[0,1] neg_hi:[0,1]
	v_mov_b32_e32 v32, v41
	v_mov_b32_e32 v37, v44
	v_pk_add_f32 v[46:47], v[40:41], v[36:37] neg_lo:[0,1] neg_hi:[0,1]
	v_mov_b32_e32 v40, v35
	v_mov_b32_e32 v41, v44
	;; [unrolled: 1-line block ×3, first 2 shown]
	v_pk_add_f32 v[32:33], v[32:33], v[40:41] neg_lo:[0,1] neg_hi:[0,1]
	v_mov_b32_e32 v39, v34
	v_pk_add_f32 v[32:33], v[38:39], v[32:33] neg_lo:[0,1] neg_hi:[0,1]
	v_mov_b32_e32 v46, v42
	v_pk_add_f32 v[34:35], v[46:47], v[32:33]
	s_mov_b32 s2, 0x33800000
	v_mov_b32_e32 v38, v35
	v_pk_add_f32 v[38:39], v[34:35], v[38:39]
	v_cmp_lt_f32_e64 s[2:3], |v48|, s2
	v_pk_add_f32 v[36:37], v[36:37], v[38:39]
	v_mov_b32_e32 v33, v38
	v_mov_b32_e32 v35, v36
	v_pk_add_f32 v[40:41], v[34:35], v[42:43] neg_lo:[0,1] neg_hi:[0,1]
	s_or_b64 vcc, vcc, s[2:3]
	v_sub_f32_e32 v34, v34, v40
	v_pk_add_f32 v[32:33], v[32:33], v[40:41] neg_lo:[0,1] neg_hi:[0,1]
	v_sub_f32_e32 v34, v42, v34
	v_add_f32_e32 v32, v32, v34
	v_add_f32_e32 v32, v32, v33
	;; [unrolled: 1-line block ×3, first 2 shown]
	v_cndmask_b32_e32 v32, v32, v48, vcc
	v_add_f32_e32 v31, v31, v32
	v_cvt_f16_f32_e32 v32, v31
.LBB418_113:
	s_or_b64 exec, exec, s[0:1]
	v_and_b32_e32 v33, 0xffff, v32
	v_mov_b32_e32 v31, v32
.LBB418_114:
	s_or_b64 exec, exec, s[96:97]
	v_mov_b32_dpp v32, v33 row_bcast:31 row_mask:0xf bank_mask:0xf
	v_cmp_lt_u32_e32 vcc, 31, v30
	s_and_saveexec_b64 s[96:97], vcc
	s_cbranch_execz .LBB418_118
; %bb.115:
	v_cvt_f32_f16_e32 v34, v32
	v_cvt_f32_f16_e32 v35, v31
	v_cmp_u_f16_e32 vcc, v32, v32
	v_cmp_u_f16_e64 s[0:1], v31, v31
	v_min_f32_e32 v31, v34, v35
	v_cndmask_b32_e32 v31, v31, v34, vcc
	v_cndmask_b32_e64 v33, v31, v35, s[0:1]
	v_max_f32_e32 v31, v34, v35
	v_cndmask_b32_e32 v31, v31, v34, vcc
	v_cndmask_b32_e64 v31, v31, v35, s[0:1]
	s_movk_i32 s0, 0x1f8
	v_cmp_neq_f32_e32 vcc, v33, v31
	v_cmp_class_f32_e64 s[0:1], v33, s0
	s_or_b64 s[2:3], vcc, s[0:1]
	s_and_saveexec_b64 s[0:1], s[2:3]
	s_cbranch_execz .LBB418_117
; %bb.116:
	v_sub_f32_e32 v32, v33, v31
	s_mov_b32 s2, 0x3fb8aa3b
	v_mul_f32_e32 v33, 0x3fb8aa3b, v32
	v_fma_f32 v34, v32, s2, -v33
	v_rndne_f32_e32 v35, v33
	v_fmamk_f32 v34, v32, 0x32a5705f, v34
	v_sub_f32_e32 v33, v33, v35
	v_add_f32_e32 v33, v33, v34
	v_exp_f32_e32 v33, v33
	v_cvt_i32_f32_e32 v34, v35
	s_mov_b32 s2, 0xc2ce8ed0
	v_cmp_ngt_f32_e32 vcc, s2, v32
	s_mov_b32 s2, 0x42b17218
	v_ldexp_f32 v33, v33, v34
	v_cndmask_b32_e32 v33, 0, v33, vcc
	v_mov_b32_e32 v34, 0x7f800000
	v_cmp_nlt_f32_e32 vcc, s2, v32
	s_mov_b32 s2, 0x3f2aaaab
	s_mov_b32 s3, 0x7f800000
	v_cndmask_b32_e32 v48, v34, v33, vcc
	v_add_f32_e32 v34, 1.0, v48
	v_add_f32_e32 v32, -1.0, v34
	v_sub_f32_e32 v33, v32, v34
	v_add_f32_e32 v33, 1.0, v33
	v_sub_f32_e32 v32, v48, v32
	v_add_f32_e32 v35, v32, v33
	v_frexp_mant_f32_e32 v36, v34
	v_cvt_f64_f32_e32 v[32:33], v34
	v_frexp_exp_i32_f64_e32 v32, v[32:33]
	v_cmp_gt_f32_e32 vcc, s2, v36
	s_mov_b32 s2, 0x3f317218
	s_nop 0
	v_subbrev_co_u32_e32 v40, vcc, 0, v32, vcc
	v_sub_u32_e32 v32, 0, v40
	v_ldexp_f32 v33, v34, v32
	v_add_f32_e32 v34, -1.0, v33
	v_add_f32_e32 v36, 1.0, v33
	v_ldexp_f32 v32, v35, v32
	v_add_f32_e32 v35, 1.0, v34
	v_add_f32_e32 v37, -1.0, v36
	v_sub_f32_e32 v35, v33, v35
	v_sub_f32_e32 v33, v33, v37
	v_add_f32_e32 v35, v32, v35
	v_add_f32_e32 v32, v32, v33
	;; [unrolled: 1-line block ×3, first 2 shown]
	v_rcp_f32_e32 v43, v41
	v_sub_f32_e32 v33, v36, v41
	v_add_f32_e32 v42, v32, v33
	v_add_f32_e32 v33, v34, v35
	v_mul_f32_e32 v45, v33, v43
	v_sub_f32_e32 v32, v34, v33
	v_mul_f32_e32 v34, v41, v45
	v_fma_f32 v36, v45, v41, -v34
	v_fmac_f32_e32 v36, v45, v42
	v_add_f32_e32 v44, v35, v32
	v_add_f32_e32 v32, v34, v36
	v_sub_f32_e32 v35, v33, v32
	v_pk_add_f32 v[38:39], v[32:33], v[34:35] neg_lo:[0,1] neg_hi:[0,1]
	v_mov_b32_e32 v37, v32
	v_pk_add_f32 v[32:33], v[38:39], v[36:37] neg_lo:[0,1] neg_hi:[0,1]
	v_cmp_eq_f32_e32 vcc, s3, v48
	v_add_f32_e32 v33, v44, v33
	v_add_f32_e32 v32, v32, v33
	;; [unrolled: 1-line block ×3, first 2 shown]
	v_mul_f32_e32 v44, v43, v33
	v_mul_f32_e32 v34, v41, v44
	v_fma_f32 v36, v44, v41, -v34
	v_fmac_f32_e32 v36, v44, v42
	v_sub_f32_e32 v35, v35, v33
	v_add_f32_e32 v41, v32, v35
	v_add_f32_e32 v32, v34, v36
	v_sub_f32_e32 v35, v33, v32
	v_pk_add_f32 v[38:39], v[32:33], v[34:35] neg_lo:[0,1] neg_hi:[0,1]
	v_mov_b32_e32 v37, v32
	v_pk_add_f32 v[32:33], v[38:39], v[36:37] neg_lo:[0,1] neg_hi:[0,1]
	v_cvt_f32_i32_e32 v34, v40
	v_add_f32_e32 v33, v41, v33
	v_add_f32_e32 v32, v32, v33
	;; [unrolled: 1-line block ×4, first 2 shown]
	v_sub_f32_e32 v33, v35, v45
	v_mul_f32_e32 v32, v43, v32
	v_sub_f32_e32 v33, v44, v33
	v_add_f32_e32 v32, v33, v32
	v_add_f32_e32 v36, v35, v32
	v_mul_f32_e32 v38, v36, v36
	v_mov_b32_e32 v33, 0x3ecc95a3
	v_sub_f32_e32 v35, v36, v35
	v_fmac_f32_e32 v33, 0x3e9b6dac, v38
	v_sub_f32_e32 v32, v32, v35
	v_fmaak_f32 v33, v38, v33, 0x3f2aaada
	v_ldexp_f32 v39, v32, 1
	v_mul_f32_e32 v35, v36, v38
	v_mov_b32_e32 v32, 0x3f317218
	v_pk_mul_f32 v[32:33], v[34:35], v[32:33]
	v_ldexp_f32 v37, v36, 1
	v_fma_f32 v35, v34, s2, -v32
	v_fmamk_f32 v36, v34, 0xb102e308, v35
	v_pk_add_f32 v[34:35], v[32:33], v[36:37]
	v_mov_b32_e32 v38, v32
	v_sub_f32_e32 v37, v35, v37
	v_sub_f32_e32 v37, v33, v37
	v_add_f32_e32 v39, v39, v37
	v_pk_add_f32 v[32:33], v[34:35], v[32:33] neg_lo:[0,1] neg_hi:[0,1]
	v_pk_add_f32 v[40:41], v[34:35], v[38:39]
	v_mov_b32_e32 v37, v34
	v_mov_b32_e32 v33, v41
	v_pk_add_f32 v[42:43], v[36:37], v[32:33] neg_lo:[0,1] neg_hi:[0,1]
	v_pk_add_f32 v[32:33], v[36:37], v[32:33]
	v_mov_b32_e32 v38, v39
	v_mov_b32_e32 v36, v33
	v_pk_add_f32 v[44:45], v[36:37], v[34:35] neg_lo:[0,1] neg_hi:[0,1]
	v_mov_b32_e32 v32, v41
	v_mov_b32_e32 v37, v44
	v_pk_add_f32 v[46:47], v[40:41], v[36:37] neg_lo:[0,1] neg_hi:[0,1]
	v_mov_b32_e32 v40, v35
	v_mov_b32_e32 v41, v44
	;; [unrolled: 1-line block ×3, first 2 shown]
	v_pk_add_f32 v[32:33], v[32:33], v[40:41] neg_lo:[0,1] neg_hi:[0,1]
	v_mov_b32_e32 v39, v34
	v_pk_add_f32 v[32:33], v[38:39], v[32:33] neg_lo:[0,1] neg_hi:[0,1]
	v_mov_b32_e32 v46, v42
	v_pk_add_f32 v[34:35], v[46:47], v[32:33]
	s_mov_b32 s2, 0x33800000
	v_mov_b32_e32 v38, v35
	v_pk_add_f32 v[38:39], v[34:35], v[38:39]
	v_cmp_lt_f32_e64 s[2:3], |v48|, s2
	v_pk_add_f32 v[36:37], v[36:37], v[38:39]
	v_mov_b32_e32 v33, v38
	v_mov_b32_e32 v35, v36
	v_pk_add_f32 v[40:41], v[34:35], v[42:43] neg_lo:[0,1] neg_hi:[0,1]
	s_or_b64 vcc, vcc, s[2:3]
	v_sub_f32_e32 v34, v34, v40
	v_pk_add_f32 v[32:33], v[32:33], v[40:41] neg_lo:[0,1] neg_hi:[0,1]
	v_sub_f32_e32 v34, v42, v34
	v_add_f32_e32 v32, v32, v34
	v_add_f32_e32 v32, v32, v33
	;; [unrolled: 1-line block ×3, first 2 shown]
	v_cndmask_b32_e32 v32, v32, v48, vcc
	v_add_f32_e32 v31, v31, v32
	v_cvt_f16_f32_e32 v32, v31
.LBB418_117:
	s_or_b64 exec, exec, s[0:1]
	v_mov_b32_e32 v31, v32
.LBB418_118:
	s_or_b64 exec, exec, s[96:97]
	v_or_b32_e32 v33, 63, v0
	v_lshrrev_b32_e32 v32, 6, v0
	v_cmp_eq_u32_e32 vcc, v33, v0
	s_and_saveexec_b64 s[0:1], vcc
	s_cbranch_execz .LBB418_120
; %bb.119:
	v_lshlrev_b32_e32 v33, 1, v32
	ds_write_b16 v33, v31
.LBB418_120:
	s_or_b64 exec, exec, s[0:1]
	v_cmp_gt_u32_e32 vcc, 4, v0
	s_waitcnt lgkmcnt(0)
	s_barrier
	s_and_saveexec_b64 s[98:99], vcc
	s_cbranch_execz .LBB418_130
; %bb.121:
	ds_read_u16 v34, v14
	v_and_b32_e32 v33, 3, v30
	v_cmp_ne_u32_e32 vcc, 0, v33
	s_waitcnt lgkmcnt(0)
	v_and_b32_e32 v36, 0xffff, v34
	s_nop 1
	v_mov_b32_dpp v35, v36 row_shr:1 row_mask:0xf bank_mask:0xf
	s_and_saveexec_b64 s[96:97], vcc
	s_cbranch_execz .LBB418_125
; %bb.122:
	v_cvt_f32_f16_e32 v37, v35
	v_cvt_f32_f16_e32 v38, v34
	v_cmp_u_f16_e32 vcc, v35, v35
	v_cmp_u_f16_e64 s[0:1], v34, v34
	v_min_f32_e32 v34, v37, v38
	v_cndmask_b32_e32 v34, v34, v37, vcc
	v_cndmask_b32_e64 v36, v34, v38, s[0:1]
	v_max_f32_e32 v34, v37, v38
	v_cndmask_b32_e32 v34, v34, v37, vcc
	v_cndmask_b32_e64 v34, v34, v38, s[0:1]
	s_movk_i32 s0, 0x1f8
	v_cmp_neq_f32_e32 vcc, v36, v34
	v_cmp_class_f32_e64 s[0:1], v36, s0
	s_or_b64 s[2:3], vcc, s[0:1]
	s_and_saveexec_b64 s[0:1], s[2:3]
	s_cbranch_execz .LBB418_124
; %bb.123:
	v_sub_f32_e32 v35, v36, v34
	s_mov_b32 s2, 0x3fb8aa3b
	v_mul_f32_e32 v36, 0x3fb8aa3b, v35
	v_fma_f32 v37, v35, s2, -v36
	v_rndne_f32_e32 v38, v36
	v_fmamk_f32 v37, v35, 0x32a5705f, v37
	v_sub_f32_e32 v36, v36, v38
	v_add_f32_e32 v36, v36, v37
	v_exp_f32_e32 v36, v36
	v_cvt_i32_f32_e32 v37, v38
	s_mov_b32 s2, 0xc2ce8ed0
	v_cmp_ngt_f32_e32 vcc, s2, v35
	s_mov_b32 s2, 0x42b17218
	v_ldexp_f32 v36, v36, v37
	v_cndmask_b32_e32 v36, 0, v36, vcc
	v_mov_b32_e32 v37, 0x7f800000
	v_cmp_nlt_f32_e32 vcc, s2, v35
	s_mov_b32 s2, 0x3f2aaaab
	s_mov_b32 s3, 0x7f800000
	v_cndmask_b32_e32 v52, v37, v36, vcc
	v_add_f32_e32 v35, 1.0, v52
	v_add_f32_e32 v36, -1.0, v35
	v_sub_f32_e32 v37, v36, v35
	v_add_f32_e32 v37, 1.0, v37
	v_sub_f32_e32 v36, v52, v36
	v_add_f32_e32 v38, v36, v37
	v_frexp_mant_f32_e32 v39, v35
	v_cvt_f64_f32_e32 v[36:37], v35
	v_frexp_exp_i32_f64_e32 v36, v[36:37]
	v_cmp_gt_f32_e32 vcc, s2, v39
	s_mov_b32 s2, 0x3f317218
	s_nop 0
	v_subbrev_co_u32_e32 v44, vcc, 0, v36, vcc
	v_sub_u32_e32 v36, 0, v44
	v_ldexp_f32 v35, v35, v36
	v_ldexp_f32 v36, v38, v36
	v_add_f32_e32 v38, -1.0, v35
	v_add_f32_e32 v37, 1.0, v38
	v_sub_f32_e32 v37, v35, v37
	v_add_f32_e32 v39, v36, v37
	v_add_f32_e32 v37, 1.0, v35
	v_add_f32_e32 v40, -1.0, v37
	v_sub_f32_e32 v35, v35, v40
	v_add_f32_e32 v35, v36, v35
	v_add_f32_e32 v45, v37, v35
	v_rcp_f32_e32 v46, v45
	v_sub_f32_e32 v36, v37, v45
	v_add_f32_e32 v37, v38, v39
	v_add_f32_e32 v35, v35, v36
	v_mul_f32_e32 v48, v37, v46
	v_sub_f32_e32 v36, v38, v37
	v_mul_f32_e32 v38, v45, v48
	v_fma_f32 v40, v48, v45, -v38
	v_fmac_f32_e32 v40, v48, v35
	v_add_f32_e32 v47, v39, v36
	v_add_f32_e32 v36, v38, v40
	v_sub_f32_e32 v39, v37, v36
	v_pk_add_f32 v[42:43], v[36:37], v[38:39] neg_lo:[0,1] neg_hi:[0,1]
	v_mov_b32_e32 v41, v36
	v_pk_add_f32 v[36:37], v[42:43], v[40:41] neg_lo:[0,1] neg_hi:[0,1]
	v_cmp_eq_f32_e32 vcc, s3, v52
	v_add_f32_e32 v37, v47, v37
	v_add_f32_e32 v36, v36, v37
	;; [unrolled: 1-line block ×3, first 2 shown]
	v_mul_f32_e32 v47, v46, v37
	v_mul_f32_e32 v38, v45, v47
	v_fma_f32 v40, v47, v45, -v38
	v_fmac_f32_e32 v40, v47, v35
	v_sub_f32_e32 v35, v39, v37
	v_add_f32_e32 v35, v36, v35
	v_add_f32_e32 v36, v38, v40
	v_sub_f32_e32 v39, v37, v36
	v_pk_add_f32 v[42:43], v[36:37], v[38:39] neg_lo:[0,1] neg_hi:[0,1]
	v_mov_b32_e32 v41, v36
	v_pk_add_f32 v[36:37], v[42:43], v[40:41] neg_lo:[0,1] neg_hi:[0,1]
	v_cvt_f32_i32_e32 v38, v44
	v_add_f32_e32 v35, v35, v37
	v_add_f32_e32 v35, v36, v35
	;; [unrolled: 1-line block ×4, first 2 shown]
	v_sub_f32_e32 v37, v36, v48
	v_mul_f32_e32 v35, v46, v35
	v_sub_f32_e32 v37, v47, v37
	v_add_f32_e32 v35, v37, v35
	v_add_f32_e32 v39, v36, v35
	v_mul_f32_e32 v40, v39, v39
	v_mov_b32_e32 v37, 0x3ecc95a3
	v_fmac_f32_e32 v37, 0x3e9b6dac, v40
	v_sub_f32_e32 v36, v39, v36
	v_fmaak_f32 v37, v40, v37, 0x3f2aaada
	v_sub_f32_e32 v35, v35, v36
	v_ldexp_f32 v41, v39, 1
	v_mul_f32_e32 v39, v39, v40
	v_mov_b32_e32 v36, 0x3f317218
	v_pk_mul_f32 v[36:37], v[38:39], v[36:37]
	v_ldexp_f32 v35, v35, 1
	v_fma_f32 v39, v38, s2, -v36
	v_fmamk_f32 v40, v38, 0xb102e308, v39
	v_pk_add_f32 v[38:39], v[36:37], v[40:41]
	v_mov_b32_e32 v42, v36
	v_sub_f32_e32 v41, v39, v41
	v_sub_f32_e32 v41, v37, v41
	v_add_f32_e32 v43, v35, v41
	v_pk_add_f32 v[36:37], v[38:39], v[36:37] neg_lo:[0,1] neg_hi:[0,1]
	v_pk_add_f32 v[44:45], v[38:39], v[42:43]
	v_mov_b32_e32 v41, v38
	v_mov_b32_e32 v37, v45
	v_pk_add_f32 v[46:47], v[40:41], v[36:37] neg_lo:[0,1] neg_hi:[0,1]
	v_pk_add_f32 v[36:37], v[40:41], v[36:37]
	v_mov_b32_e32 v42, v43
	v_mov_b32_e32 v40, v37
	v_pk_add_f32 v[48:49], v[40:41], v[38:39] neg_lo:[0,1] neg_hi:[0,1]
	v_mov_b32_e32 v36, v45
	v_mov_b32_e32 v35, v48
	v_pk_add_f32 v[50:51], v[44:45], v[34:35] neg_lo:[0,1] neg_hi:[0,1]
	v_mov_b32_e32 v44, v39
	v_mov_b32_e32 v45, v48
	v_mov_b32_e32 v47, v37
	v_pk_add_f32 v[36:37], v[36:37], v[44:45] neg_lo:[0,1] neg_hi:[0,1]
	v_mov_b32_e32 v43, v38
	v_pk_add_f32 v[36:37], v[42:43], v[36:37] neg_lo:[0,1] neg_hi:[0,1]
	v_mov_b32_e32 v50, v46
	v_pk_add_f32 v[38:39], v[50:51], v[36:37]
	s_mov_b32 s2, 0x33800000
	v_mov_b32_e32 v42, v39
	v_pk_add_f32 v[42:43], v[38:39], v[42:43]
	v_cmp_lt_f32_e64 s[2:3], |v52|, s2
	v_pk_add_f32 v[40:41], v[40:41], v[42:43]
	v_mov_b32_e32 v37, v42
	v_mov_b32_e32 v39, v40
	v_pk_add_f32 v[44:45], v[38:39], v[46:47] neg_lo:[0,1] neg_hi:[0,1]
	s_or_b64 vcc, vcc, s[2:3]
	v_sub_f32_e32 v35, v38, v44
	v_pk_add_f32 v[36:37], v[36:37], v[44:45] neg_lo:[0,1] neg_hi:[0,1]
	v_sub_f32_e32 v35, v46, v35
	v_add_f32_e32 v35, v36, v35
	v_add_f32_e32 v35, v35, v37
	;; [unrolled: 1-line block ×3, first 2 shown]
	v_cndmask_b32_e32 v35, v35, v52, vcc
	v_add_f32_e32 v34, v34, v35
	v_cvt_f16_f32_e32 v35, v34
.LBB418_124:
	s_or_b64 exec, exec, s[0:1]
	v_and_b32_e32 v36, 0xffff, v35
	v_mov_b32_e32 v34, v35
.LBB418_125:
	s_or_b64 exec, exec, s[96:97]
	v_mov_b32_dpp v35, v36 row_shr:2 row_mask:0xf bank_mask:0xf
	v_cmp_lt_u32_e32 vcc, 1, v33
	s_and_saveexec_b64 s[96:97], vcc
	s_cbranch_execz .LBB418_129
; %bb.126:
	v_cvt_f32_f16_e32 v33, v35
	v_cvt_f32_f16_e32 v36, v34
	v_cmp_u_f16_e32 vcc, v35, v35
	v_cmp_u_f16_e64 s[0:1], v34, v34
	v_min_f32_e32 v34, v33, v36
	v_max_f32_e32 v37, v33, v36
	v_cndmask_b32_e32 v34, v34, v33, vcc
	v_cndmask_b32_e32 v33, v37, v33, vcc
	v_cndmask_b32_e64 v34, v34, v36, s[0:1]
	v_cndmask_b32_e64 v33, v33, v36, s[0:1]
	s_movk_i32 s0, 0x1f8
	v_cmp_neq_f32_e32 vcc, v34, v33
	v_cmp_class_f32_e64 s[0:1], v34, s0
	s_or_b64 s[2:3], vcc, s[0:1]
	s_and_saveexec_b64 s[0:1], s[2:3]
	s_cbranch_execz .LBB418_128
; %bb.127:
	v_sub_f32_e32 v34, v34, v33
	s_mov_b32 s2, 0x3fb8aa3b
	v_mul_f32_e32 v35, 0x3fb8aa3b, v34
	v_fma_f32 v36, v34, s2, -v35
	v_rndne_f32_e32 v37, v35
	v_fmamk_f32 v36, v34, 0x32a5705f, v36
	v_sub_f32_e32 v35, v35, v37
	v_add_f32_e32 v35, v35, v36
	v_exp_f32_e32 v35, v35
	v_cvt_i32_f32_e32 v36, v37
	s_mov_b32 s2, 0xc2ce8ed0
	v_cmp_ngt_f32_e32 vcc, s2, v34
	s_mov_b32 s2, 0x42b17218
	v_ldexp_f32 v35, v35, v36
	v_cndmask_b32_e32 v35, 0, v35, vcc
	v_mov_b32_e32 v36, 0x7f800000
	v_cmp_nlt_f32_e32 vcc, s2, v34
	s_mov_b32 s2, 0x3f2aaaab
	s_mov_b32 s3, 0x7f800000
	v_cndmask_b32_e32 v50, v36, v35, vcc
	v_add_f32_e32 v36, 1.0, v50
	v_add_f32_e32 v34, -1.0, v36
	v_sub_f32_e32 v35, v34, v36
	v_add_f32_e32 v35, 1.0, v35
	v_sub_f32_e32 v34, v50, v34
	v_add_f32_e32 v37, v34, v35
	v_frexp_mant_f32_e32 v38, v36
	v_cvt_f64_f32_e32 v[34:35], v36
	v_frexp_exp_i32_f64_e32 v34, v[34:35]
	v_cmp_gt_f32_e32 vcc, s2, v38
	s_mov_b32 s2, 0x3f317218
	s_nop 0
	v_subbrev_co_u32_e32 v42, vcc, 0, v34, vcc
	v_sub_u32_e32 v34, 0, v42
	v_ldexp_f32 v35, v36, v34
	v_add_f32_e32 v36, -1.0, v35
	v_add_f32_e32 v38, 1.0, v35
	v_ldexp_f32 v34, v37, v34
	v_add_f32_e32 v37, 1.0, v36
	v_add_f32_e32 v39, -1.0, v38
	v_sub_f32_e32 v37, v35, v37
	v_sub_f32_e32 v35, v35, v39
	v_add_f32_e32 v37, v34, v37
	v_add_f32_e32 v34, v34, v35
	;; [unrolled: 1-line block ×3, first 2 shown]
	v_rcp_f32_e32 v45, v43
	v_sub_f32_e32 v35, v38, v43
	v_add_f32_e32 v44, v34, v35
	v_add_f32_e32 v35, v36, v37
	v_mul_f32_e32 v47, v35, v45
	v_sub_f32_e32 v34, v36, v35
	v_mul_f32_e32 v36, v43, v47
	v_fma_f32 v38, v47, v43, -v36
	v_fmac_f32_e32 v38, v47, v44
	v_add_f32_e32 v46, v37, v34
	v_add_f32_e32 v34, v36, v38
	v_sub_f32_e32 v37, v35, v34
	v_pk_add_f32 v[40:41], v[34:35], v[36:37] neg_lo:[0,1] neg_hi:[0,1]
	v_mov_b32_e32 v39, v34
	v_pk_add_f32 v[34:35], v[40:41], v[38:39] neg_lo:[0,1] neg_hi:[0,1]
	v_cmp_eq_f32_e32 vcc, s3, v50
	v_add_f32_e32 v35, v46, v35
	v_add_f32_e32 v34, v34, v35
	;; [unrolled: 1-line block ×3, first 2 shown]
	v_mul_f32_e32 v46, v45, v35
	v_mul_f32_e32 v36, v43, v46
	v_fma_f32 v38, v46, v43, -v36
	v_fmac_f32_e32 v38, v46, v44
	v_sub_f32_e32 v37, v37, v35
	v_add_f32_e32 v43, v34, v37
	v_add_f32_e32 v34, v36, v38
	v_sub_f32_e32 v37, v35, v34
	v_pk_add_f32 v[40:41], v[34:35], v[36:37] neg_lo:[0,1] neg_hi:[0,1]
	v_mov_b32_e32 v39, v34
	v_pk_add_f32 v[34:35], v[40:41], v[38:39] neg_lo:[0,1] neg_hi:[0,1]
	v_cvt_f32_i32_e32 v36, v42
	v_add_f32_e32 v35, v43, v35
	v_add_f32_e32 v34, v34, v35
	;; [unrolled: 1-line block ×4, first 2 shown]
	v_sub_f32_e32 v35, v37, v47
	v_mul_f32_e32 v34, v45, v34
	v_sub_f32_e32 v35, v46, v35
	v_add_f32_e32 v34, v35, v34
	v_add_f32_e32 v38, v37, v34
	v_mul_f32_e32 v40, v38, v38
	v_mov_b32_e32 v35, 0x3ecc95a3
	v_sub_f32_e32 v37, v38, v37
	v_fmac_f32_e32 v35, 0x3e9b6dac, v40
	v_sub_f32_e32 v34, v34, v37
	v_fmaak_f32 v35, v40, v35, 0x3f2aaada
	v_ldexp_f32 v41, v34, 1
	v_mul_f32_e32 v37, v38, v40
	v_mov_b32_e32 v34, 0x3f317218
	v_pk_mul_f32 v[34:35], v[36:37], v[34:35]
	v_ldexp_f32 v39, v38, 1
	v_fma_f32 v37, v36, s2, -v34
	v_fmamk_f32 v38, v36, 0xb102e308, v37
	v_pk_add_f32 v[36:37], v[34:35], v[38:39]
	v_mov_b32_e32 v40, v34
	v_sub_f32_e32 v39, v37, v39
	v_sub_f32_e32 v39, v35, v39
	v_add_f32_e32 v41, v41, v39
	v_pk_add_f32 v[34:35], v[36:37], v[34:35] neg_lo:[0,1] neg_hi:[0,1]
	v_pk_add_f32 v[42:43], v[36:37], v[40:41]
	v_mov_b32_e32 v39, v36
	v_mov_b32_e32 v35, v43
	v_pk_add_f32 v[44:45], v[38:39], v[34:35] neg_lo:[0,1] neg_hi:[0,1]
	v_pk_add_f32 v[34:35], v[38:39], v[34:35]
	v_mov_b32_e32 v40, v41
	v_mov_b32_e32 v38, v35
	v_pk_add_f32 v[46:47], v[38:39], v[36:37] neg_lo:[0,1] neg_hi:[0,1]
	v_mov_b32_e32 v34, v43
	v_mov_b32_e32 v39, v46
	v_pk_add_f32 v[48:49], v[42:43], v[38:39] neg_lo:[0,1] neg_hi:[0,1]
	v_mov_b32_e32 v42, v37
	v_mov_b32_e32 v43, v46
	;; [unrolled: 1-line block ×3, first 2 shown]
	v_pk_add_f32 v[34:35], v[34:35], v[42:43] neg_lo:[0,1] neg_hi:[0,1]
	v_mov_b32_e32 v41, v36
	v_pk_add_f32 v[34:35], v[40:41], v[34:35] neg_lo:[0,1] neg_hi:[0,1]
	v_mov_b32_e32 v48, v44
	v_pk_add_f32 v[36:37], v[48:49], v[34:35]
	s_mov_b32 s2, 0x33800000
	v_mov_b32_e32 v40, v37
	v_pk_add_f32 v[40:41], v[36:37], v[40:41]
	v_cmp_lt_f32_e64 s[2:3], |v50|, s2
	v_pk_add_f32 v[38:39], v[38:39], v[40:41]
	v_mov_b32_e32 v35, v40
	v_mov_b32_e32 v37, v38
	v_pk_add_f32 v[42:43], v[36:37], v[44:45] neg_lo:[0,1] neg_hi:[0,1]
	s_or_b64 vcc, vcc, s[2:3]
	v_sub_f32_e32 v36, v36, v42
	v_pk_add_f32 v[34:35], v[34:35], v[42:43] neg_lo:[0,1] neg_hi:[0,1]
	v_sub_f32_e32 v36, v44, v36
	v_add_f32_e32 v34, v34, v36
	v_add_f32_e32 v34, v34, v35
	;; [unrolled: 1-line block ×3, first 2 shown]
	v_cndmask_b32_e32 v34, v34, v50, vcc
	v_add_f32_e32 v33, v33, v34
	v_cvt_f16_f32_e32 v35, v33
.LBB418_128:
	s_or_b64 exec, exec, s[0:1]
	v_mov_b32_e32 v34, v35
.LBB418_129:
	s_or_b64 exec, exec, s[96:97]
	ds_write_b16 v14, v34
.LBB418_130:
	s_or_b64 exec, exec, s[98:99]
	v_cmp_lt_u32_e32 vcc, 63, v0
	s_waitcnt lgkmcnt(0)
	s_barrier
	s_waitcnt lgkmcnt(0)
                                        ; implicit-def: $vgpr33
	s_and_saveexec_b64 s[98:99], vcc
	s_cbranch_execz .LBB418_134
; %bb.131:
	v_lshl_add_u32 v32, v32, 1, -2
	ds_read_u16 v33, v32
	v_cvt_f32_f16_e32 v32, v31
	v_cmp_u_f16_e32 vcc, v31, v31
	s_movk_i32 s2, 0x1f8
	s_waitcnt lgkmcnt(0)
	v_cvt_f32_f16_e32 v34, v33
	v_cmp_u_f16_e64 s[0:1], v33, v33
	v_min_f32_e32 v31, v34, v32
	v_max_f32_e32 v35, v34, v32
	v_cndmask_b32_e64 v31, v31, v34, s[0:1]
	v_cndmask_b32_e64 v35, v35, v34, s[0:1]
	v_cndmask_b32_e32 v34, v31, v32, vcc
	v_cndmask_b32_e32 v32, v35, v32, vcc
	v_cmp_neq_f32_e32 vcc, v34, v32
	v_cmp_class_f32_e64 s[0:1], v34, s2
	s_or_b64 s[2:3], vcc, s[0:1]
	v_mov_b32_e32 v31, v33
	s_and_saveexec_b64 s[0:1], s[2:3]
	s_cbranch_execz .LBB418_133
; %bb.132:
	v_sub_f32_e32 v31, v34, v32
	s_mov_b32 s2, 0x3fb8aa3b
	v_mul_f32_e32 v34, 0x3fb8aa3b, v31
	v_fma_f32 v35, v31, s2, -v34
	v_rndne_f32_e32 v36, v34
	v_fmamk_f32 v35, v31, 0x32a5705f, v35
	v_sub_f32_e32 v34, v34, v36
	v_add_f32_e32 v34, v34, v35
	v_exp_f32_e32 v34, v34
	v_cvt_i32_f32_e32 v35, v36
	s_mov_b32 s2, 0xc2ce8ed0
	v_cmp_ngt_f32_e32 vcc, s2, v31
	s_mov_b32 s2, 0x42b17218
	v_ldexp_f32 v34, v34, v35
	v_cndmask_b32_e32 v34, 0, v34, vcc
	v_mov_b32_e32 v35, 0x7f800000
	v_cmp_nlt_f32_e32 vcc, s2, v31
	s_mov_b32 s2, 0x3f2aaaab
	s_mov_b32 s3, 0x7f800000
	v_cndmask_b32_e32 v50, v35, v34, vcc
	v_add_f32_e32 v31, 1.0, v50
	v_add_f32_e32 v34, -1.0, v31
	v_sub_f32_e32 v35, v34, v31
	v_add_f32_e32 v35, 1.0, v35
	v_sub_f32_e32 v34, v50, v34
	v_add_f32_e32 v36, v34, v35
	v_frexp_mant_f32_e32 v37, v31
	v_cvt_f64_f32_e32 v[34:35], v31
	v_frexp_exp_i32_f64_e32 v34, v[34:35]
	v_cmp_gt_f32_e32 vcc, s2, v37
	s_mov_b32 s2, 0x3f317218
	s_nop 0
	v_subbrev_co_u32_e32 v42, vcc, 0, v34, vcc
	v_sub_u32_e32 v34, 0, v42
	v_ldexp_f32 v31, v31, v34
	v_ldexp_f32 v34, v36, v34
	v_add_f32_e32 v36, -1.0, v31
	v_add_f32_e32 v35, 1.0, v36
	v_sub_f32_e32 v35, v31, v35
	v_add_f32_e32 v37, v34, v35
	v_add_f32_e32 v35, 1.0, v31
	v_add_f32_e32 v38, -1.0, v35
	v_sub_f32_e32 v31, v31, v38
	v_add_f32_e32 v31, v34, v31
	v_add_f32_e32 v43, v35, v31
	v_rcp_f32_e32 v44, v43
	v_sub_f32_e32 v34, v35, v43
	v_add_f32_e32 v35, v36, v37
	v_add_f32_e32 v31, v31, v34
	v_mul_f32_e32 v46, v35, v44
	v_sub_f32_e32 v34, v36, v35
	v_mul_f32_e32 v36, v43, v46
	v_fma_f32 v38, v46, v43, -v36
	v_fmac_f32_e32 v38, v46, v31
	v_add_f32_e32 v45, v37, v34
	v_add_f32_e32 v34, v36, v38
	v_sub_f32_e32 v37, v35, v34
	v_pk_add_f32 v[40:41], v[34:35], v[36:37] neg_lo:[0,1] neg_hi:[0,1]
	v_mov_b32_e32 v39, v34
	v_pk_add_f32 v[34:35], v[40:41], v[38:39] neg_lo:[0,1] neg_hi:[0,1]
	v_cmp_eq_f32_e32 vcc, s3, v50
	v_add_f32_e32 v35, v45, v35
	v_add_f32_e32 v34, v34, v35
	v_add_f32_e32 v35, v37, v34
	v_mul_f32_e32 v45, v44, v35
	v_mul_f32_e32 v36, v43, v45
	v_fma_f32 v38, v45, v43, -v36
	v_fmac_f32_e32 v38, v45, v31
	v_sub_f32_e32 v31, v37, v35
	v_add_f32_e32 v31, v34, v31
	v_add_f32_e32 v34, v36, v38
	v_sub_f32_e32 v37, v35, v34
	v_pk_add_f32 v[40:41], v[34:35], v[36:37] neg_lo:[0,1] neg_hi:[0,1]
	v_mov_b32_e32 v39, v34
	v_pk_add_f32 v[34:35], v[40:41], v[38:39] neg_lo:[0,1] neg_hi:[0,1]
	v_cvt_f32_i32_e32 v36, v42
	v_add_f32_e32 v31, v31, v35
	v_add_f32_e32 v31, v34, v31
	;; [unrolled: 1-line block ×4, first 2 shown]
	v_sub_f32_e32 v35, v34, v46
	v_mul_f32_e32 v31, v44, v31
	v_sub_f32_e32 v35, v45, v35
	v_add_f32_e32 v31, v35, v31
	v_add_f32_e32 v37, v34, v31
	v_mul_f32_e32 v38, v37, v37
	v_mov_b32_e32 v35, 0x3ecc95a3
	v_fmac_f32_e32 v35, 0x3e9b6dac, v38
	v_sub_f32_e32 v34, v37, v34
	v_fmaak_f32 v35, v38, v35, 0x3f2aaada
	v_sub_f32_e32 v31, v31, v34
	v_ldexp_f32 v39, v37, 1
	v_mul_f32_e32 v37, v37, v38
	v_mov_b32_e32 v34, 0x3f317218
	v_pk_mul_f32 v[34:35], v[36:37], v[34:35]
	v_ldexp_f32 v31, v31, 1
	v_fma_f32 v37, v36, s2, -v34
	v_fmamk_f32 v38, v36, 0xb102e308, v37
	v_pk_add_f32 v[36:37], v[34:35], v[38:39]
	v_mov_b32_e32 v40, v34
	v_sub_f32_e32 v39, v37, v39
	v_sub_f32_e32 v39, v35, v39
	v_add_f32_e32 v41, v31, v39
	v_pk_add_f32 v[34:35], v[36:37], v[34:35] neg_lo:[0,1] neg_hi:[0,1]
	v_pk_add_f32 v[42:43], v[36:37], v[40:41]
	v_mov_b32_e32 v39, v36
	v_mov_b32_e32 v35, v43
	v_pk_add_f32 v[44:45], v[38:39], v[34:35] neg_lo:[0,1] neg_hi:[0,1]
	v_pk_add_f32 v[34:35], v[38:39], v[34:35]
	v_mov_b32_e32 v40, v41
	v_mov_b32_e32 v38, v35
	v_pk_add_f32 v[46:47], v[38:39], v[36:37] neg_lo:[0,1] neg_hi:[0,1]
	v_mov_b32_e32 v34, v43
	v_mov_b32_e32 v31, v46
	v_pk_add_f32 v[48:49], v[42:43], v[30:31] neg_lo:[0,1] neg_hi:[0,1]
	v_mov_b32_e32 v42, v37
	v_mov_b32_e32 v43, v46
	;; [unrolled: 1-line block ×3, first 2 shown]
	v_pk_add_f32 v[34:35], v[34:35], v[42:43] neg_lo:[0,1] neg_hi:[0,1]
	v_mov_b32_e32 v41, v36
	v_pk_add_f32 v[34:35], v[40:41], v[34:35] neg_lo:[0,1] neg_hi:[0,1]
	v_mov_b32_e32 v48, v44
	v_pk_add_f32 v[36:37], v[48:49], v[34:35]
	s_mov_b32 s2, 0x33800000
	v_mov_b32_e32 v40, v37
	v_pk_add_f32 v[40:41], v[36:37], v[40:41]
	v_cmp_lt_f32_e64 s[2:3], |v50|, s2
	v_pk_add_f32 v[38:39], v[38:39], v[40:41]
	v_mov_b32_e32 v35, v40
	v_mov_b32_e32 v37, v38
	v_pk_add_f32 v[42:43], v[36:37], v[44:45] neg_lo:[0,1] neg_hi:[0,1]
	s_or_b64 vcc, vcc, s[2:3]
	v_sub_f32_e32 v31, v36, v42
	v_pk_add_f32 v[34:35], v[34:35], v[42:43] neg_lo:[0,1] neg_hi:[0,1]
	v_sub_f32_e32 v31, v44, v31
	v_add_f32_e32 v31, v34, v31
	v_add_f32_e32 v31, v31, v35
	;; [unrolled: 1-line block ×3, first 2 shown]
	v_cndmask_b32_e32 v31, v31, v50, vcc
	v_add_f32_e32 v31, v32, v31
	v_cvt_f16_f32_e32 v31, v31
.LBB418_133:
	s_or_b64 exec, exec, s[0:1]
.LBB418_134:
	s_or_b64 exec, exec, s[98:99]
	v_add_u32_e32 v32, -1, v30
	v_and_b32_e32 v34, 64, v30
	v_cmp_lt_i32_e32 vcc, v32, v34
	v_and_b32_e32 v31, 0xffff, v31
	s_nop 0
	v_cndmask_b32_e32 v32, v32, v30, vcc
	v_lshlrev_b32_e32 v32, 2, v32
	ds_bpermute_b32 v32, v32, v31
	v_cmp_ne_u32_e32 vcc, 0, v0
	v_mov_b32_e32 v31, v2
	s_and_saveexec_b64 s[0:1], vcc
	s_cbranch_execz .LBB418_138
; %bb.135:
	v_cmp_eq_u32_e32 vcc, 0, v30
	v_max_f32_e32 v0, v1, v1
	s_movk_i32 s2, 0x1f8
	s_waitcnt lgkmcnt(0)
	v_cndmask_b32_e32 v2, v32, v33, vcc
	v_cvt_f32_f16_e32 v30, v2
	v_cmp_u_f16_e32 vcc, v2, v2
	v_min_f32_e32 v28, v30, v0
	v_max_f32_e32 v0, v30, v0
	v_cndmask_b32_e32 v28, v28, v30, vcc
	v_cndmask_b32_e32 v0, v0, v30, vcc
	v_cndmask_b32_e64 v28, v28, v1, s[94:95]
	v_cndmask_b32_e64 v0, v0, v1, s[94:95]
	v_cmp_neq_f32_e32 vcc, v28, v0
	v_cmp_class_f32_e64 s[2:3], v28, s2
	s_or_b64 s[2:3], vcc, s[2:3]
	s_and_saveexec_b64 s[94:95], s[2:3]
	s_cbranch_execz .LBB418_137
; %bb.136:
	v_sub_f32_e32 v1, v28, v0
	s_mov_b32 s2, 0x3fb8aa3b
	v_mul_f32_e32 v2, 0x3fb8aa3b, v1
	v_fma_f32 v28, v1, s2, -v2
	v_rndne_f32_e32 v29, v2
	v_fmamk_f32 v28, v1, 0x32a5705f, v28
	v_sub_f32_e32 v2, v2, v29
	v_add_f32_e32 v2, v2, v28
	v_exp_f32_e32 v2, v2
	v_cvt_i32_f32_e32 v28, v29
	s_mov_b32 s2, 0xc2ce8ed0
	v_cmp_ngt_f32_e32 vcc, s2, v1
	s_mov_b32 s2, 0x42b17218
	v_ldexp_f32 v2, v2, v28
	v_cndmask_b32_e32 v2, 0, v2, vcc
	v_mov_b32_e32 v28, 0x7f800000
	v_cmp_nlt_f32_e32 vcc, s2, v1
	s_mov_b32 s2, 0x3f2aaaab
	s_mov_b32 s3, 0x7f800000
	v_cndmask_b32_e32 v42, v28, v2, vcc
	v_add_f32_e32 v1, 1.0, v42
	v_add_f32_e32 v2, -1.0, v1
	v_sub_f32_e32 v28, v2, v1
	v_add_f32_e32 v28, 1.0, v28
	v_sub_f32_e32 v2, v42, v2
	v_add_f32_e32 v2, v2, v28
	v_frexp_mant_f32_e32 v30, v1
	v_cvt_f64_f32_e32 v[28:29], v1
	v_frexp_exp_i32_f64_e32 v28, v[28:29]
	v_cmp_gt_f32_e32 vcc, s2, v30
	s_mov_b32 s2, 0x3f317218
	s_nop 0
	v_subbrev_co_u32_e32 v36, vcc, 0, v28, vcc
	v_sub_u32_e32 v28, 0, v36
	v_ldexp_f32 v1, v1, v28
	v_ldexp_f32 v2, v2, v28
	v_add_f32_e32 v28, -1.0, v1
	v_add_f32_e32 v29, 1.0, v28
	v_sub_f32_e32 v29, v1, v29
	v_add_f32_e32 v30, v2, v29
	v_add_f32_e32 v29, 1.0, v1
	v_add_f32_e32 v31, -1.0, v29
	v_sub_f32_e32 v1, v1, v31
	v_add_f32_e32 v1, v2, v1
	v_add_f32_e32 v2, v29, v1
	v_rcp_f32_e32 v37, v2
	v_sub_f32_e32 v29, v29, v2
	v_add_f32_e32 v1, v1, v29
	v_add_f32_e32 v29, v28, v30
	v_sub_f32_e32 v28, v28, v29
	v_mul_f32_e32 v39, v29, v37
	v_add_f32_e32 v38, v30, v28
	v_mul_f32_e32 v30, v2, v39
	v_fma_f32 v32, v39, v2, -v30
	v_fmac_f32_e32 v32, v39, v1
	v_add_f32_e32 v28, v30, v32
	v_sub_f32_e32 v31, v29, v28
	v_pk_add_f32 v[34:35], v[28:29], v[30:31] neg_lo:[0,1] neg_hi:[0,1]
	v_mov_b32_e32 v33, v28
	v_pk_add_f32 v[28:29], v[34:35], v[32:33] neg_lo:[0,1] neg_hi:[0,1]
	v_cmp_eq_f32_e32 vcc, s3, v42
	v_add_f32_e32 v29, v38, v29
	v_add_f32_e32 v28, v28, v29
	;; [unrolled: 1-line block ×3, first 2 shown]
	v_mul_f32_e32 v38, v37, v29
	v_mul_f32_e32 v30, v2, v38
	v_fma_f32 v32, v38, v2, -v30
	v_fmac_f32_e32 v32, v38, v1
	v_sub_f32_e32 v1, v31, v29
	v_add_f32_e32 v1, v28, v1
	v_add_f32_e32 v28, v30, v32
	v_sub_f32_e32 v31, v29, v28
	v_pk_add_f32 v[34:35], v[28:29], v[30:31] neg_lo:[0,1] neg_hi:[0,1]
	v_mov_b32_e32 v33, v28
	v_pk_add_f32 v[28:29], v[34:35], v[32:33] neg_lo:[0,1] neg_hi:[0,1]
	v_add_f32_e32 v2, v39, v38
	v_add_f32_e32 v1, v1, v29
	;; [unrolled: 1-line block ×4, first 2 shown]
	v_sub_f32_e32 v28, v2, v39
	v_mul_f32_e32 v1, v37, v1
	v_sub_f32_e32 v28, v38, v28
	v_add_f32_e32 v1, v28, v1
	v_add_f32_e32 v28, v2, v1
	v_cvt_f32_i32_e32 v30, v36
	v_mul_f32_e32 v31, v28, v28
	v_mov_b32_e32 v29, 0x3ecc95a3
	v_fmac_f32_e32 v29, 0x3e9b6dac, v31
	v_fmaak_f32 v29, v31, v29, 0x3f2aaada
	v_sub_f32_e32 v2, v28, v2
	v_ldexp_f32 v33, v28, 1
	v_mul_f32_e32 v31, v28, v31
	v_mov_b32_e32 v28, 0x3f317218
	v_pk_mul_f32 v[28:29], v[30:31], v[28:29]
	v_sub_f32_e32 v1, v1, v2
	v_fma_f32 v2, v30, s2, -v28
	v_fmamk_f32 v32, v30, 0xb102e308, v2
	v_pk_add_f32 v[30:31], v[28:29], v[32:33]
	v_ldexp_f32 v1, v1, 1
	v_sub_f32_e32 v2, v31, v33
	v_sub_f32_e32 v2, v29, v2
	v_add_f32_e32 v35, v1, v2
	v_mov_b32_e32 v34, v28
	v_pk_add_f32 v[28:29], v[30:31], v[28:29] neg_lo:[0,1] neg_hi:[0,1]
	v_pk_add_f32 v[36:37], v[30:31], v[34:35]
	v_mov_b32_e32 v33, v30
	v_mov_b32_e32 v29, v37
	v_pk_add_f32 v[38:39], v[32:33], v[28:29] neg_lo:[0,1] neg_hi:[0,1]
	v_pk_add_f32 v[28:29], v[32:33], v[28:29]
	s_mov_b32 s2, 0x33800000
	v_mov_b32_e32 v2, v29
	v_pk_add_f32 v[32:33], v[2:3], v[30:31] neg_lo:[0,1] neg_hi:[0,1]
	v_mov_b32_e32 v28, v37
	v_mov_b32_e32 v1, v32
	v_pk_add_f32 v[40:41], v[36:37], v[0:1] neg_lo:[0,1] neg_hi:[0,1]
	v_mov_b32_e32 v36, v31
	v_mov_b32_e32 v37, v32
	;; [unrolled: 1-line block ×3, first 2 shown]
	v_pk_add_f32 v[28:29], v[28:29], v[36:37] neg_lo:[0,1] neg_hi:[0,1]
	v_mov_b32_e32 v32, v35
	v_mov_b32_e32 v33, v30
	v_pk_add_f32 v[28:29], v[32:33], v[28:29] neg_lo:[0,1] neg_hi:[0,1]
	v_mov_b32_e32 v40, v38
	v_pk_add_f32 v[30:31], v[40:41], v[28:29]
	v_cmp_lt_f32_e64 s[2:3], |v42|, s2
	v_mov_b32_e32 v32, v31
	v_pk_add_f32 v[32:33], v[30:31], v[32:33]
	s_or_b64 vcc, vcc, s[2:3]
	v_pk_add_f32 v[34:35], v[2:3], v[32:33]
	v_mov_b32_e32 v29, v32
	v_mov_b32_e32 v31, v34
	v_pk_add_f32 v[36:37], v[30:31], v[38:39] neg_lo:[0,1] neg_hi:[0,1]
	s_nop 0
	v_sub_f32_e32 v1, v30, v36
	v_pk_add_f32 v[28:29], v[28:29], v[36:37] neg_lo:[0,1] neg_hi:[0,1]
	v_sub_f32_e32 v1, v38, v1
	v_add_f32_e32 v1, v28, v1
	v_add_f32_e32 v1, v1, v29
	;; [unrolled: 1-line block ×3, first 2 shown]
	v_cndmask_b32_e32 v1, v1, v42, vcc
	v_add_f32_e32 v0, v0, v1
	v_cvt_f16_f32_e32 v2, v0
	v_cvt_f32_f16_e32 v30, v2
.LBB418_137:
	s_or_b64 exec, exec, s[94:95]
	v_max_f32_e32 v0, v15, v15
	v_max_f32_e32 v1, v30, v30
	v_min_f32_e32 v28, v1, v0
	v_max_f32_e32 v29, v1, v0
	v_mov_b32_e32 v31, v2
	v_mov_b32_e32 v1, v30
	;;#ASMSTART
	;;#ASMEND
.LBB418_138:
	s_or_b64 exec, exec, s[0:1]
	v_cmp_u_f16_e32 vcc, v31, v31
	s_nop 1
	v_cndmask_b32_e32 v0, v28, v1, vcc
	v_cndmask_b32_e64 v28, v0, v15, s[48:49]
	v_cndmask_b32_e32 v0, v29, v1, vcc
	v_cndmask_b32_e64 v15, v0, v15, s[48:49]
	v_cmp_neq_f32_e32 vcc, v28, v15
	v_cmp_class_f32_e64 s[0:1], v28, s33
	s_or_b64 s[2:3], vcc, s[0:1]
	v_mov_b32_e32 v0, v2
	s_and_saveexec_b64 s[0:1], s[2:3]
	s_cbranch_execz .LBB418_140
; %bb.139:
	v_sub_f32_e32 v0, v28, v15
	s_mov_b32 s2, 0x3fb8aa3b
	v_mul_f32_e32 v1, 0x3fb8aa3b, v0
	v_fma_f32 v28, v0, s2, -v1
	v_rndne_f32_e32 v29, v1
	v_fmamk_f32 v28, v0, 0x32a5705f, v28
	v_sub_f32_e32 v1, v1, v29
	v_add_f32_e32 v1, v1, v28
	v_exp_f32_e32 v1, v1
	v_cvt_i32_f32_e32 v28, v29
	s_mov_b32 s2, 0xc2ce8ed0
	v_cmp_ngt_f32_e32 vcc, s2, v0
	s_mov_b32 s2, 0x42b17218
	v_ldexp_f32 v1, v1, v28
	v_cndmask_b32_e32 v1, 0, v1, vcc
	v_mov_b32_e32 v28, 0x7f800000
	v_cmp_nlt_f32_e32 vcc, s2, v0
	s_mov_b32 s2, 0x3f2aaaab
	s_mov_b32 s3, 0x7f800000
	v_cndmask_b32_e32 v42, v28, v1, vcc
	v_add_f32_e32 v28, 1.0, v42
	v_add_f32_e32 v0, -1.0, v28
	v_sub_f32_e32 v1, v0, v28
	v_add_f32_e32 v1, 1.0, v1
	v_sub_f32_e32 v0, v42, v0
	v_add_f32_e32 v29, v0, v1
	v_frexp_mant_f32_e32 v30, v28
	v_cvt_f64_f32_e32 v[0:1], v28
	v_frexp_exp_i32_f64_e32 v0, v[0:1]
	v_cmp_gt_f32_e32 vcc, s2, v30
	s_mov_b32 s2, 0x3f317218
	s_nop 0
	v_subbrev_co_u32_e32 v34, vcc, 0, v0, vcc
	v_sub_u32_e32 v0, 0, v34
	v_ldexp_f32 v1, v28, v0
	v_add_f32_e32 v28, -1.0, v1
	v_add_f32_e32 v30, 1.0, v1
	v_ldexp_f32 v0, v29, v0
	v_add_f32_e32 v29, 1.0, v28
	v_add_f32_e32 v31, -1.0, v30
	v_sub_f32_e32 v29, v1, v29
	v_sub_f32_e32 v1, v1, v31
	v_add_f32_e32 v29, v0, v29
	v_add_f32_e32 v0, v0, v1
	;; [unrolled: 1-line block ×3, first 2 shown]
	v_rcp_f32_e32 v37, v35
	v_sub_f32_e32 v1, v30, v35
	v_add_f32_e32 v36, v0, v1
	v_add_f32_e32 v1, v28, v29
	v_mul_f32_e32 v39, v1, v37
	v_sub_f32_e32 v0, v28, v1
	v_mul_f32_e32 v28, v35, v39
	v_fma_f32 v30, v39, v35, -v28
	v_fmac_f32_e32 v30, v39, v36
	v_add_f32_e32 v38, v29, v0
	v_add_f32_e32 v0, v28, v30
	v_sub_f32_e32 v29, v1, v0
	s_waitcnt lgkmcnt(0)
	v_pk_add_f32 v[32:33], v[0:1], v[28:29] neg_lo:[0,1] neg_hi:[0,1]
	v_mov_b32_e32 v31, v0
	v_pk_add_f32 v[0:1], v[32:33], v[30:31] neg_lo:[0,1] neg_hi:[0,1]
	v_cmp_eq_f32_e32 vcc, s3, v42
	v_add_f32_e32 v1, v38, v1
	v_add_f32_e32 v0, v0, v1
	;; [unrolled: 1-line block ×3, first 2 shown]
	v_mul_f32_e32 v38, v37, v1
	v_mul_f32_e32 v28, v35, v38
	v_fma_f32 v30, v38, v35, -v28
	v_fmac_f32_e32 v30, v38, v36
	v_sub_f32_e32 v29, v29, v1
	v_add_f32_e32 v35, v0, v29
	v_add_f32_e32 v0, v28, v30
	v_sub_f32_e32 v29, v1, v0
	v_pk_add_f32 v[32:33], v[0:1], v[28:29] neg_lo:[0,1] neg_hi:[0,1]
	v_mov_b32_e32 v31, v0
	v_pk_add_f32 v[0:1], v[32:33], v[30:31] neg_lo:[0,1] neg_hi:[0,1]
	v_cvt_f32_i32_e32 v28, v34
	v_add_f32_e32 v1, v35, v1
	v_add_f32_e32 v0, v0, v1
	;; [unrolled: 1-line block ×4, first 2 shown]
	v_sub_f32_e32 v1, v29, v39
	v_mul_f32_e32 v0, v37, v0
	v_sub_f32_e32 v1, v38, v1
	v_add_f32_e32 v0, v1, v0
	v_add_f32_e32 v30, v29, v0
	v_mul_f32_e32 v32, v30, v30
	v_mov_b32_e32 v1, 0x3ecc95a3
	v_sub_f32_e32 v29, v30, v29
	v_fmac_f32_e32 v1, 0x3e9b6dac, v32
	v_sub_f32_e32 v0, v0, v29
	v_fmaak_f32 v1, v32, v1, 0x3f2aaada
	v_ldexp_f32 v33, v0, 1
	v_mul_f32_e32 v29, v30, v32
	v_mov_b32_e32 v0, 0x3f317218
	v_pk_mul_f32 v[0:1], v[28:29], v[0:1]
	v_ldexp_f32 v31, v30, 1
	v_fma_f32 v29, v28, s2, -v0
	v_fmamk_f32 v30, v28, 0xb102e308, v29
	v_pk_add_f32 v[28:29], v[0:1], v[30:31]
	v_mov_b32_e32 v32, v0
	v_sub_f32_e32 v31, v29, v31
	v_sub_f32_e32 v31, v1, v31
	v_add_f32_e32 v33, v33, v31
	v_pk_add_f32 v[0:1], v[28:29], v[0:1] neg_lo:[0,1] neg_hi:[0,1]
	v_pk_add_f32 v[34:35], v[28:29], v[32:33]
	v_mov_b32_e32 v31, v28
	v_mov_b32_e32 v1, v35
	v_pk_add_f32 v[36:37], v[30:31], v[0:1] neg_lo:[0,1] neg_hi:[0,1]
	v_pk_add_f32 v[0:1], v[30:31], v[0:1]
	v_mov_b32_e32 v32, v33
	v_mov_b32_e32 v30, v1
	v_pk_add_f32 v[38:39], v[30:31], v[28:29] neg_lo:[0,1] neg_hi:[0,1]
	v_mov_b32_e32 v0, v35
	v_mov_b32_e32 v31, v38
	v_pk_add_f32 v[40:41], v[34:35], v[30:31] neg_lo:[0,1] neg_hi:[0,1]
	v_mov_b32_e32 v34, v29
	v_mov_b32_e32 v35, v38
	;; [unrolled: 1-line block ×3, first 2 shown]
	v_pk_add_f32 v[0:1], v[0:1], v[34:35] neg_lo:[0,1] neg_hi:[0,1]
	v_mov_b32_e32 v33, v28
	v_pk_add_f32 v[0:1], v[32:33], v[0:1] neg_lo:[0,1] neg_hi:[0,1]
	v_mov_b32_e32 v40, v36
	v_pk_add_f32 v[28:29], v[40:41], v[0:1]
	s_mov_b32 s2, 0x33800000
	v_mov_b32_e32 v32, v29
	v_pk_add_f32 v[32:33], v[28:29], v[32:33]
	v_cmp_lt_f32_e64 s[2:3], |v42|, s2
	v_pk_add_f32 v[30:31], v[30:31], v[32:33]
	v_mov_b32_e32 v1, v32
	v_mov_b32_e32 v29, v30
	v_pk_add_f32 v[34:35], v[28:29], v[36:37] neg_lo:[0,1] neg_hi:[0,1]
	s_or_b64 vcc, vcc, s[2:3]
	v_sub_f32_e32 v28, v28, v34
	v_pk_add_f32 v[0:1], v[0:1], v[34:35] neg_lo:[0,1] neg_hi:[0,1]
	v_sub_f32_e32 v28, v36, v28
	v_add_f32_e32 v0, v0, v28
	v_add_f32_e32 v0, v0, v1
	;; [unrolled: 1-line block ×3, first 2 shown]
	v_cndmask_b32_e32 v0, v0, v42, vcc
	v_add_f32_e32 v0, v15, v0
	v_cvt_f16_f32_e32 v31, v0
	v_cvt_f32_f16_e32 v1, v31
	v_mov_b32_e32 v0, v31
.LBB418_140:
	s_or_b64 exec, exec, s[0:1]
	v_max_f32_e32 v15, v16, v16
	v_max_f32_e32 v29, v1, v1
	v_min_f32_e32 v28, v29, v15
	v_cmp_u_f16_e32 vcc, v31, v31
	v_max_f32_e32 v15, v29, v15
	s_nop 0
	v_cndmask_b32_e32 v28, v28, v1, vcc
	v_cndmask_b32_e32 v15, v15, v1, vcc
	v_cndmask_b32_e64 v28, v28, v16, s[50:51]
	v_cndmask_b32_e64 v16, v15, v16, s[50:51]
	v_cmp_neq_f32_e32 vcc, v28, v16
	v_cmp_class_f32_e64 s[0:1], v28, s33
	s_or_b64 s[2:3], vcc, s[0:1]
	v_mov_b32_e32 v15, v0
	s_and_saveexec_b64 s[0:1], s[2:3]
	s_cbranch_execz .LBB418_142
; %bb.141:
	v_sub_f32_e32 v1, v28, v16
	s_mov_b32 s2, 0x3fb8aa3b
	v_mul_f32_e32 v15, 0x3fb8aa3b, v1
	v_fma_f32 v28, v1, s2, -v15
	v_rndne_f32_e32 v29, v15
	v_fmamk_f32 v28, v1, 0x32a5705f, v28
	v_sub_f32_e32 v15, v15, v29
	v_add_f32_e32 v15, v15, v28
	v_exp_f32_e32 v15, v15
	v_cvt_i32_f32_e32 v28, v29
	s_mov_b32 s2, 0xc2ce8ed0
	v_cmp_ngt_f32_e32 vcc, s2, v1
	s_mov_b32 s2, 0x42b17218
	v_ldexp_f32 v15, v15, v28
	v_cndmask_b32_e32 v15, 0, v15, vcc
	v_mov_b32_e32 v28, 0x7f800000
	v_cmp_nlt_f32_e32 vcc, s2, v1
	s_mov_b32 s2, 0x3f2aaaab
	s_mov_b32 s3, 0x7f800000
	v_cndmask_b32_e32 v15, v28, v15, vcc
	v_add_f32_e32 v1, 1.0, v15
	v_add_f32_e32 v28, -1.0, v1
	v_sub_f32_e32 v29, v28, v1
	v_add_f32_e32 v29, 1.0, v29
	v_sub_f32_e32 v28, v15, v28
	v_add_f32_e32 v30, v28, v29
	v_frexp_mant_f32_e32 v31, v1
	v_cvt_f64_f32_e32 v[28:29], v1
	v_frexp_exp_i32_f64_e32 v28, v[28:29]
	v_cmp_gt_f32_e32 vcc, s2, v31
	s_mov_b32 s2, 0x3f317218
	s_nop 0
	v_subbrev_co_u32_e32 v36, vcc, 0, v28, vcc
	v_sub_u32_e32 v28, 0, v36
	v_ldexp_f32 v1, v1, v28
	v_ldexp_f32 v28, v30, v28
	v_add_f32_e32 v30, -1.0, v1
	v_add_f32_e32 v29, 1.0, v30
	v_sub_f32_e32 v29, v1, v29
	v_add_f32_e32 v31, v28, v29
	v_add_f32_e32 v29, 1.0, v1
	s_waitcnt lgkmcnt(0)
	v_add_f32_e32 v32, -1.0, v29
	v_sub_f32_e32 v1, v1, v32
	v_add_f32_e32 v1, v28, v1
	v_add_f32_e32 v37, v29, v1
	v_rcp_f32_e32 v38, v37
	v_sub_f32_e32 v28, v29, v37
	v_add_f32_e32 v29, v30, v31
	v_add_f32_e32 v1, v1, v28
	v_mul_f32_e32 v40, v29, v38
	v_sub_f32_e32 v28, v30, v29
	v_mul_f32_e32 v30, v37, v40
	v_fma_f32 v32, v40, v37, -v30
	v_fmac_f32_e32 v32, v40, v1
	v_add_f32_e32 v39, v31, v28
	v_add_f32_e32 v28, v30, v32
	v_sub_f32_e32 v31, v29, v28
	v_pk_add_f32 v[34:35], v[28:29], v[30:31] neg_lo:[0,1] neg_hi:[0,1]
	v_mov_b32_e32 v33, v28
	v_pk_add_f32 v[28:29], v[34:35], v[32:33] neg_lo:[0,1] neg_hi:[0,1]
	v_cmp_eq_f32_e32 vcc, s3, v15
	v_add_f32_e32 v29, v39, v29
	v_add_f32_e32 v28, v28, v29
	;; [unrolled: 1-line block ×3, first 2 shown]
	v_mul_f32_e32 v39, v38, v29
	v_mul_f32_e32 v30, v37, v39
	v_fma_f32 v32, v39, v37, -v30
	v_fmac_f32_e32 v32, v39, v1
	v_sub_f32_e32 v1, v31, v29
	v_add_f32_e32 v1, v28, v1
	v_add_f32_e32 v28, v30, v32
	v_sub_f32_e32 v31, v29, v28
	v_pk_add_f32 v[34:35], v[28:29], v[30:31] neg_lo:[0,1] neg_hi:[0,1]
	v_mov_b32_e32 v33, v28
	v_pk_add_f32 v[28:29], v[34:35], v[32:33] neg_lo:[0,1] neg_hi:[0,1]
	v_cvt_f32_i32_e32 v30, v36
	v_add_f32_e32 v1, v1, v29
	v_add_f32_e32 v1, v28, v1
	;; [unrolled: 1-line block ×4, first 2 shown]
	v_sub_f32_e32 v29, v28, v40
	v_mul_f32_e32 v1, v38, v1
	v_sub_f32_e32 v29, v39, v29
	v_add_f32_e32 v1, v29, v1
	v_add_f32_e32 v31, v28, v1
	v_mul_f32_e32 v32, v31, v31
	v_mov_b32_e32 v29, 0x3ecc95a3
	v_fmac_f32_e32 v29, 0x3e9b6dac, v32
	v_sub_f32_e32 v28, v31, v28
	v_fmaak_f32 v29, v32, v29, 0x3f2aaada
	v_sub_f32_e32 v1, v1, v28
	v_ldexp_f32 v33, v31, 1
	v_mul_f32_e32 v31, v31, v32
	v_mov_b32_e32 v28, 0x3f317218
	v_pk_mul_f32 v[28:29], v[30:31], v[28:29]
	v_ldexp_f32 v1, v1, 1
	v_fma_f32 v31, v30, s2, -v28
	v_fmamk_f32 v32, v30, 0xb102e308, v31
	v_pk_add_f32 v[30:31], v[28:29], v[32:33]
	v_mov_b32_e32 v34, v28
	v_sub_f32_e32 v33, v31, v33
	v_sub_f32_e32 v33, v29, v33
	v_add_f32_e32 v35, v1, v33
	v_pk_add_f32 v[28:29], v[30:31], v[28:29] neg_lo:[0,1] neg_hi:[0,1]
	v_pk_add_f32 v[36:37], v[30:31], v[34:35]
	v_mov_b32_e32 v33, v30
	v_mov_b32_e32 v29, v37
	v_pk_add_f32 v[38:39], v[32:33], v[28:29] neg_lo:[0,1] neg_hi:[0,1]
	v_pk_add_f32 v[28:29], v[32:33], v[28:29]
	v_mov_b32_e32 v34, v35
	v_mov_b32_e32 v32, v29
	v_pk_add_f32 v[40:41], v[32:33], v[30:31] neg_lo:[0,1] neg_hi:[0,1]
	v_mov_b32_e32 v28, v37
	v_mov_b32_e32 v1, v40
	v_pk_add_f32 v[42:43], v[36:37], v[0:1] neg_lo:[0,1] neg_hi:[0,1]
	v_mov_b32_e32 v36, v31
	v_mov_b32_e32 v37, v40
	;; [unrolled: 1-line block ×3, first 2 shown]
	v_pk_add_f32 v[28:29], v[28:29], v[36:37] neg_lo:[0,1] neg_hi:[0,1]
	v_mov_b32_e32 v35, v30
	v_pk_add_f32 v[28:29], v[34:35], v[28:29] neg_lo:[0,1] neg_hi:[0,1]
	v_mov_b32_e32 v42, v38
	v_pk_add_f32 v[30:31], v[42:43], v[28:29]
	s_mov_b32 s2, 0x33800000
	v_mov_b32_e32 v34, v31
	v_pk_add_f32 v[34:35], v[30:31], v[34:35]
	v_cmp_lt_f32_e64 s[2:3], |v15|, s2
	v_pk_add_f32 v[32:33], v[32:33], v[34:35]
	v_mov_b32_e32 v29, v34
	v_mov_b32_e32 v31, v32
	v_pk_add_f32 v[36:37], v[30:31], v[38:39] neg_lo:[0,1] neg_hi:[0,1]
	s_or_b64 vcc, vcc, s[2:3]
	v_sub_f32_e32 v1, v30, v36
	v_pk_add_f32 v[28:29], v[28:29], v[36:37] neg_lo:[0,1] neg_hi:[0,1]
	v_sub_f32_e32 v1, v38, v1
	v_add_f32_e32 v1, v28, v1
	v_add_f32_e32 v1, v1, v29
	;; [unrolled: 1-line block ×3, first 2 shown]
	v_cndmask_b32_e32 v1, v1, v15, vcc
	v_add_f32_e32 v1, v16, v1
	v_cvt_f16_f32_e32 v31, v1
	v_cvt_f32_f16_e32 v1, v31
	v_mov_b32_e32 v15, v31
.LBB418_142:
	s_or_b64 exec, exec, s[0:1]
	v_max_f32_e32 v16, v17, v17
	v_max_f32_e32 v29, v1, v1
	v_min_f32_e32 v28, v29, v16
	v_cmp_u_f16_e32 vcc, v31, v31
	v_max_f32_e32 v16, v29, v16
	s_nop 0
	v_cndmask_b32_e32 v28, v28, v1, vcc
	v_cndmask_b32_e32 v16, v16, v1, vcc
	v_cndmask_b32_e64 v28, v28, v17, s[52:53]
	v_cndmask_b32_e64 v17, v16, v17, s[52:53]
	v_cmp_neq_f32_e32 vcc, v28, v17
	v_cmp_class_f32_e64 s[0:1], v28, s33
	s_or_b64 s[2:3], vcc, s[0:1]
	v_mov_b32_e32 v16, v15
	s_and_saveexec_b64 s[0:1], s[2:3]
	s_cbranch_execz .LBB418_144
; %bb.143:
	v_sub_f32_e32 v1, v28, v17
	s_mov_b32 s2, 0x3fb8aa3b
	v_mul_f32_e32 v16, 0x3fb8aa3b, v1
	v_fma_f32 v28, v1, s2, -v16
	v_rndne_f32_e32 v29, v16
	v_fmamk_f32 v28, v1, 0x32a5705f, v28
	v_sub_f32_e32 v16, v16, v29
	v_add_f32_e32 v16, v16, v28
	v_exp_f32_e32 v16, v16
	v_cvt_i32_f32_e32 v28, v29
	s_mov_b32 s2, 0xc2ce8ed0
	v_cmp_ngt_f32_e32 vcc, s2, v1
	s_mov_b32 s2, 0x42b17218
	v_ldexp_f32 v16, v16, v28
	v_cndmask_b32_e32 v16, 0, v16, vcc
	v_mov_b32_e32 v28, 0x7f800000
	v_cmp_nlt_f32_e32 vcc, s2, v1
	s_mov_b32 s2, 0x3f2aaaab
	s_mov_b32 s3, 0x7f800000
	v_cndmask_b32_e32 v42, v28, v16, vcc
	v_add_f32_e32 v1, 1.0, v42
	v_add_f32_e32 v16, -1.0, v1
	v_sub_f32_e32 v28, v16, v1
	v_add_f32_e32 v28, 1.0, v28
	v_sub_f32_e32 v16, v42, v16
	v_add_f32_e32 v16, v16, v28
	v_frexp_mant_f32_e32 v30, v1
	v_cvt_f64_f32_e32 v[28:29], v1
	v_frexp_exp_i32_f64_e32 v28, v[28:29]
	v_cmp_gt_f32_e32 vcc, s2, v30
	s_mov_b32 s2, 0x3f317218
	s_nop 0
	v_subbrev_co_u32_e32 v36, vcc, 0, v28, vcc
	v_sub_u32_e32 v28, 0, v36
	v_ldexp_f32 v1, v1, v28
	v_ldexp_f32 v16, v16, v28
	v_add_f32_e32 v28, -1.0, v1
	v_add_f32_e32 v29, 1.0, v28
	v_sub_f32_e32 v29, v1, v29
	v_add_f32_e32 v30, v16, v29
	v_add_f32_e32 v29, 1.0, v1
	v_add_f32_e32 v31, -1.0, v29
	v_sub_f32_e32 v1, v1, v31
	v_add_f32_e32 v1, v16, v1
	v_add_f32_e32 v16, v29, v1
	v_rcp_f32_e32 v37, v16
	v_sub_f32_e32 v29, v29, v16
	v_add_f32_e32 v1, v1, v29
	v_add_f32_e32 v29, v28, v30
	v_sub_f32_e32 v28, v28, v29
	v_mul_f32_e32 v39, v29, v37
	v_add_f32_e32 v38, v30, v28
	v_mul_f32_e32 v30, v16, v39
	s_waitcnt lgkmcnt(0)
	v_fma_f32 v32, v39, v16, -v30
	v_fmac_f32_e32 v32, v39, v1
	v_add_f32_e32 v28, v30, v32
	v_sub_f32_e32 v31, v29, v28
	v_pk_add_f32 v[34:35], v[28:29], v[30:31] neg_lo:[0,1] neg_hi:[0,1]
	v_mov_b32_e32 v33, v28
	v_pk_add_f32 v[28:29], v[34:35], v[32:33] neg_lo:[0,1] neg_hi:[0,1]
	v_cmp_eq_f32_e32 vcc, s3, v42
	v_add_f32_e32 v29, v38, v29
	v_add_f32_e32 v28, v28, v29
	;; [unrolled: 1-line block ×3, first 2 shown]
	v_mul_f32_e32 v38, v37, v29
	v_mul_f32_e32 v30, v16, v38
	v_fma_f32 v32, v38, v16, -v30
	v_fmac_f32_e32 v32, v38, v1
	v_sub_f32_e32 v1, v31, v29
	v_add_f32_e32 v1, v28, v1
	v_add_f32_e32 v28, v30, v32
	v_sub_f32_e32 v31, v29, v28
	v_pk_add_f32 v[34:35], v[28:29], v[30:31] neg_lo:[0,1] neg_hi:[0,1]
	v_mov_b32_e32 v33, v28
	v_pk_add_f32 v[28:29], v[34:35], v[32:33] neg_lo:[0,1] neg_hi:[0,1]
	v_add_f32_e32 v16, v39, v38
	v_add_f32_e32 v1, v1, v29
	;; [unrolled: 1-line block ×4, first 2 shown]
	v_sub_f32_e32 v28, v16, v39
	v_mul_f32_e32 v1, v37, v1
	v_sub_f32_e32 v28, v38, v28
	v_add_f32_e32 v1, v28, v1
	v_add_f32_e32 v28, v16, v1
	v_cvt_f32_i32_e32 v30, v36
	v_mul_f32_e32 v31, v28, v28
	v_mov_b32_e32 v29, 0x3ecc95a3
	v_fmac_f32_e32 v29, 0x3e9b6dac, v31
	v_fmaak_f32 v29, v31, v29, 0x3f2aaada
	v_sub_f32_e32 v16, v28, v16
	v_ldexp_f32 v33, v28, 1
	v_mul_f32_e32 v31, v28, v31
	v_mov_b32_e32 v28, 0x3f317218
	v_pk_mul_f32 v[28:29], v[30:31], v[28:29]
	v_sub_f32_e32 v1, v1, v16
	v_fma_f32 v16, v30, s2, -v28
	v_fmamk_f32 v32, v30, 0xb102e308, v16
	v_pk_add_f32 v[30:31], v[28:29], v[32:33]
	v_ldexp_f32 v1, v1, 1
	v_sub_f32_e32 v16, v31, v33
	v_sub_f32_e32 v16, v29, v16
	v_add_f32_e32 v35, v1, v16
	v_mov_b32_e32 v34, v28
	v_pk_add_f32 v[28:29], v[30:31], v[28:29] neg_lo:[0,1] neg_hi:[0,1]
	v_pk_add_f32 v[36:37], v[30:31], v[34:35]
	v_mov_b32_e32 v33, v30
	v_mov_b32_e32 v29, v37
	v_pk_add_f32 v[38:39], v[32:33], v[28:29] neg_lo:[0,1] neg_hi:[0,1]
	v_pk_add_f32 v[28:29], v[32:33], v[28:29]
	s_mov_b32 s2, 0x33800000
	v_mov_b32_e32 v16, v29
	v_pk_add_f32 v[32:33], v[16:17], v[30:31] neg_lo:[0,1] neg_hi:[0,1]
	v_mov_b32_e32 v28, v37
	v_mov_b32_e32 v1, v32
	v_pk_add_f32 v[40:41], v[36:37], v[0:1] neg_lo:[0,1] neg_hi:[0,1]
	v_mov_b32_e32 v36, v31
	v_mov_b32_e32 v37, v32
	v_mov_b32_e32 v39, v29
	v_pk_add_f32 v[28:29], v[28:29], v[36:37] neg_lo:[0,1] neg_hi:[0,1]
	v_mov_b32_e32 v32, v35
	v_mov_b32_e32 v33, v30
	v_pk_add_f32 v[28:29], v[32:33], v[28:29] neg_lo:[0,1] neg_hi:[0,1]
	v_mov_b32_e32 v40, v38
	v_pk_add_f32 v[30:31], v[40:41], v[28:29]
	v_cmp_lt_f32_e64 s[2:3], |v42|, s2
	v_mov_b32_e32 v32, v31
	v_pk_add_f32 v[32:33], v[30:31], v[32:33]
	s_or_b64 vcc, vcc, s[2:3]
	v_pk_add_f32 v[34:35], v[16:17], v[32:33]
	v_mov_b32_e32 v29, v32
	v_mov_b32_e32 v31, v34
	v_pk_add_f32 v[36:37], v[30:31], v[38:39] neg_lo:[0,1] neg_hi:[0,1]
	s_nop 0
	v_sub_f32_e32 v1, v30, v36
	v_pk_add_f32 v[28:29], v[28:29], v[36:37] neg_lo:[0,1] neg_hi:[0,1]
	v_sub_f32_e32 v1, v38, v1
	v_add_f32_e32 v1, v28, v1
	v_add_f32_e32 v1, v1, v29
	;; [unrolled: 1-line block ×3, first 2 shown]
	v_cndmask_b32_e32 v1, v1, v42, vcc
	v_add_f32_e32 v1, v17, v1
	v_cvt_f16_f32_e32 v31, v1
	v_cvt_f32_f16_e32 v1, v31
	v_mov_b32_e32 v16, v31
.LBB418_144:
	s_or_b64 exec, exec, s[0:1]
	v_max_f32_e32 v17, v3, v3
	v_max_f32_e32 v29, v1, v1
	v_min_f32_e32 v28, v29, v17
	v_cmp_u_f16_e32 vcc, v31, v31
	v_max_f32_e32 v17, v29, v17
	s_nop 0
	v_cndmask_b32_e32 v28, v28, v1, vcc
	v_cndmask_b32_e32 v17, v17, v1, vcc
	v_cndmask_b32_e64 v28, v28, v3, s[54:55]
	v_cndmask_b32_e64 v17, v17, v3, s[54:55]
	v_cmp_neq_f32_e32 vcc, v28, v17
	v_cmp_class_f32_e64 s[0:1], v28, s33
	s_or_b64 s[2:3], vcc, s[0:1]
	v_mov_b32_e32 v3, v16
	s_and_saveexec_b64 s[0:1], s[2:3]
	s_cbranch_execz .LBB418_146
; %bb.145:
	v_sub_f32_e32 v1, v28, v17
	s_mov_b32 s2, 0x3fb8aa3b
	v_mul_f32_e32 v3, 0x3fb8aa3b, v1
	v_fma_f32 v28, v1, s2, -v3
	v_rndne_f32_e32 v29, v3
	v_fmamk_f32 v28, v1, 0x32a5705f, v28
	v_sub_f32_e32 v3, v3, v29
	v_add_f32_e32 v3, v3, v28
	v_exp_f32_e32 v3, v3
	v_cvt_i32_f32_e32 v28, v29
	s_mov_b32 s2, 0xc2ce8ed0
	v_cmp_ngt_f32_e32 vcc, s2, v1
	s_mov_b32 s2, 0x42b17218
	v_ldexp_f32 v3, v3, v28
	v_cndmask_b32_e32 v3, 0, v3, vcc
	v_mov_b32_e32 v28, 0x7f800000
	v_cmp_nlt_f32_e32 vcc, s2, v1
	s_mov_b32 s2, 0x3f2aaaab
	s_mov_b32 s3, 0x7f800000
	v_cndmask_b32_e32 v3, v28, v3, vcc
	v_add_f32_e32 v1, 1.0, v3
	v_add_f32_e32 v28, -1.0, v1
	v_sub_f32_e32 v29, v28, v1
	v_add_f32_e32 v29, 1.0, v29
	v_sub_f32_e32 v28, v3, v28
	v_add_f32_e32 v30, v28, v29
	v_frexp_mant_f32_e32 v31, v1
	v_cvt_f64_f32_e32 v[28:29], v1
	v_frexp_exp_i32_f64_e32 v28, v[28:29]
	v_cmp_gt_f32_e32 vcc, s2, v31
	s_mov_b32 s2, 0x3f317218
	s_nop 0
	v_subbrev_co_u32_e32 v36, vcc, 0, v28, vcc
	v_sub_u32_e32 v28, 0, v36
	v_ldexp_f32 v1, v1, v28
	v_ldexp_f32 v28, v30, v28
	v_add_f32_e32 v30, -1.0, v1
	v_add_f32_e32 v29, 1.0, v30
	v_sub_f32_e32 v29, v1, v29
	v_add_f32_e32 v31, v28, v29
	v_add_f32_e32 v29, 1.0, v1
	s_waitcnt lgkmcnt(0)
	v_add_f32_e32 v32, -1.0, v29
	v_sub_f32_e32 v1, v1, v32
	v_add_f32_e32 v1, v28, v1
	v_add_f32_e32 v37, v29, v1
	v_rcp_f32_e32 v38, v37
	v_sub_f32_e32 v28, v29, v37
	v_add_f32_e32 v29, v30, v31
	v_add_f32_e32 v1, v1, v28
	v_mul_f32_e32 v40, v29, v38
	v_sub_f32_e32 v28, v30, v29
	v_mul_f32_e32 v30, v37, v40
	v_fma_f32 v32, v40, v37, -v30
	v_fmac_f32_e32 v32, v40, v1
	v_add_f32_e32 v39, v31, v28
	v_add_f32_e32 v28, v30, v32
	v_sub_f32_e32 v31, v29, v28
	v_pk_add_f32 v[34:35], v[28:29], v[30:31] neg_lo:[0,1] neg_hi:[0,1]
	v_mov_b32_e32 v33, v28
	v_pk_add_f32 v[28:29], v[34:35], v[32:33] neg_lo:[0,1] neg_hi:[0,1]
	v_cmp_eq_f32_e32 vcc, s3, v3
	v_add_f32_e32 v29, v39, v29
	v_add_f32_e32 v28, v28, v29
	v_add_f32_e32 v29, v31, v28
	v_mul_f32_e32 v39, v38, v29
	v_mul_f32_e32 v30, v37, v39
	v_fma_f32 v32, v39, v37, -v30
	v_fmac_f32_e32 v32, v39, v1
	v_sub_f32_e32 v1, v31, v29
	v_add_f32_e32 v1, v28, v1
	v_add_f32_e32 v28, v30, v32
	v_sub_f32_e32 v31, v29, v28
	v_pk_add_f32 v[34:35], v[28:29], v[30:31] neg_lo:[0,1] neg_hi:[0,1]
	v_mov_b32_e32 v33, v28
	v_pk_add_f32 v[28:29], v[34:35], v[32:33] neg_lo:[0,1] neg_hi:[0,1]
	v_cvt_f32_i32_e32 v30, v36
	v_add_f32_e32 v1, v1, v29
	v_add_f32_e32 v1, v28, v1
	;; [unrolled: 1-line block ×4, first 2 shown]
	v_sub_f32_e32 v29, v28, v40
	v_mul_f32_e32 v1, v38, v1
	v_sub_f32_e32 v29, v39, v29
	v_add_f32_e32 v1, v29, v1
	v_add_f32_e32 v31, v28, v1
	v_mul_f32_e32 v32, v31, v31
	v_mov_b32_e32 v29, 0x3ecc95a3
	v_fmac_f32_e32 v29, 0x3e9b6dac, v32
	v_sub_f32_e32 v28, v31, v28
	v_fmaak_f32 v29, v32, v29, 0x3f2aaada
	v_sub_f32_e32 v1, v1, v28
	v_ldexp_f32 v33, v31, 1
	v_mul_f32_e32 v31, v31, v32
	v_mov_b32_e32 v28, 0x3f317218
	v_pk_mul_f32 v[28:29], v[30:31], v[28:29]
	v_ldexp_f32 v1, v1, 1
	v_fma_f32 v31, v30, s2, -v28
	v_fmamk_f32 v32, v30, 0xb102e308, v31
	v_pk_add_f32 v[30:31], v[28:29], v[32:33]
	v_mov_b32_e32 v34, v28
	v_sub_f32_e32 v33, v31, v33
	v_sub_f32_e32 v33, v29, v33
	v_add_f32_e32 v35, v1, v33
	v_pk_add_f32 v[28:29], v[30:31], v[28:29] neg_lo:[0,1] neg_hi:[0,1]
	v_pk_add_f32 v[36:37], v[30:31], v[34:35]
	v_mov_b32_e32 v33, v30
	v_mov_b32_e32 v29, v37
	v_pk_add_f32 v[38:39], v[32:33], v[28:29] neg_lo:[0,1] neg_hi:[0,1]
	v_pk_add_f32 v[28:29], v[32:33], v[28:29]
	v_mov_b32_e32 v34, v35
	v_mov_b32_e32 v32, v29
	v_pk_add_f32 v[40:41], v[32:33], v[30:31] neg_lo:[0,1] neg_hi:[0,1]
	v_mov_b32_e32 v28, v37
	v_mov_b32_e32 v1, v40
	v_pk_add_f32 v[42:43], v[36:37], v[0:1] neg_lo:[0,1] neg_hi:[0,1]
	v_mov_b32_e32 v36, v31
	v_mov_b32_e32 v37, v40
	;; [unrolled: 1-line block ×3, first 2 shown]
	v_pk_add_f32 v[28:29], v[28:29], v[36:37] neg_lo:[0,1] neg_hi:[0,1]
	v_mov_b32_e32 v35, v30
	v_pk_add_f32 v[28:29], v[34:35], v[28:29] neg_lo:[0,1] neg_hi:[0,1]
	v_mov_b32_e32 v42, v38
	v_pk_add_f32 v[30:31], v[42:43], v[28:29]
	s_mov_b32 s2, 0x33800000
	v_mov_b32_e32 v34, v31
	v_pk_add_f32 v[34:35], v[30:31], v[34:35]
	v_cmp_lt_f32_e64 s[2:3], |v3|, s2
	v_pk_add_f32 v[32:33], v[32:33], v[34:35]
	v_mov_b32_e32 v29, v34
	v_mov_b32_e32 v31, v32
	v_pk_add_f32 v[36:37], v[30:31], v[38:39] neg_lo:[0,1] neg_hi:[0,1]
	s_or_b64 vcc, vcc, s[2:3]
	v_sub_f32_e32 v1, v30, v36
	v_pk_add_f32 v[28:29], v[28:29], v[36:37] neg_lo:[0,1] neg_hi:[0,1]
	v_sub_f32_e32 v1, v38, v1
	v_add_f32_e32 v1, v28, v1
	v_add_f32_e32 v1, v1, v29
	;; [unrolled: 1-line block ×3, first 2 shown]
	v_cndmask_b32_e32 v1, v1, v3, vcc
	v_add_f32_e32 v1, v17, v1
	v_cvt_f16_f32_e32 v31, v1
	v_cvt_f32_f16_e32 v1, v31
	v_mov_b32_e32 v3, v31
.LBB418_146:
	s_or_b64 exec, exec, s[0:1]
	v_max_f32_e32 v17, v18, v18
	v_max_f32_e32 v29, v1, v1
	v_min_f32_e32 v28, v29, v17
	v_cmp_u_f16_e32 vcc, v31, v31
	v_max_f32_e32 v17, v29, v17
	s_nop 0
	v_cndmask_b32_e32 v28, v28, v1, vcc
	v_cndmask_b32_e32 v17, v17, v1, vcc
	v_cndmask_b32_e64 v28, v28, v18, s[56:57]
	v_cndmask_b32_e64 v18, v17, v18, s[56:57]
	v_cmp_neq_f32_e32 vcc, v28, v18
	v_cmp_class_f32_e64 s[0:1], v28, s33
	s_or_b64 s[2:3], vcc, s[0:1]
	v_mov_b32_e32 v17, v3
	s_and_saveexec_b64 s[0:1], s[2:3]
	s_cbranch_execz .LBB418_148
; %bb.147:
	v_sub_f32_e32 v1, v28, v18
	s_mov_b32 s2, 0x3fb8aa3b
	v_mul_f32_e32 v17, 0x3fb8aa3b, v1
	v_fma_f32 v28, v1, s2, -v17
	v_rndne_f32_e32 v29, v17
	v_fmamk_f32 v28, v1, 0x32a5705f, v28
	v_sub_f32_e32 v17, v17, v29
	v_add_f32_e32 v17, v17, v28
	v_exp_f32_e32 v17, v17
	v_cvt_i32_f32_e32 v28, v29
	s_mov_b32 s2, 0xc2ce8ed0
	v_cmp_ngt_f32_e32 vcc, s2, v1
	s_mov_b32 s2, 0x42b17218
	v_ldexp_f32 v17, v17, v28
	v_cndmask_b32_e32 v17, 0, v17, vcc
	v_mov_b32_e32 v28, 0x7f800000
	v_cmp_nlt_f32_e32 vcc, s2, v1
	s_mov_b32 s2, 0x3f2aaaab
	s_mov_b32 s3, 0x7f800000
	v_cndmask_b32_e32 v17, v28, v17, vcc
	v_add_f32_e32 v1, 1.0, v17
	v_add_f32_e32 v28, -1.0, v1
	v_sub_f32_e32 v29, v28, v1
	v_add_f32_e32 v29, 1.0, v29
	v_sub_f32_e32 v28, v17, v28
	v_add_f32_e32 v30, v28, v29
	v_frexp_mant_f32_e32 v31, v1
	v_cvt_f64_f32_e32 v[28:29], v1
	v_frexp_exp_i32_f64_e32 v28, v[28:29]
	v_cmp_gt_f32_e32 vcc, s2, v31
	s_mov_b32 s2, 0x3f317218
	s_nop 0
	v_subbrev_co_u32_e32 v36, vcc, 0, v28, vcc
	v_sub_u32_e32 v28, 0, v36
	v_ldexp_f32 v1, v1, v28
	v_ldexp_f32 v28, v30, v28
	v_add_f32_e32 v30, -1.0, v1
	v_add_f32_e32 v29, 1.0, v30
	v_sub_f32_e32 v29, v1, v29
	v_add_f32_e32 v31, v28, v29
	v_add_f32_e32 v29, 1.0, v1
	s_waitcnt lgkmcnt(0)
	v_add_f32_e32 v32, -1.0, v29
	v_sub_f32_e32 v1, v1, v32
	v_add_f32_e32 v1, v28, v1
	v_add_f32_e32 v37, v29, v1
	v_rcp_f32_e32 v38, v37
	v_sub_f32_e32 v28, v29, v37
	v_add_f32_e32 v29, v30, v31
	v_add_f32_e32 v1, v1, v28
	v_mul_f32_e32 v40, v29, v38
	v_sub_f32_e32 v28, v30, v29
	v_mul_f32_e32 v30, v37, v40
	v_fma_f32 v32, v40, v37, -v30
	v_fmac_f32_e32 v32, v40, v1
	v_add_f32_e32 v39, v31, v28
	v_add_f32_e32 v28, v30, v32
	v_sub_f32_e32 v31, v29, v28
	v_pk_add_f32 v[34:35], v[28:29], v[30:31] neg_lo:[0,1] neg_hi:[0,1]
	v_mov_b32_e32 v33, v28
	v_pk_add_f32 v[28:29], v[34:35], v[32:33] neg_lo:[0,1] neg_hi:[0,1]
	v_cmp_eq_f32_e32 vcc, s3, v17
	v_add_f32_e32 v29, v39, v29
	v_add_f32_e32 v28, v28, v29
	;; [unrolled: 1-line block ×3, first 2 shown]
	v_mul_f32_e32 v39, v38, v29
	v_mul_f32_e32 v30, v37, v39
	v_fma_f32 v32, v39, v37, -v30
	v_fmac_f32_e32 v32, v39, v1
	v_sub_f32_e32 v1, v31, v29
	v_add_f32_e32 v1, v28, v1
	v_add_f32_e32 v28, v30, v32
	v_sub_f32_e32 v31, v29, v28
	v_pk_add_f32 v[34:35], v[28:29], v[30:31] neg_lo:[0,1] neg_hi:[0,1]
	v_mov_b32_e32 v33, v28
	v_pk_add_f32 v[28:29], v[34:35], v[32:33] neg_lo:[0,1] neg_hi:[0,1]
	v_cvt_f32_i32_e32 v30, v36
	v_add_f32_e32 v1, v1, v29
	v_add_f32_e32 v1, v28, v1
	;; [unrolled: 1-line block ×4, first 2 shown]
	v_sub_f32_e32 v29, v28, v40
	v_mul_f32_e32 v1, v38, v1
	v_sub_f32_e32 v29, v39, v29
	v_add_f32_e32 v1, v29, v1
	v_add_f32_e32 v31, v28, v1
	v_mul_f32_e32 v32, v31, v31
	v_mov_b32_e32 v29, 0x3ecc95a3
	v_fmac_f32_e32 v29, 0x3e9b6dac, v32
	v_sub_f32_e32 v28, v31, v28
	v_fmaak_f32 v29, v32, v29, 0x3f2aaada
	v_sub_f32_e32 v1, v1, v28
	v_ldexp_f32 v33, v31, 1
	v_mul_f32_e32 v31, v31, v32
	v_mov_b32_e32 v28, 0x3f317218
	v_pk_mul_f32 v[28:29], v[30:31], v[28:29]
	v_ldexp_f32 v1, v1, 1
	v_fma_f32 v31, v30, s2, -v28
	v_fmamk_f32 v32, v30, 0xb102e308, v31
	v_pk_add_f32 v[30:31], v[28:29], v[32:33]
	v_mov_b32_e32 v34, v28
	v_sub_f32_e32 v33, v31, v33
	v_sub_f32_e32 v33, v29, v33
	v_add_f32_e32 v35, v1, v33
	v_pk_add_f32 v[28:29], v[30:31], v[28:29] neg_lo:[0,1] neg_hi:[0,1]
	v_pk_add_f32 v[36:37], v[30:31], v[34:35]
	v_mov_b32_e32 v33, v30
	v_mov_b32_e32 v29, v37
	v_pk_add_f32 v[38:39], v[32:33], v[28:29] neg_lo:[0,1] neg_hi:[0,1]
	v_pk_add_f32 v[28:29], v[32:33], v[28:29]
	v_mov_b32_e32 v34, v35
	v_mov_b32_e32 v32, v29
	v_pk_add_f32 v[40:41], v[32:33], v[30:31] neg_lo:[0,1] neg_hi:[0,1]
	v_mov_b32_e32 v28, v37
	v_mov_b32_e32 v1, v40
	v_pk_add_f32 v[42:43], v[36:37], v[0:1] neg_lo:[0,1] neg_hi:[0,1]
	v_mov_b32_e32 v36, v31
	v_mov_b32_e32 v37, v40
	;; [unrolled: 1-line block ×3, first 2 shown]
	v_pk_add_f32 v[28:29], v[28:29], v[36:37] neg_lo:[0,1] neg_hi:[0,1]
	v_mov_b32_e32 v35, v30
	v_pk_add_f32 v[28:29], v[34:35], v[28:29] neg_lo:[0,1] neg_hi:[0,1]
	v_mov_b32_e32 v42, v38
	v_pk_add_f32 v[30:31], v[42:43], v[28:29]
	s_mov_b32 s2, 0x33800000
	v_mov_b32_e32 v34, v31
	v_pk_add_f32 v[34:35], v[30:31], v[34:35]
	v_cmp_lt_f32_e64 s[2:3], |v17|, s2
	v_pk_add_f32 v[32:33], v[32:33], v[34:35]
	v_mov_b32_e32 v29, v34
	v_mov_b32_e32 v31, v32
	v_pk_add_f32 v[36:37], v[30:31], v[38:39] neg_lo:[0,1] neg_hi:[0,1]
	s_or_b64 vcc, vcc, s[2:3]
	v_sub_f32_e32 v1, v30, v36
	v_pk_add_f32 v[28:29], v[28:29], v[36:37] neg_lo:[0,1] neg_hi:[0,1]
	v_sub_f32_e32 v1, v38, v1
	v_add_f32_e32 v1, v28, v1
	v_add_f32_e32 v1, v1, v29
	;; [unrolled: 1-line block ×3, first 2 shown]
	v_cndmask_b32_e32 v1, v1, v17, vcc
	v_add_f32_e32 v1, v18, v1
	v_cvt_f16_f32_e32 v31, v1
	v_cvt_f32_f16_e32 v1, v31
	v_mov_b32_e32 v17, v31
.LBB418_148:
	s_or_b64 exec, exec, s[0:1]
	v_max_f32_e32 v18, v4, v4
	v_max_f32_e32 v29, v1, v1
	v_min_f32_e32 v28, v29, v18
	v_cmp_u_f16_e32 vcc, v31, v31
	v_max_f32_e32 v18, v29, v18
	s_nop 0
	v_cndmask_b32_e32 v28, v28, v1, vcc
	v_cndmask_b32_e32 v18, v18, v1, vcc
	v_cndmask_b32_e64 v28, v28, v4, s[58:59]
	v_cndmask_b32_e64 v18, v18, v4, s[58:59]
	v_cmp_neq_f32_e32 vcc, v28, v18
	v_cmp_class_f32_e64 s[0:1], v28, s33
	s_or_b64 s[2:3], vcc, s[0:1]
	v_mov_b32_e32 v4, v17
	s_and_saveexec_b64 s[0:1], s[2:3]
	s_cbranch_execz .LBB418_150
; %bb.149:
	v_sub_f32_e32 v1, v28, v18
	s_mov_b32 s2, 0x3fb8aa3b
	v_mul_f32_e32 v4, 0x3fb8aa3b, v1
	v_fma_f32 v28, v1, s2, -v4
	v_rndne_f32_e32 v29, v4
	v_fmamk_f32 v28, v1, 0x32a5705f, v28
	v_sub_f32_e32 v4, v4, v29
	v_add_f32_e32 v4, v4, v28
	v_exp_f32_e32 v4, v4
	v_cvt_i32_f32_e32 v28, v29
	s_mov_b32 s2, 0xc2ce8ed0
	v_cmp_ngt_f32_e32 vcc, s2, v1
	s_mov_b32 s2, 0x42b17218
	v_ldexp_f32 v4, v4, v28
	v_cndmask_b32_e32 v4, 0, v4, vcc
	v_mov_b32_e32 v28, 0x7f800000
	v_cmp_nlt_f32_e32 vcc, s2, v1
	s_mov_b32 s2, 0x3f2aaaab
	s_mov_b32 s3, 0x7f800000
	v_cndmask_b32_e32 v42, v28, v4, vcc
	v_add_f32_e32 v1, 1.0, v42
	v_add_f32_e32 v4, -1.0, v1
	v_sub_f32_e32 v28, v4, v1
	v_add_f32_e32 v28, 1.0, v28
	v_sub_f32_e32 v4, v42, v4
	v_add_f32_e32 v4, v4, v28
	v_frexp_mant_f32_e32 v30, v1
	v_cvt_f64_f32_e32 v[28:29], v1
	v_frexp_exp_i32_f64_e32 v28, v[28:29]
	v_cmp_gt_f32_e32 vcc, s2, v30
	s_mov_b32 s2, 0x3f317218
	s_nop 0
	v_subbrev_co_u32_e32 v36, vcc, 0, v28, vcc
	v_sub_u32_e32 v28, 0, v36
	v_ldexp_f32 v1, v1, v28
	v_ldexp_f32 v4, v4, v28
	v_add_f32_e32 v28, -1.0, v1
	v_add_f32_e32 v29, 1.0, v28
	v_sub_f32_e32 v29, v1, v29
	v_add_f32_e32 v30, v4, v29
	v_add_f32_e32 v29, 1.0, v1
	v_add_f32_e32 v31, -1.0, v29
	v_sub_f32_e32 v1, v1, v31
	v_add_f32_e32 v1, v4, v1
	v_add_f32_e32 v4, v29, v1
	v_rcp_f32_e32 v37, v4
	v_sub_f32_e32 v29, v29, v4
	v_add_f32_e32 v1, v1, v29
	v_add_f32_e32 v29, v28, v30
	v_sub_f32_e32 v28, v28, v29
	v_mul_f32_e32 v39, v29, v37
	v_add_f32_e32 v38, v30, v28
	v_mul_f32_e32 v30, v4, v39
	s_waitcnt lgkmcnt(0)
	v_fma_f32 v32, v39, v4, -v30
	v_fmac_f32_e32 v32, v39, v1
	v_add_f32_e32 v28, v30, v32
	v_sub_f32_e32 v31, v29, v28
	v_pk_add_f32 v[34:35], v[28:29], v[30:31] neg_lo:[0,1] neg_hi:[0,1]
	v_mov_b32_e32 v33, v28
	v_pk_add_f32 v[28:29], v[34:35], v[32:33] neg_lo:[0,1] neg_hi:[0,1]
	v_cmp_eq_f32_e32 vcc, s3, v42
	v_add_f32_e32 v29, v38, v29
	v_add_f32_e32 v28, v28, v29
	;; [unrolled: 1-line block ×3, first 2 shown]
	v_mul_f32_e32 v38, v37, v29
	v_mul_f32_e32 v30, v4, v38
	v_fma_f32 v32, v38, v4, -v30
	v_fmac_f32_e32 v32, v38, v1
	v_sub_f32_e32 v1, v31, v29
	v_add_f32_e32 v1, v28, v1
	v_add_f32_e32 v28, v30, v32
	v_sub_f32_e32 v31, v29, v28
	v_pk_add_f32 v[34:35], v[28:29], v[30:31] neg_lo:[0,1] neg_hi:[0,1]
	v_mov_b32_e32 v33, v28
	v_pk_add_f32 v[28:29], v[34:35], v[32:33] neg_lo:[0,1] neg_hi:[0,1]
	v_add_f32_e32 v4, v39, v38
	v_add_f32_e32 v1, v1, v29
	v_add_f32_e32 v1, v28, v1
	v_add_f32_e32 v1, v31, v1
	v_sub_f32_e32 v28, v4, v39
	v_mul_f32_e32 v1, v37, v1
	v_sub_f32_e32 v28, v38, v28
	v_add_f32_e32 v1, v28, v1
	v_add_f32_e32 v28, v4, v1
	v_cvt_f32_i32_e32 v30, v36
	v_mul_f32_e32 v31, v28, v28
	v_mov_b32_e32 v29, 0x3ecc95a3
	v_fmac_f32_e32 v29, 0x3e9b6dac, v31
	v_fmaak_f32 v29, v31, v29, 0x3f2aaada
	v_sub_f32_e32 v4, v28, v4
	v_ldexp_f32 v33, v28, 1
	v_mul_f32_e32 v31, v28, v31
	v_mov_b32_e32 v28, 0x3f317218
	v_pk_mul_f32 v[28:29], v[30:31], v[28:29]
	v_sub_f32_e32 v1, v1, v4
	v_fma_f32 v4, v30, s2, -v28
	v_fmamk_f32 v32, v30, 0xb102e308, v4
	v_pk_add_f32 v[30:31], v[28:29], v[32:33]
	v_ldexp_f32 v1, v1, 1
	v_sub_f32_e32 v4, v31, v33
	v_sub_f32_e32 v4, v29, v4
	v_add_f32_e32 v35, v1, v4
	v_mov_b32_e32 v34, v28
	v_pk_add_f32 v[28:29], v[30:31], v[28:29] neg_lo:[0,1] neg_hi:[0,1]
	v_pk_add_f32 v[36:37], v[30:31], v[34:35]
	v_mov_b32_e32 v33, v30
	v_mov_b32_e32 v29, v37
	v_pk_add_f32 v[38:39], v[32:33], v[28:29] neg_lo:[0,1] neg_hi:[0,1]
	v_pk_add_f32 v[28:29], v[32:33], v[28:29]
	s_mov_b32 s2, 0x33800000
	v_mov_b32_e32 v4, v29
	v_pk_add_f32 v[32:33], v[4:5], v[30:31] neg_lo:[0,1] neg_hi:[0,1]
	v_mov_b32_e32 v28, v37
	v_mov_b32_e32 v1, v32
	v_pk_add_f32 v[40:41], v[36:37], v[0:1] neg_lo:[0,1] neg_hi:[0,1]
	v_mov_b32_e32 v36, v31
	v_mov_b32_e32 v37, v32
	v_mov_b32_e32 v39, v29
	v_pk_add_f32 v[28:29], v[28:29], v[36:37] neg_lo:[0,1] neg_hi:[0,1]
	v_mov_b32_e32 v32, v35
	v_mov_b32_e32 v33, v30
	v_pk_add_f32 v[28:29], v[32:33], v[28:29] neg_lo:[0,1] neg_hi:[0,1]
	v_mov_b32_e32 v40, v38
	v_pk_add_f32 v[30:31], v[40:41], v[28:29]
	v_cmp_lt_f32_e64 s[2:3], |v42|, s2
	v_mov_b32_e32 v32, v31
	v_pk_add_f32 v[32:33], v[30:31], v[32:33]
	s_or_b64 vcc, vcc, s[2:3]
	v_pk_add_f32 v[34:35], v[4:5], v[32:33]
	v_mov_b32_e32 v29, v32
	v_mov_b32_e32 v31, v34
	v_pk_add_f32 v[36:37], v[30:31], v[38:39] neg_lo:[0,1] neg_hi:[0,1]
	s_nop 0
	v_sub_f32_e32 v1, v30, v36
	v_pk_add_f32 v[28:29], v[28:29], v[36:37] neg_lo:[0,1] neg_hi:[0,1]
	v_sub_f32_e32 v1, v38, v1
	v_add_f32_e32 v1, v28, v1
	v_add_f32_e32 v1, v1, v29
	;; [unrolled: 1-line block ×3, first 2 shown]
	v_cndmask_b32_e32 v1, v1, v42, vcc
	v_add_f32_e32 v1, v18, v1
	v_cvt_f16_f32_e32 v31, v1
	v_cvt_f32_f16_e32 v1, v31
	v_mov_b32_e32 v4, v31
.LBB418_150:
	s_or_b64 exec, exec, s[0:1]
	v_max_f32_e32 v18, v19, v19
	v_max_f32_e32 v29, v1, v1
	v_min_f32_e32 v28, v29, v18
	v_cmp_u_f16_e32 vcc, v31, v31
	v_max_f32_e32 v18, v29, v18
	s_nop 0
	v_cndmask_b32_e32 v28, v28, v1, vcc
	v_cndmask_b32_e32 v18, v18, v1, vcc
	v_cndmask_b32_e64 v28, v28, v19, s[60:61]
	v_cndmask_b32_e64 v19, v18, v19, s[60:61]
	v_cmp_neq_f32_e32 vcc, v28, v19
	v_cmp_class_f32_e64 s[0:1], v28, s33
	s_or_b64 s[2:3], vcc, s[0:1]
	v_mov_b32_e32 v18, v4
	s_and_saveexec_b64 s[0:1], s[2:3]
	s_cbranch_execz .LBB418_152
; %bb.151:
	v_sub_f32_e32 v1, v28, v19
	s_mov_b32 s2, 0x3fb8aa3b
	v_mul_f32_e32 v18, 0x3fb8aa3b, v1
	v_fma_f32 v28, v1, s2, -v18
	v_rndne_f32_e32 v29, v18
	v_fmamk_f32 v28, v1, 0x32a5705f, v28
	v_sub_f32_e32 v18, v18, v29
	v_add_f32_e32 v18, v18, v28
	v_exp_f32_e32 v18, v18
	v_cvt_i32_f32_e32 v28, v29
	s_mov_b32 s2, 0xc2ce8ed0
	v_cmp_ngt_f32_e32 vcc, s2, v1
	s_mov_b32 s2, 0x42b17218
	v_ldexp_f32 v18, v18, v28
	v_cndmask_b32_e32 v18, 0, v18, vcc
	v_mov_b32_e32 v28, 0x7f800000
	v_cmp_nlt_f32_e32 vcc, s2, v1
	s_mov_b32 s2, 0x3f2aaaab
	s_mov_b32 s3, 0x7f800000
	v_cndmask_b32_e32 v42, v28, v18, vcc
	v_add_f32_e32 v1, 1.0, v42
	v_add_f32_e32 v18, -1.0, v1
	v_sub_f32_e32 v28, v18, v1
	v_add_f32_e32 v28, 1.0, v28
	v_sub_f32_e32 v18, v42, v18
	v_add_f32_e32 v18, v18, v28
	v_frexp_mant_f32_e32 v30, v1
	v_cvt_f64_f32_e32 v[28:29], v1
	v_frexp_exp_i32_f64_e32 v28, v[28:29]
	v_cmp_gt_f32_e32 vcc, s2, v30
	s_mov_b32 s2, 0x3f317218
	s_nop 0
	v_subbrev_co_u32_e32 v36, vcc, 0, v28, vcc
	v_sub_u32_e32 v28, 0, v36
	v_ldexp_f32 v1, v1, v28
	v_ldexp_f32 v18, v18, v28
	v_add_f32_e32 v28, -1.0, v1
	v_add_f32_e32 v29, 1.0, v28
	v_sub_f32_e32 v29, v1, v29
	v_add_f32_e32 v30, v18, v29
	v_add_f32_e32 v29, 1.0, v1
	v_add_f32_e32 v31, -1.0, v29
	v_sub_f32_e32 v1, v1, v31
	v_add_f32_e32 v1, v18, v1
	v_add_f32_e32 v18, v29, v1
	v_rcp_f32_e32 v37, v18
	v_sub_f32_e32 v29, v29, v18
	v_add_f32_e32 v1, v1, v29
	v_add_f32_e32 v29, v28, v30
	v_sub_f32_e32 v28, v28, v29
	v_mul_f32_e32 v39, v29, v37
	v_add_f32_e32 v38, v30, v28
	v_mul_f32_e32 v30, v18, v39
	s_waitcnt lgkmcnt(0)
	v_fma_f32 v32, v39, v18, -v30
	v_fmac_f32_e32 v32, v39, v1
	v_add_f32_e32 v28, v30, v32
	v_sub_f32_e32 v31, v29, v28
	v_pk_add_f32 v[34:35], v[28:29], v[30:31] neg_lo:[0,1] neg_hi:[0,1]
	v_mov_b32_e32 v33, v28
	v_pk_add_f32 v[28:29], v[34:35], v[32:33] neg_lo:[0,1] neg_hi:[0,1]
	v_cmp_eq_f32_e32 vcc, s3, v42
	v_add_f32_e32 v29, v38, v29
	v_add_f32_e32 v28, v28, v29
	;; [unrolled: 1-line block ×3, first 2 shown]
	v_mul_f32_e32 v38, v37, v29
	v_mul_f32_e32 v30, v18, v38
	v_fma_f32 v32, v38, v18, -v30
	v_fmac_f32_e32 v32, v38, v1
	v_sub_f32_e32 v1, v31, v29
	v_add_f32_e32 v1, v28, v1
	v_add_f32_e32 v28, v30, v32
	v_sub_f32_e32 v31, v29, v28
	v_pk_add_f32 v[34:35], v[28:29], v[30:31] neg_lo:[0,1] neg_hi:[0,1]
	v_mov_b32_e32 v33, v28
	v_pk_add_f32 v[28:29], v[34:35], v[32:33] neg_lo:[0,1] neg_hi:[0,1]
	v_add_f32_e32 v18, v39, v38
	v_add_f32_e32 v1, v1, v29
	v_add_f32_e32 v1, v28, v1
	v_add_f32_e32 v1, v31, v1
	v_sub_f32_e32 v28, v18, v39
	v_mul_f32_e32 v1, v37, v1
	v_sub_f32_e32 v28, v38, v28
	v_add_f32_e32 v1, v28, v1
	v_add_f32_e32 v28, v18, v1
	v_cvt_f32_i32_e32 v30, v36
	v_mul_f32_e32 v31, v28, v28
	v_mov_b32_e32 v29, 0x3ecc95a3
	v_fmac_f32_e32 v29, 0x3e9b6dac, v31
	v_fmaak_f32 v29, v31, v29, 0x3f2aaada
	v_sub_f32_e32 v18, v28, v18
	v_ldexp_f32 v33, v28, 1
	v_mul_f32_e32 v31, v28, v31
	v_mov_b32_e32 v28, 0x3f317218
	v_pk_mul_f32 v[28:29], v[30:31], v[28:29]
	v_sub_f32_e32 v1, v1, v18
	v_fma_f32 v18, v30, s2, -v28
	v_fmamk_f32 v32, v30, 0xb102e308, v18
	v_pk_add_f32 v[30:31], v[28:29], v[32:33]
	v_ldexp_f32 v1, v1, 1
	v_sub_f32_e32 v18, v31, v33
	v_sub_f32_e32 v18, v29, v18
	v_add_f32_e32 v35, v1, v18
	v_mov_b32_e32 v34, v28
	v_pk_add_f32 v[28:29], v[30:31], v[28:29] neg_lo:[0,1] neg_hi:[0,1]
	v_pk_add_f32 v[36:37], v[30:31], v[34:35]
	v_mov_b32_e32 v33, v30
	v_mov_b32_e32 v29, v37
	v_pk_add_f32 v[38:39], v[32:33], v[28:29] neg_lo:[0,1] neg_hi:[0,1]
	v_pk_add_f32 v[28:29], v[32:33], v[28:29]
	s_mov_b32 s2, 0x33800000
	v_mov_b32_e32 v18, v29
	v_pk_add_f32 v[32:33], v[18:19], v[30:31] neg_lo:[0,1] neg_hi:[0,1]
	v_mov_b32_e32 v28, v37
	v_mov_b32_e32 v1, v32
	v_pk_add_f32 v[40:41], v[36:37], v[0:1] neg_lo:[0,1] neg_hi:[0,1]
	v_mov_b32_e32 v36, v31
	v_mov_b32_e32 v37, v32
	;; [unrolled: 1-line block ×3, first 2 shown]
	v_pk_add_f32 v[28:29], v[28:29], v[36:37] neg_lo:[0,1] neg_hi:[0,1]
	v_mov_b32_e32 v32, v35
	v_mov_b32_e32 v33, v30
	v_pk_add_f32 v[28:29], v[32:33], v[28:29] neg_lo:[0,1] neg_hi:[0,1]
	v_mov_b32_e32 v40, v38
	v_pk_add_f32 v[30:31], v[40:41], v[28:29]
	v_cmp_lt_f32_e64 s[2:3], |v42|, s2
	v_mov_b32_e32 v32, v31
	v_pk_add_f32 v[32:33], v[30:31], v[32:33]
	s_or_b64 vcc, vcc, s[2:3]
	v_pk_add_f32 v[34:35], v[18:19], v[32:33]
	v_mov_b32_e32 v29, v32
	v_mov_b32_e32 v31, v34
	v_pk_add_f32 v[36:37], v[30:31], v[38:39] neg_lo:[0,1] neg_hi:[0,1]
	s_nop 0
	v_sub_f32_e32 v1, v30, v36
	v_pk_add_f32 v[28:29], v[28:29], v[36:37] neg_lo:[0,1] neg_hi:[0,1]
	v_sub_f32_e32 v1, v38, v1
	v_add_f32_e32 v1, v28, v1
	v_add_f32_e32 v1, v1, v29
	v_add_f32_e32 v1, v34, v1
	v_cndmask_b32_e32 v1, v1, v42, vcc
	v_add_f32_e32 v1, v19, v1
	v_cvt_f16_f32_e32 v31, v1
	v_cvt_f32_f16_e32 v1, v31
	v_mov_b32_e32 v18, v31
.LBB418_152:
	s_or_b64 exec, exec, s[0:1]
	v_max_f32_e32 v19, v5, v5
	v_max_f32_e32 v29, v1, v1
	v_min_f32_e32 v28, v29, v19
	v_cmp_u_f16_e32 vcc, v31, v31
	v_max_f32_e32 v19, v29, v19
	s_nop 0
	v_cndmask_b32_e32 v28, v28, v1, vcc
	v_cndmask_b32_e32 v19, v19, v1, vcc
	v_cndmask_b32_e64 v28, v28, v5, s[62:63]
	v_cndmask_b32_e64 v19, v19, v5, s[62:63]
	v_cmp_neq_f32_e32 vcc, v28, v19
	v_cmp_class_f32_e64 s[0:1], v28, s33
	s_or_b64 s[2:3], vcc, s[0:1]
	v_mov_b32_e32 v5, v18
	s_and_saveexec_b64 s[0:1], s[2:3]
	s_cbranch_execz .LBB418_154
; %bb.153:
	v_sub_f32_e32 v1, v28, v19
	s_mov_b32 s2, 0x3fb8aa3b
	v_mul_f32_e32 v5, 0x3fb8aa3b, v1
	v_fma_f32 v28, v1, s2, -v5
	v_rndne_f32_e32 v29, v5
	v_fmamk_f32 v28, v1, 0x32a5705f, v28
	v_sub_f32_e32 v5, v5, v29
	v_add_f32_e32 v5, v5, v28
	v_exp_f32_e32 v5, v5
	v_cvt_i32_f32_e32 v28, v29
	s_mov_b32 s2, 0xc2ce8ed0
	v_cmp_ngt_f32_e32 vcc, s2, v1
	s_mov_b32 s2, 0x42b17218
	v_ldexp_f32 v5, v5, v28
	v_cndmask_b32_e32 v5, 0, v5, vcc
	v_mov_b32_e32 v28, 0x7f800000
	v_cmp_nlt_f32_e32 vcc, s2, v1
	s_mov_b32 s2, 0x3f2aaaab
	s_mov_b32 s3, 0x7f800000
	v_cndmask_b32_e32 v5, v28, v5, vcc
	v_add_f32_e32 v1, 1.0, v5
	v_add_f32_e32 v28, -1.0, v1
	v_sub_f32_e32 v29, v28, v1
	v_add_f32_e32 v29, 1.0, v29
	v_sub_f32_e32 v28, v5, v28
	v_add_f32_e32 v30, v28, v29
	v_frexp_mant_f32_e32 v31, v1
	v_cvt_f64_f32_e32 v[28:29], v1
	v_frexp_exp_i32_f64_e32 v28, v[28:29]
	v_cmp_gt_f32_e32 vcc, s2, v31
	s_mov_b32 s2, 0x3f317218
	s_nop 0
	v_subbrev_co_u32_e32 v36, vcc, 0, v28, vcc
	v_sub_u32_e32 v28, 0, v36
	v_ldexp_f32 v1, v1, v28
	v_ldexp_f32 v28, v30, v28
	v_add_f32_e32 v30, -1.0, v1
	v_add_f32_e32 v29, 1.0, v30
	v_sub_f32_e32 v29, v1, v29
	v_add_f32_e32 v31, v28, v29
	v_add_f32_e32 v29, 1.0, v1
	s_waitcnt lgkmcnt(0)
	v_add_f32_e32 v32, -1.0, v29
	v_sub_f32_e32 v1, v1, v32
	v_add_f32_e32 v1, v28, v1
	v_add_f32_e32 v37, v29, v1
	v_rcp_f32_e32 v38, v37
	v_sub_f32_e32 v28, v29, v37
	v_add_f32_e32 v29, v30, v31
	v_add_f32_e32 v1, v1, v28
	v_mul_f32_e32 v40, v29, v38
	v_sub_f32_e32 v28, v30, v29
	v_mul_f32_e32 v30, v37, v40
	v_fma_f32 v32, v40, v37, -v30
	v_fmac_f32_e32 v32, v40, v1
	v_add_f32_e32 v39, v31, v28
	v_add_f32_e32 v28, v30, v32
	v_sub_f32_e32 v31, v29, v28
	v_pk_add_f32 v[34:35], v[28:29], v[30:31] neg_lo:[0,1] neg_hi:[0,1]
	v_mov_b32_e32 v33, v28
	v_pk_add_f32 v[28:29], v[34:35], v[32:33] neg_lo:[0,1] neg_hi:[0,1]
	v_cmp_eq_f32_e32 vcc, s3, v5
	v_add_f32_e32 v29, v39, v29
	v_add_f32_e32 v28, v28, v29
	;; [unrolled: 1-line block ×3, first 2 shown]
	v_mul_f32_e32 v39, v38, v29
	v_mul_f32_e32 v30, v37, v39
	v_fma_f32 v32, v39, v37, -v30
	v_fmac_f32_e32 v32, v39, v1
	v_sub_f32_e32 v1, v31, v29
	v_add_f32_e32 v1, v28, v1
	v_add_f32_e32 v28, v30, v32
	v_sub_f32_e32 v31, v29, v28
	v_pk_add_f32 v[34:35], v[28:29], v[30:31] neg_lo:[0,1] neg_hi:[0,1]
	v_mov_b32_e32 v33, v28
	v_pk_add_f32 v[28:29], v[34:35], v[32:33] neg_lo:[0,1] neg_hi:[0,1]
	v_cvt_f32_i32_e32 v30, v36
	v_add_f32_e32 v1, v1, v29
	v_add_f32_e32 v1, v28, v1
	;; [unrolled: 1-line block ×4, first 2 shown]
	v_sub_f32_e32 v29, v28, v40
	v_mul_f32_e32 v1, v38, v1
	v_sub_f32_e32 v29, v39, v29
	v_add_f32_e32 v1, v29, v1
	v_add_f32_e32 v31, v28, v1
	v_mul_f32_e32 v32, v31, v31
	v_mov_b32_e32 v29, 0x3ecc95a3
	v_fmac_f32_e32 v29, 0x3e9b6dac, v32
	v_sub_f32_e32 v28, v31, v28
	v_fmaak_f32 v29, v32, v29, 0x3f2aaada
	v_sub_f32_e32 v1, v1, v28
	v_ldexp_f32 v33, v31, 1
	v_mul_f32_e32 v31, v31, v32
	v_mov_b32_e32 v28, 0x3f317218
	v_pk_mul_f32 v[28:29], v[30:31], v[28:29]
	v_ldexp_f32 v1, v1, 1
	v_fma_f32 v31, v30, s2, -v28
	v_fmamk_f32 v32, v30, 0xb102e308, v31
	v_pk_add_f32 v[30:31], v[28:29], v[32:33]
	v_mov_b32_e32 v34, v28
	v_sub_f32_e32 v33, v31, v33
	v_sub_f32_e32 v33, v29, v33
	v_add_f32_e32 v35, v1, v33
	v_pk_add_f32 v[28:29], v[30:31], v[28:29] neg_lo:[0,1] neg_hi:[0,1]
	v_pk_add_f32 v[36:37], v[30:31], v[34:35]
	v_mov_b32_e32 v33, v30
	v_mov_b32_e32 v29, v37
	v_pk_add_f32 v[38:39], v[32:33], v[28:29] neg_lo:[0,1] neg_hi:[0,1]
	v_pk_add_f32 v[28:29], v[32:33], v[28:29]
	v_mov_b32_e32 v34, v35
	v_mov_b32_e32 v32, v29
	v_pk_add_f32 v[40:41], v[32:33], v[30:31] neg_lo:[0,1] neg_hi:[0,1]
	v_mov_b32_e32 v28, v37
	v_mov_b32_e32 v1, v40
	v_pk_add_f32 v[42:43], v[36:37], v[0:1] neg_lo:[0,1] neg_hi:[0,1]
	v_mov_b32_e32 v36, v31
	v_mov_b32_e32 v37, v40
	;; [unrolled: 1-line block ×3, first 2 shown]
	v_pk_add_f32 v[28:29], v[28:29], v[36:37] neg_lo:[0,1] neg_hi:[0,1]
	v_mov_b32_e32 v35, v30
	v_pk_add_f32 v[28:29], v[34:35], v[28:29] neg_lo:[0,1] neg_hi:[0,1]
	v_mov_b32_e32 v42, v38
	v_pk_add_f32 v[30:31], v[42:43], v[28:29]
	s_mov_b32 s2, 0x33800000
	v_mov_b32_e32 v34, v31
	v_pk_add_f32 v[34:35], v[30:31], v[34:35]
	v_cmp_lt_f32_e64 s[2:3], |v5|, s2
	v_pk_add_f32 v[32:33], v[32:33], v[34:35]
	v_mov_b32_e32 v29, v34
	v_mov_b32_e32 v31, v32
	v_pk_add_f32 v[36:37], v[30:31], v[38:39] neg_lo:[0,1] neg_hi:[0,1]
	s_or_b64 vcc, vcc, s[2:3]
	v_sub_f32_e32 v1, v30, v36
	v_pk_add_f32 v[28:29], v[28:29], v[36:37] neg_lo:[0,1] neg_hi:[0,1]
	v_sub_f32_e32 v1, v38, v1
	v_add_f32_e32 v1, v28, v1
	v_add_f32_e32 v1, v1, v29
	;; [unrolled: 1-line block ×3, first 2 shown]
	v_cndmask_b32_e32 v1, v1, v5, vcc
	v_add_f32_e32 v1, v19, v1
	v_cvt_f16_f32_e32 v31, v1
	v_cvt_f32_f16_e32 v1, v31
	v_mov_b32_e32 v5, v31
.LBB418_154:
	s_or_b64 exec, exec, s[0:1]
	v_max_f32_e32 v19, v20, v20
	v_max_f32_e32 v29, v1, v1
	v_min_f32_e32 v28, v29, v19
	v_cmp_u_f16_e32 vcc, v31, v31
	v_max_f32_e32 v19, v29, v19
	s_nop 0
	v_cndmask_b32_e32 v28, v28, v1, vcc
	v_cndmask_b32_e32 v19, v19, v1, vcc
	v_cndmask_b32_e64 v28, v28, v20, s[64:65]
	v_cndmask_b32_e64 v20, v19, v20, s[64:65]
	v_cmp_neq_f32_e32 vcc, v28, v20
	v_cmp_class_f32_e64 s[0:1], v28, s33
	s_or_b64 s[2:3], vcc, s[0:1]
	v_mov_b32_e32 v19, v5
	s_and_saveexec_b64 s[0:1], s[2:3]
	s_cbranch_execz .LBB418_156
; %bb.155:
	v_sub_f32_e32 v1, v28, v20
	s_mov_b32 s2, 0x3fb8aa3b
	v_mul_f32_e32 v19, 0x3fb8aa3b, v1
	v_fma_f32 v28, v1, s2, -v19
	v_rndne_f32_e32 v29, v19
	v_fmamk_f32 v28, v1, 0x32a5705f, v28
	v_sub_f32_e32 v19, v19, v29
	v_add_f32_e32 v19, v19, v28
	v_exp_f32_e32 v19, v19
	v_cvt_i32_f32_e32 v28, v29
	s_mov_b32 s2, 0xc2ce8ed0
	v_cmp_ngt_f32_e32 vcc, s2, v1
	s_mov_b32 s2, 0x42b17218
	v_ldexp_f32 v19, v19, v28
	v_cndmask_b32_e32 v19, 0, v19, vcc
	v_mov_b32_e32 v28, 0x7f800000
	v_cmp_nlt_f32_e32 vcc, s2, v1
	s_mov_b32 s2, 0x3f2aaaab
	s_mov_b32 s3, 0x7f800000
	v_cndmask_b32_e32 v19, v28, v19, vcc
	v_add_f32_e32 v1, 1.0, v19
	v_add_f32_e32 v28, -1.0, v1
	v_sub_f32_e32 v29, v28, v1
	v_add_f32_e32 v29, 1.0, v29
	v_sub_f32_e32 v28, v19, v28
	v_add_f32_e32 v30, v28, v29
	v_frexp_mant_f32_e32 v31, v1
	v_cvt_f64_f32_e32 v[28:29], v1
	v_frexp_exp_i32_f64_e32 v28, v[28:29]
	v_cmp_gt_f32_e32 vcc, s2, v31
	s_mov_b32 s2, 0x3f317218
	s_nop 0
	v_subbrev_co_u32_e32 v36, vcc, 0, v28, vcc
	v_sub_u32_e32 v28, 0, v36
	v_ldexp_f32 v1, v1, v28
	v_ldexp_f32 v28, v30, v28
	v_add_f32_e32 v30, -1.0, v1
	v_add_f32_e32 v29, 1.0, v30
	v_sub_f32_e32 v29, v1, v29
	v_add_f32_e32 v31, v28, v29
	v_add_f32_e32 v29, 1.0, v1
	s_waitcnt lgkmcnt(0)
	v_add_f32_e32 v32, -1.0, v29
	v_sub_f32_e32 v1, v1, v32
	v_add_f32_e32 v1, v28, v1
	v_add_f32_e32 v37, v29, v1
	v_rcp_f32_e32 v38, v37
	v_sub_f32_e32 v28, v29, v37
	v_add_f32_e32 v29, v30, v31
	v_add_f32_e32 v1, v1, v28
	v_mul_f32_e32 v40, v29, v38
	v_sub_f32_e32 v28, v30, v29
	v_mul_f32_e32 v30, v37, v40
	v_fma_f32 v32, v40, v37, -v30
	v_fmac_f32_e32 v32, v40, v1
	v_add_f32_e32 v39, v31, v28
	v_add_f32_e32 v28, v30, v32
	v_sub_f32_e32 v31, v29, v28
	v_pk_add_f32 v[34:35], v[28:29], v[30:31] neg_lo:[0,1] neg_hi:[0,1]
	v_mov_b32_e32 v33, v28
	v_pk_add_f32 v[28:29], v[34:35], v[32:33] neg_lo:[0,1] neg_hi:[0,1]
	v_cmp_eq_f32_e32 vcc, s3, v19
	v_add_f32_e32 v29, v39, v29
	v_add_f32_e32 v28, v28, v29
	;; [unrolled: 1-line block ×3, first 2 shown]
	v_mul_f32_e32 v39, v38, v29
	v_mul_f32_e32 v30, v37, v39
	v_fma_f32 v32, v39, v37, -v30
	v_fmac_f32_e32 v32, v39, v1
	v_sub_f32_e32 v1, v31, v29
	v_add_f32_e32 v1, v28, v1
	v_add_f32_e32 v28, v30, v32
	v_sub_f32_e32 v31, v29, v28
	v_pk_add_f32 v[34:35], v[28:29], v[30:31] neg_lo:[0,1] neg_hi:[0,1]
	v_mov_b32_e32 v33, v28
	v_pk_add_f32 v[28:29], v[34:35], v[32:33] neg_lo:[0,1] neg_hi:[0,1]
	v_cvt_f32_i32_e32 v30, v36
	v_add_f32_e32 v1, v1, v29
	v_add_f32_e32 v1, v28, v1
	;; [unrolled: 1-line block ×4, first 2 shown]
	v_sub_f32_e32 v29, v28, v40
	v_mul_f32_e32 v1, v38, v1
	v_sub_f32_e32 v29, v39, v29
	v_add_f32_e32 v1, v29, v1
	v_add_f32_e32 v31, v28, v1
	v_mul_f32_e32 v32, v31, v31
	v_mov_b32_e32 v29, 0x3ecc95a3
	v_fmac_f32_e32 v29, 0x3e9b6dac, v32
	v_sub_f32_e32 v28, v31, v28
	v_fmaak_f32 v29, v32, v29, 0x3f2aaada
	v_sub_f32_e32 v1, v1, v28
	v_ldexp_f32 v33, v31, 1
	v_mul_f32_e32 v31, v31, v32
	v_mov_b32_e32 v28, 0x3f317218
	v_pk_mul_f32 v[28:29], v[30:31], v[28:29]
	v_ldexp_f32 v1, v1, 1
	v_fma_f32 v31, v30, s2, -v28
	v_fmamk_f32 v32, v30, 0xb102e308, v31
	v_pk_add_f32 v[30:31], v[28:29], v[32:33]
	v_mov_b32_e32 v34, v28
	v_sub_f32_e32 v33, v31, v33
	v_sub_f32_e32 v33, v29, v33
	v_add_f32_e32 v35, v1, v33
	v_pk_add_f32 v[28:29], v[30:31], v[28:29] neg_lo:[0,1] neg_hi:[0,1]
	v_pk_add_f32 v[36:37], v[30:31], v[34:35]
	v_mov_b32_e32 v33, v30
	v_mov_b32_e32 v29, v37
	v_pk_add_f32 v[38:39], v[32:33], v[28:29] neg_lo:[0,1] neg_hi:[0,1]
	v_pk_add_f32 v[28:29], v[32:33], v[28:29]
	v_mov_b32_e32 v34, v35
	v_mov_b32_e32 v32, v29
	v_pk_add_f32 v[40:41], v[32:33], v[30:31] neg_lo:[0,1] neg_hi:[0,1]
	v_mov_b32_e32 v28, v37
	v_mov_b32_e32 v1, v40
	v_pk_add_f32 v[42:43], v[36:37], v[0:1] neg_lo:[0,1] neg_hi:[0,1]
	v_mov_b32_e32 v36, v31
	v_mov_b32_e32 v37, v40
	;; [unrolled: 1-line block ×3, first 2 shown]
	v_pk_add_f32 v[28:29], v[28:29], v[36:37] neg_lo:[0,1] neg_hi:[0,1]
	v_mov_b32_e32 v35, v30
	v_pk_add_f32 v[28:29], v[34:35], v[28:29] neg_lo:[0,1] neg_hi:[0,1]
	v_mov_b32_e32 v42, v38
	v_pk_add_f32 v[30:31], v[42:43], v[28:29]
	s_mov_b32 s2, 0x33800000
	v_mov_b32_e32 v34, v31
	v_pk_add_f32 v[34:35], v[30:31], v[34:35]
	v_cmp_lt_f32_e64 s[2:3], |v19|, s2
	v_pk_add_f32 v[32:33], v[32:33], v[34:35]
	v_mov_b32_e32 v29, v34
	v_mov_b32_e32 v31, v32
	v_pk_add_f32 v[36:37], v[30:31], v[38:39] neg_lo:[0,1] neg_hi:[0,1]
	s_or_b64 vcc, vcc, s[2:3]
	v_sub_f32_e32 v1, v30, v36
	v_pk_add_f32 v[28:29], v[28:29], v[36:37] neg_lo:[0,1] neg_hi:[0,1]
	v_sub_f32_e32 v1, v38, v1
	v_add_f32_e32 v1, v28, v1
	v_add_f32_e32 v1, v1, v29
	;; [unrolled: 1-line block ×3, first 2 shown]
	v_cndmask_b32_e32 v1, v1, v19, vcc
	v_add_f32_e32 v1, v20, v1
	v_cvt_f16_f32_e32 v31, v1
	v_cvt_f32_f16_e32 v1, v31
	v_mov_b32_e32 v19, v31
.LBB418_156:
	s_or_b64 exec, exec, s[0:1]
	v_max_f32_e32 v20, v10, v10
	v_max_f32_e32 v29, v1, v1
	v_min_f32_e32 v28, v29, v20
	v_cmp_u_f16_e32 vcc, v31, v31
	v_max_f32_e32 v20, v29, v20
	s_nop 0
	v_cndmask_b32_e32 v28, v28, v1, vcc
	v_cndmask_b32_e32 v20, v20, v1, vcc
	v_cndmask_b32_e64 v28, v28, v10, s[66:67]
	v_cndmask_b32_e64 v20, v20, v10, s[66:67]
	v_cmp_neq_f32_e32 vcc, v28, v20
	v_cmp_class_f32_e64 s[0:1], v28, s33
	s_or_b64 s[2:3], vcc, s[0:1]
	v_mov_b32_e32 v10, v19
	s_and_saveexec_b64 s[0:1], s[2:3]
	s_cbranch_execz .LBB418_158
; %bb.157:
	v_sub_f32_e32 v1, v28, v20
	s_mov_b32 s2, 0x3fb8aa3b
	v_mul_f32_e32 v10, 0x3fb8aa3b, v1
	v_fma_f32 v28, v1, s2, -v10
	v_rndne_f32_e32 v29, v10
	v_fmamk_f32 v28, v1, 0x32a5705f, v28
	v_sub_f32_e32 v10, v10, v29
	v_add_f32_e32 v10, v10, v28
	v_exp_f32_e32 v10, v10
	v_cvt_i32_f32_e32 v28, v29
	s_mov_b32 s2, 0xc2ce8ed0
	v_cmp_ngt_f32_e32 vcc, s2, v1
	s_mov_b32 s2, 0x42b17218
	v_ldexp_f32 v10, v10, v28
	v_cndmask_b32_e32 v10, 0, v10, vcc
	v_mov_b32_e32 v28, 0x7f800000
	v_cmp_nlt_f32_e32 vcc, s2, v1
	s_mov_b32 s2, 0x3f2aaaab
	s_mov_b32 s3, 0x7f800000
	v_cndmask_b32_e32 v42, v28, v10, vcc
	v_add_f32_e32 v1, 1.0, v42
	v_add_f32_e32 v10, -1.0, v1
	v_sub_f32_e32 v28, v10, v1
	v_add_f32_e32 v28, 1.0, v28
	v_sub_f32_e32 v10, v42, v10
	v_add_f32_e32 v10, v10, v28
	v_frexp_mant_f32_e32 v30, v1
	v_cvt_f64_f32_e32 v[28:29], v1
	v_frexp_exp_i32_f64_e32 v28, v[28:29]
	v_cmp_gt_f32_e32 vcc, s2, v30
	s_mov_b32 s2, 0x3f317218
	s_nop 0
	v_subbrev_co_u32_e32 v36, vcc, 0, v28, vcc
	v_sub_u32_e32 v28, 0, v36
	v_ldexp_f32 v1, v1, v28
	v_ldexp_f32 v10, v10, v28
	v_add_f32_e32 v28, -1.0, v1
	v_add_f32_e32 v29, 1.0, v28
	v_sub_f32_e32 v29, v1, v29
	v_add_f32_e32 v30, v10, v29
	v_add_f32_e32 v29, 1.0, v1
	v_add_f32_e32 v31, -1.0, v29
	v_sub_f32_e32 v1, v1, v31
	v_add_f32_e32 v1, v10, v1
	v_add_f32_e32 v10, v29, v1
	v_rcp_f32_e32 v37, v10
	v_sub_f32_e32 v29, v29, v10
	v_add_f32_e32 v1, v1, v29
	v_add_f32_e32 v29, v28, v30
	v_sub_f32_e32 v28, v28, v29
	v_mul_f32_e32 v39, v29, v37
	v_add_f32_e32 v38, v30, v28
	v_mul_f32_e32 v30, v10, v39
	s_waitcnt lgkmcnt(0)
	v_fma_f32 v32, v39, v10, -v30
	v_fmac_f32_e32 v32, v39, v1
	v_add_f32_e32 v28, v30, v32
	v_sub_f32_e32 v31, v29, v28
	v_pk_add_f32 v[34:35], v[28:29], v[30:31] neg_lo:[0,1] neg_hi:[0,1]
	v_mov_b32_e32 v33, v28
	v_pk_add_f32 v[28:29], v[34:35], v[32:33] neg_lo:[0,1] neg_hi:[0,1]
	v_cmp_eq_f32_e32 vcc, s3, v42
	v_add_f32_e32 v29, v38, v29
	v_add_f32_e32 v28, v28, v29
	v_add_f32_e32 v29, v31, v28
	v_mul_f32_e32 v38, v37, v29
	v_mul_f32_e32 v30, v10, v38
	v_fma_f32 v32, v38, v10, -v30
	v_fmac_f32_e32 v32, v38, v1
	v_sub_f32_e32 v1, v31, v29
	v_add_f32_e32 v1, v28, v1
	v_add_f32_e32 v28, v30, v32
	v_sub_f32_e32 v31, v29, v28
	v_pk_add_f32 v[34:35], v[28:29], v[30:31] neg_lo:[0,1] neg_hi:[0,1]
	v_mov_b32_e32 v33, v28
	v_pk_add_f32 v[28:29], v[34:35], v[32:33] neg_lo:[0,1] neg_hi:[0,1]
	v_add_f32_e32 v10, v39, v38
	v_add_f32_e32 v1, v1, v29
	;; [unrolled: 1-line block ×4, first 2 shown]
	v_sub_f32_e32 v28, v10, v39
	v_mul_f32_e32 v1, v37, v1
	v_sub_f32_e32 v28, v38, v28
	v_add_f32_e32 v1, v28, v1
	v_add_f32_e32 v28, v10, v1
	v_cvt_f32_i32_e32 v30, v36
	v_mul_f32_e32 v31, v28, v28
	v_mov_b32_e32 v29, 0x3ecc95a3
	v_fmac_f32_e32 v29, 0x3e9b6dac, v31
	v_fmaak_f32 v29, v31, v29, 0x3f2aaada
	v_sub_f32_e32 v10, v28, v10
	v_ldexp_f32 v33, v28, 1
	v_mul_f32_e32 v31, v28, v31
	v_mov_b32_e32 v28, 0x3f317218
	v_pk_mul_f32 v[28:29], v[30:31], v[28:29]
	v_sub_f32_e32 v1, v1, v10
	v_fma_f32 v10, v30, s2, -v28
	v_fmamk_f32 v32, v30, 0xb102e308, v10
	v_pk_add_f32 v[30:31], v[28:29], v[32:33]
	v_ldexp_f32 v1, v1, 1
	v_sub_f32_e32 v10, v31, v33
	v_sub_f32_e32 v10, v29, v10
	v_add_f32_e32 v35, v1, v10
	v_mov_b32_e32 v34, v28
	v_pk_add_f32 v[28:29], v[30:31], v[28:29] neg_lo:[0,1] neg_hi:[0,1]
	v_pk_add_f32 v[36:37], v[30:31], v[34:35]
	v_mov_b32_e32 v33, v30
	v_mov_b32_e32 v29, v37
	v_pk_add_f32 v[38:39], v[32:33], v[28:29] neg_lo:[0,1] neg_hi:[0,1]
	v_pk_add_f32 v[28:29], v[32:33], v[28:29]
	s_mov_b32 s2, 0x33800000
	v_mov_b32_e32 v10, v29
	v_pk_add_f32 v[32:33], v[10:11], v[30:31] neg_lo:[0,1] neg_hi:[0,1]
	v_mov_b32_e32 v28, v37
	v_mov_b32_e32 v1, v32
	v_pk_add_f32 v[40:41], v[36:37], v[0:1] neg_lo:[0,1] neg_hi:[0,1]
	v_mov_b32_e32 v36, v31
	v_mov_b32_e32 v37, v32
	;; [unrolled: 1-line block ×3, first 2 shown]
	v_pk_add_f32 v[28:29], v[28:29], v[36:37] neg_lo:[0,1] neg_hi:[0,1]
	v_mov_b32_e32 v32, v35
	v_mov_b32_e32 v33, v30
	v_pk_add_f32 v[28:29], v[32:33], v[28:29] neg_lo:[0,1] neg_hi:[0,1]
	v_mov_b32_e32 v40, v38
	v_pk_add_f32 v[30:31], v[40:41], v[28:29]
	v_cmp_lt_f32_e64 s[2:3], |v42|, s2
	v_mov_b32_e32 v32, v31
	v_pk_add_f32 v[32:33], v[30:31], v[32:33]
	s_or_b64 vcc, vcc, s[2:3]
	v_pk_add_f32 v[34:35], v[10:11], v[32:33]
	v_mov_b32_e32 v29, v32
	v_mov_b32_e32 v31, v34
	v_pk_add_f32 v[36:37], v[30:31], v[38:39] neg_lo:[0,1] neg_hi:[0,1]
	s_nop 0
	v_sub_f32_e32 v1, v30, v36
	v_pk_add_f32 v[28:29], v[28:29], v[36:37] neg_lo:[0,1] neg_hi:[0,1]
	v_sub_f32_e32 v1, v38, v1
	v_add_f32_e32 v1, v28, v1
	v_add_f32_e32 v1, v1, v29
	;; [unrolled: 1-line block ×3, first 2 shown]
	v_cndmask_b32_e32 v1, v1, v42, vcc
	v_add_f32_e32 v1, v20, v1
	v_cvt_f16_f32_e32 v31, v1
	v_cvt_f32_f16_e32 v1, v31
	v_mov_b32_e32 v10, v31
.LBB418_158:
	s_or_b64 exec, exec, s[0:1]
	v_max_f32_e32 v20, v21, v21
	v_max_f32_e32 v29, v1, v1
	v_min_f32_e32 v28, v29, v20
	v_cmp_u_f16_e32 vcc, v31, v31
	v_max_f32_e32 v20, v29, v20
	s_nop 0
	v_cndmask_b32_e32 v28, v28, v1, vcc
	v_cndmask_b32_e32 v20, v20, v1, vcc
	v_cndmask_b32_e64 v28, v28, v21, s[68:69]
	v_cndmask_b32_e64 v21, v20, v21, s[68:69]
	v_cmp_neq_f32_e32 vcc, v28, v21
	v_cmp_class_f32_e64 s[0:1], v28, s33
	s_or_b64 s[2:3], vcc, s[0:1]
	v_mov_b32_e32 v20, v10
	s_and_saveexec_b64 s[0:1], s[2:3]
	s_cbranch_execz .LBB418_160
; %bb.159:
	v_sub_f32_e32 v1, v28, v21
	s_mov_b32 s2, 0x3fb8aa3b
	v_mul_f32_e32 v20, 0x3fb8aa3b, v1
	v_fma_f32 v28, v1, s2, -v20
	v_rndne_f32_e32 v29, v20
	v_fmamk_f32 v28, v1, 0x32a5705f, v28
	v_sub_f32_e32 v20, v20, v29
	v_add_f32_e32 v20, v20, v28
	v_exp_f32_e32 v20, v20
	v_cvt_i32_f32_e32 v28, v29
	s_mov_b32 s2, 0xc2ce8ed0
	v_cmp_ngt_f32_e32 vcc, s2, v1
	s_mov_b32 s2, 0x42b17218
	v_ldexp_f32 v20, v20, v28
	v_cndmask_b32_e32 v20, 0, v20, vcc
	v_mov_b32_e32 v28, 0x7f800000
	v_cmp_nlt_f32_e32 vcc, s2, v1
	s_mov_b32 s2, 0x3f2aaaab
	s_mov_b32 s3, 0x7f800000
	v_cndmask_b32_e32 v42, v28, v20, vcc
	v_add_f32_e32 v1, 1.0, v42
	v_add_f32_e32 v20, -1.0, v1
	v_sub_f32_e32 v28, v20, v1
	v_add_f32_e32 v28, 1.0, v28
	v_sub_f32_e32 v20, v42, v20
	v_add_f32_e32 v20, v20, v28
	v_frexp_mant_f32_e32 v30, v1
	v_cvt_f64_f32_e32 v[28:29], v1
	v_frexp_exp_i32_f64_e32 v28, v[28:29]
	v_cmp_gt_f32_e32 vcc, s2, v30
	s_mov_b32 s2, 0x3f317218
	s_nop 0
	v_subbrev_co_u32_e32 v36, vcc, 0, v28, vcc
	v_sub_u32_e32 v28, 0, v36
	v_ldexp_f32 v1, v1, v28
	v_ldexp_f32 v20, v20, v28
	v_add_f32_e32 v28, -1.0, v1
	v_add_f32_e32 v29, 1.0, v28
	v_sub_f32_e32 v29, v1, v29
	v_add_f32_e32 v30, v20, v29
	v_add_f32_e32 v29, 1.0, v1
	v_add_f32_e32 v31, -1.0, v29
	v_sub_f32_e32 v1, v1, v31
	v_add_f32_e32 v1, v20, v1
	v_add_f32_e32 v20, v29, v1
	v_rcp_f32_e32 v37, v20
	v_sub_f32_e32 v29, v29, v20
	v_add_f32_e32 v1, v1, v29
	v_add_f32_e32 v29, v28, v30
	v_sub_f32_e32 v28, v28, v29
	v_mul_f32_e32 v39, v29, v37
	v_add_f32_e32 v38, v30, v28
	v_mul_f32_e32 v30, v20, v39
	s_waitcnt lgkmcnt(0)
	v_fma_f32 v32, v39, v20, -v30
	v_fmac_f32_e32 v32, v39, v1
	v_add_f32_e32 v28, v30, v32
	v_sub_f32_e32 v31, v29, v28
	v_pk_add_f32 v[34:35], v[28:29], v[30:31] neg_lo:[0,1] neg_hi:[0,1]
	v_mov_b32_e32 v33, v28
	v_pk_add_f32 v[28:29], v[34:35], v[32:33] neg_lo:[0,1] neg_hi:[0,1]
	v_cmp_eq_f32_e32 vcc, s3, v42
	v_add_f32_e32 v29, v38, v29
	v_add_f32_e32 v28, v28, v29
	;; [unrolled: 1-line block ×3, first 2 shown]
	v_mul_f32_e32 v38, v37, v29
	v_mul_f32_e32 v30, v20, v38
	v_fma_f32 v32, v38, v20, -v30
	v_fmac_f32_e32 v32, v38, v1
	v_sub_f32_e32 v1, v31, v29
	v_add_f32_e32 v1, v28, v1
	v_add_f32_e32 v28, v30, v32
	v_sub_f32_e32 v31, v29, v28
	v_pk_add_f32 v[34:35], v[28:29], v[30:31] neg_lo:[0,1] neg_hi:[0,1]
	v_mov_b32_e32 v33, v28
	v_pk_add_f32 v[28:29], v[34:35], v[32:33] neg_lo:[0,1] neg_hi:[0,1]
	v_add_f32_e32 v20, v39, v38
	v_add_f32_e32 v1, v1, v29
	;; [unrolled: 1-line block ×4, first 2 shown]
	v_sub_f32_e32 v28, v20, v39
	v_mul_f32_e32 v1, v37, v1
	v_sub_f32_e32 v28, v38, v28
	v_add_f32_e32 v1, v28, v1
	v_add_f32_e32 v28, v20, v1
	v_cvt_f32_i32_e32 v30, v36
	v_mul_f32_e32 v31, v28, v28
	v_mov_b32_e32 v29, 0x3ecc95a3
	v_fmac_f32_e32 v29, 0x3e9b6dac, v31
	v_fmaak_f32 v29, v31, v29, 0x3f2aaada
	v_sub_f32_e32 v20, v28, v20
	v_ldexp_f32 v33, v28, 1
	v_mul_f32_e32 v31, v28, v31
	v_mov_b32_e32 v28, 0x3f317218
	v_pk_mul_f32 v[28:29], v[30:31], v[28:29]
	v_sub_f32_e32 v1, v1, v20
	v_fma_f32 v20, v30, s2, -v28
	v_fmamk_f32 v32, v30, 0xb102e308, v20
	v_pk_add_f32 v[30:31], v[28:29], v[32:33]
	v_ldexp_f32 v1, v1, 1
	v_sub_f32_e32 v20, v31, v33
	v_sub_f32_e32 v20, v29, v20
	v_add_f32_e32 v35, v1, v20
	v_mov_b32_e32 v34, v28
	v_pk_add_f32 v[28:29], v[30:31], v[28:29] neg_lo:[0,1] neg_hi:[0,1]
	v_pk_add_f32 v[36:37], v[30:31], v[34:35]
	v_mov_b32_e32 v33, v30
	v_mov_b32_e32 v29, v37
	v_pk_add_f32 v[38:39], v[32:33], v[28:29] neg_lo:[0,1] neg_hi:[0,1]
	v_pk_add_f32 v[28:29], v[32:33], v[28:29]
	s_mov_b32 s2, 0x33800000
	v_mov_b32_e32 v20, v29
	v_pk_add_f32 v[32:33], v[20:21], v[30:31] neg_lo:[0,1] neg_hi:[0,1]
	v_mov_b32_e32 v28, v37
	v_mov_b32_e32 v1, v32
	v_pk_add_f32 v[40:41], v[36:37], v[0:1] neg_lo:[0,1] neg_hi:[0,1]
	v_mov_b32_e32 v36, v31
	v_mov_b32_e32 v37, v32
	;; [unrolled: 1-line block ×3, first 2 shown]
	v_pk_add_f32 v[28:29], v[28:29], v[36:37] neg_lo:[0,1] neg_hi:[0,1]
	v_mov_b32_e32 v32, v35
	v_mov_b32_e32 v33, v30
	v_pk_add_f32 v[28:29], v[32:33], v[28:29] neg_lo:[0,1] neg_hi:[0,1]
	v_mov_b32_e32 v40, v38
	v_pk_add_f32 v[30:31], v[40:41], v[28:29]
	v_cmp_lt_f32_e64 s[2:3], |v42|, s2
	v_mov_b32_e32 v32, v31
	v_pk_add_f32 v[32:33], v[30:31], v[32:33]
	s_or_b64 vcc, vcc, s[2:3]
	v_pk_add_f32 v[34:35], v[20:21], v[32:33]
	v_mov_b32_e32 v29, v32
	v_mov_b32_e32 v31, v34
	v_pk_add_f32 v[36:37], v[30:31], v[38:39] neg_lo:[0,1] neg_hi:[0,1]
	s_nop 0
	v_sub_f32_e32 v1, v30, v36
	v_pk_add_f32 v[28:29], v[28:29], v[36:37] neg_lo:[0,1] neg_hi:[0,1]
	v_sub_f32_e32 v1, v38, v1
	v_add_f32_e32 v1, v28, v1
	v_add_f32_e32 v1, v1, v29
	;; [unrolled: 1-line block ×3, first 2 shown]
	v_cndmask_b32_e32 v1, v1, v42, vcc
	v_add_f32_e32 v1, v21, v1
	v_cvt_f16_f32_e32 v31, v1
	v_cvt_f32_f16_e32 v1, v31
	v_mov_b32_e32 v20, v31
.LBB418_160:
	s_or_b64 exec, exec, s[0:1]
	v_max_f32_e32 v21, v11, v11
	v_max_f32_e32 v29, v1, v1
	v_min_f32_e32 v28, v29, v21
	v_cmp_u_f16_e32 vcc, v31, v31
	v_max_f32_e32 v21, v29, v21
	s_nop 0
	v_cndmask_b32_e32 v28, v28, v1, vcc
	v_cndmask_b32_e32 v21, v21, v1, vcc
	v_cndmask_b32_e64 v28, v28, v11, s[70:71]
	v_cndmask_b32_e64 v21, v21, v11, s[70:71]
	v_cmp_neq_f32_e32 vcc, v28, v21
	v_cmp_class_f32_e64 s[0:1], v28, s33
	s_or_b64 s[2:3], vcc, s[0:1]
	v_mov_b32_e32 v11, v20
	s_and_saveexec_b64 s[0:1], s[2:3]
	s_cbranch_execz .LBB418_162
; %bb.161:
	v_sub_f32_e32 v1, v28, v21
	s_mov_b32 s2, 0x3fb8aa3b
	v_mul_f32_e32 v11, 0x3fb8aa3b, v1
	v_fma_f32 v28, v1, s2, -v11
	v_rndne_f32_e32 v29, v11
	v_fmamk_f32 v28, v1, 0x32a5705f, v28
	v_sub_f32_e32 v11, v11, v29
	v_add_f32_e32 v11, v11, v28
	v_exp_f32_e32 v11, v11
	v_cvt_i32_f32_e32 v28, v29
	s_mov_b32 s2, 0xc2ce8ed0
	v_cmp_ngt_f32_e32 vcc, s2, v1
	s_mov_b32 s2, 0x42b17218
	v_ldexp_f32 v11, v11, v28
	v_cndmask_b32_e32 v11, 0, v11, vcc
	v_mov_b32_e32 v28, 0x7f800000
	v_cmp_nlt_f32_e32 vcc, s2, v1
	s_mov_b32 s2, 0x3f2aaaab
	s_mov_b32 s3, 0x7f800000
	v_cndmask_b32_e32 v11, v28, v11, vcc
	v_add_f32_e32 v1, 1.0, v11
	v_add_f32_e32 v28, -1.0, v1
	v_sub_f32_e32 v29, v28, v1
	v_add_f32_e32 v29, 1.0, v29
	v_sub_f32_e32 v28, v11, v28
	v_add_f32_e32 v30, v28, v29
	v_frexp_mant_f32_e32 v31, v1
	v_cvt_f64_f32_e32 v[28:29], v1
	v_frexp_exp_i32_f64_e32 v28, v[28:29]
	v_cmp_gt_f32_e32 vcc, s2, v31
	s_mov_b32 s2, 0x3f317218
	s_nop 0
	v_subbrev_co_u32_e32 v36, vcc, 0, v28, vcc
	v_sub_u32_e32 v28, 0, v36
	v_ldexp_f32 v1, v1, v28
	v_ldexp_f32 v28, v30, v28
	v_add_f32_e32 v30, -1.0, v1
	v_add_f32_e32 v29, 1.0, v30
	v_sub_f32_e32 v29, v1, v29
	v_add_f32_e32 v31, v28, v29
	v_add_f32_e32 v29, 1.0, v1
	s_waitcnt lgkmcnt(0)
	v_add_f32_e32 v32, -1.0, v29
	v_sub_f32_e32 v1, v1, v32
	v_add_f32_e32 v1, v28, v1
	v_add_f32_e32 v37, v29, v1
	v_rcp_f32_e32 v38, v37
	v_sub_f32_e32 v28, v29, v37
	v_add_f32_e32 v29, v30, v31
	v_add_f32_e32 v1, v1, v28
	v_mul_f32_e32 v40, v29, v38
	v_sub_f32_e32 v28, v30, v29
	v_mul_f32_e32 v30, v37, v40
	v_fma_f32 v32, v40, v37, -v30
	v_fmac_f32_e32 v32, v40, v1
	v_add_f32_e32 v39, v31, v28
	v_add_f32_e32 v28, v30, v32
	v_sub_f32_e32 v31, v29, v28
	v_pk_add_f32 v[34:35], v[28:29], v[30:31] neg_lo:[0,1] neg_hi:[0,1]
	v_mov_b32_e32 v33, v28
	v_pk_add_f32 v[28:29], v[34:35], v[32:33] neg_lo:[0,1] neg_hi:[0,1]
	v_cmp_eq_f32_e32 vcc, s3, v11
	v_add_f32_e32 v29, v39, v29
	v_add_f32_e32 v28, v28, v29
	v_add_f32_e32 v29, v31, v28
	v_mul_f32_e32 v39, v38, v29
	v_mul_f32_e32 v30, v37, v39
	v_fma_f32 v32, v39, v37, -v30
	v_fmac_f32_e32 v32, v39, v1
	v_sub_f32_e32 v1, v31, v29
	v_add_f32_e32 v1, v28, v1
	v_add_f32_e32 v28, v30, v32
	v_sub_f32_e32 v31, v29, v28
	v_pk_add_f32 v[34:35], v[28:29], v[30:31] neg_lo:[0,1] neg_hi:[0,1]
	v_mov_b32_e32 v33, v28
	v_pk_add_f32 v[28:29], v[34:35], v[32:33] neg_lo:[0,1] neg_hi:[0,1]
	v_cvt_f32_i32_e32 v30, v36
	v_add_f32_e32 v1, v1, v29
	v_add_f32_e32 v1, v28, v1
	v_add_f32_e32 v28, v40, v39
	v_add_f32_e32 v1, v31, v1
	v_sub_f32_e32 v29, v28, v40
	v_mul_f32_e32 v1, v38, v1
	v_sub_f32_e32 v29, v39, v29
	v_add_f32_e32 v1, v29, v1
	v_add_f32_e32 v31, v28, v1
	v_mul_f32_e32 v32, v31, v31
	v_mov_b32_e32 v29, 0x3ecc95a3
	v_fmac_f32_e32 v29, 0x3e9b6dac, v32
	v_sub_f32_e32 v28, v31, v28
	v_fmaak_f32 v29, v32, v29, 0x3f2aaada
	v_sub_f32_e32 v1, v1, v28
	v_ldexp_f32 v33, v31, 1
	v_mul_f32_e32 v31, v31, v32
	v_mov_b32_e32 v28, 0x3f317218
	v_pk_mul_f32 v[28:29], v[30:31], v[28:29]
	v_ldexp_f32 v1, v1, 1
	v_fma_f32 v31, v30, s2, -v28
	v_fmamk_f32 v32, v30, 0xb102e308, v31
	v_pk_add_f32 v[30:31], v[28:29], v[32:33]
	v_mov_b32_e32 v34, v28
	v_sub_f32_e32 v33, v31, v33
	v_sub_f32_e32 v33, v29, v33
	v_add_f32_e32 v35, v1, v33
	v_pk_add_f32 v[28:29], v[30:31], v[28:29] neg_lo:[0,1] neg_hi:[0,1]
	v_pk_add_f32 v[36:37], v[30:31], v[34:35]
	v_mov_b32_e32 v33, v30
	v_mov_b32_e32 v29, v37
	v_pk_add_f32 v[38:39], v[32:33], v[28:29] neg_lo:[0,1] neg_hi:[0,1]
	v_pk_add_f32 v[28:29], v[32:33], v[28:29]
	v_mov_b32_e32 v34, v35
	v_mov_b32_e32 v32, v29
	v_pk_add_f32 v[40:41], v[32:33], v[30:31] neg_lo:[0,1] neg_hi:[0,1]
	v_mov_b32_e32 v28, v37
	v_mov_b32_e32 v1, v40
	v_pk_add_f32 v[42:43], v[36:37], v[0:1] neg_lo:[0,1] neg_hi:[0,1]
	v_mov_b32_e32 v36, v31
	v_mov_b32_e32 v37, v40
	;; [unrolled: 1-line block ×3, first 2 shown]
	v_pk_add_f32 v[28:29], v[28:29], v[36:37] neg_lo:[0,1] neg_hi:[0,1]
	v_mov_b32_e32 v35, v30
	v_pk_add_f32 v[28:29], v[34:35], v[28:29] neg_lo:[0,1] neg_hi:[0,1]
	v_mov_b32_e32 v42, v38
	v_pk_add_f32 v[30:31], v[42:43], v[28:29]
	s_mov_b32 s2, 0x33800000
	v_mov_b32_e32 v34, v31
	v_pk_add_f32 v[34:35], v[30:31], v[34:35]
	v_cmp_lt_f32_e64 s[2:3], |v11|, s2
	v_pk_add_f32 v[32:33], v[32:33], v[34:35]
	v_mov_b32_e32 v29, v34
	v_mov_b32_e32 v31, v32
	v_pk_add_f32 v[36:37], v[30:31], v[38:39] neg_lo:[0,1] neg_hi:[0,1]
	s_or_b64 vcc, vcc, s[2:3]
	v_sub_f32_e32 v1, v30, v36
	v_pk_add_f32 v[28:29], v[28:29], v[36:37] neg_lo:[0,1] neg_hi:[0,1]
	v_sub_f32_e32 v1, v38, v1
	v_add_f32_e32 v1, v28, v1
	v_add_f32_e32 v1, v1, v29
	;; [unrolled: 1-line block ×3, first 2 shown]
	v_cndmask_b32_e32 v1, v1, v11, vcc
	v_add_f32_e32 v1, v21, v1
	v_cvt_f16_f32_e32 v31, v1
	v_cvt_f32_f16_e32 v1, v31
	v_mov_b32_e32 v11, v31
.LBB418_162:
	s_or_b64 exec, exec, s[0:1]
	v_max_f32_e32 v21, v22, v22
	v_max_f32_e32 v29, v1, v1
	v_min_f32_e32 v28, v29, v21
	v_cmp_u_f16_e32 vcc, v31, v31
	v_max_f32_e32 v21, v29, v21
	s_nop 0
	v_cndmask_b32_e32 v28, v28, v1, vcc
	v_cndmask_b32_e32 v21, v21, v1, vcc
	v_cndmask_b32_e64 v28, v28, v22, s[72:73]
	v_cndmask_b32_e64 v22, v21, v22, s[72:73]
	v_cmp_neq_f32_e32 vcc, v28, v22
	v_cmp_class_f32_e64 s[0:1], v28, s33
	s_or_b64 s[2:3], vcc, s[0:1]
	v_mov_b32_e32 v21, v11
	s_and_saveexec_b64 s[0:1], s[2:3]
	s_cbranch_execz .LBB418_164
; %bb.163:
	v_sub_f32_e32 v1, v28, v22
	s_mov_b32 s2, 0x3fb8aa3b
	v_mul_f32_e32 v21, 0x3fb8aa3b, v1
	v_fma_f32 v28, v1, s2, -v21
	v_rndne_f32_e32 v29, v21
	v_fmamk_f32 v28, v1, 0x32a5705f, v28
	v_sub_f32_e32 v21, v21, v29
	v_add_f32_e32 v21, v21, v28
	v_exp_f32_e32 v21, v21
	v_cvt_i32_f32_e32 v28, v29
	s_mov_b32 s2, 0xc2ce8ed0
	v_cmp_ngt_f32_e32 vcc, s2, v1
	s_mov_b32 s2, 0x42b17218
	v_ldexp_f32 v21, v21, v28
	v_cndmask_b32_e32 v21, 0, v21, vcc
	v_mov_b32_e32 v28, 0x7f800000
	v_cmp_nlt_f32_e32 vcc, s2, v1
	s_mov_b32 s2, 0x3f2aaaab
	s_mov_b32 s3, 0x7f800000
	v_cndmask_b32_e32 v21, v28, v21, vcc
	v_add_f32_e32 v1, 1.0, v21
	v_add_f32_e32 v28, -1.0, v1
	v_sub_f32_e32 v29, v28, v1
	v_add_f32_e32 v29, 1.0, v29
	v_sub_f32_e32 v28, v21, v28
	v_add_f32_e32 v30, v28, v29
	v_frexp_mant_f32_e32 v31, v1
	v_cvt_f64_f32_e32 v[28:29], v1
	v_frexp_exp_i32_f64_e32 v28, v[28:29]
	v_cmp_gt_f32_e32 vcc, s2, v31
	s_mov_b32 s2, 0x3f317218
	s_nop 0
	v_subbrev_co_u32_e32 v36, vcc, 0, v28, vcc
	v_sub_u32_e32 v28, 0, v36
	v_ldexp_f32 v1, v1, v28
	v_ldexp_f32 v28, v30, v28
	v_add_f32_e32 v30, -1.0, v1
	v_add_f32_e32 v29, 1.0, v30
	v_sub_f32_e32 v29, v1, v29
	v_add_f32_e32 v31, v28, v29
	v_add_f32_e32 v29, 1.0, v1
	s_waitcnt lgkmcnt(0)
	v_add_f32_e32 v32, -1.0, v29
	v_sub_f32_e32 v1, v1, v32
	v_add_f32_e32 v1, v28, v1
	v_add_f32_e32 v37, v29, v1
	v_rcp_f32_e32 v38, v37
	v_sub_f32_e32 v28, v29, v37
	v_add_f32_e32 v29, v30, v31
	v_add_f32_e32 v1, v1, v28
	v_mul_f32_e32 v40, v29, v38
	v_sub_f32_e32 v28, v30, v29
	v_mul_f32_e32 v30, v37, v40
	v_fma_f32 v32, v40, v37, -v30
	v_fmac_f32_e32 v32, v40, v1
	v_add_f32_e32 v39, v31, v28
	v_add_f32_e32 v28, v30, v32
	v_sub_f32_e32 v31, v29, v28
	v_pk_add_f32 v[34:35], v[28:29], v[30:31] neg_lo:[0,1] neg_hi:[0,1]
	v_mov_b32_e32 v33, v28
	v_pk_add_f32 v[28:29], v[34:35], v[32:33] neg_lo:[0,1] neg_hi:[0,1]
	v_cmp_eq_f32_e32 vcc, s3, v21
	v_add_f32_e32 v29, v39, v29
	v_add_f32_e32 v28, v28, v29
	;; [unrolled: 1-line block ×3, first 2 shown]
	v_mul_f32_e32 v39, v38, v29
	v_mul_f32_e32 v30, v37, v39
	v_fma_f32 v32, v39, v37, -v30
	v_fmac_f32_e32 v32, v39, v1
	v_sub_f32_e32 v1, v31, v29
	v_add_f32_e32 v1, v28, v1
	v_add_f32_e32 v28, v30, v32
	v_sub_f32_e32 v31, v29, v28
	v_pk_add_f32 v[34:35], v[28:29], v[30:31] neg_lo:[0,1] neg_hi:[0,1]
	v_mov_b32_e32 v33, v28
	v_pk_add_f32 v[28:29], v[34:35], v[32:33] neg_lo:[0,1] neg_hi:[0,1]
	v_cvt_f32_i32_e32 v30, v36
	v_add_f32_e32 v1, v1, v29
	v_add_f32_e32 v1, v28, v1
	;; [unrolled: 1-line block ×4, first 2 shown]
	v_sub_f32_e32 v29, v28, v40
	v_mul_f32_e32 v1, v38, v1
	v_sub_f32_e32 v29, v39, v29
	v_add_f32_e32 v1, v29, v1
	v_add_f32_e32 v31, v28, v1
	v_mul_f32_e32 v32, v31, v31
	v_mov_b32_e32 v29, 0x3ecc95a3
	v_fmac_f32_e32 v29, 0x3e9b6dac, v32
	v_sub_f32_e32 v28, v31, v28
	v_fmaak_f32 v29, v32, v29, 0x3f2aaada
	v_sub_f32_e32 v1, v1, v28
	v_ldexp_f32 v33, v31, 1
	v_mul_f32_e32 v31, v31, v32
	v_mov_b32_e32 v28, 0x3f317218
	v_pk_mul_f32 v[28:29], v[30:31], v[28:29]
	v_ldexp_f32 v1, v1, 1
	v_fma_f32 v31, v30, s2, -v28
	v_fmamk_f32 v32, v30, 0xb102e308, v31
	v_pk_add_f32 v[30:31], v[28:29], v[32:33]
	v_mov_b32_e32 v34, v28
	v_sub_f32_e32 v33, v31, v33
	v_sub_f32_e32 v33, v29, v33
	v_add_f32_e32 v35, v1, v33
	v_pk_add_f32 v[28:29], v[30:31], v[28:29] neg_lo:[0,1] neg_hi:[0,1]
	v_pk_add_f32 v[36:37], v[30:31], v[34:35]
	v_mov_b32_e32 v33, v30
	v_mov_b32_e32 v29, v37
	v_pk_add_f32 v[38:39], v[32:33], v[28:29] neg_lo:[0,1] neg_hi:[0,1]
	v_pk_add_f32 v[28:29], v[32:33], v[28:29]
	v_mov_b32_e32 v34, v35
	v_mov_b32_e32 v32, v29
	v_pk_add_f32 v[40:41], v[32:33], v[30:31] neg_lo:[0,1] neg_hi:[0,1]
	v_mov_b32_e32 v28, v37
	v_mov_b32_e32 v1, v40
	v_pk_add_f32 v[42:43], v[36:37], v[0:1] neg_lo:[0,1] neg_hi:[0,1]
	v_mov_b32_e32 v36, v31
	v_mov_b32_e32 v37, v40
	;; [unrolled: 1-line block ×3, first 2 shown]
	v_pk_add_f32 v[28:29], v[28:29], v[36:37] neg_lo:[0,1] neg_hi:[0,1]
	v_mov_b32_e32 v35, v30
	v_pk_add_f32 v[28:29], v[34:35], v[28:29] neg_lo:[0,1] neg_hi:[0,1]
	v_mov_b32_e32 v42, v38
	v_pk_add_f32 v[30:31], v[42:43], v[28:29]
	s_mov_b32 s2, 0x33800000
	v_mov_b32_e32 v34, v31
	v_pk_add_f32 v[34:35], v[30:31], v[34:35]
	v_cmp_lt_f32_e64 s[2:3], |v21|, s2
	v_pk_add_f32 v[32:33], v[32:33], v[34:35]
	v_mov_b32_e32 v29, v34
	v_mov_b32_e32 v31, v32
	v_pk_add_f32 v[36:37], v[30:31], v[38:39] neg_lo:[0,1] neg_hi:[0,1]
	s_or_b64 vcc, vcc, s[2:3]
	v_sub_f32_e32 v1, v30, v36
	v_pk_add_f32 v[28:29], v[28:29], v[36:37] neg_lo:[0,1] neg_hi:[0,1]
	v_sub_f32_e32 v1, v38, v1
	v_add_f32_e32 v1, v28, v1
	v_add_f32_e32 v1, v1, v29
	;; [unrolled: 1-line block ×3, first 2 shown]
	v_cndmask_b32_e32 v1, v1, v21, vcc
	v_add_f32_e32 v1, v22, v1
	v_cvt_f16_f32_e32 v31, v1
	v_cvt_f32_f16_e32 v1, v31
	v_mov_b32_e32 v21, v31
.LBB418_164:
	s_or_b64 exec, exec, s[0:1]
	v_max_f32_e32 v22, v12, v12
	v_max_f32_e32 v29, v1, v1
	v_min_f32_e32 v28, v29, v22
	v_cmp_u_f16_e32 vcc, v31, v31
	v_max_f32_e32 v22, v29, v22
	s_nop 0
	v_cndmask_b32_e32 v28, v28, v1, vcc
	v_cndmask_b32_e32 v22, v22, v1, vcc
	v_cndmask_b32_e64 v28, v28, v12, s[74:75]
	v_cndmask_b32_e64 v22, v22, v12, s[74:75]
	v_cmp_neq_f32_e32 vcc, v28, v22
	v_cmp_class_f32_e64 s[0:1], v28, s33
	s_or_b64 s[2:3], vcc, s[0:1]
	v_mov_b32_e32 v12, v21
	s_and_saveexec_b64 s[0:1], s[2:3]
	s_cbranch_execz .LBB418_166
; %bb.165:
	v_sub_f32_e32 v1, v28, v22
	s_mov_b32 s2, 0x3fb8aa3b
	v_mul_f32_e32 v12, 0x3fb8aa3b, v1
	v_fma_f32 v28, v1, s2, -v12
	v_rndne_f32_e32 v29, v12
	v_fmamk_f32 v28, v1, 0x32a5705f, v28
	v_sub_f32_e32 v12, v12, v29
	v_add_f32_e32 v12, v12, v28
	v_exp_f32_e32 v12, v12
	v_cvt_i32_f32_e32 v28, v29
	s_mov_b32 s2, 0xc2ce8ed0
	v_cmp_ngt_f32_e32 vcc, s2, v1
	s_mov_b32 s2, 0x42b17218
	v_ldexp_f32 v12, v12, v28
	v_cndmask_b32_e32 v12, 0, v12, vcc
	v_mov_b32_e32 v28, 0x7f800000
	v_cmp_nlt_f32_e32 vcc, s2, v1
	s_mov_b32 s2, 0x3f2aaaab
	s_mov_b32 s3, 0x7f800000
	v_cndmask_b32_e32 v42, v28, v12, vcc
	v_add_f32_e32 v1, 1.0, v42
	v_add_f32_e32 v12, -1.0, v1
	v_sub_f32_e32 v28, v12, v1
	v_add_f32_e32 v28, 1.0, v28
	v_sub_f32_e32 v12, v42, v12
	v_add_f32_e32 v12, v12, v28
	v_frexp_mant_f32_e32 v30, v1
	v_cvt_f64_f32_e32 v[28:29], v1
	v_frexp_exp_i32_f64_e32 v28, v[28:29]
	v_cmp_gt_f32_e32 vcc, s2, v30
	s_mov_b32 s2, 0x3f317218
	s_nop 0
	v_subbrev_co_u32_e32 v36, vcc, 0, v28, vcc
	v_sub_u32_e32 v28, 0, v36
	v_ldexp_f32 v1, v1, v28
	v_ldexp_f32 v12, v12, v28
	v_add_f32_e32 v28, -1.0, v1
	v_add_f32_e32 v29, 1.0, v28
	v_sub_f32_e32 v29, v1, v29
	v_add_f32_e32 v30, v12, v29
	v_add_f32_e32 v29, 1.0, v1
	v_add_f32_e32 v31, -1.0, v29
	v_sub_f32_e32 v1, v1, v31
	v_add_f32_e32 v1, v12, v1
	v_add_f32_e32 v12, v29, v1
	v_rcp_f32_e32 v37, v12
	v_sub_f32_e32 v29, v29, v12
	v_add_f32_e32 v1, v1, v29
	v_add_f32_e32 v29, v28, v30
	v_sub_f32_e32 v28, v28, v29
	v_mul_f32_e32 v39, v29, v37
	v_add_f32_e32 v38, v30, v28
	v_mul_f32_e32 v30, v12, v39
	s_waitcnt lgkmcnt(0)
	v_fma_f32 v32, v39, v12, -v30
	v_fmac_f32_e32 v32, v39, v1
	v_add_f32_e32 v28, v30, v32
	v_sub_f32_e32 v31, v29, v28
	v_pk_add_f32 v[34:35], v[28:29], v[30:31] neg_lo:[0,1] neg_hi:[0,1]
	v_mov_b32_e32 v33, v28
	v_pk_add_f32 v[28:29], v[34:35], v[32:33] neg_lo:[0,1] neg_hi:[0,1]
	v_cmp_eq_f32_e32 vcc, s3, v42
	v_add_f32_e32 v29, v38, v29
	v_add_f32_e32 v28, v28, v29
	;; [unrolled: 1-line block ×3, first 2 shown]
	v_mul_f32_e32 v38, v37, v29
	v_mul_f32_e32 v30, v12, v38
	v_fma_f32 v32, v38, v12, -v30
	v_fmac_f32_e32 v32, v38, v1
	v_sub_f32_e32 v1, v31, v29
	v_add_f32_e32 v1, v28, v1
	v_add_f32_e32 v28, v30, v32
	v_sub_f32_e32 v31, v29, v28
	v_pk_add_f32 v[34:35], v[28:29], v[30:31] neg_lo:[0,1] neg_hi:[0,1]
	v_mov_b32_e32 v33, v28
	v_pk_add_f32 v[28:29], v[34:35], v[32:33] neg_lo:[0,1] neg_hi:[0,1]
	v_add_f32_e32 v12, v39, v38
	v_add_f32_e32 v1, v1, v29
	;; [unrolled: 1-line block ×4, first 2 shown]
	v_sub_f32_e32 v28, v12, v39
	v_mul_f32_e32 v1, v37, v1
	v_sub_f32_e32 v28, v38, v28
	v_add_f32_e32 v1, v28, v1
	v_add_f32_e32 v28, v12, v1
	v_cvt_f32_i32_e32 v30, v36
	v_mul_f32_e32 v31, v28, v28
	v_mov_b32_e32 v29, 0x3ecc95a3
	v_fmac_f32_e32 v29, 0x3e9b6dac, v31
	v_fmaak_f32 v29, v31, v29, 0x3f2aaada
	v_sub_f32_e32 v12, v28, v12
	v_ldexp_f32 v33, v28, 1
	v_mul_f32_e32 v31, v28, v31
	v_mov_b32_e32 v28, 0x3f317218
	v_pk_mul_f32 v[28:29], v[30:31], v[28:29]
	v_sub_f32_e32 v1, v1, v12
	v_fma_f32 v12, v30, s2, -v28
	v_fmamk_f32 v32, v30, 0xb102e308, v12
	v_pk_add_f32 v[30:31], v[28:29], v[32:33]
	v_ldexp_f32 v1, v1, 1
	v_sub_f32_e32 v12, v31, v33
	v_sub_f32_e32 v12, v29, v12
	v_add_f32_e32 v35, v1, v12
	v_mov_b32_e32 v34, v28
	v_pk_add_f32 v[28:29], v[30:31], v[28:29] neg_lo:[0,1] neg_hi:[0,1]
	v_pk_add_f32 v[36:37], v[30:31], v[34:35]
	v_mov_b32_e32 v33, v30
	v_mov_b32_e32 v29, v37
	v_pk_add_f32 v[38:39], v[32:33], v[28:29] neg_lo:[0,1] neg_hi:[0,1]
	v_pk_add_f32 v[28:29], v[32:33], v[28:29]
	s_mov_b32 s2, 0x33800000
	v_mov_b32_e32 v12, v29
	v_pk_add_f32 v[32:33], v[12:13], v[30:31] neg_lo:[0,1] neg_hi:[0,1]
	v_mov_b32_e32 v28, v37
	v_mov_b32_e32 v1, v32
	v_pk_add_f32 v[40:41], v[36:37], v[0:1] neg_lo:[0,1] neg_hi:[0,1]
	v_mov_b32_e32 v36, v31
	v_mov_b32_e32 v37, v32
	;; [unrolled: 1-line block ×3, first 2 shown]
	v_pk_add_f32 v[28:29], v[28:29], v[36:37] neg_lo:[0,1] neg_hi:[0,1]
	v_mov_b32_e32 v32, v35
	v_mov_b32_e32 v33, v30
	v_pk_add_f32 v[28:29], v[32:33], v[28:29] neg_lo:[0,1] neg_hi:[0,1]
	v_mov_b32_e32 v40, v38
	v_pk_add_f32 v[30:31], v[40:41], v[28:29]
	v_cmp_lt_f32_e64 s[2:3], |v42|, s2
	v_mov_b32_e32 v32, v31
	v_pk_add_f32 v[32:33], v[30:31], v[32:33]
	s_or_b64 vcc, vcc, s[2:3]
	v_pk_add_f32 v[34:35], v[12:13], v[32:33]
	v_mov_b32_e32 v29, v32
	v_mov_b32_e32 v31, v34
	v_pk_add_f32 v[36:37], v[30:31], v[38:39] neg_lo:[0,1] neg_hi:[0,1]
	s_nop 0
	v_sub_f32_e32 v1, v30, v36
	v_pk_add_f32 v[28:29], v[28:29], v[36:37] neg_lo:[0,1] neg_hi:[0,1]
	v_sub_f32_e32 v1, v38, v1
	v_add_f32_e32 v1, v28, v1
	v_add_f32_e32 v1, v1, v29
	;; [unrolled: 1-line block ×3, first 2 shown]
	v_cndmask_b32_e32 v1, v1, v42, vcc
	v_add_f32_e32 v1, v22, v1
	v_cvt_f16_f32_e32 v31, v1
	v_cvt_f32_f16_e32 v1, v31
	v_mov_b32_e32 v12, v31
.LBB418_166:
	s_or_b64 exec, exec, s[0:1]
	v_max_f32_e32 v22, v23, v23
	v_max_f32_e32 v29, v1, v1
	v_min_f32_e32 v28, v29, v22
	v_cmp_u_f16_e32 vcc, v31, v31
	v_max_f32_e32 v22, v29, v22
	s_nop 0
	v_cndmask_b32_e32 v28, v28, v1, vcc
	v_cndmask_b32_e32 v22, v22, v1, vcc
	v_cndmask_b32_e64 v28, v28, v23, s[76:77]
	v_cndmask_b32_e64 v23, v22, v23, s[76:77]
	v_cmp_neq_f32_e32 vcc, v28, v23
	v_cmp_class_f32_e64 s[0:1], v28, s33
	s_or_b64 s[2:3], vcc, s[0:1]
	v_mov_b32_e32 v22, v12
	s_and_saveexec_b64 s[0:1], s[2:3]
	s_cbranch_execz .LBB418_168
; %bb.167:
	v_sub_f32_e32 v1, v28, v23
	s_mov_b32 s2, 0x3fb8aa3b
	v_mul_f32_e32 v22, 0x3fb8aa3b, v1
	v_fma_f32 v28, v1, s2, -v22
	v_rndne_f32_e32 v29, v22
	v_fmamk_f32 v28, v1, 0x32a5705f, v28
	v_sub_f32_e32 v22, v22, v29
	v_add_f32_e32 v22, v22, v28
	v_exp_f32_e32 v22, v22
	v_cvt_i32_f32_e32 v28, v29
	s_mov_b32 s2, 0xc2ce8ed0
	v_cmp_ngt_f32_e32 vcc, s2, v1
	s_mov_b32 s2, 0x42b17218
	v_ldexp_f32 v22, v22, v28
	v_cndmask_b32_e32 v22, 0, v22, vcc
	v_mov_b32_e32 v28, 0x7f800000
	v_cmp_nlt_f32_e32 vcc, s2, v1
	s_mov_b32 s2, 0x3f2aaaab
	s_mov_b32 s3, 0x7f800000
	v_cndmask_b32_e32 v42, v28, v22, vcc
	v_add_f32_e32 v1, 1.0, v42
	v_add_f32_e32 v22, -1.0, v1
	v_sub_f32_e32 v28, v22, v1
	v_add_f32_e32 v28, 1.0, v28
	v_sub_f32_e32 v22, v42, v22
	v_add_f32_e32 v22, v22, v28
	v_frexp_mant_f32_e32 v30, v1
	v_cvt_f64_f32_e32 v[28:29], v1
	v_frexp_exp_i32_f64_e32 v28, v[28:29]
	v_cmp_gt_f32_e32 vcc, s2, v30
	s_mov_b32 s2, 0x3f317218
	s_nop 0
	v_subbrev_co_u32_e32 v36, vcc, 0, v28, vcc
	v_sub_u32_e32 v28, 0, v36
	v_ldexp_f32 v1, v1, v28
	v_ldexp_f32 v22, v22, v28
	v_add_f32_e32 v28, -1.0, v1
	v_add_f32_e32 v29, 1.0, v28
	v_sub_f32_e32 v29, v1, v29
	v_add_f32_e32 v30, v22, v29
	v_add_f32_e32 v29, 1.0, v1
	v_add_f32_e32 v31, -1.0, v29
	v_sub_f32_e32 v1, v1, v31
	v_add_f32_e32 v1, v22, v1
	v_add_f32_e32 v22, v29, v1
	v_rcp_f32_e32 v37, v22
	v_sub_f32_e32 v29, v29, v22
	v_add_f32_e32 v1, v1, v29
	v_add_f32_e32 v29, v28, v30
	v_sub_f32_e32 v28, v28, v29
	v_mul_f32_e32 v39, v29, v37
	v_add_f32_e32 v38, v30, v28
	v_mul_f32_e32 v30, v22, v39
	s_waitcnt lgkmcnt(0)
	v_fma_f32 v32, v39, v22, -v30
	v_fmac_f32_e32 v32, v39, v1
	v_add_f32_e32 v28, v30, v32
	v_sub_f32_e32 v31, v29, v28
	v_pk_add_f32 v[34:35], v[28:29], v[30:31] neg_lo:[0,1] neg_hi:[0,1]
	v_mov_b32_e32 v33, v28
	v_pk_add_f32 v[28:29], v[34:35], v[32:33] neg_lo:[0,1] neg_hi:[0,1]
	v_cmp_eq_f32_e32 vcc, s3, v42
	v_add_f32_e32 v29, v38, v29
	v_add_f32_e32 v28, v28, v29
	;; [unrolled: 1-line block ×3, first 2 shown]
	v_mul_f32_e32 v38, v37, v29
	v_mul_f32_e32 v30, v22, v38
	v_fma_f32 v32, v38, v22, -v30
	v_fmac_f32_e32 v32, v38, v1
	v_sub_f32_e32 v1, v31, v29
	v_add_f32_e32 v1, v28, v1
	v_add_f32_e32 v28, v30, v32
	v_sub_f32_e32 v31, v29, v28
	v_pk_add_f32 v[34:35], v[28:29], v[30:31] neg_lo:[0,1] neg_hi:[0,1]
	v_mov_b32_e32 v33, v28
	v_pk_add_f32 v[28:29], v[34:35], v[32:33] neg_lo:[0,1] neg_hi:[0,1]
	v_add_f32_e32 v22, v39, v38
	v_add_f32_e32 v1, v1, v29
	;; [unrolled: 1-line block ×4, first 2 shown]
	v_sub_f32_e32 v28, v22, v39
	v_mul_f32_e32 v1, v37, v1
	v_sub_f32_e32 v28, v38, v28
	v_add_f32_e32 v1, v28, v1
	v_add_f32_e32 v28, v22, v1
	v_cvt_f32_i32_e32 v30, v36
	v_mul_f32_e32 v31, v28, v28
	v_mov_b32_e32 v29, 0x3ecc95a3
	v_fmac_f32_e32 v29, 0x3e9b6dac, v31
	v_fmaak_f32 v29, v31, v29, 0x3f2aaada
	v_sub_f32_e32 v22, v28, v22
	v_ldexp_f32 v33, v28, 1
	v_mul_f32_e32 v31, v28, v31
	v_mov_b32_e32 v28, 0x3f317218
	v_pk_mul_f32 v[28:29], v[30:31], v[28:29]
	v_sub_f32_e32 v1, v1, v22
	v_fma_f32 v22, v30, s2, -v28
	v_fmamk_f32 v32, v30, 0xb102e308, v22
	v_pk_add_f32 v[30:31], v[28:29], v[32:33]
	v_ldexp_f32 v1, v1, 1
	v_sub_f32_e32 v22, v31, v33
	v_sub_f32_e32 v22, v29, v22
	v_add_f32_e32 v35, v1, v22
	v_mov_b32_e32 v34, v28
	v_pk_add_f32 v[28:29], v[30:31], v[28:29] neg_lo:[0,1] neg_hi:[0,1]
	v_pk_add_f32 v[36:37], v[30:31], v[34:35]
	v_mov_b32_e32 v33, v30
	v_mov_b32_e32 v29, v37
	v_pk_add_f32 v[38:39], v[32:33], v[28:29] neg_lo:[0,1] neg_hi:[0,1]
	v_pk_add_f32 v[28:29], v[32:33], v[28:29]
	s_mov_b32 s2, 0x33800000
	v_mov_b32_e32 v22, v29
	v_pk_add_f32 v[32:33], v[22:23], v[30:31] neg_lo:[0,1] neg_hi:[0,1]
	v_mov_b32_e32 v28, v37
	v_mov_b32_e32 v1, v32
	v_pk_add_f32 v[40:41], v[36:37], v[0:1] neg_lo:[0,1] neg_hi:[0,1]
	v_mov_b32_e32 v36, v31
	v_mov_b32_e32 v37, v32
	v_mov_b32_e32 v39, v29
	v_pk_add_f32 v[28:29], v[28:29], v[36:37] neg_lo:[0,1] neg_hi:[0,1]
	v_mov_b32_e32 v32, v35
	v_mov_b32_e32 v33, v30
	v_pk_add_f32 v[28:29], v[32:33], v[28:29] neg_lo:[0,1] neg_hi:[0,1]
	v_mov_b32_e32 v40, v38
	v_pk_add_f32 v[30:31], v[40:41], v[28:29]
	v_cmp_lt_f32_e64 s[2:3], |v42|, s2
	v_mov_b32_e32 v32, v31
	v_pk_add_f32 v[32:33], v[30:31], v[32:33]
	s_or_b64 vcc, vcc, s[2:3]
	v_pk_add_f32 v[34:35], v[22:23], v[32:33]
	v_mov_b32_e32 v29, v32
	v_mov_b32_e32 v31, v34
	v_pk_add_f32 v[36:37], v[30:31], v[38:39] neg_lo:[0,1] neg_hi:[0,1]
	s_nop 0
	v_sub_f32_e32 v1, v30, v36
	v_pk_add_f32 v[28:29], v[28:29], v[36:37] neg_lo:[0,1] neg_hi:[0,1]
	v_sub_f32_e32 v1, v38, v1
	v_add_f32_e32 v1, v28, v1
	v_add_f32_e32 v1, v1, v29
	;; [unrolled: 1-line block ×3, first 2 shown]
	v_cndmask_b32_e32 v1, v1, v42, vcc
	v_add_f32_e32 v1, v23, v1
	v_cvt_f16_f32_e32 v31, v1
	v_cvt_f32_f16_e32 v1, v31
	v_mov_b32_e32 v22, v31
.LBB418_168:
	s_or_b64 exec, exec, s[0:1]
	v_max_f32_e32 v23, v13, v13
	v_max_f32_e32 v29, v1, v1
	v_min_f32_e32 v28, v29, v23
	v_cmp_u_f16_e32 vcc, v31, v31
	v_max_f32_e32 v23, v29, v23
	s_nop 0
	v_cndmask_b32_e32 v28, v28, v1, vcc
	v_cndmask_b32_e32 v23, v23, v1, vcc
	v_cndmask_b32_e64 v28, v28, v13, s[78:79]
	v_cndmask_b32_e64 v23, v23, v13, s[78:79]
	v_cmp_neq_f32_e32 vcc, v28, v23
	v_cmp_class_f32_e64 s[0:1], v28, s33
	s_or_b64 s[2:3], vcc, s[0:1]
	v_mov_b32_e32 v13, v22
	s_and_saveexec_b64 s[0:1], s[2:3]
	s_cbranch_execz .LBB418_170
; %bb.169:
	v_sub_f32_e32 v1, v28, v23
	s_mov_b32 s2, 0x3fb8aa3b
	v_mul_f32_e32 v13, 0x3fb8aa3b, v1
	v_fma_f32 v28, v1, s2, -v13
	v_rndne_f32_e32 v29, v13
	v_fmamk_f32 v28, v1, 0x32a5705f, v28
	v_sub_f32_e32 v13, v13, v29
	v_add_f32_e32 v13, v13, v28
	v_exp_f32_e32 v13, v13
	v_cvt_i32_f32_e32 v28, v29
	s_mov_b32 s2, 0xc2ce8ed0
	v_cmp_ngt_f32_e32 vcc, s2, v1
	s_mov_b32 s2, 0x42b17218
	v_ldexp_f32 v13, v13, v28
	v_cndmask_b32_e32 v13, 0, v13, vcc
	v_mov_b32_e32 v28, 0x7f800000
	v_cmp_nlt_f32_e32 vcc, s2, v1
	s_mov_b32 s2, 0x3f2aaaab
	s_mov_b32 s3, 0x7f800000
	v_cndmask_b32_e32 v13, v28, v13, vcc
	v_add_f32_e32 v1, 1.0, v13
	v_add_f32_e32 v28, -1.0, v1
	v_sub_f32_e32 v29, v28, v1
	v_add_f32_e32 v29, 1.0, v29
	v_sub_f32_e32 v28, v13, v28
	v_add_f32_e32 v30, v28, v29
	v_frexp_mant_f32_e32 v31, v1
	v_cvt_f64_f32_e32 v[28:29], v1
	v_frexp_exp_i32_f64_e32 v28, v[28:29]
	v_cmp_gt_f32_e32 vcc, s2, v31
	s_mov_b32 s2, 0x3f317218
	s_nop 0
	v_subbrev_co_u32_e32 v36, vcc, 0, v28, vcc
	v_sub_u32_e32 v28, 0, v36
	v_ldexp_f32 v1, v1, v28
	v_ldexp_f32 v28, v30, v28
	v_add_f32_e32 v30, -1.0, v1
	v_add_f32_e32 v29, 1.0, v30
	v_sub_f32_e32 v29, v1, v29
	v_add_f32_e32 v31, v28, v29
	v_add_f32_e32 v29, 1.0, v1
	s_waitcnt lgkmcnt(0)
	v_add_f32_e32 v32, -1.0, v29
	v_sub_f32_e32 v1, v1, v32
	v_add_f32_e32 v1, v28, v1
	v_add_f32_e32 v37, v29, v1
	v_rcp_f32_e32 v38, v37
	v_sub_f32_e32 v28, v29, v37
	v_add_f32_e32 v29, v30, v31
	v_add_f32_e32 v1, v1, v28
	v_mul_f32_e32 v40, v29, v38
	v_sub_f32_e32 v28, v30, v29
	v_mul_f32_e32 v30, v37, v40
	v_fma_f32 v32, v40, v37, -v30
	v_fmac_f32_e32 v32, v40, v1
	v_add_f32_e32 v39, v31, v28
	v_add_f32_e32 v28, v30, v32
	v_sub_f32_e32 v31, v29, v28
	v_pk_add_f32 v[34:35], v[28:29], v[30:31] neg_lo:[0,1] neg_hi:[0,1]
	v_mov_b32_e32 v33, v28
	v_pk_add_f32 v[28:29], v[34:35], v[32:33] neg_lo:[0,1] neg_hi:[0,1]
	v_cmp_eq_f32_e32 vcc, s3, v13
	v_add_f32_e32 v29, v39, v29
	v_add_f32_e32 v28, v28, v29
	;; [unrolled: 1-line block ×3, first 2 shown]
	v_mul_f32_e32 v39, v38, v29
	v_mul_f32_e32 v30, v37, v39
	v_fma_f32 v32, v39, v37, -v30
	v_fmac_f32_e32 v32, v39, v1
	v_sub_f32_e32 v1, v31, v29
	v_add_f32_e32 v1, v28, v1
	v_add_f32_e32 v28, v30, v32
	v_sub_f32_e32 v31, v29, v28
	v_pk_add_f32 v[34:35], v[28:29], v[30:31] neg_lo:[0,1] neg_hi:[0,1]
	v_mov_b32_e32 v33, v28
	v_pk_add_f32 v[28:29], v[34:35], v[32:33] neg_lo:[0,1] neg_hi:[0,1]
	v_cvt_f32_i32_e32 v30, v36
	v_add_f32_e32 v1, v1, v29
	v_add_f32_e32 v1, v28, v1
	;; [unrolled: 1-line block ×4, first 2 shown]
	v_sub_f32_e32 v29, v28, v40
	v_mul_f32_e32 v1, v38, v1
	v_sub_f32_e32 v29, v39, v29
	v_add_f32_e32 v1, v29, v1
	v_add_f32_e32 v31, v28, v1
	v_mul_f32_e32 v32, v31, v31
	v_mov_b32_e32 v29, 0x3ecc95a3
	v_fmac_f32_e32 v29, 0x3e9b6dac, v32
	v_sub_f32_e32 v28, v31, v28
	v_fmaak_f32 v29, v32, v29, 0x3f2aaada
	v_sub_f32_e32 v1, v1, v28
	v_ldexp_f32 v33, v31, 1
	v_mul_f32_e32 v31, v31, v32
	v_mov_b32_e32 v28, 0x3f317218
	v_pk_mul_f32 v[28:29], v[30:31], v[28:29]
	v_ldexp_f32 v1, v1, 1
	v_fma_f32 v31, v30, s2, -v28
	v_fmamk_f32 v32, v30, 0xb102e308, v31
	v_pk_add_f32 v[30:31], v[28:29], v[32:33]
	v_mov_b32_e32 v34, v28
	v_sub_f32_e32 v33, v31, v33
	v_sub_f32_e32 v33, v29, v33
	v_add_f32_e32 v35, v1, v33
	v_pk_add_f32 v[28:29], v[30:31], v[28:29] neg_lo:[0,1] neg_hi:[0,1]
	v_pk_add_f32 v[36:37], v[30:31], v[34:35]
	v_mov_b32_e32 v33, v30
	v_mov_b32_e32 v29, v37
	v_pk_add_f32 v[38:39], v[32:33], v[28:29] neg_lo:[0,1] neg_hi:[0,1]
	v_pk_add_f32 v[28:29], v[32:33], v[28:29]
	v_mov_b32_e32 v34, v35
	v_mov_b32_e32 v32, v29
	v_pk_add_f32 v[40:41], v[32:33], v[30:31] neg_lo:[0,1] neg_hi:[0,1]
	v_mov_b32_e32 v28, v37
	v_mov_b32_e32 v1, v40
	v_pk_add_f32 v[42:43], v[36:37], v[0:1] neg_lo:[0,1] neg_hi:[0,1]
	v_mov_b32_e32 v36, v31
	v_mov_b32_e32 v37, v40
	;; [unrolled: 1-line block ×3, first 2 shown]
	v_pk_add_f32 v[28:29], v[28:29], v[36:37] neg_lo:[0,1] neg_hi:[0,1]
	v_mov_b32_e32 v35, v30
	v_pk_add_f32 v[28:29], v[34:35], v[28:29] neg_lo:[0,1] neg_hi:[0,1]
	v_mov_b32_e32 v42, v38
	v_pk_add_f32 v[30:31], v[42:43], v[28:29]
	s_mov_b32 s2, 0x33800000
	v_mov_b32_e32 v34, v31
	v_pk_add_f32 v[34:35], v[30:31], v[34:35]
	v_cmp_lt_f32_e64 s[2:3], |v13|, s2
	v_pk_add_f32 v[32:33], v[32:33], v[34:35]
	v_mov_b32_e32 v29, v34
	v_mov_b32_e32 v31, v32
	v_pk_add_f32 v[36:37], v[30:31], v[38:39] neg_lo:[0,1] neg_hi:[0,1]
	s_or_b64 vcc, vcc, s[2:3]
	v_sub_f32_e32 v1, v30, v36
	v_pk_add_f32 v[28:29], v[28:29], v[36:37] neg_lo:[0,1] neg_hi:[0,1]
	v_sub_f32_e32 v1, v38, v1
	v_add_f32_e32 v1, v28, v1
	v_add_f32_e32 v1, v1, v29
	;; [unrolled: 1-line block ×3, first 2 shown]
	v_cndmask_b32_e32 v1, v1, v13, vcc
	v_add_f32_e32 v1, v23, v1
	v_cvt_f16_f32_e32 v31, v1
	v_cvt_f32_f16_e32 v1, v31
	v_mov_b32_e32 v13, v31
.LBB418_170:
	s_or_b64 exec, exec, s[0:1]
	v_max_f32_e32 v23, v24, v24
	v_max_f32_e32 v29, v1, v1
	v_min_f32_e32 v28, v29, v23
	v_cmp_u_f16_e32 vcc, v31, v31
	v_max_f32_e32 v23, v29, v23
	s_nop 0
	v_cndmask_b32_e32 v28, v28, v1, vcc
	v_cndmask_b32_e32 v23, v23, v1, vcc
	v_cndmask_b32_e64 v28, v28, v24, s[80:81]
	v_cndmask_b32_e64 v24, v23, v24, s[80:81]
	v_cmp_neq_f32_e32 vcc, v28, v24
	v_cmp_class_f32_e64 s[0:1], v28, s33
	s_or_b64 s[2:3], vcc, s[0:1]
	v_mov_b32_e32 v23, v13
	s_and_saveexec_b64 s[0:1], s[2:3]
	s_cbranch_execz .LBB418_172
; %bb.171:
	v_sub_f32_e32 v1, v28, v24
	s_mov_b32 s2, 0x3fb8aa3b
	v_mul_f32_e32 v23, 0x3fb8aa3b, v1
	v_fma_f32 v28, v1, s2, -v23
	v_rndne_f32_e32 v29, v23
	v_fmamk_f32 v28, v1, 0x32a5705f, v28
	v_sub_f32_e32 v23, v23, v29
	v_add_f32_e32 v23, v23, v28
	v_exp_f32_e32 v23, v23
	v_cvt_i32_f32_e32 v28, v29
	s_mov_b32 s2, 0xc2ce8ed0
	v_cmp_ngt_f32_e32 vcc, s2, v1
	s_mov_b32 s2, 0x42b17218
	v_ldexp_f32 v23, v23, v28
	v_cndmask_b32_e32 v23, 0, v23, vcc
	v_mov_b32_e32 v28, 0x7f800000
	v_cmp_nlt_f32_e32 vcc, s2, v1
	s_mov_b32 s2, 0x3f2aaaab
	s_mov_b32 s3, 0x7f800000
	v_cndmask_b32_e32 v23, v28, v23, vcc
	v_add_f32_e32 v1, 1.0, v23
	v_add_f32_e32 v28, -1.0, v1
	v_sub_f32_e32 v29, v28, v1
	v_add_f32_e32 v29, 1.0, v29
	v_sub_f32_e32 v28, v23, v28
	v_add_f32_e32 v30, v28, v29
	v_frexp_mant_f32_e32 v31, v1
	v_cvt_f64_f32_e32 v[28:29], v1
	v_frexp_exp_i32_f64_e32 v28, v[28:29]
	v_cmp_gt_f32_e32 vcc, s2, v31
	s_mov_b32 s2, 0x3f317218
	s_nop 0
	v_subbrev_co_u32_e32 v36, vcc, 0, v28, vcc
	v_sub_u32_e32 v28, 0, v36
	v_ldexp_f32 v1, v1, v28
	v_ldexp_f32 v28, v30, v28
	v_add_f32_e32 v30, -1.0, v1
	v_add_f32_e32 v29, 1.0, v30
	v_sub_f32_e32 v29, v1, v29
	v_add_f32_e32 v31, v28, v29
	v_add_f32_e32 v29, 1.0, v1
	s_waitcnt lgkmcnt(0)
	v_add_f32_e32 v32, -1.0, v29
	v_sub_f32_e32 v1, v1, v32
	v_add_f32_e32 v1, v28, v1
	v_add_f32_e32 v37, v29, v1
	v_rcp_f32_e32 v38, v37
	v_sub_f32_e32 v28, v29, v37
	v_add_f32_e32 v29, v30, v31
	v_add_f32_e32 v1, v1, v28
	v_mul_f32_e32 v40, v29, v38
	v_sub_f32_e32 v28, v30, v29
	v_mul_f32_e32 v30, v37, v40
	v_fma_f32 v32, v40, v37, -v30
	v_fmac_f32_e32 v32, v40, v1
	v_add_f32_e32 v39, v31, v28
	v_add_f32_e32 v28, v30, v32
	v_sub_f32_e32 v31, v29, v28
	v_pk_add_f32 v[34:35], v[28:29], v[30:31] neg_lo:[0,1] neg_hi:[0,1]
	v_mov_b32_e32 v33, v28
	v_pk_add_f32 v[28:29], v[34:35], v[32:33] neg_lo:[0,1] neg_hi:[0,1]
	v_cmp_eq_f32_e32 vcc, s3, v23
	v_add_f32_e32 v29, v39, v29
	v_add_f32_e32 v28, v28, v29
	;; [unrolled: 1-line block ×3, first 2 shown]
	v_mul_f32_e32 v39, v38, v29
	v_mul_f32_e32 v30, v37, v39
	v_fma_f32 v32, v39, v37, -v30
	v_fmac_f32_e32 v32, v39, v1
	v_sub_f32_e32 v1, v31, v29
	v_add_f32_e32 v1, v28, v1
	v_add_f32_e32 v28, v30, v32
	v_sub_f32_e32 v31, v29, v28
	v_pk_add_f32 v[34:35], v[28:29], v[30:31] neg_lo:[0,1] neg_hi:[0,1]
	v_mov_b32_e32 v33, v28
	v_pk_add_f32 v[28:29], v[34:35], v[32:33] neg_lo:[0,1] neg_hi:[0,1]
	v_cvt_f32_i32_e32 v30, v36
	v_add_f32_e32 v1, v1, v29
	v_add_f32_e32 v1, v28, v1
	;; [unrolled: 1-line block ×4, first 2 shown]
	v_sub_f32_e32 v29, v28, v40
	v_mul_f32_e32 v1, v38, v1
	v_sub_f32_e32 v29, v39, v29
	v_add_f32_e32 v1, v29, v1
	v_add_f32_e32 v31, v28, v1
	v_mul_f32_e32 v32, v31, v31
	v_mov_b32_e32 v29, 0x3ecc95a3
	v_fmac_f32_e32 v29, 0x3e9b6dac, v32
	v_sub_f32_e32 v28, v31, v28
	v_fmaak_f32 v29, v32, v29, 0x3f2aaada
	v_sub_f32_e32 v1, v1, v28
	v_ldexp_f32 v33, v31, 1
	v_mul_f32_e32 v31, v31, v32
	v_mov_b32_e32 v28, 0x3f317218
	v_pk_mul_f32 v[28:29], v[30:31], v[28:29]
	v_ldexp_f32 v1, v1, 1
	v_fma_f32 v31, v30, s2, -v28
	v_fmamk_f32 v32, v30, 0xb102e308, v31
	v_pk_add_f32 v[30:31], v[28:29], v[32:33]
	v_mov_b32_e32 v34, v28
	v_sub_f32_e32 v33, v31, v33
	v_sub_f32_e32 v33, v29, v33
	v_add_f32_e32 v35, v1, v33
	v_pk_add_f32 v[28:29], v[30:31], v[28:29] neg_lo:[0,1] neg_hi:[0,1]
	v_pk_add_f32 v[36:37], v[30:31], v[34:35]
	v_mov_b32_e32 v33, v30
	v_mov_b32_e32 v29, v37
	v_pk_add_f32 v[38:39], v[32:33], v[28:29] neg_lo:[0,1] neg_hi:[0,1]
	v_pk_add_f32 v[28:29], v[32:33], v[28:29]
	v_mov_b32_e32 v34, v35
	v_mov_b32_e32 v32, v29
	v_pk_add_f32 v[40:41], v[32:33], v[30:31] neg_lo:[0,1] neg_hi:[0,1]
	v_mov_b32_e32 v28, v37
	v_mov_b32_e32 v1, v40
	v_pk_add_f32 v[42:43], v[36:37], v[0:1] neg_lo:[0,1] neg_hi:[0,1]
	v_mov_b32_e32 v36, v31
	v_mov_b32_e32 v37, v40
	;; [unrolled: 1-line block ×3, first 2 shown]
	v_pk_add_f32 v[28:29], v[28:29], v[36:37] neg_lo:[0,1] neg_hi:[0,1]
	v_mov_b32_e32 v35, v30
	v_pk_add_f32 v[28:29], v[34:35], v[28:29] neg_lo:[0,1] neg_hi:[0,1]
	v_mov_b32_e32 v42, v38
	v_pk_add_f32 v[30:31], v[42:43], v[28:29]
	s_mov_b32 s2, 0x33800000
	v_mov_b32_e32 v34, v31
	v_pk_add_f32 v[34:35], v[30:31], v[34:35]
	v_cmp_lt_f32_e64 s[2:3], |v23|, s2
	v_pk_add_f32 v[32:33], v[32:33], v[34:35]
	v_mov_b32_e32 v29, v34
	v_mov_b32_e32 v31, v32
	v_pk_add_f32 v[36:37], v[30:31], v[38:39] neg_lo:[0,1] neg_hi:[0,1]
	s_or_b64 vcc, vcc, s[2:3]
	v_sub_f32_e32 v1, v30, v36
	v_pk_add_f32 v[28:29], v[28:29], v[36:37] neg_lo:[0,1] neg_hi:[0,1]
	v_sub_f32_e32 v1, v38, v1
	v_add_f32_e32 v1, v28, v1
	v_add_f32_e32 v1, v1, v29
	;; [unrolled: 1-line block ×3, first 2 shown]
	v_cndmask_b32_e32 v1, v1, v23, vcc
	v_add_f32_e32 v1, v24, v1
	v_cvt_f16_f32_e32 v31, v1
	v_cvt_f32_f16_e32 v1, v31
	v_mov_b32_e32 v23, v31
.LBB418_172:
	s_or_b64 exec, exec, s[0:1]
	v_max_f32_e32 v24, v6, v6
	v_max_f32_e32 v29, v1, v1
	v_min_f32_e32 v28, v29, v24
	v_cmp_u_f16_e32 vcc, v31, v31
	v_max_f32_e32 v24, v29, v24
	s_nop 0
	v_cndmask_b32_e32 v28, v28, v1, vcc
	v_cndmask_b32_e32 v24, v24, v1, vcc
	v_cndmask_b32_e64 v28, v28, v6, s[82:83]
	v_cndmask_b32_e64 v24, v24, v6, s[82:83]
	v_cmp_neq_f32_e32 vcc, v28, v24
	v_cmp_class_f32_e64 s[0:1], v28, s33
	s_or_b64 s[2:3], vcc, s[0:1]
	v_mov_b32_e32 v6, v23
	s_and_saveexec_b64 s[0:1], s[2:3]
	s_cbranch_execz .LBB418_174
; %bb.173:
	v_sub_f32_e32 v1, v28, v24
	s_mov_b32 s2, 0x3fb8aa3b
	v_mul_f32_e32 v6, 0x3fb8aa3b, v1
	v_fma_f32 v28, v1, s2, -v6
	v_rndne_f32_e32 v29, v6
	v_fmamk_f32 v28, v1, 0x32a5705f, v28
	v_sub_f32_e32 v6, v6, v29
	v_add_f32_e32 v6, v6, v28
	v_exp_f32_e32 v6, v6
	v_cvt_i32_f32_e32 v28, v29
	s_mov_b32 s2, 0xc2ce8ed0
	v_cmp_ngt_f32_e32 vcc, s2, v1
	s_mov_b32 s2, 0x42b17218
	v_ldexp_f32 v6, v6, v28
	v_cndmask_b32_e32 v6, 0, v6, vcc
	v_mov_b32_e32 v28, 0x7f800000
	v_cmp_nlt_f32_e32 vcc, s2, v1
	s_mov_b32 s2, 0x3f2aaaab
	s_mov_b32 s3, 0x7f800000
	v_cndmask_b32_e32 v42, v28, v6, vcc
	v_add_f32_e32 v1, 1.0, v42
	v_add_f32_e32 v6, -1.0, v1
	v_sub_f32_e32 v28, v6, v1
	v_add_f32_e32 v28, 1.0, v28
	v_sub_f32_e32 v6, v42, v6
	v_add_f32_e32 v6, v6, v28
	v_frexp_mant_f32_e32 v30, v1
	v_cvt_f64_f32_e32 v[28:29], v1
	v_frexp_exp_i32_f64_e32 v28, v[28:29]
	v_cmp_gt_f32_e32 vcc, s2, v30
	s_mov_b32 s2, 0x3f317218
	s_nop 0
	v_subbrev_co_u32_e32 v36, vcc, 0, v28, vcc
	v_sub_u32_e32 v28, 0, v36
	v_ldexp_f32 v1, v1, v28
	v_ldexp_f32 v6, v6, v28
	v_add_f32_e32 v28, -1.0, v1
	v_add_f32_e32 v29, 1.0, v28
	v_sub_f32_e32 v29, v1, v29
	v_add_f32_e32 v30, v6, v29
	v_add_f32_e32 v29, 1.0, v1
	v_add_f32_e32 v31, -1.0, v29
	v_sub_f32_e32 v1, v1, v31
	v_add_f32_e32 v1, v6, v1
	v_add_f32_e32 v6, v29, v1
	v_rcp_f32_e32 v37, v6
	v_sub_f32_e32 v29, v29, v6
	v_add_f32_e32 v1, v1, v29
	v_add_f32_e32 v29, v28, v30
	v_sub_f32_e32 v28, v28, v29
	v_mul_f32_e32 v39, v29, v37
	v_add_f32_e32 v38, v30, v28
	v_mul_f32_e32 v30, v6, v39
	s_waitcnt lgkmcnt(0)
	v_fma_f32 v32, v39, v6, -v30
	v_fmac_f32_e32 v32, v39, v1
	v_add_f32_e32 v28, v30, v32
	v_sub_f32_e32 v31, v29, v28
	v_pk_add_f32 v[34:35], v[28:29], v[30:31] neg_lo:[0,1] neg_hi:[0,1]
	v_mov_b32_e32 v33, v28
	v_pk_add_f32 v[28:29], v[34:35], v[32:33] neg_lo:[0,1] neg_hi:[0,1]
	v_cmp_eq_f32_e32 vcc, s3, v42
	v_add_f32_e32 v29, v38, v29
	v_add_f32_e32 v28, v28, v29
	;; [unrolled: 1-line block ×3, first 2 shown]
	v_mul_f32_e32 v38, v37, v29
	v_mul_f32_e32 v30, v6, v38
	v_fma_f32 v32, v38, v6, -v30
	v_fmac_f32_e32 v32, v38, v1
	v_sub_f32_e32 v1, v31, v29
	v_add_f32_e32 v1, v28, v1
	v_add_f32_e32 v28, v30, v32
	v_sub_f32_e32 v31, v29, v28
	v_pk_add_f32 v[34:35], v[28:29], v[30:31] neg_lo:[0,1] neg_hi:[0,1]
	v_mov_b32_e32 v33, v28
	v_pk_add_f32 v[28:29], v[34:35], v[32:33] neg_lo:[0,1] neg_hi:[0,1]
	v_add_f32_e32 v6, v39, v38
	v_add_f32_e32 v1, v1, v29
	;; [unrolled: 1-line block ×4, first 2 shown]
	v_sub_f32_e32 v28, v6, v39
	v_mul_f32_e32 v1, v37, v1
	v_sub_f32_e32 v28, v38, v28
	v_add_f32_e32 v1, v28, v1
	v_add_f32_e32 v28, v6, v1
	v_cvt_f32_i32_e32 v30, v36
	v_mul_f32_e32 v31, v28, v28
	v_mov_b32_e32 v29, 0x3ecc95a3
	v_fmac_f32_e32 v29, 0x3e9b6dac, v31
	v_fmaak_f32 v29, v31, v29, 0x3f2aaada
	v_sub_f32_e32 v6, v28, v6
	v_ldexp_f32 v33, v28, 1
	v_mul_f32_e32 v31, v28, v31
	v_mov_b32_e32 v28, 0x3f317218
	v_pk_mul_f32 v[28:29], v[30:31], v[28:29]
	v_sub_f32_e32 v1, v1, v6
	v_fma_f32 v6, v30, s2, -v28
	v_fmamk_f32 v32, v30, 0xb102e308, v6
	v_pk_add_f32 v[30:31], v[28:29], v[32:33]
	v_ldexp_f32 v1, v1, 1
	v_sub_f32_e32 v6, v31, v33
	v_sub_f32_e32 v6, v29, v6
	v_add_f32_e32 v35, v1, v6
	v_mov_b32_e32 v34, v28
	v_pk_add_f32 v[28:29], v[30:31], v[28:29] neg_lo:[0,1] neg_hi:[0,1]
	v_pk_add_f32 v[36:37], v[30:31], v[34:35]
	v_mov_b32_e32 v33, v30
	v_mov_b32_e32 v29, v37
	v_pk_add_f32 v[38:39], v[32:33], v[28:29] neg_lo:[0,1] neg_hi:[0,1]
	v_pk_add_f32 v[28:29], v[32:33], v[28:29]
	s_mov_b32 s2, 0x33800000
	v_mov_b32_e32 v6, v29
	v_pk_add_f32 v[32:33], v[6:7], v[30:31] neg_lo:[0,1] neg_hi:[0,1]
	v_mov_b32_e32 v28, v37
	v_mov_b32_e32 v1, v32
	v_pk_add_f32 v[40:41], v[36:37], v[0:1] neg_lo:[0,1] neg_hi:[0,1]
	v_mov_b32_e32 v36, v31
	v_mov_b32_e32 v37, v32
	;; [unrolled: 1-line block ×3, first 2 shown]
	v_pk_add_f32 v[28:29], v[28:29], v[36:37] neg_lo:[0,1] neg_hi:[0,1]
	v_mov_b32_e32 v32, v35
	v_mov_b32_e32 v33, v30
	v_pk_add_f32 v[28:29], v[32:33], v[28:29] neg_lo:[0,1] neg_hi:[0,1]
	v_mov_b32_e32 v40, v38
	v_pk_add_f32 v[30:31], v[40:41], v[28:29]
	v_cmp_lt_f32_e64 s[2:3], |v42|, s2
	v_mov_b32_e32 v32, v31
	v_pk_add_f32 v[32:33], v[30:31], v[32:33]
	s_or_b64 vcc, vcc, s[2:3]
	v_pk_add_f32 v[34:35], v[6:7], v[32:33]
	v_mov_b32_e32 v29, v32
	v_mov_b32_e32 v31, v34
	v_pk_add_f32 v[36:37], v[30:31], v[38:39] neg_lo:[0,1] neg_hi:[0,1]
	s_nop 0
	v_sub_f32_e32 v1, v30, v36
	v_pk_add_f32 v[28:29], v[28:29], v[36:37] neg_lo:[0,1] neg_hi:[0,1]
	v_sub_f32_e32 v1, v38, v1
	v_add_f32_e32 v1, v28, v1
	v_add_f32_e32 v1, v1, v29
	;; [unrolled: 1-line block ×3, first 2 shown]
	v_cndmask_b32_e32 v1, v1, v42, vcc
	v_add_f32_e32 v1, v24, v1
	v_cvt_f16_f32_e32 v31, v1
	v_cvt_f32_f16_e32 v1, v31
	v_mov_b32_e32 v6, v31
.LBB418_174:
	s_or_b64 exec, exec, s[0:1]
	v_max_f32_e32 v24, v25, v25
	v_max_f32_e32 v29, v1, v1
	v_min_f32_e32 v28, v29, v24
	v_cmp_u_f16_e32 vcc, v31, v31
	v_max_f32_e32 v24, v29, v24
	s_nop 0
	v_cndmask_b32_e32 v28, v28, v1, vcc
	v_cndmask_b32_e32 v24, v24, v1, vcc
	v_cndmask_b32_e64 v28, v28, v25, s[84:85]
	v_cndmask_b32_e64 v25, v24, v25, s[84:85]
	v_cmp_neq_f32_e32 vcc, v28, v25
	v_cmp_class_f32_e64 s[0:1], v28, s33
	s_or_b64 s[2:3], vcc, s[0:1]
	v_mov_b32_e32 v24, v6
	s_and_saveexec_b64 s[0:1], s[2:3]
	s_cbranch_execz .LBB418_176
; %bb.175:
	v_sub_f32_e32 v1, v28, v25
	s_mov_b32 s2, 0x3fb8aa3b
	v_mul_f32_e32 v24, 0x3fb8aa3b, v1
	v_fma_f32 v28, v1, s2, -v24
	v_rndne_f32_e32 v29, v24
	v_fmamk_f32 v28, v1, 0x32a5705f, v28
	v_sub_f32_e32 v24, v24, v29
	v_add_f32_e32 v24, v24, v28
	v_exp_f32_e32 v24, v24
	v_cvt_i32_f32_e32 v28, v29
	s_mov_b32 s2, 0xc2ce8ed0
	v_cmp_ngt_f32_e32 vcc, s2, v1
	s_mov_b32 s2, 0x42b17218
	v_ldexp_f32 v24, v24, v28
	v_cndmask_b32_e32 v24, 0, v24, vcc
	v_mov_b32_e32 v28, 0x7f800000
	v_cmp_nlt_f32_e32 vcc, s2, v1
	s_mov_b32 s2, 0x3f2aaaab
	s_mov_b32 s3, 0x7f800000
	v_cndmask_b32_e32 v42, v28, v24, vcc
	v_add_f32_e32 v1, 1.0, v42
	v_add_f32_e32 v24, -1.0, v1
	v_sub_f32_e32 v28, v24, v1
	v_add_f32_e32 v28, 1.0, v28
	v_sub_f32_e32 v24, v42, v24
	v_add_f32_e32 v24, v24, v28
	v_frexp_mant_f32_e32 v30, v1
	v_cvt_f64_f32_e32 v[28:29], v1
	v_frexp_exp_i32_f64_e32 v28, v[28:29]
	v_cmp_gt_f32_e32 vcc, s2, v30
	s_mov_b32 s2, 0x3f317218
	s_nop 0
	v_subbrev_co_u32_e32 v36, vcc, 0, v28, vcc
	v_sub_u32_e32 v28, 0, v36
	v_ldexp_f32 v1, v1, v28
	v_ldexp_f32 v24, v24, v28
	v_add_f32_e32 v28, -1.0, v1
	v_add_f32_e32 v29, 1.0, v28
	v_sub_f32_e32 v29, v1, v29
	v_add_f32_e32 v30, v24, v29
	v_add_f32_e32 v29, 1.0, v1
	v_add_f32_e32 v31, -1.0, v29
	v_sub_f32_e32 v1, v1, v31
	v_add_f32_e32 v1, v24, v1
	v_add_f32_e32 v24, v29, v1
	v_rcp_f32_e32 v37, v24
	v_sub_f32_e32 v29, v29, v24
	v_add_f32_e32 v1, v1, v29
	v_add_f32_e32 v29, v28, v30
	v_sub_f32_e32 v28, v28, v29
	v_mul_f32_e32 v39, v29, v37
	v_add_f32_e32 v38, v30, v28
	v_mul_f32_e32 v30, v24, v39
	s_waitcnt lgkmcnt(0)
	v_fma_f32 v32, v39, v24, -v30
	v_fmac_f32_e32 v32, v39, v1
	v_add_f32_e32 v28, v30, v32
	v_sub_f32_e32 v31, v29, v28
	v_pk_add_f32 v[34:35], v[28:29], v[30:31] neg_lo:[0,1] neg_hi:[0,1]
	v_mov_b32_e32 v33, v28
	v_pk_add_f32 v[28:29], v[34:35], v[32:33] neg_lo:[0,1] neg_hi:[0,1]
	v_cmp_eq_f32_e32 vcc, s3, v42
	v_add_f32_e32 v29, v38, v29
	v_add_f32_e32 v28, v28, v29
	;; [unrolled: 1-line block ×3, first 2 shown]
	v_mul_f32_e32 v38, v37, v29
	v_mul_f32_e32 v30, v24, v38
	v_fma_f32 v32, v38, v24, -v30
	v_fmac_f32_e32 v32, v38, v1
	v_sub_f32_e32 v1, v31, v29
	v_add_f32_e32 v1, v28, v1
	v_add_f32_e32 v28, v30, v32
	v_sub_f32_e32 v31, v29, v28
	v_pk_add_f32 v[34:35], v[28:29], v[30:31] neg_lo:[0,1] neg_hi:[0,1]
	v_mov_b32_e32 v33, v28
	v_pk_add_f32 v[28:29], v[34:35], v[32:33] neg_lo:[0,1] neg_hi:[0,1]
	v_add_f32_e32 v24, v39, v38
	v_add_f32_e32 v1, v1, v29
	;; [unrolled: 1-line block ×4, first 2 shown]
	v_sub_f32_e32 v28, v24, v39
	v_mul_f32_e32 v1, v37, v1
	v_sub_f32_e32 v28, v38, v28
	v_add_f32_e32 v1, v28, v1
	v_add_f32_e32 v28, v24, v1
	v_cvt_f32_i32_e32 v30, v36
	v_mul_f32_e32 v31, v28, v28
	v_mov_b32_e32 v29, 0x3ecc95a3
	v_fmac_f32_e32 v29, 0x3e9b6dac, v31
	v_fmaak_f32 v29, v31, v29, 0x3f2aaada
	v_sub_f32_e32 v24, v28, v24
	v_ldexp_f32 v33, v28, 1
	v_mul_f32_e32 v31, v28, v31
	v_mov_b32_e32 v28, 0x3f317218
	v_pk_mul_f32 v[28:29], v[30:31], v[28:29]
	v_sub_f32_e32 v1, v1, v24
	v_fma_f32 v24, v30, s2, -v28
	v_fmamk_f32 v32, v30, 0xb102e308, v24
	v_pk_add_f32 v[30:31], v[28:29], v[32:33]
	v_ldexp_f32 v1, v1, 1
	v_sub_f32_e32 v24, v31, v33
	v_sub_f32_e32 v24, v29, v24
	v_add_f32_e32 v35, v1, v24
	v_mov_b32_e32 v34, v28
	v_pk_add_f32 v[28:29], v[30:31], v[28:29] neg_lo:[0,1] neg_hi:[0,1]
	v_pk_add_f32 v[36:37], v[30:31], v[34:35]
	v_mov_b32_e32 v33, v30
	v_mov_b32_e32 v29, v37
	v_pk_add_f32 v[38:39], v[32:33], v[28:29] neg_lo:[0,1] neg_hi:[0,1]
	v_pk_add_f32 v[28:29], v[32:33], v[28:29]
	s_mov_b32 s2, 0x33800000
	v_mov_b32_e32 v24, v29
	v_pk_add_f32 v[32:33], v[24:25], v[30:31] neg_lo:[0,1] neg_hi:[0,1]
	v_mov_b32_e32 v28, v37
	v_mov_b32_e32 v1, v32
	v_pk_add_f32 v[40:41], v[36:37], v[0:1] neg_lo:[0,1] neg_hi:[0,1]
	v_mov_b32_e32 v36, v31
	v_mov_b32_e32 v37, v32
	;; [unrolled: 1-line block ×3, first 2 shown]
	v_pk_add_f32 v[28:29], v[28:29], v[36:37] neg_lo:[0,1] neg_hi:[0,1]
	v_mov_b32_e32 v32, v35
	v_mov_b32_e32 v33, v30
	v_pk_add_f32 v[28:29], v[32:33], v[28:29] neg_lo:[0,1] neg_hi:[0,1]
	v_mov_b32_e32 v40, v38
	v_pk_add_f32 v[30:31], v[40:41], v[28:29]
	v_cmp_lt_f32_e64 s[2:3], |v42|, s2
	v_mov_b32_e32 v32, v31
	v_pk_add_f32 v[32:33], v[30:31], v[32:33]
	s_or_b64 vcc, vcc, s[2:3]
	v_pk_add_f32 v[34:35], v[24:25], v[32:33]
	v_mov_b32_e32 v29, v32
	v_mov_b32_e32 v31, v34
	v_pk_add_f32 v[36:37], v[30:31], v[38:39] neg_lo:[0,1] neg_hi:[0,1]
	s_nop 0
	v_sub_f32_e32 v1, v30, v36
	v_pk_add_f32 v[28:29], v[28:29], v[36:37] neg_lo:[0,1] neg_hi:[0,1]
	v_sub_f32_e32 v1, v38, v1
	v_add_f32_e32 v1, v28, v1
	v_add_f32_e32 v1, v1, v29
	;; [unrolled: 1-line block ×3, first 2 shown]
	v_cndmask_b32_e32 v1, v1, v42, vcc
	v_add_f32_e32 v1, v25, v1
	v_cvt_f16_f32_e32 v31, v1
	v_cvt_f32_f16_e32 v1, v31
	v_mov_b32_e32 v24, v31
.LBB418_176:
	s_or_b64 exec, exec, s[0:1]
	v_max_f32_e32 v25, v7, v7
	v_max_f32_e32 v29, v1, v1
	v_min_f32_e32 v28, v29, v25
	v_cmp_u_f16_e32 vcc, v31, v31
	v_max_f32_e32 v25, v29, v25
	s_nop 0
	v_cndmask_b32_e32 v28, v28, v1, vcc
	v_cndmask_b32_e32 v25, v25, v1, vcc
	v_cndmask_b32_e64 v28, v28, v7, s[86:87]
	v_cndmask_b32_e64 v25, v25, v7, s[86:87]
	v_cmp_neq_f32_e32 vcc, v28, v25
	v_cmp_class_f32_e64 s[0:1], v28, s33
	s_or_b64 s[2:3], vcc, s[0:1]
	v_mov_b32_e32 v7, v24
	s_and_saveexec_b64 s[0:1], s[2:3]
	s_cbranch_execz .LBB418_178
; %bb.177:
	v_sub_f32_e32 v1, v28, v25
	s_mov_b32 s2, 0x3fb8aa3b
	v_mul_f32_e32 v7, 0x3fb8aa3b, v1
	v_fma_f32 v28, v1, s2, -v7
	v_rndne_f32_e32 v29, v7
	v_fmamk_f32 v28, v1, 0x32a5705f, v28
	v_sub_f32_e32 v7, v7, v29
	v_add_f32_e32 v7, v7, v28
	v_exp_f32_e32 v7, v7
	v_cvt_i32_f32_e32 v28, v29
	s_mov_b32 s2, 0xc2ce8ed0
	v_cmp_ngt_f32_e32 vcc, s2, v1
	s_mov_b32 s2, 0x42b17218
	v_ldexp_f32 v7, v7, v28
	v_cndmask_b32_e32 v7, 0, v7, vcc
	v_mov_b32_e32 v28, 0x7f800000
	v_cmp_nlt_f32_e32 vcc, s2, v1
	s_mov_b32 s2, 0x3f2aaaab
	s_mov_b32 s3, 0x7f800000
	v_cndmask_b32_e32 v7, v28, v7, vcc
	v_add_f32_e32 v1, 1.0, v7
	v_add_f32_e32 v28, -1.0, v1
	v_sub_f32_e32 v29, v28, v1
	v_add_f32_e32 v29, 1.0, v29
	v_sub_f32_e32 v28, v7, v28
	v_add_f32_e32 v30, v28, v29
	v_frexp_mant_f32_e32 v31, v1
	v_cvt_f64_f32_e32 v[28:29], v1
	v_frexp_exp_i32_f64_e32 v28, v[28:29]
	v_cmp_gt_f32_e32 vcc, s2, v31
	s_mov_b32 s2, 0x3f317218
	s_nop 0
	v_subbrev_co_u32_e32 v36, vcc, 0, v28, vcc
	v_sub_u32_e32 v28, 0, v36
	v_ldexp_f32 v1, v1, v28
	v_ldexp_f32 v28, v30, v28
	v_add_f32_e32 v30, -1.0, v1
	v_add_f32_e32 v29, 1.0, v30
	v_sub_f32_e32 v29, v1, v29
	v_add_f32_e32 v31, v28, v29
	v_add_f32_e32 v29, 1.0, v1
	s_waitcnt lgkmcnt(0)
	v_add_f32_e32 v32, -1.0, v29
	v_sub_f32_e32 v1, v1, v32
	v_add_f32_e32 v1, v28, v1
	v_add_f32_e32 v37, v29, v1
	v_rcp_f32_e32 v38, v37
	v_sub_f32_e32 v28, v29, v37
	v_add_f32_e32 v29, v30, v31
	v_add_f32_e32 v1, v1, v28
	v_mul_f32_e32 v40, v29, v38
	v_sub_f32_e32 v28, v30, v29
	v_mul_f32_e32 v30, v37, v40
	v_fma_f32 v32, v40, v37, -v30
	v_fmac_f32_e32 v32, v40, v1
	v_add_f32_e32 v39, v31, v28
	v_add_f32_e32 v28, v30, v32
	v_sub_f32_e32 v31, v29, v28
	v_pk_add_f32 v[34:35], v[28:29], v[30:31] neg_lo:[0,1] neg_hi:[0,1]
	v_mov_b32_e32 v33, v28
	v_pk_add_f32 v[28:29], v[34:35], v[32:33] neg_lo:[0,1] neg_hi:[0,1]
	v_cmp_eq_f32_e32 vcc, s3, v7
	v_add_f32_e32 v29, v39, v29
	v_add_f32_e32 v28, v28, v29
	;; [unrolled: 1-line block ×3, first 2 shown]
	v_mul_f32_e32 v39, v38, v29
	v_mul_f32_e32 v30, v37, v39
	v_fma_f32 v32, v39, v37, -v30
	v_fmac_f32_e32 v32, v39, v1
	v_sub_f32_e32 v1, v31, v29
	v_add_f32_e32 v1, v28, v1
	v_add_f32_e32 v28, v30, v32
	v_sub_f32_e32 v31, v29, v28
	v_pk_add_f32 v[34:35], v[28:29], v[30:31] neg_lo:[0,1] neg_hi:[0,1]
	v_mov_b32_e32 v33, v28
	v_pk_add_f32 v[28:29], v[34:35], v[32:33] neg_lo:[0,1] neg_hi:[0,1]
	v_cvt_f32_i32_e32 v30, v36
	v_add_f32_e32 v1, v1, v29
	v_add_f32_e32 v1, v28, v1
	v_add_f32_e32 v28, v40, v39
	v_add_f32_e32 v1, v31, v1
	v_sub_f32_e32 v29, v28, v40
	v_mul_f32_e32 v1, v38, v1
	v_sub_f32_e32 v29, v39, v29
	v_add_f32_e32 v1, v29, v1
	v_add_f32_e32 v31, v28, v1
	v_mul_f32_e32 v32, v31, v31
	v_mov_b32_e32 v29, 0x3ecc95a3
	v_fmac_f32_e32 v29, 0x3e9b6dac, v32
	v_sub_f32_e32 v28, v31, v28
	v_fmaak_f32 v29, v32, v29, 0x3f2aaada
	v_sub_f32_e32 v1, v1, v28
	v_ldexp_f32 v33, v31, 1
	v_mul_f32_e32 v31, v31, v32
	v_mov_b32_e32 v28, 0x3f317218
	v_pk_mul_f32 v[28:29], v[30:31], v[28:29]
	v_ldexp_f32 v1, v1, 1
	v_fma_f32 v31, v30, s2, -v28
	v_fmamk_f32 v32, v30, 0xb102e308, v31
	v_pk_add_f32 v[30:31], v[28:29], v[32:33]
	v_mov_b32_e32 v34, v28
	v_sub_f32_e32 v33, v31, v33
	v_sub_f32_e32 v33, v29, v33
	v_add_f32_e32 v35, v1, v33
	v_pk_add_f32 v[28:29], v[30:31], v[28:29] neg_lo:[0,1] neg_hi:[0,1]
	v_pk_add_f32 v[36:37], v[30:31], v[34:35]
	v_mov_b32_e32 v33, v30
	v_mov_b32_e32 v29, v37
	v_pk_add_f32 v[38:39], v[32:33], v[28:29] neg_lo:[0,1] neg_hi:[0,1]
	v_pk_add_f32 v[28:29], v[32:33], v[28:29]
	v_mov_b32_e32 v34, v35
	v_mov_b32_e32 v32, v29
	v_pk_add_f32 v[40:41], v[32:33], v[30:31] neg_lo:[0,1] neg_hi:[0,1]
	v_mov_b32_e32 v28, v37
	v_mov_b32_e32 v1, v40
	v_pk_add_f32 v[42:43], v[36:37], v[0:1] neg_lo:[0,1] neg_hi:[0,1]
	v_mov_b32_e32 v36, v31
	v_mov_b32_e32 v37, v40
	;; [unrolled: 1-line block ×3, first 2 shown]
	v_pk_add_f32 v[28:29], v[28:29], v[36:37] neg_lo:[0,1] neg_hi:[0,1]
	v_mov_b32_e32 v35, v30
	v_pk_add_f32 v[28:29], v[34:35], v[28:29] neg_lo:[0,1] neg_hi:[0,1]
	v_mov_b32_e32 v42, v38
	v_pk_add_f32 v[30:31], v[42:43], v[28:29]
	s_mov_b32 s2, 0x33800000
	v_mov_b32_e32 v34, v31
	v_pk_add_f32 v[34:35], v[30:31], v[34:35]
	v_cmp_lt_f32_e64 s[2:3], |v7|, s2
	v_pk_add_f32 v[32:33], v[32:33], v[34:35]
	v_mov_b32_e32 v29, v34
	v_mov_b32_e32 v31, v32
	v_pk_add_f32 v[36:37], v[30:31], v[38:39] neg_lo:[0,1] neg_hi:[0,1]
	s_or_b64 vcc, vcc, s[2:3]
	v_sub_f32_e32 v1, v30, v36
	v_pk_add_f32 v[28:29], v[28:29], v[36:37] neg_lo:[0,1] neg_hi:[0,1]
	v_sub_f32_e32 v1, v38, v1
	v_add_f32_e32 v1, v28, v1
	v_add_f32_e32 v1, v1, v29
	;; [unrolled: 1-line block ×3, first 2 shown]
	v_cndmask_b32_e32 v1, v1, v7, vcc
	v_add_f32_e32 v1, v25, v1
	v_cvt_f16_f32_e32 v31, v1
	v_cvt_f32_f16_e32 v1, v31
	v_mov_b32_e32 v7, v31
.LBB418_178:
	s_or_b64 exec, exec, s[0:1]
	v_max_f32_e32 v25, v26, v26
	v_max_f32_e32 v29, v1, v1
	v_min_f32_e32 v28, v29, v25
	v_cmp_u_f16_e32 vcc, v31, v31
	v_max_f32_e32 v25, v29, v25
	s_nop 0
	v_cndmask_b32_e32 v28, v28, v1, vcc
	v_cndmask_b32_e32 v25, v25, v1, vcc
	v_cndmask_b32_e64 v28, v28, v26, s[88:89]
	v_cndmask_b32_e64 v26, v25, v26, s[88:89]
	v_cmp_neq_f32_e32 vcc, v28, v26
	v_cmp_class_f32_e64 s[0:1], v28, s33
	s_or_b64 s[2:3], vcc, s[0:1]
	v_mov_b32_e32 v25, v7
	s_and_saveexec_b64 s[0:1], s[2:3]
	s_cbranch_execz .LBB418_180
; %bb.179:
	v_sub_f32_e32 v1, v28, v26
	s_mov_b32 s2, 0x3fb8aa3b
	v_mul_f32_e32 v25, 0x3fb8aa3b, v1
	v_fma_f32 v28, v1, s2, -v25
	v_rndne_f32_e32 v29, v25
	v_fmamk_f32 v28, v1, 0x32a5705f, v28
	v_sub_f32_e32 v25, v25, v29
	v_add_f32_e32 v25, v25, v28
	v_exp_f32_e32 v25, v25
	v_cvt_i32_f32_e32 v28, v29
	s_mov_b32 s2, 0xc2ce8ed0
	v_cmp_ngt_f32_e32 vcc, s2, v1
	s_mov_b32 s2, 0x42b17218
	v_ldexp_f32 v25, v25, v28
	v_cndmask_b32_e32 v25, 0, v25, vcc
	v_mov_b32_e32 v28, 0x7f800000
	v_cmp_nlt_f32_e32 vcc, s2, v1
	s_mov_b32 s2, 0x3f2aaaab
	s_mov_b32 s3, 0x7f800000
	v_cndmask_b32_e32 v25, v28, v25, vcc
	v_add_f32_e32 v1, 1.0, v25
	v_add_f32_e32 v28, -1.0, v1
	v_sub_f32_e32 v29, v28, v1
	v_add_f32_e32 v29, 1.0, v29
	v_sub_f32_e32 v28, v25, v28
	v_add_f32_e32 v30, v28, v29
	v_frexp_mant_f32_e32 v31, v1
	v_cvt_f64_f32_e32 v[28:29], v1
	v_frexp_exp_i32_f64_e32 v28, v[28:29]
	v_cmp_gt_f32_e32 vcc, s2, v31
	s_mov_b32 s2, 0x3f317218
	s_nop 0
	v_subbrev_co_u32_e32 v36, vcc, 0, v28, vcc
	v_sub_u32_e32 v28, 0, v36
	v_ldexp_f32 v1, v1, v28
	v_ldexp_f32 v28, v30, v28
	v_add_f32_e32 v30, -1.0, v1
	v_add_f32_e32 v29, 1.0, v30
	v_sub_f32_e32 v29, v1, v29
	v_add_f32_e32 v31, v28, v29
	v_add_f32_e32 v29, 1.0, v1
	s_waitcnt lgkmcnt(0)
	v_add_f32_e32 v32, -1.0, v29
	v_sub_f32_e32 v1, v1, v32
	v_add_f32_e32 v1, v28, v1
	v_add_f32_e32 v37, v29, v1
	v_rcp_f32_e32 v38, v37
	v_sub_f32_e32 v28, v29, v37
	v_add_f32_e32 v29, v30, v31
	v_add_f32_e32 v1, v1, v28
	v_mul_f32_e32 v40, v29, v38
	v_sub_f32_e32 v28, v30, v29
	v_mul_f32_e32 v30, v37, v40
	v_fma_f32 v32, v40, v37, -v30
	v_fmac_f32_e32 v32, v40, v1
	v_add_f32_e32 v39, v31, v28
	v_add_f32_e32 v28, v30, v32
	v_sub_f32_e32 v31, v29, v28
	v_pk_add_f32 v[34:35], v[28:29], v[30:31] neg_lo:[0,1] neg_hi:[0,1]
	v_mov_b32_e32 v33, v28
	v_pk_add_f32 v[28:29], v[34:35], v[32:33] neg_lo:[0,1] neg_hi:[0,1]
	v_cmp_eq_f32_e32 vcc, s3, v25
	v_add_f32_e32 v29, v39, v29
	v_add_f32_e32 v28, v28, v29
	v_add_f32_e32 v29, v31, v28
	v_mul_f32_e32 v39, v38, v29
	v_mul_f32_e32 v30, v37, v39
	v_fma_f32 v32, v39, v37, -v30
	v_fmac_f32_e32 v32, v39, v1
	v_sub_f32_e32 v1, v31, v29
	v_add_f32_e32 v1, v28, v1
	v_add_f32_e32 v28, v30, v32
	v_sub_f32_e32 v31, v29, v28
	v_pk_add_f32 v[34:35], v[28:29], v[30:31] neg_lo:[0,1] neg_hi:[0,1]
	v_mov_b32_e32 v33, v28
	v_pk_add_f32 v[28:29], v[34:35], v[32:33] neg_lo:[0,1] neg_hi:[0,1]
	v_cvt_f32_i32_e32 v30, v36
	v_add_f32_e32 v1, v1, v29
	v_add_f32_e32 v1, v28, v1
	;; [unrolled: 1-line block ×4, first 2 shown]
	v_sub_f32_e32 v29, v28, v40
	v_mul_f32_e32 v1, v38, v1
	v_sub_f32_e32 v29, v39, v29
	v_add_f32_e32 v1, v29, v1
	v_add_f32_e32 v31, v28, v1
	v_mul_f32_e32 v32, v31, v31
	v_mov_b32_e32 v29, 0x3ecc95a3
	v_fmac_f32_e32 v29, 0x3e9b6dac, v32
	v_sub_f32_e32 v28, v31, v28
	v_fmaak_f32 v29, v32, v29, 0x3f2aaada
	v_sub_f32_e32 v1, v1, v28
	v_ldexp_f32 v33, v31, 1
	v_mul_f32_e32 v31, v31, v32
	v_mov_b32_e32 v28, 0x3f317218
	v_pk_mul_f32 v[28:29], v[30:31], v[28:29]
	v_ldexp_f32 v1, v1, 1
	v_fma_f32 v31, v30, s2, -v28
	v_fmamk_f32 v32, v30, 0xb102e308, v31
	v_pk_add_f32 v[30:31], v[28:29], v[32:33]
	v_mov_b32_e32 v34, v28
	v_sub_f32_e32 v33, v31, v33
	v_sub_f32_e32 v33, v29, v33
	v_add_f32_e32 v35, v1, v33
	v_pk_add_f32 v[28:29], v[30:31], v[28:29] neg_lo:[0,1] neg_hi:[0,1]
	v_pk_add_f32 v[36:37], v[30:31], v[34:35]
	v_mov_b32_e32 v33, v30
	v_mov_b32_e32 v29, v37
	v_pk_add_f32 v[38:39], v[32:33], v[28:29] neg_lo:[0,1] neg_hi:[0,1]
	v_pk_add_f32 v[28:29], v[32:33], v[28:29]
	v_mov_b32_e32 v34, v35
	v_mov_b32_e32 v32, v29
	v_pk_add_f32 v[40:41], v[32:33], v[30:31] neg_lo:[0,1] neg_hi:[0,1]
	v_mov_b32_e32 v28, v37
	v_mov_b32_e32 v1, v40
	v_pk_add_f32 v[42:43], v[36:37], v[0:1] neg_lo:[0,1] neg_hi:[0,1]
	v_mov_b32_e32 v36, v31
	v_mov_b32_e32 v37, v40
	v_mov_b32_e32 v39, v29
	v_pk_add_f32 v[28:29], v[28:29], v[36:37] neg_lo:[0,1] neg_hi:[0,1]
	v_mov_b32_e32 v35, v30
	v_pk_add_f32 v[28:29], v[34:35], v[28:29] neg_lo:[0,1] neg_hi:[0,1]
	v_mov_b32_e32 v42, v38
	v_pk_add_f32 v[30:31], v[42:43], v[28:29]
	s_mov_b32 s2, 0x33800000
	v_mov_b32_e32 v34, v31
	v_pk_add_f32 v[34:35], v[30:31], v[34:35]
	v_cmp_lt_f32_e64 s[2:3], |v25|, s2
	v_pk_add_f32 v[32:33], v[32:33], v[34:35]
	v_mov_b32_e32 v29, v34
	v_mov_b32_e32 v31, v32
	v_pk_add_f32 v[36:37], v[30:31], v[38:39] neg_lo:[0,1] neg_hi:[0,1]
	s_or_b64 vcc, vcc, s[2:3]
	v_sub_f32_e32 v1, v30, v36
	v_pk_add_f32 v[28:29], v[28:29], v[36:37] neg_lo:[0,1] neg_hi:[0,1]
	v_sub_f32_e32 v1, v38, v1
	v_add_f32_e32 v1, v28, v1
	v_add_f32_e32 v1, v1, v29
	;; [unrolled: 1-line block ×3, first 2 shown]
	v_cndmask_b32_e32 v1, v1, v25, vcc
	v_add_f32_e32 v1, v26, v1
	v_cvt_f16_f32_e32 v31, v1
	v_cvt_f32_f16_e32 v1, v31
	v_mov_b32_e32 v25, v31
.LBB418_180:
	s_or_b64 exec, exec, s[0:1]
	v_max_f32_e32 v26, v8, v8
	v_max_f32_e32 v29, v1, v1
	v_min_f32_e32 v28, v29, v26
	v_cmp_u_f16_e32 vcc, v31, v31
	v_max_f32_e32 v26, v29, v26
	s_nop 0
	v_cndmask_b32_e32 v28, v28, v1, vcc
	v_cndmask_b32_e32 v26, v26, v1, vcc
	v_cndmask_b32_e64 v28, v28, v8, s[90:91]
	v_cndmask_b32_e64 v26, v26, v8, s[90:91]
	v_cmp_neq_f32_e32 vcc, v28, v26
	v_cmp_class_f32_e64 s[0:1], v28, s33
	s_or_b64 s[2:3], vcc, s[0:1]
	v_mov_b32_e32 v8, v25
	s_and_saveexec_b64 s[0:1], s[2:3]
	s_cbranch_execz .LBB418_182
; %bb.181:
	v_sub_f32_e32 v1, v28, v26
	s_mov_b32 s2, 0x3fb8aa3b
	v_mul_f32_e32 v8, 0x3fb8aa3b, v1
	v_fma_f32 v28, v1, s2, -v8
	v_rndne_f32_e32 v29, v8
	v_fmamk_f32 v28, v1, 0x32a5705f, v28
	v_sub_f32_e32 v8, v8, v29
	v_add_f32_e32 v8, v8, v28
	v_exp_f32_e32 v8, v8
	v_cvt_i32_f32_e32 v28, v29
	s_mov_b32 s2, 0xc2ce8ed0
	v_cmp_ngt_f32_e32 vcc, s2, v1
	s_mov_b32 s2, 0x42b17218
	v_ldexp_f32 v8, v8, v28
	v_cndmask_b32_e32 v8, 0, v8, vcc
	v_mov_b32_e32 v28, 0x7f800000
	v_cmp_nlt_f32_e32 vcc, s2, v1
	s_mov_b32 s2, 0x3f2aaaab
	s_mov_b32 s3, 0x7f800000
	v_cndmask_b32_e32 v42, v28, v8, vcc
	v_add_f32_e32 v1, 1.0, v42
	v_add_f32_e32 v8, -1.0, v1
	v_sub_f32_e32 v28, v8, v1
	v_add_f32_e32 v28, 1.0, v28
	v_sub_f32_e32 v8, v42, v8
	v_add_f32_e32 v8, v8, v28
	v_frexp_mant_f32_e32 v30, v1
	v_cvt_f64_f32_e32 v[28:29], v1
	v_frexp_exp_i32_f64_e32 v28, v[28:29]
	v_cmp_gt_f32_e32 vcc, s2, v30
	s_mov_b32 s2, 0x3f317218
	s_nop 0
	v_subbrev_co_u32_e32 v36, vcc, 0, v28, vcc
	v_sub_u32_e32 v28, 0, v36
	v_ldexp_f32 v1, v1, v28
	v_ldexp_f32 v8, v8, v28
	v_add_f32_e32 v28, -1.0, v1
	v_add_f32_e32 v29, 1.0, v28
	v_sub_f32_e32 v29, v1, v29
	v_add_f32_e32 v30, v8, v29
	v_add_f32_e32 v29, 1.0, v1
	v_add_f32_e32 v31, -1.0, v29
	v_sub_f32_e32 v1, v1, v31
	v_add_f32_e32 v1, v8, v1
	v_add_f32_e32 v8, v29, v1
	v_rcp_f32_e32 v37, v8
	v_sub_f32_e32 v29, v29, v8
	v_add_f32_e32 v1, v1, v29
	v_add_f32_e32 v29, v28, v30
	v_sub_f32_e32 v28, v28, v29
	v_mul_f32_e32 v39, v29, v37
	v_add_f32_e32 v38, v30, v28
	v_mul_f32_e32 v30, v8, v39
	s_waitcnt lgkmcnt(0)
	v_fma_f32 v32, v39, v8, -v30
	v_fmac_f32_e32 v32, v39, v1
	v_add_f32_e32 v28, v30, v32
	v_sub_f32_e32 v31, v29, v28
	v_pk_add_f32 v[34:35], v[28:29], v[30:31] neg_lo:[0,1] neg_hi:[0,1]
	v_mov_b32_e32 v33, v28
	v_pk_add_f32 v[28:29], v[34:35], v[32:33] neg_lo:[0,1] neg_hi:[0,1]
	v_cmp_eq_f32_e32 vcc, s3, v42
	v_add_f32_e32 v29, v38, v29
	v_add_f32_e32 v28, v28, v29
	;; [unrolled: 1-line block ×3, first 2 shown]
	v_mul_f32_e32 v38, v37, v29
	v_mul_f32_e32 v30, v8, v38
	v_fma_f32 v32, v38, v8, -v30
	v_fmac_f32_e32 v32, v38, v1
	v_sub_f32_e32 v1, v31, v29
	v_add_f32_e32 v1, v28, v1
	v_add_f32_e32 v28, v30, v32
	v_sub_f32_e32 v31, v29, v28
	v_pk_add_f32 v[34:35], v[28:29], v[30:31] neg_lo:[0,1] neg_hi:[0,1]
	v_mov_b32_e32 v33, v28
	v_pk_add_f32 v[28:29], v[34:35], v[32:33] neg_lo:[0,1] neg_hi:[0,1]
	v_add_f32_e32 v8, v39, v38
	v_add_f32_e32 v1, v1, v29
	;; [unrolled: 1-line block ×4, first 2 shown]
	v_sub_f32_e32 v28, v8, v39
	v_mul_f32_e32 v1, v37, v1
	v_sub_f32_e32 v28, v38, v28
	v_add_f32_e32 v1, v28, v1
	v_add_f32_e32 v28, v8, v1
	v_cvt_f32_i32_e32 v30, v36
	v_mul_f32_e32 v31, v28, v28
	v_mov_b32_e32 v29, 0x3ecc95a3
	v_fmac_f32_e32 v29, 0x3e9b6dac, v31
	v_fmaak_f32 v29, v31, v29, 0x3f2aaada
	v_sub_f32_e32 v8, v28, v8
	v_ldexp_f32 v33, v28, 1
	v_mul_f32_e32 v31, v28, v31
	v_mov_b32_e32 v28, 0x3f317218
	v_pk_mul_f32 v[28:29], v[30:31], v[28:29]
	v_sub_f32_e32 v1, v1, v8
	v_fma_f32 v8, v30, s2, -v28
	v_fmamk_f32 v32, v30, 0xb102e308, v8
	v_pk_add_f32 v[30:31], v[28:29], v[32:33]
	v_ldexp_f32 v1, v1, 1
	v_sub_f32_e32 v8, v31, v33
	v_sub_f32_e32 v8, v29, v8
	v_add_f32_e32 v35, v1, v8
	v_mov_b32_e32 v34, v28
	v_pk_add_f32 v[28:29], v[30:31], v[28:29] neg_lo:[0,1] neg_hi:[0,1]
	v_pk_add_f32 v[36:37], v[30:31], v[34:35]
	v_mov_b32_e32 v33, v30
	v_mov_b32_e32 v29, v37
	v_pk_add_f32 v[38:39], v[32:33], v[28:29] neg_lo:[0,1] neg_hi:[0,1]
	v_pk_add_f32 v[28:29], v[32:33], v[28:29]
	s_mov_b32 s2, 0x33800000
	v_mov_b32_e32 v8, v29
	v_pk_add_f32 v[32:33], v[8:9], v[30:31] neg_lo:[0,1] neg_hi:[0,1]
	v_mov_b32_e32 v28, v37
	v_mov_b32_e32 v1, v32
	v_pk_add_f32 v[40:41], v[36:37], v[0:1] neg_lo:[0,1] neg_hi:[0,1]
	v_mov_b32_e32 v36, v31
	v_mov_b32_e32 v37, v32
	;; [unrolled: 1-line block ×3, first 2 shown]
	v_pk_add_f32 v[28:29], v[28:29], v[36:37] neg_lo:[0,1] neg_hi:[0,1]
	v_mov_b32_e32 v32, v35
	v_mov_b32_e32 v33, v30
	v_pk_add_f32 v[28:29], v[32:33], v[28:29] neg_lo:[0,1] neg_hi:[0,1]
	v_mov_b32_e32 v40, v38
	v_pk_add_f32 v[30:31], v[40:41], v[28:29]
	v_cmp_lt_f32_e64 s[2:3], |v42|, s2
	v_mov_b32_e32 v32, v31
	v_pk_add_f32 v[32:33], v[30:31], v[32:33]
	s_or_b64 vcc, vcc, s[2:3]
	v_pk_add_f32 v[34:35], v[8:9], v[32:33]
	v_mov_b32_e32 v29, v32
	v_mov_b32_e32 v31, v34
	v_pk_add_f32 v[36:37], v[30:31], v[38:39] neg_lo:[0,1] neg_hi:[0,1]
	s_nop 0
	v_sub_f32_e32 v1, v30, v36
	v_pk_add_f32 v[28:29], v[28:29], v[36:37] neg_lo:[0,1] neg_hi:[0,1]
	v_sub_f32_e32 v1, v38, v1
	v_add_f32_e32 v1, v28, v1
	v_add_f32_e32 v1, v1, v29
	;; [unrolled: 1-line block ×3, first 2 shown]
	v_cndmask_b32_e32 v1, v1, v42, vcc
	v_add_f32_e32 v1, v26, v1
	v_cvt_f16_f32_e32 v31, v1
	v_cvt_f32_f16_e32 v1, v31
	v_mov_b32_e32 v8, v31
.LBB418_182:
	s_or_b64 exec, exec, s[0:1]
	v_max_f32_e32 v26, v27, v27
	v_max_f32_e32 v29, v1, v1
	v_min_f32_e32 v28, v29, v26
	v_cmp_u_f16_e32 vcc, v31, v31
	v_max_f32_e32 v26, v29, v26
	s_movk_i32 s0, 0x1f8
	v_cndmask_b32_e32 v28, v28, v1, vcc
	v_cndmask_b32_e32 v1, v26, v1, vcc
	v_cndmask_b32_e64 v28, v28, v27, s[92:93]
	v_cndmask_b32_e64 v1, v1, v27, s[92:93]
	v_cmp_neq_f32_e32 vcc, v28, v1
	v_cmp_class_f32_e64 s[0:1], v28, s0
	s_or_b64 s[2:3], vcc, s[0:1]
	v_mov_b32_e32 v26, v8
	s_and_saveexec_b64 s[0:1], s[2:3]
	s_cbranch_execz .LBB418_184
; %bb.183:
	v_sub_f32_e32 v26, v28, v1
	s_mov_b32 s2, 0x3fb8aa3b
	v_mul_f32_e32 v27, 0x3fb8aa3b, v26
	v_fma_f32 v28, v26, s2, -v27
	v_rndne_f32_e32 v29, v27
	v_fmamk_f32 v28, v26, 0x32a5705f, v28
	v_sub_f32_e32 v27, v27, v29
	v_add_f32_e32 v27, v27, v28
	v_exp_f32_e32 v27, v27
	v_cvt_i32_f32_e32 v28, v29
	s_mov_b32 s2, 0xc2ce8ed0
	v_cmp_ngt_f32_e32 vcc, s2, v26
	s_mov_b32 s2, 0x42b17218
	v_ldexp_f32 v27, v27, v28
	v_cndmask_b32_e32 v27, 0, v27, vcc
	v_mov_b32_e32 v28, 0x7f800000
	v_cmp_nlt_f32_e32 vcc, s2, v26
	s_mov_b32 s2, 0x3f2aaaab
	s_mov_b32 s3, 0x7f800000
	v_cndmask_b32_e32 v42, v28, v27, vcc
	v_add_f32_e32 v28, 1.0, v42
	v_add_f32_e32 v26, -1.0, v28
	v_sub_f32_e32 v27, v26, v28
	v_add_f32_e32 v27, 1.0, v27
	v_sub_f32_e32 v26, v42, v26
	v_add_f32_e32 v29, v26, v27
	v_frexp_mant_f32_e32 v30, v28
	v_cvt_f64_f32_e32 v[26:27], v28
	v_frexp_exp_i32_f64_e32 v26, v[26:27]
	v_cmp_gt_f32_e32 vcc, s2, v30
	s_mov_b32 s2, 0x3f317218
	s_nop 0
	v_subbrev_co_u32_e32 v34, vcc, 0, v26, vcc
	v_sub_u32_e32 v26, 0, v34
	v_ldexp_f32 v27, v28, v26
	v_add_f32_e32 v28, -1.0, v27
	v_add_f32_e32 v30, 1.0, v27
	v_ldexp_f32 v26, v29, v26
	v_add_f32_e32 v29, 1.0, v28
	v_add_f32_e32 v31, -1.0, v30
	v_sub_f32_e32 v29, v27, v29
	v_sub_f32_e32 v27, v27, v31
	v_add_f32_e32 v29, v26, v29
	v_add_f32_e32 v26, v26, v27
	v_add_f32_e32 v35, v30, v26
	v_rcp_f32_e32 v37, v35
	v_sub_f32_e32 v27, v30, v35
	v_add_f32_e32 v36, v26, v27
	v_add_f32_e32 v27, v28, v29
	v_mul_f32_e32 v39, v27, v37
	v_sub_f32_e32 v26, v28, v27
	v_mul_f32_e32 v28, v35, v39
	v_fma_f32 v30, v39, v35, -v28
	v_fmac_f32_e32 v30, v39, v36
	v_add_f32_e32 v38, v29, v26
	v_add_f32_e32 v26, v28, v30
	v_sub_f32_e32 v29, v27, v26
	s_waitcnt lgkmcnt(0)
	v_pk_add_f32 v[32:33], v[26:27], v[28:29] neg_lo:[0,1] neg_hi:[0,1]
	v_mov_b32_e32 v31, v26
	v_pk_add_f32 v[26:27], v[32:33], v[30:31] neg_lo:[0,1] neg_hi:[0,1]
	v_cmp_eq_f32_e32 vcc, s3, v42
	v_add_f32_e32 v27, v38, v27
	v_add_f32_e32 v26, v26, v27
	;; [unrolled: 1-line block ×3, first 2 shown]
	v_mul_f32_e32 v38, v37, v27
	v_mul_f32_e32 v28, v35, v38
	v_fma_f32 v30, v38, v35, -v28
	v_fmac_f32_e32 v30, v38, v36
	v_sub_f32_e32 v29, v29, v27
	v_add_f32_e32 v35, v26, v29
	v_add_f32_e32 v26, v28, v30
	v_sub_f32_e32 v29, v27, v26
	v_pk_add_f32 v[32:33], v[26:27], v[28:29] neg_lo:[0,1] neg_hi:[0,1]
	v_mov_b32_e32 v31, v26
	v_pk_add_f32 v[26:27], v[32:33], v[30:31] neg_lo:[0,1] neg_hi:[0,1]
	v_cvt_f32_i32_e32 v28, v34
	v_add_f32_e32 v27, v35, v27
	v_add_f32_e32 v26, v26, v27
	;; [unrolled: 1-line block ×4, first 2 shown]
	v_sub_f32_e32 v27, v29, v39
	v_mul_f32_e32 v26, v37, v26
	v_sub_f32_e32 v27, v38, v27
	v_add_f32_e32 v26, v27, v26
	v_add_f32_e32 v30, v29, v26
	v_mul_f32_e32 v32, v30, v30
	v_mov_b32_e32 v27, 0x3ecc95a3
	v_sub_f32_e32 v29, v30, v29
	v_fmac_f32_e32 v27, 0x3e9b6dac, v32
	v_sub_f32_e32 v26, v26, v29
	v_fmaak_f32 v27, v32, v27, 0x3f2aaada
	v_ldexp_f32 v33, v26, 1
	v_mul_f32_e32 v29, v30, v32
	v_mov_b32_e32 v26, 0x3f317218
	v_pk_mul_f32 v[26:27], v[28:29], v[26:27]
	v_ldexp_f32 v31, v30, 1
	v_fma_f32 v29, v28, s2, -v26
	v_fmamk_f32 v30, v28, 0xb102e308, v29
	v_pk_add_f32 v[28:29], v[26:27], v[30:31]
	v_mov_b32_e32 v32, v26
	v_sub_f32_e32 v31, v29, v31
	v_sub_f32_e32 v31, v27, v31
	v_add_f32_e32 v33, v33, v31
	v_pk_add_f32 v[26:27], v[28:29], v[26:27] neg_lo:[0,1] neg_hi:[0,1]
	v_pk_add_f32 v[34:35], v[28:29], v[32:33]
	v_mov_b32_e32 v31, v28
	v_mov_b32_e32 v27, v35
	v_pk_add_f32 v[36:37], v[30:31], v[26:27] neg_lo:[0,1] neg_hi:[0,1]
	v_pk_add_f32 v[26:27], v[30:31], v[26:27]
	v_mov_b32_e32 v32, v33
	v_mov_b32_e32 v30, v27
	v_pk_add_f32 v[38:39], v[30:31], v[28:29] neg_lo:[0,1] neg_hi:[0,1]
	v_mov_b32_e32 v26, v35
	v_mov_b32_e32 v31, v38
	v_pk_add_f32 v[40:41], v[34:35], v[30:31] neg_lo:[0,1] neg_hi:[0,1]
	v_mov_b32_e32 v34, v29
	v_mov_b32_e32 v35, v38
	;; [unrolled: 1-line block ×3, first 2 shown]
	v_pk_add_f32 v[26:27], v[26:27], v[34:35] neg_lo:[0,1] neg_hi:[0,1]
	v_mov_b32_e32 v33, v28
	v_pk_add_f32 v[26:27], v[32:33], v[26:27] neg_lo:[0,1] neg_hi:[0,1]
	v_mov_b32_e32 v40, v36
	v_pk_add_f32 v[28:29], v[40:41], v[26:27]
	s_mov_b32 s2, 0x33800000
	v_mov_b32_e32 v32, v29
	v_pk_add_f32 v[32:33], v[28:29], v[32:33]
	v_cmp_lt_f32_e64 s[2:3], |v42|, s2
	v_pk_add_f32 v[30:31], v[30:31], v[32:33]
	v_mov_b32_e32 v27, v32
	v_mov_b32_e32 v29, v30
	v_pk_add_f32 v[34:35], v[28:29], v[36:37] neg_lo:[0,1] neg_hi:[0,1]
	s_or_b64 vcc, vcc, s[2:3]
	v_sub_f32_e32 v28, v28, v34
	v_pk_add_f32 v[26:27], v[26:27], v[34:35] neg_lo:[0,1] neg_hi:[0,1]
	v_sub_f32_e32 v28, v36, v28
	v_add_f32_e32 v26, v26, v28
	v_add_f32_e32 v26, v26, v27
	;; [unrolled: 1-line block ×3, first 2 shown]
	v_cndmask_b32_e32 v26, v26, v42, vcc
	v_add_f32_e32 v1, v1, v26
	v_cvt_f16_f32_e32 v26, v1
.LBB418_184:
	s_or_b64 exec, exec, s[0:1]
	s_mov_b32 s0, 0x5040100
	v_add_u32_e32 v9, v14, v9
	v_perm_b32 v30, v17, v3, s0
	v_perm_b32 v28, v0, v2, s0
	;; [unrolled: 1-line block ×6, first 2 shown]
	s_waitcnt lgkmcnt(0)
	s_barrier
	v_perm_b32 v31, v18, v4, s0
	v_perm_b32 v29, v16, v15, s0
	ds_write_b128 v9, v[0:3] offset:16
	v_perm_b32 v3, v26, v8, s0
	v_perm_b32 v2, v25, v7, s0
	;; [unrolled: 1-line block ×4, first 2 shown]
	ds_write_b128 v9, v[28:31]
	ds_write_b128 v9, v[0:3] offset:32
	s_waitcnt lgkmcnt(0)
	s_barrier
	ds_read_u16 v26, v14 offset:512
	ds_read_u16 v25, v14 offset:1024
	;; [unrolled: 1-line block ×23, first 2 shown]
	v_readlane_b32 s0, v53, 6
	v_mov_b32_e32 v15, 0
	v_readlane_b32 s1, v53, 7
	s_nop 1
	v_lshl_add_u64 v[0:1], s[0:1], 0, v[14:15]
	s_mov_b64 s[0:1], exec
	v_readlane_b32 s2, v53, 0
	v_readlane_b32 s3, v53, 1
	s_and_b64 s[2:3], s[0:1], s[2:3]
	s_mov_b64 exec, s[2:3]
	s_cbranch_execz .LBB418_186
; %bb.185:
	ds_read_u16 v14, v14
	s_waitcnt lgkmcnt(0)
	global_store_short v[0:1], v14, off
.LBB418_186:
	s_or_b64 exec, exec, s[0:1]
	s_mov_b64 s[0:1], exec
	v_readlane_b32 s2, v53, 2
	v_readlane_b32 s3, v53, 3
	s_and_b64 s[2:3], s[0:1], s[2:3]
	s_mov_b64 exec, s[2:3]
	s_cbranch_execz .LBB418_188
; %bb.187:
	s_waitcnt lgkmcnt(14)
	global_store_short v[0:1], v26, off offset:512
.LBB418_188:
	s_or_b64 exec, exec, s[0:1]
	s_mov_b64 s[0:1], exec
	v_readlane_b32 s2, v53, 4
	v_readlane_b32 s3, v53, 5
	s_and_b64 s[2:3], s[0:1], s[2:3]
	s_mov_b64 exec, s[2:3]
	s_cbranch_execnz .LBB418_211
; %bb.189:
	s_or_b64 exec, exec, s[0:1]
	s_and_saveexec_b64 s[0:1], s[4:5]
	s_cbranch_execnz .LBB418_212
.LBB418_190:
	s_or_b64 exec, exec, s[0:1]
	s_and_saveexec_b64 s[0:1], s[6:7]
	s_cbranch_execnz .LBB418_213
.LBB418_191:
	s_or_b64 exec, exec, s[0:1]
	s_and_saveexec_b64 s[0:1], s[8:9]
	s_cbranch_execnz .LBB418_214
.LBB418_192:
	s_or_b64 exec, exec, s[0:1]
	s_and_saveexec_b64 s[0:1], s[10:11]
	s_cbranch_execnz .LBB418_215
.LBB418_193:
	s_or_b64 exec, exec, s[0:1]
	s_and_saveexec_b64 s[0:1], s[12:13]
	s_cbranch_execnz .LBB418_216
.LBB418_194:
	s_or_b64 exec, exec, s[0:1]
	s_and_saveexec_b64 s[0:1], s[14:15]
	s_cbranch_execnz .LBB418_217
.LBB418_195:
	s_or_b64 exec, exec, s[0:1]
	s_and_saveexec_b64 s[0:1], s[16:17]
	s_cbranch_execnz .LBB418_218
.LBB418_196:
	s_or_b64 exec, exec, s[0:1]
	s_and_saveexec_b64 s[0:1], s[18:19]
	s_cbranch_execnz .LBB418_219
.LBB418_197:
	s_or_b64 exec, exec, s[0:1]
	s_and_saveexec_b64 s[0:1], s[20:21]
	s_cbranch_execnz .LBB418_220
.LBB418_198:
	s_or_b64 exec, exec, s[0:1]
	s_and_saveexec_b64 s[0:1], s[22:23]
	s_cbranch_execnz .LBB418_221
.LBB418_199:
	s_or_b64 exec, exec, s[0:1]
	s_and_saveexec_b64 s[0:1], s[24:25]
	s_cbranch_execnz .LBB418_222
.LBB418_200:
	s_or_b64 exec, exec, s[0:1]
	s_and_saveexec_b64 s[0:1], s[26:27]
	s_cbranch_execnz .LBB418_223
.LBB418_201:
	s_or_b64 exec, exec, s[0:1]
	s_and_saveexec_b64 s[0:1], s[28:29]
	s_cbranch_execnz .LBB418_224
.LBB418_202:
	s_or_b64 exec, exec, s[0:1]
	s_and_saveexec_b64 s[0:1], s[30:31]
	s_cbranch_execnz .LBB418_225
.LBB418_203:
	s_or_b64 exec, exec, s[0:1]
	s_and_saveexec_b64 s[0:1], s[34:35]
	s_cbranch_execnz .LBB418_226
.LBB418_204:
	s_or_b64 exec, exec, s[0:1]
	s_and_saveexec_b64 s[0:1], s[36:37]
	s_cbranch_execnz .LBB418_227
.LBB418_205:
	s_or_b64 exec, exec, s[0:1]
	s_and_saveexec_b64 s[0:1], s[38:39]
	s_cbranch_execnz .LBB418_228
.LBB418_206:
	s_or_b64 exec, exec, s[0:1]
	s_and_saveexec_b64 s[0:1], s[40:41]
	s_cbranch_execnz .LBB418_229
.LBB418_207:
	s_or_b64 exec, exec, s[0:1]
	s_and_saveexec_b64 s[0:1], s[42:43]
	s_cbranch_execnz .LBB418_230
.LBB418_208:
	s_or_b64 exec, exec, s[0:1]
	s_and_saveexec_b64 s[0:1], s[44:45]
	s_cbranch_execnz .LBB418_231
.LBB418_209:
	s_or_b64 exec, exec, s[0:1]
	s_and_saveexec_b64 s[0:1], s[46:47]
	s_cbranch_execnz .LBB418_232
.LBB418_210:
	s_endpgm
.LBB418_211:
	s_waitcnt lgkmcnt(14)
	global_store_short v[0:1], v25, off offset:1024
	s_or_b64 exec, exec, s[0:1]
	s_and_saveexec_b64 s[0:1], s[4:5]
	s_cbranch_execz .LBB418_190
.LBB418_212:
	s_waitcnt lgkmcnt(14)
	global_store_short v[0:1], v24, off offset:1536
	s_or_b64 exec, exec, s[0:1]
	s_and_saveexec_b64 s[0:1], s[6:7]
	s_cbranch_execz .LBB418_191
.LBB418_213:
	s_waitcnt lgkmcnt(14)
	global_store_short v[0:1], v23, off offset:2048
	s_or_b64 exec, exec, s[0:1]
	s_and_saveexec_b64 s[0:1], s[8:9]
	s_cbranch_execz .LBB418_192
.LBB418_214:
	s_waitcnt lgkmcnt(14)
	global_store_short v[0:1], v22, off offset:2560
	s_or_b64 exec, exec, s[0:1]
	s_and_saveexec_b64 s[0:1], s[10:11]
	s_cbranch_execz .LBB418_193
.LBB418_215:
	s_waitcnt lgkmcnt(14)
	global_store_short v[0:1], v21, off offset:3072
	s_or_b64 exec, exec, s[0:1]
	s_and_saveexec_b64 s[0:1], s[12:13]
	s_cbranch_execz .LBB418_194
.LBB418_216:
	s_waitcnt lgkmcnt(14)
	global_store_short v[0:1], v20, off offset:3584
	s_or_b64 exec, exec, s[0:1]
	s_and_saveexec_b64 s[0:1], s[14:15]
	s_cbranch_execz .LBB418_195
.LBB418_217:
	v_add_co_u32_e32 v14, vcc, 0x1000, v0
	s_nop 1
	v_addc_co_u32_e32 v15, vcc, 0, v1, vcc
	s_waitcnt lgkmcnt(14)
	global_store_short v[14:15], v19, off
	s_or_b64 exec, exec, s[0:1]
	s_and_saveexec_b64 s[0:1], s[16:17]
	s_cbranch_execz .LBB418_196
.LBB418_218:
	v_add_co_u32_e32 v14, vcc, 0x1000, v0
	s_nop 1
	v_addc_co_u32_e32 v15, vcc, 0, v1, vcc
	s_waitcnt lgkmcnt(14)
	global_store_short v[14:15], v18, off offset:512
	s_or_b64 exec, exec, s[0:1]
	s_and_saveexec_b64 s[0:1], s[18:19]
	s_cbranch_execz .LBB418_197
.LBB418_219:
	v_add_co_u32_e32 v14, vcc, 0x1000, v0
	s_nop 1
	v_addc_co_u32_e32 v15, vcc, 0, v1, vcc
	s_waitcnt lgkmcnt(13)
	global_store_short v[14:15], v17, off offset:1024
	s_or_b64 exec, exec, s[0:1]
	s_and_saveexec_b64 s[0:1], s[20:21]
	s_cbranch_execz .LBB418_198
.LBB418_220:
	v_add_co_u32_e32 v14, vcc, 0x1000, v0
	s_nop 1
	v_addc_co_u32_e32 v15, vcc, 0, v1, vcc
	s_waitcnt lgkmcnt(12)
	global_store_short v[14:15], v16, off offset:1536
	s_or_b64 exec, exec, s[0:1]
	s_and_saveexec_b64 s[0:1], s[22:23]
	s_cbranch_execz .LBB418_199
.LBB418_221:
	v_add_co_u32_e32 v14, vcc, 0x1000, v0
	s_nop 1
	v_addc_co_u32_e32 v15, vcc, 0, v1, vcc
	s_waitcnt lgkmcnt(11)
	global_store_short v[14:15], v13, off offset:2048
	s_or_b64 exec, exec, s[0:1]
	s_and_saveexec_b64 s[0:1], s[24:25]
	s_cbranch_execz .LBB418_200
.LBB418_222:
	v_add_co_u32_e32 v14, vcc, 0x1000, v0
	s_nop 1
	v_addc_co_u32_e32 v15, vcc, 0, v1, vcc
	s_waitcnt lgkmcnt(10)
	global_store_short v[14:15], v12, off offset:2560
	s_or_b64 exec, exec, s[0:1]
	s_and_saveexec_b64 s[0:1], s[26:27]
	s_cbranch_execz .LBB418_201
.LBB418_223:
	s_waitcnt lgkmcnt(10)
	v_add_co_u32_e32 v12, vcc, 0x1000, v0
	s_nop 1
	v_addc_co_u32_e32 v13, vcc, 0, v1, vcc
	s_waitcnt lgkmcnt(9)
	global_store_short v[12:13], v11, off offset:3072
	s_or_b64 exec, exec, s[0:1]
	s_and_saveexec_b64 s[0:1], s[28:29]
	s_cbranch_execz .LBB418_202
.LBB418_224:
	s_waitcnt lgkmcnt(10)
	v_add_co_u32_e32 v12, vcc, 0x1000, v0
	s_nop 1
	v_addc_co_u32_e32 v13, vcc, 0, v1, vcc
	s_waitcnt lgkmcnt(8)
	global_store_short v[12:13], v10, off offset:3584
	s_or_b64 exec, exec, s[0:1]
	s_and_saveexec_b64 s[0:1], s[30:31]
	s_cbranch_execz .LBB418_203
.LBB418_225:
	s_waitcnt lgkmcnt(8)
	v_add_co_u32_e32 v10, vcc, 0x2000, v0
	s_nop 1
	v_addc_co_u32_e32 v11, vcc, 0, v1, vcc
	s_waitcnt lgkmcnt(7)
	global_store_short v[10:11], v9, off
	s_or_b64 exec, exec, s[0:1]
	s_and_saveexec_b64 s[0:1], s[34:35]
	s_cbranch_execz .LBB418_204
.LBB418_226:
	s_waitcnt lgkmcnt(8)
	v_add_co_u32_e32 v10, vcc, 0x2000, v0
	s_nop 1
	v_addc_co_u32_e32 v11, vcc, 0, v1, vcc
	s_waitcnt lgkmcnt(6)
	global_store_short v[10:11], v8, off offset:512
	s_or_b64 exec, exec, s[0:1]
	s_and_saveexec_b64 s[0:1], s[36:37]
	s_cbranch_execz .LBB418_205
.LBB418_227:
	s_waitcnt lgkmcnt(6)
	v_add_co_u32_e32 v8, vcc, 0x2000, v0
	s_nop 1
	v_addc_co_u32_e32 v9, vcc, 0, v1, vcc
	s_waitcnt lgkmcnt(5)
	global_store_short v[8:9], v7, off offset:1024
	s_or_b64 exec, exec, s[0:1]
	s_and_saveexec_b64 s[0:1], s[38:39]
	s_cbranch_execz .LBB418_206
.LBB418_228:
	s_waitcnt lgkmcnt(6)
	v_add_co_u32_e32 v8, vcc, 0x2000, v0
	s_nop 1
	v_addc_co_u32_e32 v9, vcc, 0, v1, vcc
	s_waitcnt lgkmcnt(4)
	global_store_short v[8:9], v6, off offset:1536
	s_or_b64 exec, exec, s[0:1]
	s_and_saveexec_b64 s[0:1], s[40:41]
	s_cbranch_execz .LBB418_207
.LBB418_229:
	s_waitcnt lgkmcnt(4)
	v_add_co_u32_e32 v6, vcc, 0x2000, v0
	s_nop 1
	v_addc_co_u32_e32 v7, vcc, 0, v1, vcc
	s_waitcnt lgkmcnt(3)
	global_store_short v[6:7], v5, off offset:2048
	s_or_b64 exec, exec, s[0:1]
	s_and_saveexec_b64 s[0:1], s[42:43]
	s_cbranch_execz .LBB418_208
.LBB418_230:
	s_waitcnt lgkmcnt(4)
	v_add_co_u32_e32 v6, vcc, 0x2000, v0
	s_nop 1
	v_addc_co_u32_e32 v7, vcc, 0, v1, vcc
	s_waitcnt lgkmcnt(2)
	global_store_short v[6:7], v4, off offset:2560
	s_or_b64 exec, exec, s[0:1]
	s_and_saveexec_b64 s[0:1], s[44:45]
	s_cbranch_execz .LBB418_209
.LBB418_231:
	s_waitcnt lgkmcnt(2)
	v_add_co_u32_e32 v4, vcc, 0x2000, v0
	s_nop 1
	v_addc_co_u32_e32 v5, vcc, 0, v1, vcc
	s_waitcnt lgkmcnt(1)
	global_store_short v[4:5], v3, off offset:3072
	s_or_b64 exec, exec, s[0:1]
	s_and_saveexec_b64 s[0:1], s[46:47]
	s_cbranch_execz .LBB418_210
.LBB418_232:
	v_add_co_u32_e32 v0, vcc, 0x2000, v0
	s_nop 1
	v_addc_co_u32_e32 v1, vcc, 0, v1, vcc
	s_waitcnt lgkmcnt(0)
	global_store_short v[0:1], v2, off offset:3584
	s_endpgm
	.section	.rodata,"a",@progbits
	.p2align	6, 0x0
	.amdhsa_kernel _ZN7rocprim17ROCPRIM_400000_NS6detail17trampoline_kernelINS0_14default_configENS1_20scan_config_selectorIN3c104HalfEEEZZNS1_9scan_implILNS1_25lookback_scan_determinismE0ELb0ELb0ES3_PKS6_PS6_S6_ZZZN2at6native31launch_logcumsumexp_cuda_kernelERKNSD_10TensorBaseESH_lENKUlvE_clEvENKUlvE3_clEvEUlS6_S6_E_S6_EEDaPvRmT3_T4_T5_mT6_P12ihipStream_tbENKUlT_T0_E_clISt17integral_constantIbLb1EESX_IbLb0EEEEDaST_SU_EUlST_E0_NS1_11comp_targetILNS1_3genE5ELNS1_11target_archE942ELNS1_3gpuE9ELNS1_3repE0EEENS1_30default_config_static_selectorELNS0_4arch9wavefront6targetE1EEEvT1_
		.amdhsa_group_segment_fixed_size 12288
		.amdhsa_private_segment_fixed_size 0
		.amdhsa_kernarg_size 32
		.amdhsa_user_sgpr_count 2
		.amdhsa_user_sgpr_dispatch_ptr 0
		.amdhsa_user_sgpr_queue_ptr 0
		.amdhsa_user_sgpr_kernarg_segment_ptr 1
		.amdhsa_user_sgpr_dispatch_id 0
		.amdhsa_user_sgpr_kernarg_preload_length 0
		.amdhsa_user_sgpr_kernarg_preload_offset 0
		.amdhsa_user_sgpr_private_segment_size 0
		.amdhsa_uses_dynamic_stack 0
		.amdhsa_enable_private_segment 0
		.amdhsa_system_sgpr_workgroup_id_x 1
		.amdhsa_system_sgpr_workgroup_id_y 0
		.amdhsa_system_sgpr_workgroup_id_z 0
		.amdhsa_system_sgpr_workgroup_info 0
		.amdhsa_system_vgpr_workitem_id 0
		.amdhsa_next_free_vgpr 54
		.amdhsa_next_free_sgpr 100
		.amdhsa_accum_offset 56
		.amdhsa_reserve_vcc 1
		.amdhsa_float_round_mode_32 0
		.amdhsa_float_round_mode_16_64 0
		.amdhsa_float_denorm_mode_32 3
		.amdhsa_float_denorm_mode_16_64 3
		.amdhsa_dx10_clamp 1
		.amdhsa_ieee_mode 1
		.amdhsa_fp16_overflow 0
		.amdhsa_tg_split 0
		.amdhsa_exception_fp_ieee_invalid_op 0
		.amdhsa_exception_fp_denorm_src 0
		.amdhsa_exception_fp_ieee_div_zero 0
		.amdhsa_exception_fp_ieee_overflow 0
		.amdhsa_exception_fp_ieee_underflow 0
		.amdhsa_exception_fp_ieee_inexact 0
		.amdhsa_exception_int_div_zero 0
	.end_amdhsa_kernel
	.section	.text._ZN7rocprim17ROCPRIM_400000_NS6detail17trampoline_kernelINS0_14default_configENS1_20scan_config_selectorIN3c104HalfEEEZZNS1_9scan_implILNS1_25lookback_scan_determinismE0ELb0ELb0ES3_PKS6_PS6_S6_ZZZN2at6native31launch_logcumsumexp_cuda_kernelERKNSD_10TensorBaseESH_lENKUlvE_clEvENKUlvE3_clEvEUlS6_S6_E_S6_EEDaPvRmT3_T4_T5_mT6_P12ihipStream_tbENKUlT_T0_E_clISt17integral_constantIbLb1EESX_IbLb0EEEEDaST_SU_EUlST_E0_NS1_11comp_targetILNS1_3genE5ELNS1_11target_archE942ELNS1_3gpuE9ELNS1_3repE0EEENS1_30default_config_static_selectorELNS0_4arch9wavefront6targetE1EEEvT1_,"axG",@progbits,_ZN7rocprim17ROCPRIM_400000_NS6detail17trampoline_kernelINS0_14default_configENS1_20scan_config_selectorIN3c104HalfEEEZZNS1_9scan_implILNS1_25lookback_scan_determinismE0ELb0ELb0ES3_PKS6_PS6_S6_ZZZN2at6native31launch_logcumsumexp_cuda_kernelERKNSD_10TensorBaseESH_lENKUlvE_clEvENKUlvE3_clEvEUlS6_S6_E_S6_EEDaPvRmT3_T4_T5_mT6_P12ihipStream_tbENKUlT_T0_E_clISt17integral_constantIbLb1EESX_IbLb0EEEEDaST_SU_EUlST_E0_NS1_11comp_targetILNS1_3genE5ELNS1_11target_archE942ELNS1_3gpuE9ELNS1_3repE0EEENS1_30default_config_static_selectorELNS0_4arch9wavefront6targetE1EEEvT1_,comdat
.Lfunc_end418:
	.size	_ZN7rocprim17ROCPRIM_400000_NS6detail17trampoline_kernelINS0_14default_configENS1_20scan_config_selectorIN3c104HalfEEEZZNS1_9scan_implILNS1_25lookback_scan_determinismE0ELb0ELb0ES3_PKS6_PS6_S6_ZZZN2at6native31launch_logcumsumexp_cuda_kernelERKNSD_10TensorBaseESH_lENKUlvE_clEvENKUlvE3_clEvEUlS6_S6_E_S6_EEDaPvRmT3_T4_T5_mT6_P12ihipStream_tbENKUlT_T0_E_clISt17integral_constantIbLb1EESX_IbLb0EEEEDaST_SU_EUlST_E0_NS1_11comp_targetILNS1_3genE5ELNS1_11target_archE942ELNS1_3gpuE9ELNS1_3repE0EEENS1_30default_config_static_selectorELNS0_4arch9wavefront6targetE1EEEvT1_, .Lfunc_end418-_ZN7rocprim17ROCPRIM_400000_NS6detail17trampoline_kernelINS0_14default_configENS1_20scan_config_selectorIN3c104HalfEEEZZNS1_9scan_implILNS1_25lookback_scan_determinismE0ELb0ELb0ES3_PKS6_PS6_S6_ZZZN2at6native31launch_logcumsumexp_cuda_kernelERKNSD_10TensorBaseESH_lENKUlvE_clEvENKUlvE3_clEvEUlS6_S6_E_S6_EEDaPvRmT3_T4_T5_mT6_P12ihipStream_tbENKUlT_T0_E_clISt17integral_constantIbLb1EESX_IbLb0EEEEDaST_SU_EUlST_E0_NS1_11comp_targetILNS1_3genE5ELNS1_11target_archE942ELNS1_3gpuE9ELNS1_3repE0EEENS1_30default_config_static_selectorELNS0_4arch9wavefront6targetE1EEEvT1_
                                        ; -- End function
	.section	.AMDGPU.csdata,"",@progbits
; Kernel info:
; codeLenInByte = 51128
; NumSgprs: 106
; NumVgprs: 54
; NumAgprs: 0
; TotalNumVgprs: 54
; ScratchSize: 0
; MemoryBound: 0
; FloatMode: 240
; IeeeMode: 1
; LDSByteSize: 12288 bytes/workgroup (compile time only)
; SGPRBlocks: 13
; VGPRBlocks: 6
; NumSGPRsForWavesPerEU: 106
; NumVGPRsForWavesPerEU: 54
; AccumOffset: 56
; Occupancy: 5
; WaveLimiterHint : 0
; COMPUTE_PGM_RSRC2:SCRATCH_EN: 0
; COMPUTE_PGM_RSRC2:USER_SGPR: 2
; COMPUTE_PGM_RSRC2:TRAP_HANDLER: 0
; COMPUTE_PGM_RSRC2:TGID_X_EN: 1
; COMPUTE_PGM_RSRC2:TGID_Y_EN: 0
; COMPUTE_PGM_RSRC2:TGID_Z_EN: 0
; COMPUTE_PGM_RSRC2:TIDIG_COMP_CNT: 0
; COMPUTE_PGM_RSRC3_GFX90A:ACCUM_OFFSET: 13
; COMPUTE_PGM_RSRC3_GFX90A:TG_SPLIT: 0
	.section	.text._ZN7rocprim17ROCPRIM_400000_NS6detail17trampoline_kernelINS0_14default_configENS1_20scan_config_selectorIN3c104HalfEEEZZNS1_9scan_implILNS1_25lookback_scan_determinismE0ELb0ELb0ES3_PKS6_PS6_S6_ZZZN2at6native31launch_logcumsumexp_cuda_kernelERKNSD_10TensorBaseESH_lENKUlvE_clEvENKUlvE3_clEvEUlS6_S6_E_S6_EEDaPvRmT3_T4_T5_mT6_P12ihipStream_tbENKUlT_T0_E_clISt17integral_constantIbLb1EESX_IbLb0EEEEDaST_SU_EUlST_E0_NS1_11comp_targetILNS1_3genE4ELNS1_11target_archE910ELNS1_3gpuE8ELNS1_3repE0EEENS1_30default_config_static_selectorELNS0_4arch9wavefront6targetE1EEEvT1_,"axG",@progbits,_ZN7rocprim17ROCPRIM_400000_NS6detail17trampoline_kernelINS0_14default_configENS1_20scan_config_selectorIN3c104HalfEEEZZNS1_9scan_implILNS1_25lookback_scan_determinismE0ELb0ELb0ES3_PKS6_PS6_S6_ZZZN2at6native31launch_logcumsumexp_cuda_kernelERKNSD_10TensorBaseESH_lENKUlvE_clEvENKUlvE3_clEvEUlS6_S6_E_S6_EEDaPvRmT3_T4_T5_mT6_P12ihipStream_tbENKUlT_T0_E_clISt17integral_constantIbLb1EESX_IbLb0EEEEDaST_SU_EUlST_E0_NS1_11comp_targetILNS1_3genE4ELNS1_11target_archE910ELNS1_3gpuE8ELNS1_3repE0EEENS1_30default_config_static_selectorELNS0_4arch9wavefront6targetE1EEEvT1_,comdat
	.globl	_ZN7rocprim17ROCPRIM_400000_NS6detail17trampoline_kernelINS0_14default_configENS1_20scan_config_selectorIN3c104HalfEEEZZNS1_9scan_implILNS1_25lookback_scan_determinismE0ELb0ELb0ES3_PKS6_PS6_S6_ZZZN2at6native31launch_logcumsumexp_cuda_kernelERKNSD_10TensorBaseESH_lENKUlvE_clEvENKUlvE3_clEvEUlS6_S6_E_S6_EEDaPvRmT3_T4_T5_mT6_P12ihipStream_tbENKUlT_T0_E_clISt17integral_constantIbLb1EESX_IbLb0EEEEDaST_SU_EUlST_E0_NS1_11comp_targetILNS1_3genE4ELNS1_11target_archE910ELNS1_3gpuE8ELNS1_3repE0EEENS1_30default_config_static_selectorELNS0_4arch9wavefront6targetE1EEEvT1_ ; -- Begin function _ZN7rocprim17ROCPRIM_400000_NS6detail17trampoline_kernelINS0_14default_configENS1_20scan_config_selectorIN3c104HalfEEEZZNS1_9scan_implILNS1_25lookback_scan_determinismE0ELb0ELb0ES3_PKS6_PS6_S6_ZZZN2at6native31launch_logcumsumexp_cuda_kernelERKNSD_10TensorBaseESH_lENKUlvE_clEvENKUlvE3_clEvEUlS6_S6_E_S6_EEDaPvRmT3_T4_T5_mT6_P12ihipStream_tbENKUlT_T0_E_clISt17integral_constantIbLb1EESX_IbLb0EEEEDaST_SU_EUlST_E0_NS1_11comp_targetILNS1_3genE4ELNS1_11target_archE910ELNS1_3gpuE8ELNS1_3repE0EEENS1_30default_config_static_selectorELNS0_4arch9wavefront6targetE1EEEvT1_
	.p2align	8
	.type	_ZN7rocprim17ROCPRIM_400000_NS6detail17trampoline_kernelINS0_14default_configENS1_20scan_config_selectorIN3c104HalfEEEZZNS1_9scan_implILNS1_25lookback_scan_determinismE0ELb0ELb0ES3_PKS6_PS6_S6_ZZZN2at6native31launch_logcumsumexp_cuda_kernelERKNSD_10TensorBaseESH_lENKUlvE_clEvENKUlvE3_clEvEUlS6_S6_E_S6_EEDaPvRmT3_T4_T5_mT6_P12ihipStream_tbENKUlT_T0_E_clISt17integral_constantIbLb1EESX_IbLb0EEEEDaST_SU_EUlST_E0_NS1_11comp_targetILNS1_3genE4ELNS1_11target_archE910ELNS1_3gpuE8ELNS1_3repE0EEENS1_30default_config_static_selectorELNS0_4arch9wavefront6targetE1EEEvT1_,@function
_ZN7rocprim17ROCPRIM_400000_NS6detail17trampoline_kernelINS0_14default_configENS1_20scan_config_selectorIN3c104HalfEEEZZNS1_9scan_implILNS1_25lookback_scan_determinismE0ELb0ELb0ES3_PKS6_PS6_S6_ZZZN2at6native31launch_logcumsumexp_cuda_kernelERKNSD_10TensorBaseESH_lENKUlvE_clEvENKUlvE3_clEvEUlS6_S6_E_S6_EEDaPvRmT3_T4_T5_mT6_P12ihipStream_tbENKUlT_T0_E_clISt17integral_constantIbLb1EESX_IbLb0EEEEDaST_SU_EUlST_E0_NS1_11comp_targetILNS1_3genE4ELNS1_11target_archE910ELNS1_3gpuE8ELNS1_3repE0EEENS1_30default_config_static_selectorELNS0_4arch9wavefront6targetE1EEEvT1_: ; @_ZN7rocprim17ROCPRIM_400000_NS6detail17trampoline_kernelINS0_14default_configENS1_20scan_config_selectorIN3c104HalfEEEZZNS1_9scan_implILNS1_25lookback_scan_determinismE0ELb0ELb0ES3_PKS6_PS6_S6_ZZZN2at6native31launch_logcumsumexp_cuda_kernelERKNSD_10TensorBaseESH_lENKUlvE_clEvENKUlvE3_clEvEUlS6_S6_E_S6_EEDaPvRmT3_T4_T5_mT6_P12ihipStream_tbENKUlT_T0_E_clISt17integral_constantIbLb1EESX_IbLb0EEEEDaST_SU_EUlST_E0_NS1_11comp_targetILNS1_3genE4ELNS1_11target_archE910ELNS1_3gpuE8ELNS1_3repE0EEENS1_30default_config_static_selectorELNS0_4arch9wavefront6targetE1EEEvT1_
; %bb.0:
	.section	.rodata,"a",@progbits
	.p2align	6, 0x0
	.amdhsa_kernel _ZN7rocprim17ROCPRIM_400000_NS6detail17trampoline_kernelINS0_14default_configENS1_20scan_config_selectorIN3c104HalfEEEZZNS1_9scan_implILNS1_25lookback_scan_determinismE0ELb0ELb0ES3_PKS6_PS6_S6_ZZZN2at6native31launch_logcumsumexp_cuda_kernelERKNSD_10TensorBaseESH_lENKUlvE_clEvENKUlvE3_clEvEUlS6_S6_E_S6_EEDaPvRmT3_T4_T5_mT6_P12ihipStream_tbENKUlT_T0_E_clISt17integral_constantIbLb1EESX_IbLb0EEEEDaST_SU_EUlST_E0_NS1_11comp_targetILNS1_3genE4ELNS1_11target_archE910ELNS1_3gpuE8ELNS1_3repE0EEENS1_30default_config_static_selectorELNS0_4arch9wavefront6targetE1EEEvT1_
		.amdhsa_group_segment_fixed_size 0
		.amdhsa_private_segment_fixed_size 0
		.amdhsa_kernarg_size 32
		.amdhsa_user_sgpr_count 2
		.amdhsa_user_sgpr_dispatch_ptr 0
		.amdhsa_user_sgpr_queue_ptr 0
		.amdhsa_user_sgpr_kernarg_segment_ptr 1
		.amdhsa_user_sgpr_dispatch_id 0
		.amdhsa_user_sgpr_kernarg_preload_length 0
		.amdhsa_user_sgpr_kernarg_preload_offset 0
		.amdhsa_user_sgpr_private_segment_size 0
		.amdhsa_uses_dynamic_stack 0
		.amdhsa_enable_private_segment 0
		.amdhsa_system_sgpr_workgroup_id_x 1
		.amdhsa_system_sgpr_workgroup_id_y 0
		.amdhsa_system_sgpr_workgroup_id_z 0
		.amdhsa_system_sgpr_workgroup_info 0
		.amdhsa_system_vgpr_workitem_id 0
		.amdhsa_next_free_vgpr 1
		.amdhsa_next_free_sgpr 0
		.amdhsa_accum_offset 4
		.amdhsa_reserve_vcc 0
		.amdhsa_float_round_mode_32 0
		.amdhsa_float_round_mode_16_64 0
		.amdhsa_float_denorm_mode_32 3
		.amdhsa_float_denorm_mode_16_64 3
		.amdhsa_dx10_clamp 1
		.amdhsa_ieee_mode 1
		.amdhsa_fp16_overflow 0
		.amdhsa_tg_split 0
		.amdhsa_exception_fp_ieee_invalid_op 0
		.amdhsa_exception_fp_denorm_src 0
		.amdhsa_exception_fp_ieee_div_zero 0
		.amdhsa_exception_fp_ieee_overflow 0
		.amdhsa_exception_fp_ieee_underflow 0
		.amdhsa_exception_fp_ieee_inexact 0
		.amdhsa_exception_int_div_zero 0
	.end_amdhsa_kernel
	.section	.text._ZN7rocprim17ROCPRIM_400000_NS6detail17trampoline_kernelINS0_14default_configENS1_20scan_config_selectorIN3c104HalfEEEZZNS1_9scan_implILNS1_25lookback_scan_determinismE0ELb0ELb0ES3_PKS6_PS6_S6_ZZZN2at6native31launch_logcumsumexp_cuda_kernelERKNSD_10TensorBaseESH_lENKUlvE_clEvENKUlvE3_clEvEUlS6_S6_E_S6_EEDaPvRmT3_T4_T5_mT6_P12ihipStream_tbENKUlT_T0_E_clISt17integral_constantIbLb1EESX_IbLb0EEEEDaST_SU_EUlST_E0_NS1_11comp_targetILNS1_3genE4ELNS1_11target_archE910ELNS1_3gpuE8ELNS1_3repE0EEENS1_30default_config_static_selectorELNS0_4arch9wavefront6targetE1EEEvT1_,"axG",@progbits,_ZN7rocprim17ROCPRIM_400000_NS6detail17trampoline_kernelINS0_14default_configENS1_20scan_config_selectorIN3c104HalfEEEZZNS1_9scan_implILNS1_25lookback_scan_determinismE0ELb0ELb0ES3_PKS6_PS6_S6_ZZZN2at6native31launch_logcumsumexp_cuda_kernelERKNSD_10TensorBaseESH_lENKUlvE_clEvENKUlvE3_clEvEUlS6_S6_E_S6_EEDaPvRmT3_T4_T5_mT6_P12ihipStream_tbENKUlT_T0_E_clISt17integral_constantIbLb1EESX_IbLb0EEEEDaST_SU_EUlST_E0_NS1_11comp_targetILNS1_3genE4ELNS1_11target_archE910ELNS1_3gpuE8ELNS1_3repE0EEENS1_30default_config_static_selectorELNS0_4arch9wavefront6targetE1EEEvT1_,comdat
.Lfunc_end419:
	.size	_ZN7rocprim17ROCPRIM_400000_NS6detail17trampoline_kernelINS0_14default_configENS1_20scan_config_selectorIN3c104HalfEEEZZNS1_9scan_implILNS1_25lookback_scan_determinismE0ELb0ELb0ES3_PKS6_PS6_S6_ZZZN2at6native31launch_logcumsumexp_cuda_kernelERKNSD_10TensorBaseESH_lENKUlvE_clEvENKUlvE3_clEvEUlS6_S6_E_S6_EEDaPvRmT3_T4_T5_mT6_P12ihipStream_tbENKUlT_T0_E_clISt17integral_constantIbLb1EESX_IbLb0EEEEDaST_SU_EUlST_E0_NS1_11comp_targetILNS1_3genE4ELNS1_11target_archE910ELNS1_3gpuE8ELNS1_3repE0EEENS1_30default_config_static_selectorELNS0_4arch9wavefront6targetE1EEEvT1_, .Lfunc_end419-_ZN7rocprim17ROCPRIM_400000_NS6detail17trampoline_kernelINS0_14default_configENS1_20scan_config_selectorIN3c104HalfEEEZZNS1_9scan_implILNS1_25lookback_scan_determinismE0ELb0ELb0ES3_PKS6_PS6_S6_ZZZN2at6native31launch_logcumsumexp_cuda_kernelERKNSD_10TensorBaseESH_lENKUlvE_clEvENKUlvE3_clEvEUlS6_S6_E_S6_EEDaPvRmT3_T4_T5_mT6_P12ihipStream_tbENKUlT_T0_E_clISt17integral_constantIbLb1EESX_IbLb0EEEEDaST_SU_EUlST_E0_NS1_11comp_targetILNS1_3genE4ELNS1_11target_archE910ELNS1_3gpuE8ELNS1_3repE0EEENS1_30default_config_static_selectorELNS0_4arch9wavefront6targetE1EEEvT1_
                                        ; -- End function
	.section	.AMDGPU.csdata,"",@progbits
; Kernel info:
; codeLenInByte = 0
; NumSgprs: 6
; NumVgprs: 0
; NumAgprs: 0
; TotalNumVgprs: 0
; ScratchSize: 0
; MemoryBound: 0
; FloatMode: 240
; IeeeMode: 1
; LDSByteSize: 0 bytes/workgroup (compile time only)
; SGPRBlocks: 0
; VGPRBlocks: 0
; NumSGPRsForWavesPerEU: 6
; NumVGPRsForWavesPerEU: 1
; AccumOffset: 4
; Occupancy: 8
; WaveLimiterHint : 0
; COMPUTE_PGM_RSRC2:SCRATCH_EN: 0
; COMPUTE_PGM_RSRC2:USER_SGPR: 2
; COMPUTE_PGM_RSRC2:TRAP_HANDLER: 0
; COMPUTE_PGM_RSRC2:TGID_X_EN: 1
; COMPUTE_PGM_RSRC2:TGID_Y_EN: 0
; COMPUTE_PGM_RSRC2:TGID_Z_EN: 0
; COMPUTE_PGM_RSRC2:TIDIG_COMP_CNT: 0
; COMPUTE_PGM_RSRC3_GFX90A:ACCUM_OFFSET: 0
; COMPUTE_PGM_RSRC3_GFX90A:TG_SPLIT: 0
	.section	.text._ZN7rocprim17ROCPRIM_400000_NS6detail17trampoline_kernelINS0_14default_configENS1_20scan_config_selectorIN3c104HalfEEEZZNS1_9scan_implILNS1_25lookback_scan_determinismE0ELb0ELb0ES3_PKS6_PS6_S6_ZZZN2at6native31launch_logcumsumexp_cuda_kernelERKNSD_10TensorBaseESH_lENKUlvE_clEvENKUlvE3_clEvEUlS6_S6_E_S6_EEDaPvRmT3_T4_T5_mT6_P12ihipStream_tbENKUlT_T0_E_clISt17integral_constantIbLb1EESX_IbLb0EEEEDaST_SU_EUlST_E0_NS1_11comp_targetILNS1_3genE3ELNS1_11target_archE908ELNS1_3gpuE7ELNS1_3repE0EEENS1_30default_config_static_selectorELNS0_4arch9wavefront6targetE1EEEvT1_,"axG",@progbits,_ZN7rocprim17ROCPRIM_400000_NS6detail17trampoline_kernelINS0_14default_configENS1_20scan_config_selectorIN3c104HalfEEEZZNS1_9scan_implILNS1_25lookback_scan_determinismE0ELb0ELb0ES3_PKS6_PS6_S6_ZZZN2at6native31launch_logcumsumexp_cuda_kernelERKNSD_10TensorBaseESH_lENKUlvE_clEvENKUlvE3_clEvEUlS6_S6_E_S6_EEDaPvRmT3_T4_T5_mT6_P12ihipStream_tbENKUlT_T0_E_clISt17integral_constantIbLb1EESX_IbLb0EEEEDaST_SU_EUlST_E0_NS1_11comp_targetILNS1_3genE3ELNS1_11target_archE908ELNS1_3gpuE7ELNS1_3repE0EEENS1_30default_config_static_selectorELNS0_4arch9wavefront6targetE1EEEvT1_,comdat
	.globl	_ZN7rocprim17ROCPRIM_400000_NS6detail17trampoline_kernelINS0_14default_configENS1_20scan_config_selectorIN3c104HalfEEEZZNS1_9scan_implILNS1_25lookback_scan_determinismE0ELb0ELb0ES3_PKS6_PS6_S6_ZZZN2at6native31launch_logcumsumexp_cuda_kernelERKNSD_10TensorBaseESH_lENKUlvE_clEvENKUlvE3_clEvEUlS6_S6_E_S6_EEDaPvRmT3_T4_T5_mT6_P12ihipStream_tbENKUlT_T0_E_clISt17integral_constantIbLb1EESX_IbLb0EEEEDaST_SU_EUlST_E0_NS1_11comp_targetILNS1_3genE3ELNS1_11target_archE908ELNS1_3gpuE7ELNS1_3repE0EEENS1_30default_config_static_selectorELNS0_4arch9wavefront6targetE1EEEvT1_ ; -- Begin function _ZN7rocprim17ROCPRIM_400000_NS6detail17trampoline_kernelINS0_14default_configENS1_20scan_config_selectorIN3c104HalfEEEZZNS1_9scan_implILNS1_25lookback_scan_determinismE0ELb0ELb0ES3_PKS6_PS6_S6_ZZZN2at6native31launch_logcumsumexp_cuda_kernelERKNSD_10TensorBaseESH_lENKUlvE_clEvENKUlvE3_clEvEUlS6_S6_E_S6_EEDaPvRmT3_T4_T5_mT6_P12ihipStream_tbENKUlT_T0_E_clISt17integral_constantIbLb1EESX_IbLb0EEEEDaST_SU_EUlST_E0_NS1_11comp_targetILNS1_3genE3ELNS1_11target_archE908ELNS1_3gpuE7ELNS1_3repE0EEENS1_30default_config_static_selectorELNS0_4arch9wavefront6targetE1EEEvT1_
	.p2align	8
	.type	_ZN7rocprim17ROCPRIM_400000_NS6detail17trampoline_kernelINS0_14default_configENS1_20scan_config_selectorIN3c104HalfEEEZZNS1_9scan_implILNS1_25lookback_scan_determinismE0ELb0ELb0ES3_PKS6_PS6_S6_ZZZN2at6native31launch_logcumsumexp_cuda_kernelERKNSD_10TensorBaseESH_lENKUlvE_clEvENKUlvE3_clEvEUlS6_S6_E_S6_EEDaPvRmT3_T4_T5_mT6_P12ihipStream_tbENKUlT_T0_E_clISt17integral_constantIbLb1EESX_IbLb0EEEEDaST_SU_EUlST_E0_NS1_11comp_targetILNS1_3genE3ELNS1_11target_archE908ELNS1_3gpuE7ELNS1_3repE0EEENS1_30default_config_static_selectorELNS0_4arch9wavefront6targetE1EEEvT1_,@function
_ZN7rocprim17ROCPRIM_400000_NS6detail17trampoline_kernelINS0_14default_configENS1_20scan_config_selectorIN3c104HalfEEEZZNS1_9scan_implILNS1_25lookback_scan_determinismE0ELb0ELb0ES3_PKS6_PS6_S6_ZZZN2at6native31launch_logcumsumexp_cuda_kernelERKNSD_10TensorBaseESH_lENKUlvE_clEvENKUlvE3_clEvEUlS6_S6_E_S6_EEDaPvRmT3_T4_T5_mT6_P12ihipStream_tbENKUlT_T0_E_clISt17integral_constantIbLb1EESX_IbLb0EEEEDaST_SU_EUlST_E0_NS1_11comp_targetILNS1_3genE3ELNS1_11target_archE908ELNS1_3gpuE7ELNS1_3repE0EEENS1_30default_config_static_selectorELNS0_4arch9wavefront6targetE1EEEvT1_: ; @_ZN7rocprim17ROCPRIM_400000_NS6detail17trampoline_kernelINS0_14default_configENS1_20scan_config_selectorIN3c104HalfEEEZZNS1_9scan_implILNS1_25lookback_scan_determinismE0ELb0ELb0ES3_PKS6_PS6_S6_ZZZN2at6native31launch_logcumsumexp_cuda_kernelERKNSD_10TensorBaseESH_lENKUlvE_clEvENKUlvE3_clEvEUlS6_S6_E_S6_EEDaPvRmT3_T4_T5_mT6_P12ihipStream_tbENKUlT_T0_E_clISt17integral_constantIbLb1EESX_IbLb0EEEEDaST_SU_EUlST_E0_NS1_11comp_targetILNS1_3genE3ELNS1_11target_archE908ELNS1_3gpuE7ELNS1_3repE0EEENS1_30default_config_static_selectorELNS0_4arch9wavefront6targetE1EEEvT1_
; %bb.0:
	.section	.rodata,"a",@progbits
	.p2align	6, 0x0
	.amdhsa_kernel _ZN7rocprim17ROCPRIM_400000_NS6detail17trampoline_kernelINS0_14default_configENS1_20scan_config_selectorIN3c104HalfEEEZZNS1_9scan_implILNS1_25lookback_scan_determinismE0ELb0ELb0ES3_PKS6_PS6_S6_ZZZN2at6native31launch_logcumsumexp_cuda_kernelERKNSD_10TensorBaseESH_lENKUlvE_clEvENKUlvE3_clEvEUlS6_S6_E_S6_EEDaPvRmT3_T4_T5_mT6_P12ihipStream_tbENKUlT_T0_E_clISt17integral_constantIbLb1EESX_IbLb0EEEEDaST_SU_EUlST_E0_NS1_11comp_targetILNS1_3genE3ELNS1_11target_archE908ELNS1_3gpuE7ELNS1_3repE0EEENS1_30default_config_static_selectorELNS0_4arch9wavefront6targetE1EEEvT1_
		.amdhsa_group_segment_fixed_size 0
		.amdhsa_private_segment_fixed_size 0
		.amdhsa_kernarg_size 32
		.amdhsa_user_sgpr_count 2
		.amdhsa_user_sgpr_dispatch_ptr 0
		.amdhsa_user_sgpr_queue_ptr 0
		.amdhsa_user_sgpr_kernarg_segment_ptr 1
		.amdhsa_user_sgpr_dispatch_id 0
		.amdhsa_user_sgpr_kernarg_preload_length 0
		.amdhsa_user_sgpr_kernarg_preload_offset 0
		.amdhsa_user_sgpr_private_segment_size 0
		.amdhsa_uses_dynamic_stack 0
		.amdhsa_enable_private_segment 0
		.amdhsa_system_sgpr_workgroup_id_x 1
		.amdhsa_system_sgpr_workgroup_id_y 0
		.amdhsa_system_sgpr_workgroup_id_z 0
		.amdhsa_system_sgpr_workgroup_info 0
		.amdhsa_system_vgpr_workitem_id 0
		.amdhsa_next_free_vgpr 1
		.amdhsa_next_free_sgpr 0
		.amdhsa_accum_offset 4
		.amdhsa_reserve_vcc 0
		.amdhsa_float_round_mode_32 0
		.amdhsa_float_round_mode_16_64 0
		.amdhsa_float_denorm_mode_32 3
		.amdhsa_float_denorm_mode_16_64 3
		.amdhsa_dx10_clamp 1
		.amdhsa_ieee_mode 1
		.amdhsa_fp16_overflow 0
		.amdhsa_tg_split 0
		.amdhsa_exception_fp_ieee_invalid_op 0
		.amdhsa_exception_fp_denorm_src 0
		.amdhsa_exception_fp_ieee_div_zero 0
		.amdhsa_exception_fp_ieee_overflow 0
		.amdhsa_exception_fp_ieee_underflow 0
		.amdhsa_exception_fp_ieee_inexact 0
		.amdhsa_exception_int_div_zero 0
	.end_amdhsa_kernel
	.section	.text._ZN7rocprim17ROCPRIM_400000_NS6detail17trampoline_kernelINS0_14default_configENS1_20scan_config_selectorIN3c104HalfEEEZZNS1_9scan_implILNS1_25lookback_scan_determinismE0ELb0ELb0ES3_PKS6_PS6_S6_ZZZN2at6native31launch_logcumsumexp_cuda_kernelERKNSD_10TensorBaseESH_lENKUlvE_clEvENKUlvE3_clEvEUlS6_S6_E_S6_EEDaPvRmT3_T4_T5_mT6_P12ihipStream_tbENKUlT_T0_E_clISt17integral_constantIbLb1EESX_IbLb0EEEEDaST_SU_EUlST_E0_NS1_11comp_targetILNS1_3genE3ELNS1_11target_archE908ELNS1_3gpuE7ELNS1_3repE0EEENS1_30default_config_static_selectorELNS0_4arch9wavefront6targetE1EEEvT1_,"axG",@progbits,_ZN7rocprim17ROCPRIM_400000_NS6detail17trampoline_kernelINS0_14default_configENS1_20scan_config_selectorIN3c104HalfEEEZZNS1_9scan_implILNS1_25lookback_scan_determinismE0ELb0ELb0ES3_PKS6_PS6_S6_ZZZN2at6native31launch_logcumsumexp_cuda_kernelERKNSD_10TensorBaseESH_lENKUlvE_clEvENKUlvE3_clEvEUlS6_S6_E_S6_EEDaPvRmT3_T4_T5_mT6_P12ihipStream_tbENKUlT_T0_E_clISt17integral_constantIbLb1EESX_IbLb0EEEEDaST_SU_EUlST_E0_NS1_11comp_targetILNS1_3genE3ELNS1_11target_archE908ELNS1_3gpuE7ELNS1_3repE0EEENS1_30default_config_static_selectorELNS0_4arch9wavefront6targetE1EEEvT1_,comdat
.Lfunc_end420:
	.size	_ZN7rocprim17ROCPRIM_400000_NS6detail17trampoline_kernelINS0_14default_configENS1_20scan_config_selectorIN3c104HalfEEEZZNS1_9scan_implILNS1_25lookback_scan_determinismE0ELb0ELb0ES3_PKS6_PS6_S6_ZZZN2at6native31launch_logcumsumexp_cuda_kernelERKNSD_10TensorBaseESH_lENKUlvE_clEvENKUlvE3_clEvEUlS6_S6_E_S6_EEDaPvRmT3_T4_T5_mT6_P12ihipStream_tbENKUlT_T0_E_clISt17integral_constantIbLb1EESX_IbLb0EEEEDaST_SU_EUlST_E0_NS1_11comp_targetILNS1_3genE3ELNS1_11target_archE908ELNS1_3gpuE7ELNS1_3repE0EEENS1_30default_config_static_selectorELNS0_4arch9wavefront6targetE1EEEvT1_, .Lfunc_end420-_ZN7rocprim17ROCPRIM_400000_NS6detail17trampoline_kernelINS0_14default_configENS1_20scan_config_selectorIN3c104HalfEEEZZNS1_9scan_implILNS1_25lookback_scan_determinismE0ELb0ELb0ES3_PKS6_PS6_S6_ZZZN2at6native31launch_logcumsumexp_cuda_kernelERKNSD_10TensorBaseESH_lENKUlvE_clEvENKUlvE3_clEvEUlS6_S6_E_S6_EEDaPvRmT3_T4_T5_mT6_P12ihipStream_tbENKUlT_T0_E_clISt17integral_constantIbLb1EESX_IbLb0EEEEDaST_SU_EUlST_E0_NS1_11comp_targetILNS1_3genE3ELNS1_11target_archE908ELNS1_3gpuE7ELNS1_3repE0EEENS1_30default_config_static_selectorELNS0_4arch9wavefront6targetE1EEEvT1_
                                        ; -- End function
	.section	.AMDGPU.csdata,"",@progbits
; Kernel info:
; codeLenInByte = 0
; NumSgprs: 6
; NumVgprs: 0
; NumAgprs: 0
; TotalNumVgprs: 0
; ScratchSize: 0
; MemoryBound: 0
; FloatMode: 240
; IeeeMode: 1
; LDSByteSize: 0 bytes/workgroup (compile time only)
; SGPRBlocks: 0
; VGPRBlocks: 0
; NumSGPRsForWavesPerEU: 6
; NumVGPRsForWavesPerEU: 1
; AccumOffset: 4
; Occupancy: 8
; WaveLimiterHint : 0
; COMPUTE_PGM_RSRC2:SCRATCH_EN: 0
; COMPUTE_PGM_RSRC2:USER_SGPR: 2
; COMPUTE_PGM_RSRC2:TRAP_HANDLER: 0
; COMPUTE_PGM_RSRC2:TGID_X_EN: 1
; COMPUTE_PGM_RSRC2:TGID_Y_EN: 0
; COMPUTE_PGM_RSRC2:TGID_Z_EN: 0
; COMPUTE_PGM_RSRC2:TIDIG_COMP_CNT: 0
; COMPUTE_PGM_RSRC3_GFX90A:ACCUM_OFFSET: 0
; COMPUTE_PGM_RSRC3_GFX90A:TG_SPLIT: 0
	.section	.text._ZN7rocprim17ROCPRIM_400000_NS6detail17trampoline_kernelINS0_14default_configENS1_20scan_config_selectorIN3c104HalfEEEZZNS1_9scan_implILNS1_25lookback_scan_determinismE0ELb0ELb0ES3_PKS6_PS6_S6_ZZZN2at6native31launch_logcumsumexp_cuda_kernelERKNSD_10TensorBaseESH_lENKUlvE_clEvENKUlvE3_clEvEUlS6_S6_E_S6_EEDaPvRmT3_T4_T5_mT6_P12ihipStream_tbENKUlT_T0_E_clISt17integral_constantIbLb1EESX_IbLb0EEEEDaST_SU_EUlST_E0_NS1_11comp_targetILNS1_3genE2ELNS1_11target_archE906ELNS1_3gpuE6ELNS1_3repE0EEENS1_30default_config_static_selectorELNS0_4arch9wavefront6targetE1EEEvT1_,"axG",@progbits,_ZN7rocprim17ROCPRIM_400000_NS6detail17trampoline_kernelINS0_14default_configENS1_20scan_config_selectorIN3c104HalfEEEZZNS1_9scan_implILNS1_25lookback_scan_determinismE0ELb0ELb0ES3_PKS6_PS6_S6_ZZZN2at6native31launch_logcumsumexp_cuda_kernelERKNSD_10TensorBaseESH_lENKUlvE_clEvENKUlvE3_clEvEUlS6_S6_E_S6_EEDaPvRmT3_T4_T5_mT6_P12ihipStream_tbENKUlT_T0_E_clISt17integral_constantIbLb1EESX_IbLb0EEEEDaST_SU_EUlST_E0_NS1_11comp_targetILNS1_3genE2ELNS1_11target_archE906ELNS1_3gpuE6ELNS1_3repE0EEENS1_30default_config_static_selectorELNS0_4arch9wavefront6targetE1EEEvT1_,comdat
	.globl	_ZN7rocprim17ROCPRIM_400000_NS6detail17trampoline_kernelINS0_14default_configENS1_20scan_config_selectorIN3c104HalfEEEZZNS1_9scan_implILNS1_25lookback_scan_determinismE0ELb0ELb0ES3_PKS6_PS6_S6_ZZZN2at6native31launch_logcumsumexp_cuda_kernelERKNSD_10TensorBaseESH_lENKUlvE_clEvENKUlvE3_clEvEUlS6_S6_E_S6_EEDaPvRmT3_T4_T5_mT6_P12ihipStream_tbENKUlT_T0_E_clISt17integral_constantIbLb1EESX_IbLb0EEEEDaST_SU_EUlST_E0_NS1_11comp_targetILNS1_3genE2ELNS1_11target_archE906ELNS1_3gpuE6ELNS1_3repE0EEENS1_30default_config_static_selectorELNS0_4arch9wavefront6targetE1EEEvT1_ ; -- Begin function _ZN7rocprim17ROCPRIM_400000_NS6detail17trampoline_kernelINS0_14default_configENS1_20scan_config_selectorIN3c104HalfEEEZZNS1_9scan_implILNS1_25lookback_scan_determinismE0ELb0ELb0ES3_PKS6_PS6_S6_ZZZN2at6native31launch_logcumsumexp_cuda_kernelERKNSD_10TensorBaseESH_lENKUlvE_clEvENKUlvE3_clEvEUlS6_S6_E_S6_EEDaPvRmT3_T4_T5_mT6_P12ihipStream_tbENKUlT_T0_E_clISt17integral_constantIbLb1EESX_IbLb0EEEEDaST_SU_EUlST_E0_NS1_11comp_targetILNS1_3genE2ELNS1_11target_archE906ELNS1_3gpuE6ELNS1_3repE0EEENS1_30default_config_static_selectorELNS0_4arch9wavefront6targetE1EEEvT1_
	.p2align	8
	.type	_ZN7rocprim17ROCPRIM_400000_NS6detail17trampoline_kernelINS0_14default_configENS1_20scan_config_selectorIN3c104HalfEEEZZNS1_9scan_implILNS1_25lookback_scan_determinismE0ELb0ELb0ES3_PKS6_PS6_S6_ZZZN2at6native31launch_logcumsumexp_cuda_kernelERKNSD_10TensorBaseESH_lENKUlvE_clEvENKUlvE3_clEvEUlS6_S6_E_S6_EEDaPvRmT3_T4_T5_mT6_P12ihipStream_tbENKUlT_T0_E_clISt17integral_constantIbLb1EESX_IbLb0EEEEDaST_SU_EUlST_E0_NS1_11comp_targetILNS1_3genE2ELNS1_11target_archE906ELNS1_3gpuE6ELNS1_3repE0EEENS1_30default_config_static_selectorELNS0_4arch9wavefront6targetE1EEEvT1_,@function
_ZN7rocprim17ROCPRIM_400000_NS6detail17trampoline_kernelINS0_14default_configENS1_20scan_config_selectorIN3c104HalfEEEZZNS1_9scan_implILNS1_25lookback_scan_determinismE0ELb0ELb0ES3_PKS6_PS6_S6_ZZZN2at6native31launch_logcumsumexp_cuda_kernelERKNSD_10TensorBaseESH_lENKUlvE_clEvENKUlvE3_clEvEUlS6_S6_E_S6_EEDaPvRmT3_T4_T5_mT6_P12ihipStream_tbENKUlT_T0_E_clISt17integral_constantIbLb1EESX_IbLb0EEEEDaST_SU_EUlST_E0_NS1_11comp_targetILNS1_3genE2ELNS1_11target_archE906ELNS1_3gpuE6ELNS1_3repE0EEENS1_30default_config_static_selectorELNS0_4arch9wavefront6targetE1EEEvT1_: ; @_ZN7rocprim17ROCPRIM_400000_NS6detail17trampoline_kernelINS0_14default_configENS1_20scan_config_selectorIN3c104HalfEEEZZNS1_9scan_implILNS1_25lookback_scan_determinismE0ELb0ELb0ES3_PKS6_PS6_S6_ZZZN2at6native31launch_logcumsumexp_cuda_kernelERKNSD_10TensorBaseESH_lENKUlvE_clEvENKUlvE3_clEvEUlS6_S6_E_S6_EEDaPvRmT3_T4_T5_mT6_P12ihipStream_tbENKUlT_T0_E_clISt17integral_constantIbLb1EESX_IbLb0EEEEDaST_SU_EUlST_E0_NS1_11comp_targetILNS1_3genE2ELNS1_11target_archE906ELNS1_3gpuE6ELNS1_3repE0EEENS1_30default_config_static_selectorELNS0_4arch9wavefront6targetE1EEEvT1_
; %bb.0:
	.section	.rodata,"a",@progbits
	.p2align	6, 0x0
	.amdhsa_kernel _ZN7rocprim17ROCPRIM_400000_NS6detail17trampoline_kernelINS0_14default_configENS1_20scan_config_selectorIN3c104HalfEEEZZNS1_9scan_implILNS1_25lookback_scan_determinismE0ELb0ELb0ES3_PKS6_PS6_S6_ZZZN2at6native31launch_logcumsumexp_cuda_kernelERKNSD_10TensorBaseESH_lENKUlvE_clEvENKUlvE3_clEvEUlS6_S6_E_S6_EEDaPvRmT3_T4_T5_mT6_P12ihipStream_tbENKUlT_T0_E_clISt17integral_constantIbLb1EESX_IbLb0EEEEDaST_SU_EUlST_E0_NS1_11comp_targetILNS1_3genE2ELNS1_11target_archE906ELNS1_3gpuE6ELNS1_3repE0EEENS1_30default_config_static_selectorELNS0_4arch9wavefront6targetE1EEEvT1_
		.amdhsa_group_segment_fixed_size 0
		.amdhsa_private_segment_fixed_size 0
		.amdhsa_kernarg_size 32
		.amdhsa_user_sgpr_count 2
		.amdhsa_user_sgpr_dispatch_ptr 0
		.amdhsa_user_sgpr_queue_ptr 0
		.amdhsa_user_sgpr_kernarg_segment_ptr 1
		.amdhsa_user_sgpr_dispatch_id 0
		.amdhsa_user_sgpr_kernarg_preload_length 0
		.amdhsa_user_sgpr_kernarg_preload_offset 0
		.amdhsa_user_sgpr_private_segment_size 0
		.amdhsa_uses_dynamic_stack 0
		.amdhsa_enable_private_segment 0
		.amdhsa_system_sgpr_workgroup_id_x 1
		.amdhsa_system_sgpr_workgroup_id_y 0
		.amdhsa_system_sgpr_workgroup_id_z 0
		.amdhsa_system_sgpr_workgroup_info 0
		.amdhsa_system_vgpr_workitem_id 0
		.amdhsa_next_free_vgpr 1
		.amdhsa_next_free_sgpr 0
		.amdhsa_accum_offset 4
		.amdhsa_reserve_vcc 0
		.amdhsa_float_round_mode_32 0
		.amdhsa_float_round_mode_16_64 0
		.amdhsa_float_denorm_mode_32 3
		.amdhsa_float_denorm_mode_16_64 3
		.amdhsa_dx10_clamp 1
		.amdhsa_ieee_mode 1
		.amdhsa_fp16_overflow 0
		.amdhsa_tg_split 0
		.amdhsa_exception_fp_ieee_invalid_op 0
		.amdhsa_exception_fp_denorm_src 0
		.amdhsa_exception_fp_ieee_div_zero 0
		.amdhsa_exception_fp_ieee_overflow 0
		.amdhsa_exception_fp_ieee_underflow 0
		.amdhsa_exception_fp_ieee_inexact 0
		.amdhsa_exception_int_div_zero 0
	.end_amdhsa_kernel
	.section	.text._ZN7rocprim17ROCPRIM_400000_NS6detail17trampoline_kernelINS0_14default_configENS1_20scan_config_selectorIN3c104HalfEEEZZNS1_9scan_implILNS1_25lookback_scan_determinismE0ELb0ELb0ES3_PKS6_PS6_S6_ZZZN2at6native31launch_logcumsumexp_cuda_kernelERKNSD_10TensorBaseESH_lENKUlvE_clEvENKUlvE3_clEvEUlS6_S6_E_S6_EEDaPvRmT3_T4_T5_mT6_P12ihipStream_tbENKUlT_T0_E_clISt17integral_constantIbLb1EESX_IbLb0EEEEDaST_SU_EUlST_E0_NS1_11comp_targetILNS1_3genE2ELNS1_11target_archE906ELNS1_3gpuE6ELNS1_3repE0EEENS1_30default_config_static_selectorELNS0_4arch9wavefront6targetE1EEEvT1_,"axG",@progbits,_ZN7rocprim17ROCPRIM_400000_NS6detail17trampoline_kernelINS0_14default_configENS1_20scan_config_selectorIN3c104HalfEEEZZNS1_9scan_implILNS1_25lookback_scan_determinismE0ELb0ELb0ES3_PKS6_PS6_S6_ZZZN2at6native31launch_logcumsumexp_cuda_kernelERKNSD_10TensorBaseESH_lENKUlvE_clEvENKUlvE3_clEvEUlS6_S6_E_S6_EEDaPvRmT3_T4_T5_mT6_P12ihipStream_tbENKUlT_T0_E_clISt17integral_constantIbLb1EESX_IbLb0EEEEDaST_SU_EUlST_E0_NS1_11comp_targetILNS1_3genE2ELNS1_11target_archE906ELNS1_3gpuE6ELNS1_3repE0EEENS1_30default_config_static_selectorELNS0_4arch9wavefront6targetE1EEEvT1_,comdat
.Lfunc_end421:
	.size	_ZN7rocprim17ROCPRIM_400000_NS6detail17trampoline_kernelINS0_14default_configENS1_20scan_config_selectorIN3c104HalfEEEZZNS1_9scan_implILNS1_25lookback_scan_determinismE0ELb0ELb0ES3_PKS6_PS6_S6_ZZZN2at6native31launch_logcumsumexp_cuda_kernelERKNSD_10TensorBaseESH_lENKUlvE_clEvENKUlvE3_clEvEUlS6_S6_E_S6_EEDaPvRmT3_T4_T5_mT6_P12ihipStream_tbENKUlT_T0_E_clISt17integral_constantIbLb1EESX_IbLb0EEEEDaST_SU_EUlST_E0_NS1_11comp_targetILNS1_3genE2ELNS1_11target_archE906ELNS1_3gpuE6ELNS1_3repE0EEENS1_30default_config_static_selectorELNS0_4arch9wavefront6targetE1EEEvT1_, .Lfunc_end421-_ZN7rocprim17ROCPRIM_400000_NS6detail17trampoline_kernelINS0_14default_configENS1_20scan_config_selectorIN3c104HalfEEEZZNS1_9scan_implILNS1_25lookback_scan_determinismE0ELb0ELb0ES3_PKS6_PS6_S6_ZZZN2at6native31launch_logcumsumexp_cuda_kernelERKNSD_10TensorBaseESH_lENKUlvE_clEvENKUlvE3_clEvEUlS6_S6_E_S6_EEDaPvRmT3_T4_T5_mT6_P12ihipStream_tbENKUlT_T0_E_clISt17integral_constantIbLb1EESX_IbLb0EEEEDaST_SU_EUlST_E0_NS1_11comp_targetILNS1_3genE2ELNS1_11target_archE906ELNS1_3gpuE6ELNS1_3repE0EEENS1_30default_config_static_selectorELNS0_4arch9wavefront6targetE1EEEvT1_
                                        ; -- End function
	.section	.AMDGPU.csdata,"",@progbits
; Kernel info:
; codeLenInByte = 0
; NumSgprs: 6
; NumVgprs: 0
; NumAgprs: 0
; TotalNumVgprs: 0
; ScratchSize: 0
; MemoryBound: 0
; FloatMode: 240
; IeeeMode: 1
; LDSByteSize: 0 bytes/workgroup (compile time only)
; SGPRBlocks: 0
; VGPRBlocks: 0
; NumSGPRsForWavesPerEU: 6
; NumVGPRsForWavesPerEU: 1
; AccumOffset: 4
; Occupancy: 8
; WaveLimiterHint : 0
; COMPUTE_PGM_RSRC2:SCRATCH_EN: 0
; COMPUTE_PGM_RSRC2:USER_SGPR: 2
; COMPUTE_PGM_RSRC2:TRAP_HANDLER: 0
; COMPUTE_PGM_RSRC2:TGID_X_EN: 1
; COMPUTE_PGM_RSRC2:TGID_Y_EN: 0
; COMPUTE_PGM_RSRC2:TGID_Z_EN: 0
; COMPUTE_PGM_RSRC2:TIDIG_COMP_CNT: 0
; COMPUTE_PGM_RSRC3_GFX90A:ACCUM_OFFSET: 0
; COMPUTE_PGM_RSRC3_GFX90A:TG_SPLIT: 0
	.section	.text._ZN7rocprim17ROCPRIM_400000_NS6detail17trampoline_kernelINS0_14default_configENS1_20scan_config_selectorIN3c104HalfEEEZZNS1_9scan_implILNS1_25lookback_scan_determinismE0ELb0ELb0ES3_PKS6_PS6_S6_ZZZN2at6native31launch_logcumsumexp_cuda_kernelERKNSD_10TensorBaseESH_lENKUlvE_clEvENKUlvE3_clEvEUlS6_S6_E_S6_EEDaPvRmT3_T4_T5_mT6_P12ihipStream_tbENKUlT_T0_E_clISt17integral_constantIbLb1EESX_IbLb0EEEEDaST_SU_EUlST_E0_NS1_11comp_targetILNS1_3genE10ELNS1_11target_archE1201ELNS1_3gpuE5ELNS1_3repE0EEENS1_30default_config_static_selectorELNS0_4arch9wavefront6targetE1EEEvT1_,"axG",@progbits,_ZN7rocprim17ROCPRIM_400000_NS6detail17trampoline_kernelINS0_14default_configENS1_20scan_config_selectorIN3c104HalfEEEZZNS1_9scan_implILNS1_25lookback_scan_determinismE0ELb0ELb0ES3_PKS6_PS6_S6_ZZZN2at6native31launch_logcumsumexp_cuda_kernelERKNSD_10TensorBaseESH_lENKUlvE_clEvENKUlvE3_clEvEUlS6_S6_E_S6_EEDaPvRmT3_T4_T5_mT6_P12ihipStream_tbENKUlT_T0_E_clISt17integral_constantIbLb1EESX_IbLb0EEEEDaST_SU_EUlST_E0_NS1_11comp_targetILNS1_3genE10ELNS1_11target_archE1201ELNS1_3gpuE5ELNS1_3repE0EEENS1_30default_config_static_selectorELNS0_4arch9wavefront6targetE1EEEvT1_,comdat
	.globl	_ZN7rocprim17ROCPRIM_400000_NS6detail17trampoline_kernelINS0_14default_configENS1_20scan_config_selectorIN3c104HalfEEEZZNS1_9scan_implILNS1_25lookback_scan_determinismE0ELb0ELb0ES3_PKS6_PS6_S6_ZZZN2at6native31launch_logcumsumexp_cuda_kernelERKNSD_10TensorBaseESH_lENKUlvE_clEvENKUlvE3_clEvEUlS6_S6_E_S6_EEDaPvRmT3_T4_T5_mT6_P12ihipStream_tbENKUlT_T0_E_clISt17integral_constantIbLb1EESX_IbLb0EEEEDaST_SU_EUlST_E0_NS1_11comp_targetILNS1_3genE10ELNS1_11target_archE1201ELNS1_3gpuE5ELNS1_3repE0EEENS1_30default_config_static_selectorELNS0_4arch9wavefront6targetE1EEEvT1_ ; -- Begin function _ZN7rocprim17ROCPRIM_400000_NS6detail17trampoline_kernelINS0_14default_configENS1_20scan_config_selectorIN3c104HalfEEEZZNS1_9scan_implILNS1_25lookback_scan_determinismE0ELb0ELb0ES3_PKS6_PS6_S6_ZZZN2at6native31launch_logcumsumexp_cuda_kernelERKNSD_10TensorBaseESH_lENKUlvE_clEvENKUlvE3_clEvEUlS6_S6_E_S6_EEDaPvRmT3_T4_T5_mT6_P12ihipStream_tbENKUlT_T0_E_clISt17integral_constantIbLb1EESX_IbLb0EEEEDaST_SU_EUlST_E0_NS1_11comp_targetILNS1_3genE10ELNS1_11target_archE1201ELNS1_3gpuE5ELNS1_3repE0EEENS1_30default_config_static_selectorELNS0_4arch9wavefront6targetE1EEEvT1_
	.p2align	8
	.type	_ZN7rocprim17ROCPRIM_400000_NS6detail17trampoline_kernelINS0_14default_configENS1_20scan_config_selectorIN3c104HalfEEEZZNS1_9scan_implILNS1_25lookback_scan_determinismE0ELb0ELb0ES3_PKS6_PS6_S6_ZZZN2at6native31launch_logcumsumexp_cuda_kernelERKNSD_10TensorBaseESH_lENKUlvE_clEvENKUlvE3_clEvEUlS6_S6_E_S6_EEDaPvRmT3_T4_T5_mT6_P12ihipStream_tbENKUlT_T0_E_clISt17integral_constantIbLb1EESX_IbLb0EEEEDaST_SU_EUlST_E0_NS1_11comp_targetILNS1_3genE10ELNS1_11target_archE1201ELNS1_3gpuE5ELNS1_3repE0EEENS1_30default_config_static_selectorELNS0_4arch9wavefront6targetE1EEEvT1_,@function
_ZN7rocprim17ROCPRIM_400000_NS6detail17trampoline_kernelINS0_14default_configENS1_20scan_config_selectorIN3c104HalfEEEZZNS1_9scan_implILNS1_25lookback_scan_determinismE0ELb0ELb0ES3_PKS6_PS6_S6_ZZZN2at6native31launch_logcumsumexp_cuda_kernelERKNSD_10TensorBaseESH_lENKUlvE_clEvENKUlvE3_clEvEUlS6_S6_E_S6_EEDaPvRmT3_T4_T5_mT6_P12ihipStream_tbENKUlT_T0_E_clISt17integral_constantIbLb1EESX_IbLb0EEEEDaST_SU_EUlST_E0_NS1_11comp_targetILNS1_3genE10ELNS1_11target_archE1201ELNS1_3gpuE5ELNS1_3repE0EEENS1_30default_config_static_selectorELNS0_4arch9wavefront6targetE1EEEvT1_: ; @_ZN7rocprim17ROCPRIM_400000_NS6detail17trampoline_kernelINS0_14default_configENS1_20scan_config_selectorIN3c104HalfEEEZZNS1_9scan_implILNS1_25lookback_scan_determinismE0ELb0ELb0ES3_PKS6_PS6_S6_ZZZN2at6native31launch_logcumsumexp_cuda_kernelERKNSD_10TensorBaseESH_lENKUlvE_clEvENKUlvE3_clEvEUlS6_S6_E_S6_EEDaPvRmT3_T4_T5_mT6_P12ihipStream_tbENKUlT_T0_E_clISt17integral_constantIbLb1EESX_IbLb0EEEEDaST_SU_EUlST_E0_NS1_11comp_targetILNS1_3genE10ELNS1_11target_archE1201ELNS1_3gpuE5ELNS1_3repE0EEENS1_30default_config_static_selectorELNS0_4arch9wavefront6targetE1EEEvT1_
; %bb.0:
	.section	.rodata,"a",@progbits
	.p2align	6, 0x0
	.amdhsa_kernel _ZN7rocprim17ROCPRIM_400000_NS6detail17trampoline_kernelINS0_14default_configENS1_20scan_config_selectorIN3c104HalfEEEZZNS1_9scan_implILNS1_25lookback_scan_determinismE0ELb0ELb0ES3_PKS6_PS6_S6_ZZZN2at6native31launch_logcumsumexp_cuda_kernelERKNSD_10TensorBaseESH_lENKUlvE_clEvENKUlvE3_clEvEUlS6_S6_E_S6_EEDaPvRmT3_T4_T5_mT6_P12ihipStream_tbENKUlT_T0_E_clISt17integral_constantIbLb1EESX_IbLb0EEEEDaST_SU_EUlST_E0_NS1_11comp_targetILNS1_3genE10ELNS1_11target_archE1201ELNS1_3gpuE5ELNS1_3repE0EEENS1_30default_config_static_selectorELNS0_4arch9wavefront6targetE1EEEvT1_
		.amdhsa_group_segment_fixed_size 0
		.amdhsa_private_segment_fixed_size 0
		.amdhsa_kernarg_size 32
		.amdhsa_user_sgpr_count 2
		.amdhsa_user_sgpr_dispatch_ptr 0
		.amdhsa_user_sgpr_queue_ptr 0
		.amdhsa_user_sgpr_kernarg_segment_ptr 1
		.amdhsa_user_sgpr_dispatch_id 0
		.amdhsa_user_sgpr_kernarg_preload_length 0
		.amdhsa_user_sgpr_kernarg_preload_offset 0
		.amdhsa_user_sgpr_private_segment_size 0
		.amdhsa_uses_dynamic_stack 0
		.amdhsa_enable_private_segment 0
		.amdhsa_system_sgpr_workgroup_id_x 1
		.amdhsa_system_sgpr_workgroup_id_y 0
		.amdhsa_system_sgpr_workgroup_id_z 0
		.amdhsa_system_sgpr_workgroup_info 0
		.amdhsa_system_vgpr_workitem_id 0
		.amdhsa_next_free_vgpr 1
		.amdhsa_next_free_sgpr 0
		.amdhsa_accum_offset 4
		.amdhsa_reserve_vcc 0
		.amdhsa_float_round_mode_32 0
		.amdhsa_float_round_mode_16_64 0
		.amdhsa_float_denorm_mode_32 3
		.amdhsa_float_denorm_mode_16_64 3
		.amdhsa_dx10_clamp 1
		.amdhsa_ieee_mode 1
		.amdhsa_fp16_overflow 0
		.amdhsa_tg_split 0
		.amdhsa_exception_fp_ieee_invalid_op 0
		.amdhsa_exception_fp_denorm_src 0
		.amdhsa_exception_fp_ieee_div_zero 0
		.amdhsa_exception_fp_ieee_overflow 0
		.amdhsa_exception_fp_ieee_underflow 0
		.amdhsa_exception_fp_ieee_inexact 0
		.amdhsa_exception_int_div_zero 0
	.end_amdhsa_kernel
	.section	.text._ZN7rocprim17ROCPRIM_400000_NS6detail17trampoline_kernelINS0_14default_configENS1_20scan_config_selectorIN3c104HalfEEEZZNS1_9scan_implILNS1_25lookback_scan_determinismE0ELb0ELb0ES3_PKS6_PS6_S6_ZZZN2at6native31launch_logcumsumexp_cuda_kernelERKNSD_10TensorBaseESH_lENKUlvE_clEvENKUlvE3_clEvEUlS6_S6_E_S6_EEDaPvRmT3_T4_T5_mT6_P12ihipStream_tbENKUlT_T0_E_clISt17integral_constantIbLb1EESX_IbLb0EEEEDaST_SU_EUlST_E0_NS1_11comp_targetILNS1_3genE10ELNS1_11target_archE1201ELNS1_3gpuE5ELNS1_3repE0EEENS1_30default_config_static_selectorELNS0_4arch9wavefront6targetE1EEEvT1_,"axG",@progbits,_ZN7rocprim17ROCPRIM_400000_NS6detail17trampoline_kernelINS0_14default_configENS1_20scan_config_selectorIN3c104HalfEEEZZNS1_9scan_implILNS1_25lookback_scan_determinismE0ELb0ELb0ES3_PKS6_PS6_S6_ZZZN2at6native31launch_logcumsumexp_cuda_kernelERKNSD_10TensorBaseESH_lENKUlvE_clEvENKUlvE3_clEvEUlS6_S6_E_S6_EEDaPvRmT3_T4_T5_mT6_P12ihipStream_tbENKUlT_T0_E_clISt17integral_constantIbLb1EESX_IbLb0EEEEDaST_SU_EUlST_E0_NS1_11comp_targetILNS1_3genE10ELNS1_11target_archE1201ELNS1_3gpuE5ELNS1_3repE0EEENS1_30default_config_static_selectorELNS0_4arch9wavefront6targetE1EEEvT1_,comdat
.Lfunc_end422:
	.size	_ZN7rocprim17ROCPRIM_400000_NS6detail17trampoline_kernelINS0_14default_configENS1_20scan_config_selectorIN3c104HalfEEEZZNS1_9scan_implILNS1_25lookback_scan_determinismE0ELb0ELb0ES3_PKS6_PS6_S6_ZZZN2at6native31launch_logcumsumexp_cuda_kernelERKNSD_10TensorBaseESH_lENKUlvE_clEvENKUlvE3_clEvEUlS6_S6_E_S6_EEDaPvRmT3_T4_T5_mT6_P12ihipStream_tbENKUlT_T0_E_clISt17integral_constantIbLb1EESX_IbLb0EEEEDaST_SU_EUlST_E0_NS1_11comp_targetILNS1_3genE10ELNS1_11target_archE1201ELNS1_3gpuE5ELNS1_3repE0EEENS1_30default_config_static_selectorELNS0_4arch9wavefront6targetE1EEEvT1_, .Lfunc_end422-_ZN7rocprim17ROCPRIM_400000_NS6detail17trampoline_kernelINS0_14default_configENS1_20scan_config_selectorIN3c104HalfEEEZZNS1_9scan_implILNS1_25lookback_scan_determinismE0ELb0ELb0ES3_PKS6_PS6_S6_ZZZN2at6native31launch_logcumsumexp_cuda_kernelERKNSD_10TensorBaseESH_lENKUlvE_clEvENKUlvE3_clEvEUlS6_S6_E_S6_EEDaPvRmT3_T4_T5_mT6_P12ihipStream_tbENKUlT_T0_E_clISt17integral_constantIbLb1EESX_IbLb0EEEEDaST_SU_EUlST_E0_NS1_11comp_targetILNS1_3genE10ELNS1_11target_archE1201ELNS1_3gpuE5ELNS1_3repE0EEENS1_30default_config_static_selectorELNS0_4arch9wavefront6targetE1EEEvT1_
                                        ; -- End function
	.section	.AMDGPU.csdata,"",@progbits
; Kernel info:
; codeLenInByte = 0
; NumSgprs: 6
; NumVgprs: 0
; NumAgprs: 0
; TotalNumVgprs: 0
; ScratchSize: 0
; MemoryBound: 0
; FloatMode: 240
; IeeeMode: 1
; LDSByteSize: 0 bytes/workgroup (compile time only)
; SGPRBlocks: 0
; VGPRBlocks: 0
; NumSGPRsForWavesPerEU: 6
; NumVGPRsForWavesPerEU: 1
; AccumOffset: 4
; Occupancy: 8
; WaveLimiterHint : 0
; COMPUTE_PGM_RSRC2:SCRATCH_EN: 0
; COMPUTE_PGM_RSRC2:USER_SGPR: 2
; COMPUTE_PGM_RSRC2:TRAP_HANDLER: 0
; COMPUTE_PGM_RSRC2:TGID_X_EN: 1
; COMPUTE_PGM_RSRC2:TGID_Y_EN: 0
; COMPUTE_PGM_RSRC2:TGID_Z_EN: 0
; COMPUTE_PGM_RSRC2:TIDIG_COMP_CNT: 0
; COMPUTE_PGM_RSRC3_GFX90A:ACCUM_OFFSET: 0
; COMPUTE_PGM_RSRC3_GFX90A:TG_SPLIT: 0
	.section	.text._ZN7rocprim17ROCPRIM_400000_NS6detail17trampoline_kernelINS0_14default_configENS1_20scan_config_selectorIN3c104HalfEEEZZNS1_9scan_implILNS1_25lookback_scan_determinismE0ELb0ELb0ES3_PKS6_PS6_S6_ZZZN2at6native31launch_logcumsumexp_cuda_kernelERKNSD_10TensorBaseESH_lENKUlvE_clEvENKUlvE3_clEvEUlS6_S6_E_S6_EEDaPvRmT3_T4_T5_mT6_P12ihipStream_tbENKUlT_T0_E_clISt17integral_constantIbLb1EESX_IbLb0EEEEDaST_SU_EUlST_E0_NS1_11comp_targetILNS1_3genE10ELNS1_11target_archE1200ELNS1_3gpuE4ELNS1_3repE0EEENS1_30default_config_static_selectorELNS0_4arch9wavefront6targetE1EEEvT1_,"axG",@progbits,_ZN7rocprim17ROCPRIM_400000_NS6detail17trampoline_kernelINS0_14default_configENS1_20scan_config_selectorIN3c104HalfEEEZZNS1_9scan_implILNS1_25lookback_scan_determinismE0ELb0ELb0ES3_PKS6_PS6_S6_ZZZN2at6native31launch_logcumsumexp_cuda_kernelERKNSD_10TensorBaseESH_lENKUlvE_clEvENKUlvE3_clEvEUlS6_S6_E_S6_EEDaPvRmT3_T4_T5_mT6_P12ihipStream_tbENKUlT_T0_E_clISt17integral_constantIbLb1EESX_IbLb0EEEEDaST_SU_EUlST_E0_NS1_11comp_targetILNS1_3genE10ELNS1_11target_archE1200ELNS1_3gpuE4ELNS1_3repE0EEENS1_30default_config_static_selectorELNS0_4arch9wavefront6targetE1EEEvT1_,comdat
	.globl	_ZN7rocprim17ROCPRIM_400000_NS6detail17trampoline_kernelINS0_14default_configENS1_20scan_config_selectorIN3c104HalfEEEZZNS1_9scan_implILNS1_25lookback_scan_determinismE0ELb0ELb0ES3_PKS6_PS6_S6_ZZZN2at6native31launch_logcumsumexp_cuda_kernelERKNSD_10TensorBaseESH_lENKUlvE_clEvENKUlvE3_clEvEUlS6_S6_E_S6_EEDaPvRmT3_T4_T5_mT6_P12ihipStream_tbENKUlT_T0_E_clISt17integral_constantIbLb1EESX_IbLb0EEEEDaST_SU_EUlST_E0_NS1_11comp_targetILNS1_3genE10ELNS1_11target_archE1200ELNS1_3gpuE4ELNS1_3repE0EEENS1_30default_config_static_selectorELNS0_4arch9wavefront6targetE1EEEvT1_ ; -- Begin function _ZN7rocprim17ROCPRIM_400000_NS6detail17trampoline_kernelINS0_14default_configENS1_20scan_config_selectorIN3c104HalfEEEZZNS1_9scan_implILNS1_25lookback_scan_determinismE0ELb0ELb0ES3_PKS6_PS6_S6_ZZZN2at6native31launch_logcumsumexp_cuda_kernelERKNSD_10TensorBaseESH_lENKUlvE_clEvENKUlvE3_clEvEUlS6_S6_E_S6_EEDaPvRmT3_T4_T5_mT6_P12ihipStream_tbENKUlT_T0_E_clISt17integral_constantIbLb1EESX_IbLb0EEEEDaST_SU_EUlST_E0_NS1_11comp_targetILNS1_3genE10ELNS1_11target_archE1200ELNS1_3gpuE4ELNS1_3repE0EEENS1_30default_config_static_selectorELNS0_4arch9wavefront6targetE1EEEvT1_
	.p2align	8
	.type	_ZN7rocprim17ROCPRIM_400000_NS6detail17trampoline_kernelINS0_14default_configENS1_20scan_config_selectorIN3c104HalfEEEZZNS1_9scan_implILNS1_25lookback_scan_determinismE0ELb0ELb0ES3_PKS6_PS6_S6_ZZZN2at6native31launch_logcumsumexp_cuda_kernelERKNSD_10TensorBaseESH_lENKUlvE_clEvENKUlvE3_clEvEUlS6_S6_E_S6_EEDaPvRmT3_T4_T5_mT6_P12ihipStream_tbENKUlT_T0_E_clISt17integral_constantIbLb1EESX_IbLb0EEEEDaST_SU_EUlST_E0_NS1_11comp_targetILNS1_3genE10ELNS1_11target_archE1200ELNS1_3gpuE4ELNS1_3repE0EEENS1_30default_config_static_selectorELNS0_4arch9wavefront6targetE1EEEvT1_,@function
_ZN7rocprim17ROCPRIM_400000_NS6detail17trampoline_kernelINS0_14default_configENS1_20scan_config_selectorIN3c104HalfEEEZZNS1_9scan_implILNS1_25lookback_scan_determinismE0ELb0ELb0ES3_PKS6_PS6_S6_ZZZN2at6native31launch_logcumsumexp_cuda_kernelERKNSD_10TensorBaseESH_lENKUlvE_clEvENKUlvE3_clEvEUlS6_S6_E_S6_EEDaPvRmT3_T4_T5_mT6_P12ihipStream_tbENKUlT_T0_E_clISt17integral_constantIbLb1EESX_IbLb0EEEEDaST_SU_EUlST_E0_NS1_11comp_targetILNS1_3genE10ELNS1_11target_archE1200ELNS1_3gpuE4ELNS1_3repE0EEENS1_30default_config_static_selectorELNS0_4arch9wavefront6targetE1EEEvT1_: ; @_ZN7rocprim17ROCPRIM_400000_NS6detail17trampoline_kernelINS0_14default_configENS1_20scan_config_selectorIN3c104HalfEEEZZNS1_9scan_implILNS1_25lookback_scan_determinismE0ELb0ELb0ES3_PKS6_PS6_S6_ZZZN2at6native31launch_logcumsumexp_cuda_kernelERKNSD_10TensorBaseESH_lENKUlvE_clEvENKUlvE3_clEvEUlS6_S6_E_S6_EEDaPvRmT3_T4_T5_mT6_P12ihipStream_tbENKUlT_T0_E_clISt17integral_constantIbLb1EESX_IbLb0EEEEDaST_SU_EUlST_E0_NS1_11comp_targetILNS1_3genE10ELNS1_11target_archE1200ELNS1_3gpuE4ELNS1_3repE0EEENS1_30default_config_static_selectorELNS0_4arch9wavefront6targetE1EEEvT1_
; %bb.0:
	.section	.rodata,"a",@progbits
	.p2align	6, 0x0
	.amdhsa_kernel _ZN7rocprim17ROCPRIM_400000_NS6detail17trampoline_kernelINS0_14default_configENS1_20scan_config_selectorIN3c104HalfEEEZZNS1_9scan_implILNS1_25lookback_scan_determinismE0ELb0ELb0ES3_PKS6_PS6_S6_ZZZN2at6native31launch_logcumsumexp_cuda_kernelERKNSD_10TensorBaseESH_lENKUlvE_clEvENKUlvE3_clEvEUlS6_S6_E_S6_EEDaPvRmT3_T4_T5_mT6_P12ihipStream_tbENKUlT_T0_E_clISt17integral_constantIbLb1EESX_IbLb0EEEEDaST_SU_EUlST_E0_NS1_11comp_targetILNS1_3genE10ELNS1_11target_archE1200ELNS1_3gpuE4ELNS1_3repE0EEENS1_30default_config_static_selectorELNS0_4arch9wavefront6targetE1EEEvT1_
		.amdhsa_group_segment_fixed_size 0
		.amdhsa_private_segment_fixed_size 0
		.amdhsa_kernarg_size 32
		.amdhsa_user_sgpr_count 2
		.amdhsa_user_sgpr_dispatch_ptr 0
		.amdhsa_user_sgpr_queue_ptr 0
		.amdhsa_user_sgpr_kernarg_segment_ptr 1
		.amdhsa_user_sgpr_dispatch_id 0
		.amdhsa_user_sgpr_kernarg_preload_length 0
		.amdhsa_user_sgpr_kernarg_preload_offset 0
		.amdhsa_user_sgpr_private_segment_size 0
		.amdhsa_uses_dynamic_stack 0
		.amdhsa_enable_private_segment 0
		.amdhsa_system_sgpr_workgroup_id_x 1
		.amdhsa_system_sgpr_workgroup_id_y 0
		.amdhsa_system_sgpr_workgroup_id_z 0
		.amdhsa_system_sgpr_workgroup_info 0
		.amdhsa_system_vgpr_workitem_id 0
		.amdhsa_next_free_vgpr 1
		.amdhsa_next_free_sgpr 0
		.amdhsa_accum_offset 4
		.amdhsa_reserve_vcc 0
		.amdhsa_float_round_mode_32 0
		.amdhsa_float_round_mode_16_64 0
		.amdhsa_float_denorm_mode_32 3
		.amdhsa_float_denorm_mode_16_64 3
		.amdhsa_dx10_clamp 1
		.amdhsa_ieee_mode 1
		.amdhsa_fp16_overflow 0
		.amdhsa_tg_split 0
		.amdhsa_exception_fp_ieee_invalid_op 0
		.amdhsa_exception_fp_denorm_src 0
		.amdhsa_exception_fp_ieee_div_zero 0
		.amdhsa_exception_fp_ieee_overflow 0
		.amdhsa_exception_fp_ieee_underflow 0
		.amdhsa_exception_fp_ieee_inexact 0
		.amdhsa_exception_int_div_zero 0
	.end_amdhsa_kernel
	.section	.text._ZN7rocprim17ROCPRIM_400000_NS6detail17trampoline_kernelINS0_14default_configENS1_20scan_config_selectorIN3c104HalfEEEZZNS1_9scan_implILNS1_25lookback_scan_determinismE0ELb0ELb0ES3_PKS6_PS6_S6_ZZZN2at6native31launch_logcumsumexp_cuda_kernelERKNSD_10TensorBaseESH_lENKUlvE_clEvENKUlvE3_clEvEUlS6_S6_E_S6_EEDaPvRmT3_T4_T5_mT6_P12ihipStream_tbENKUlT_T0_E_clISt17integral_constantIbLb1EESX_IbLb0EEEEDaST_SU_EUlST_E0_NS1_11comp_targetILNS1_3genE10ELNS1_11target_archE1200ELNS1_3gpuE4ELNS1_3repE0EEENS1_30default_config_static_selectorELNS0_4arch9wavefront6targetE1EEEvT1_,"axG",@progbits,_ZN7rocprim17ROCPRIM_400000_NS6detail17trampoline_kernelINS0_14default_configENS1_20scan_config_selectorIN3c104HalfEEEZZNS1_9scan_implILNS1_25lookback_scan_determinismE0ELb0ELb0ES3_PKS6_PS6_S6_ZZZN2at6native31launch_logcumsumexp_cuda_kernelERKNSD_10TensorBaseESH_lENKUlvE_clEvENKUlvE3_clEvEUlS6_S6_E_S6_EEDaPvRmT3_T4_T5_mT6_P12ihipStream_tbENKUlT_T0_E_clISt17integral_constantIbLb1EESX_IbLb0EEEEDaST_SU_EUlST_E0_NS1_11comp_targetILNS1_3genE10ELNS1_11target_archE1200ELNS1_3gpuE4ELNS1_3repE0EEENS1_30default_config_static_selectorELNS0_4arch9wavefront6targetE1EEEvT1_,comdat
.Lfunc_end423:
	.size	_ZN7rocprim17ROCPRIM_400000_NS6detail17trampoline_kernelINS0_14default_configENS1_20scan_config_selectorIN3c104HalfEEEZZNS1_9scan_implILNS1_25lookback_scan_determinismE0ELb0ELb0ES3_PKS6_PS6_S6_ZZZN2at6native31launch_logcumsumexp_cuda_kernelERKNSD_10TensorBaseESH_lENKUlvE_clEvENKUlvE3_clEvEUlS6_S6_E_S6_EEDaPvRmT3_T4_T5_mT6_P12ihipStream_tbENKUlT_T0_E_clISt17integral_constantIbLb1EESX_IbLb0EEEEDaST_SU_EUlST_E0_NS1_11comp_targetILNS1_3genE10ELNS1_11target_archE1200ELNS1_3gpuE4ELNS1_3repE0EEENS1_30default_config_static_selectorELNS0_4arch9wavefront6targetE1EEEvT1_, .Lfunc_end423-_ZN7rocprim17ROCPRIM_400000_NS6detail17trampoline_kernelINS0_14default_configENS1_20scan_config_selectorIN3c104HalfEEEZZNS1_9scan_implILNS1_25lookback_scan_determinismE0ELb0ELb0ES3_PKS6_PS6_S6_ZZZN2at6native31launch_logcumsumexp_cuda_kernelERKNSD_10TensorBaseESH_lENKUlvE_clEvENKUlvE3_clEvEUlS6_S6_E_S6_EEDaPvRmT3_T4_T5_mT6_P12ihipStream_tbENKUlT_T0_E_clISt17integral_constantIbLb1EESX_IbLb0EEEEDaST_SU_EUlST_E0_NS1_11comp_targetILNS1_3genE10ELNS1_11target_archE1200ELNS1_3gpuE4ELNS1_3repE0EEENS1_30default_config_static_selectorELNS0_4arch9wavefront6targetE1EEEvT1_
                                        ; -- End function
	.section	.AMDGPU.csdata,"",@progbits
; Kernel info:
; codeLenInByte = 0
; NumSgprs: 6
; NumVgprs: 0
; NumAgprs: 0
; TotalNumVgprs: 0
; ScratchSize: 0
; MemoryBound: 0
; FloatMode: 240
; IeeeMode: 1
; LDSByteSize: 0 bytes/workgroup (compile time only)
; SGPRBlocks: 0
; VGPRBlocks: 0
; NumSGPRsForWavesPerEU: 6
; NumVGPRsForWavesPerEU: 1
; AccumOffset: 4
; Occupancy: 8
; WaveLimiterHint : 0
; COMPUTE_PGM_RSRC2:SCRATCH_EN: 0
; COMPUTE_PGM_RSRC2:USER_SGPR: 2
; COMPUTE_PGM_RSRC2:TRAP_HANDLER: 0
; COMPUTE_PGM_RSRC2:TGID_X_EN: 1
; COMPUTE_PGM_RSRC2:TGID_Y_EN: 0
; COMPUTE_PGM_RSRC2:TGID_Z_EN: 0
; COMPUTE_PGM_RSRC2:TIDIG_COMP_CNT: 0
; COMPUTE_PGM_RSRC3_GFX90A:ACCUM_OFFSET: 0
; COMPUTE_PGM_RSRC3_GFX90A:TG_SPLIT: 0
	.section	.text._ZN7rocprim17ROCPRIM_400000_NS6detail17trampoline_kernelINS0_14default_configENS1_20scan_config_selectorIN3c104HalfEEEZZNS1_9scan_implILNS1_25lookback_scan_determinismE0ELb0ELb0ES3_PKS6_PS6_S6_ZZZN2at6native31launch_logcumsumexp_cuda_kernelERKNSD_10TensorBaseESH_lENKUlvE_clEvENKUlvE3_clEvEUlS6_S6_E_S6_EEDaPvRmT3_T4_T5_mT6_P12ihipStream_tbENKUlT_T0_E_clISt17integral_constantIbLb1EESX_IbLb0EEEEDaST_SU_EUlST_E0_NS1_11comp_targetILNS1_3genE9ELNS1_11target_archE1100ELNS1_3gpuE3ELNS1_3repE0EEENS1_30default_config_static_selectorELNS0_4arch9wavefront6targetE1EEEvT1_,"axG",@progbits,_ZN7rocprim17ROCPRIM_400000_NS6detail17trampoline_kernelINS0_14default_configENS1_20scan_config_selectorIN3c104HalfEEEZZNS1_9scan_implILNS1_25lookback_scan_determinismE0ELb0ELb0ES3_PKS6_PS6_S6_ZZZN2at6native31launch_logcumsumexp_cuda_kernelERKNSD_10TensorBaseESH_lENKUlvE_clEvENKUlvE3_clEvEUlS6_S6_E_S6_EEDaPvRmT3_T4_T5_mT6_P12ihipStream_tbENKUlT_T0_E_clISt17integral_constantIbLb1EESX_IbLb0EEEEDaST_SU_EUlST_E0_NS1_11comp_targetILNS1_3genE9ELNS1_11target_archE1100ELNS1_3gpuE3ELNS1_3repE0EEENS1_30default_config_static_selectorELNS0_4arch9wavefront6targetE1EEEvT1_,comdat
	.globl	_ZN7rocprim17ROCPRIM_400000_NS6detail17trampoline_kernelINS0_14default_configENS1_20scan_config_selectorIN3c104HalfEEEZZNS1_9scan_implILNS1_25lookback_scan_determinismE0ELb0ELb0ES3_PKS6_PS6_S6_ZZZN2at6native31launch_logcumsumexp_cuda_kernelERKNSD_10TensorBaseESH_lENKUlvE_clEvENKUlvE3_clEvEUlS6_S6_E_S6_EEDaPvRmT3_T4_T5_mT6_P12ihipStream_tbENKUlT_T0_E_clISt17integral_constantIbLb1EESX_IbLb0EEEEDaST_SU_EUlST_E0_NS1_11comp_targetILNS1_3genE9ELNS1_11target_archE1100ELNS1_3gpuE3ELNS1_3repE0EEENS1_30default_config_static_selectorELNS0_4arch9wavefront6targetE1EEEvT1_ ; -- Begin function _ZN7rocprim17ROCPRIM_400000_NS6detail17trampoline_kernelINS0_14default_configENS1_20scan_config_selectorIN3c104HalfEEEZZNS1_9scan_implILNS1_25lookback_scan_determinismE0ELb0ELb0ES3_PKS6_PS6_S6_ZZZN2at6native31launch_logcumsumexp_cuda_kernelERKNSD_10TensorBaseESH_lENKUlvE_clEvENKUlvE3_clEvEUlS6_S6_E_S6_EEDaPvRmT3_T4_T5_mT6_P12ihipStream_tbENKUlT_T0_E_clISt17integral_constantIbLb1EESX_IbLb0EEEEDaST_SU_EUlST_E0_NS1_11comp_targetILNS1_3genE9ELNS1_11target_archE1100ELNS1_3gpuE3ELNS1_3repE0EEENS1_30default_config_static_selectorELNS0_4arch9wavefront6targetE1EEEvT1_
	.p2align	8
	.type	_ZN7rocprim17ROCPRIM_400000_NS6detail17trampoline_kernelINS0_14default_configENS1_20scan_config_selectorIN3c104HalfEEEZZNS1_9scan_implILNS1_25lookback_scan_determinismE0ELb0ELb0ES3_PKS6_PS6_S6_ZZZN2at6native31launch_logcumsumexp_cuda_kernelERKNSD_10TensorBaseESH_lENKUlvE_clEvENKUlvE3_clEvEUlS6_S6_E_S6_EEDaPvRmT3_T4_T5_mT6_P12ihipStream_tbENKUlT_T0_E_clISt17integral_constantIbLb1EESX_IbLb0EEEEDaST_SU_EUlST_E0_NS1_11comp_targetILNS1_3genE9ELNS1_11target_archE1100ELNS1_3gpuE3ELNS1_3repE0EEENS1_30default_config_static_selectorELNS0_4arch9wavefront6targetE1EEEvT1_,@function
_ZN7rocprim17ROCPRIM_400000_NS6detail17trampoline_kernelINS0_14default_configENS1_20scan_config_selectorIN3c104HalfEEEZZNS1_9scan_implILNS1_25lookback_scan_determinismE0ELb0ELb0ES3_PKS6_PS6_S6_ZZZN2at6native31launch_logcumsumexp_cuda_kernelERKNSD_10TensorBaseESH_lENKUlvE_clEvENKUlvE3_clEvEUlS6_S6_E_S6_EEDaPvRmT3_T4_T5_mT6_P12ihipStream_tbENKUlT_T0_E_clISt17integral_constantIbLb1EESX_IbLb0EEEEDaST_SU_EUlST_E0_NS1_11comp_targetILNS1_3genE9ELNS1_11target_archE1100ELNS1_3gpuE3ELNS1_3repE0EEENS1_30default_config_static_selectorELNS0_4arch9wavefront6targetE1EEEvT1_: ; @_ZN7rocprim17ROCPRIM_400000_NS6detail17trampoline_kernelINS0_14default_configENS1_20scan_config_selectorIN3c104HalfEEEZZNS1_9scan_implILNS1_25lookback_scan_determinismE0ELb0ELb0ES3_PKS6_PS6_S6_ZZZN2at6native31launch_logcumsumexp_cuda_kernelERKNSD_10TensorBaseESH_lENKUlvE_clEvENKUlvE3_clEvEUlS6_S6_E_S6_EEDaPvRmT3_T4_T5_mT6_P12ihipStream_tbENKUlT_T0_E_clISt17integral_constantIbLb1EESX_IbLb0EEEEDaST_SU_EUlST_E0_NS1_11comp_targetILNS1_3genE9ELNS1_11target_archE1100ELNS1_3gpuE3ELNS1_3repE0EEENS1_30default_config_static_selectorELNS0_4arch9wavefront6targetE1EEEvT1_
; %bb.0:
	.section	.rodata,"a",@progbits
	.p2align	6, 0x0
	.amdhsa_kernel _ZN7rocprim17ROCPRIM_400000_NS6detail17trampoline_kernelINS0_14default_configENS1_20scan_config_selectorIN3c104HalfEEEZZNS1_9scan_implILNS1_25lookback_scan_determinismE0ELb0ELb0ES3_PKS6_PS6_S6_ZZZN2at6native31launch_logcumsumexp_cuda_kernelERKNSD_10TensorBaseESH_lENKUlvE_clEvENKUlvE3_clEvEUlS6_S6_E_S6_EEDaPvRmT3_T4_T5_mT6_P12ihipStream_tbENKUlT_T0_E_clISt17integral_constantIbLb1EESX_IbLb0EEEEDaST_SU_EUlST_E0_NS1_11comp_targetILNS1_3genE9ELNS1_11target_archE1100ELNS1_3gpuE3ELNS1_3repE0EEENS1_30default_config_static_selectorELNS0_4arch9wavefront6targetE1EEEvT1_
		.amdhsa_group_segment_fixed_size 0
		.amdhsa_private_segment_fixed_size 0
		.amdhsa_kernarg_size 32
		.amdhsa_user_sgpr_count 2
		.amdhsa_user_sgpr_dispatch_ptr 0
		.amdhsa_user_sgpr_queue_ptr 0
		.amdhsa_user_sgpr_kernarg_segment_ptr 1
		.amdhsa_user_sgpr_dispatch_id 0
		.amdhsa_user_sgpr_kernarg_preload_length 0
		.amdhsa_user_sgpr_kernarg_preload_offset 0
		.amdhsa_user_sgpr_private_segment_size 0
		.amdhsa_uses_dynamic_stack 0
		.amdhsa_enable_private_segment 0
		.amdhsa_system_sgpr_workgroup_id_x 1
		.amdhsa_system_sgpr_workgroup_id_y 0
		.amdhsa_system_sgpr_workgroup_id_z 0
		.amdhsa_system_sgpr_workgroup_info 0
		.amdhsa_system_vgpr_workitem_id 0
		.amdhsa_next_free_vgpr 1
		.amdhsa_next_free_sgpr 0
		.amdhsa_accum_offset 4
		.amdhsa_reserve_vcc 0
		.amdhsa_float_round_mode_32 0
		.amdhsa_float_round_mode_16_64 0
		.amdhsa_float_denorm_mode_32 3
		.amdhsa_float_denorm_mode_16_64 3
		.amdhsa_dx10_clamp 1
		.amdhsa_ieee_mode 1
		.amdhsa_fp16_overflow 0
		.amdhsa_tg_split 0
		.amdhsa_exception_fp_ieee_invalid_op 0
		.amdhsa_exception_fp_denorm_src 0
		.amdhsa_exception_fp_ieee_div_zero 0
		.amdhsa_exception_fp_ieee_overflow 0
		.amdhsa_exception_fp_ieee_underflow 0
		.amdhsa_exception_fp_ieee_inexact 0
		.amdhsa_exception_int_div_zero 0
	.end_amdhsa_kernel
	.section	.text._ZN7rocprim17ROCPRIM_400000_NS6detail17trampoline_kernelINS0_14default_configENS1_20scan_config_selectorIN3c104HalfEEEZZNS1_9scan_implILNS1_25lookback_scan_determinismE0ELb0ELb0ES3_PKS6_PS6_S6_ZZZN2at6native31launch_logcumsumexp_cuda_kernelERKNSD_10TensorBaseESH_lENKUlvE_clEvENKUlvE3_clEvEUlS6_S6_E_S6_EEDaPvRmT3_T4_T5_mT6_P12ihipStream_tbENKUlT_T0_E_clISt17integral_constantIbLb1EESX_IbLb0EEEEDaST_SU_EUlST_E0_NS1_11comp_targetILNS1_3genE9ELNS1_11target_archE1100ELNS1_3gpuE3ELNS1_3repE0EEENS1_30default_config_static_selectorELNS0_4arch9wavefront6targetE1EEEvT1_,"axG",@progbits,_ZN7rocprim17ROCPRIM_400000_NS6detail17trampoline_kernelINS0_14default_configENS1_20scan_config_selectorIN3c104HalfEEEZZNS1_9scan_implILNS1_25lookback_scan_determinismE0ELb0ELb0ES3_PKS6_PS6_S6_ZZZN2at6native31launch_logcumsumexp_cuda_kernelERKNSD_10TensorBaseESH_lENKUlvE_clEvENKUlvE3_clEvEUlS6_S6_E_S6_EEDaPvRmT3_T4_T5_mT6_P12ihipStream_tbENKUlT_T0_E_clISt17integral_constantIbLb1EESX_IbLb0EEEEDaST_SU_EUlST_E0_NS1_11comp_targetILNS1_3genE9ELNS1_11target_archE1100ELNS1_3gpuE3ELNS1_3repE0EEENS1_30default_config_static_selectorELNS0_4arch9wavefront6targetE1EEEvT1_,comdat
.Lfunc_end424:
	.size	_ZN7rocprim17ROCPRIM_400000_NS6detail17trampoline_kernelINS0_14default_configENS1_20scan_config_selectorIN3c104HalfEEEZZNS1_9scan_implILNS1_25lookback_scan_determinismE0ELb0ELb0ES3_PKS6_PS6_S6_ZZZN2at6native31launch_logcumsumexp_cuda_kernelERKNSD_10TensorBaseESH_lENKUlvE_clEvENKUlvE3_clEvEUlS6_S6_E_S6_EEDaPvRmT3_T4_T5_mT6_P12ihipStream_tbENKUlT_T0_E_clISt17integral_constantIbLb1EESX_IbLb0EEEEDaST_SU_EUlST_E0_NS1_11comp_targetILNS1_3genE9ELNS1_11target_archE1100ELNS1_3gpuE3ELNS1_3repE0EEENS1_30default_config_static_selectorELNS0_4arch9wavefront6targetE1EEEvT1_, .Lfunc_end424-_ZN7rocprim17ROCPRIM_400000_NS6detail17trampoline_kernelINS0_14default_configENS1_20scan_config_selectorIN3c104HalfEEEZZNS1_9scan_implILNS1_25lookback_scan_determinismE0ELb0ELb0ES3_PKS6_PS6_S6_ZZZN2at6native31launch_logcumsumexp_cuda_kernelERKNSD_10TensorBaseESH_lENKUlvE_clEvENKUlvE3_clEvEUlS6_S6_E_S6_EEDaPvRmT3_T4_T5_mT6_P12ihipStream_tbENKUlT_T0_E_clISt17integral_constantIbLb1EESX_IbLb0EEEEDaST_SU_EUlST_E0_NS1_11comp_targetILNS1_3genE9ELNS1_11target_archE1100ELNS1_3gpuE3ELNS1_3repE0EEENS1_30default_config_static_selectorELNS0_4arch9wavefront6targetE1EEEvT1_
                                        ; -- End function
	.section	.AMDGPU.csdata,"",@progbits
; Kernel info:
; codeLenInByte = 0
; NumSgprs: 6
; NumVgprs: 0
; NumAgprs: 0
; TotalNumVgprs: 0
; ScratchSize: 0
; MemoryBound: 0
; FloatMode: 240
; IeeeMode: 1
; LDSByteSize: 0 bytes/workgroup (compile time only)
; SGPRBlocks: 0
; VGPRBlocks: 0
; NumSGPRsForWavesPerEU: 6
; NumVGPRsForWavesPerEU: 1
; AccumOffset: 4
; Occupancy: 8
; WaveLimiterHint : 0
; COMPUTE_PGM_RSRC2:SCRATCH_EN: 0
; COMPUTE_PGM_RSRC2:USER_SGPR: 2
; COMPUTE_PGM_RSRC2:TRAP_HANDLER: 0
; COMPUTE_PGM_RSRC2:TGID_X_EN: 1
; COMPUTE_PGM_RSRC2:TGID_Y_EN: 0
; COMPUTE_PGM_RSRC2:TGID_Z_EN: 0
; COMPUTE_PGM_RSRC2:TIDIG_COMP_CNT: 0
; COMPUTE_PGM_RSRC3_GFX90A:ACCUM_OFFSET: 0
; COMPUTE_PGM_RSRC3_GFX90A:TG_SPLIT: 0
	.section	.text._ZN7rocprim17ROCPRIM_400000_NS6detail17trampoline_kernelINS0_14default_configENS1_20scan_config_selectorIN3c104HalfEEEZZNS1_9scan_implILNS1_25lookback_scan_determinismE0ELb0ELb0ES3_PKS6_PS6_S6_ZZZN2at6native31launch_logcumsumexp_cuda_kernelERKNSD_10TensorBaseESH_lENKUlvE_clEvENKUlvE3_clEvEUlS6_S6_E_S6_EEDaPvRmT3_T4_T5_mT6_P12ihipStream_tbENKUlT_T0_E_clISt17integral_constantIbLb1EESX_IbLb0EEEEDaST_SU_EUlST_E0_NS1_11comp_targetILNS1_3genE8ELNS1_11target_archE1030ELNS1_3gpuE2ELNS1_3repE0EEENS1_30default_config_static_selectorELNS0_4arch9wavefront6targetE1EEEvT1_,"axG",@progbits,_ZN7rocprim17ROCPRIM_400000_NS6detail17trampoline_kernelINS0_14default_configENS1_20scan_config_selectorIN3c104HalfEEEZZNS1_9scan_implILNS1_25lookback_scan_determinismE0ELb0ELb0ES3_PKS6_PS6_S6_ZZZN2at6native31launch_logcumsumexp_cuda_kernelERKNSD_10TensorBaseESH_lENKUlvE_clEvENKUlvE3_clEvEUlS6_S6_E_S6_EEDaPvRmT3_T4_T5_mT6_P12ihipStream_tbENKUlT_T0_E_clISt17integral_constantIbLb1EESX_IbLb0EEEEDaST_SU_EUlST_E0_NS1_11comp_targetILNS1_3genE8ELNS1_11target_archE1030ELNS1_3gpuE2ELNS1_3repE0EEENS1_30default_config_static_selectorELNS0_4arch9wavefront6targetE1EEEvT1_,comdat
	.globl	_ZN7rocprim17ROCPRIM_400000_NS6detail17trampoline_kernelINS0_14default_configENS1_20scan_config_selectorIN3c104HalfEEEZZNS1_9scan_implILNS1_25lookback_scan_determinismE0ELb0ELb0ES3_PKS6_PS6_S6_ZZZN2at6native31launch_logcumsumexp_cuda_kernelERKNSD_10TensorBaseESH_lENKUlvE_clEvENKUlvE3_clEvEUlS6_S6_E_S6_EEDaPvRmT3_T4_T5_mT6_P12ihipStream_tbENKUlT_T0_E_clISt17integral_constantIbLb1EESX_IbLb0EEEEDaST_SU_EUlST_E0_NS1_11comp_targetILNS1_3genE8ELNS1_11target_archE1030ELNS1_3gpuE2ELNS1_3repE0EEENS1_30default_config_static_selectorELNS0_4arch9wavefront6targetE1EEEvT1_ ; -- Begin function _ZN7rocprim17ROCPRIM_400000_NS6detail17trampoline_kernelINS0_14default_configENS1_20scan_config_selectorIN3c104HalfEEEZZNS1_9scan_implILNS1_25lookback_scan_determinismE0ELb0ELb0ES3_PKS6_PS6_S6_ZZZN2at6native31launch_logcumsumexp_cuda_kernelERKNSD_10TensorBaseESH_lENKUlvE_clEvENKUlvE3_clEvEUlS6_S6_E_S6_EEDaPvRmT3_T4_T5_mT6_P12ihipStream_tbENKUlT_T0_E_clISt17integral_constantIbLb1EESX_IbLb0EEEEDaST_SU_EUlST_E0_NS1_11comp_targetILNS1_3genE8ELNS1_11target_archE1030ELNS1_3gpuE2ELNS1_3repE0EEENS1_30default_config_static_selectorELNS0_4arch9wavefront6targetE1EEEvT1_
	.p2align	8
	.type	_ZN7rocprim17ROCPRIM_400000_NS6detail17trampoline_kernelINS0_14default_configENS1_20scan_config_selectorIN3c104HalfEEEZZNS1_9scan_implILNS1_25lookback_scan_determinismE0ELb0ELb0ES3_PKS6_PS6_S6_ZZZN2at6native31launch_logcumsumexp_cuda_kernelERKNSD_10TensorBaseESH_lENKUlvE_clEvENKUlvE3_clEvEUlS6_S6_E_S6_EEDaPvRmT3_T4_T5_mT6_P12ihipStream_tbENKUlT_T0_E_clISt17integral_constantIbLb1EESX_IbLb0EEEEDaST_SU_EUlST_E0_NS1_11comp_targetILNS1_3genE8ELNS1_11target_archE1030ELNS1_3gpuE2ELNS1_3repE0EEENS1_30default_config_static_selectorELNS0_4arch9wavefront6targetE1EEEvT1_,@function
_ZN7rocprim17ROCPRIM_400000_NS6detail17trampoline_kernelINS0_14default_configENS1_20scan_config_selectorIN3c104HalfEEEZZNS1_9scan_implILNS1_25lookback_scan_determinismE0ELb0ELb0ES3_PKS6_PS6_S6_ZZZN2at6native31launch_logcumsumexp_cuda_kernelERKNSD_10TensorBaseESH_lENKUlvE_clEvENKUlvE3_clEvEUlS6_S6_E_S6_EEDaPvRmT3_T4_T5_mT6_P12ihipStream_tbENKUlT_T0_E_clISt17integral_constantIbLb1EESX_IbLb0EEEEDaST_SU_EUlST_E0_NS1_11comp_targetILNS1_3genE8ELNS1_11target_archE1030ELNS1_3gpuE2ELNS1_3repE0EEENS1_30default_config_static_selectorELNS0_4arch9wavefront6targetE1EEEvT1_: ; @_ZN7rocprim17ROCPRIM_400000_NS6detail17trampoline_kernelINS0_14default_configENS1_20scan_config_selectorIN3c104HalfEEEZZNS1_9scan_implILNS1_25lookback_scan_determinismE0ELb0ELb0ES3_PKS6_PS6_S6_ZZZN2at6native31launch_logcumsumexp_cuda_kernelERKNSD_10TensorBaseESH_lENKUlvE_clEvENKUlvE3_clEvEUlS6_S6_E_S6_EEDaPvRmT3_T4_T5_mT6_P12ihipStream_tbENKUlT_T0_E_clISt17integral_constantIbLb1EESX_IbLb0EEEEDaST_SU_EUlST_E0_NS1_11comp_targetILNS1_3genE8ELNS1_11target_archE1030ELNS1_3gpuE2ELNS1_3repE0EEENS1_30default_config_static_selectorELNS0_4arch9wavefront6targetE1EEEvT1_
; %bb.0:
	.section	.rodata,"a",@progbits
	.p2align	6, 0x0
	.amdhsa_kernel _ZN7rocprim17ROCPRIM_400000_NS6detail17trampoline_kernelINS0_14default_configENS1_20scan_config_selectorIN3c104HalfEEEZZNS1_9scan_implILNS1_25lookback_scan_determinismE0ELb0ELb0ES3_PKS6_PS6_S6_ZZZN2at6native31launch_logcumsumexp_cuda_kernelERKNSD_10TensorBaseESH_lENKUlvE_clEvENKUlvE3_clEvEUlS6_S6_E_S6_EEDaPvRmT3_T4_T5_mT6_P12ihipStream_tbENKUlT_T0_E_clISt17integral_constantIbLb1EESX_IbLb0EEEEDaST_SU_EUlST_E0_NS1_11comp_targetILNS1_3genE8ELNS1_11target_archE1030ELNS1_3gpuE2ELNS1_3repE0EEENS1_30default_config_static_selectorELNS0_4arch9wavefront6targetE1EEEvT1_
		.amdhsa_group_segment_fixed_size 0
		.amdhsa_private_segment_fixed_size 0
		.amdhsa_kernarg_size 32
		.amdhsa_user_sgpr_count 2
		.amdhsa_user_sgpr_dispatch_ptr 0
		.amdhsa_user_sgpr_queue_ptr 0
		.amdhsa_user_sgpr_kernarg_segment_ptr 1
		.amdhsa_user_sgpr_dispatch_id 0
		.amdhsa_user_sgpr_kernarg_preload_length 0
		.amdhsa_user_sgpr_kernarg_preload_offset 0
		.amdhsa_user_sgpr_private_segment_size 0
		.amdhsa_uses_dynamic_stack 0
		.amdhsa_enable_private_segment 0
		.amdhsa_system_sgpr_workgroup_id_x 1
		.amdhsa_system_sgpr_workgroup_id_y 0
		.amdhsa_system_sgpr_workgroup_id_z 0
		.amdhsa_system_sgpr_workgroup_info 0
		.amdhsa_system_vgpr_workitem_id 0
		.amdhsa_next_free_vgpr 1
		.amdhsa_next_free_sgpr 0
		.amdhsa_accum_offset 4
		.amdhsa_reserve_vcc 0
		.amdhsa_float_round_mode_32 0
		.amdhsa_float_round_mode_16_64 0
		.amdhsa_float_denorm_mode_32 3
		.amdhsa_float_denorm_mode_16_64 3
		.amdhsa_dx10_clamp 1
		.amdhsa_ieee_mode 1
		.amdhsa_fp16_overflow 0
		.amdhsa_tg_split 0
		.amdhsa_exception_fp_ieee_invalid_op 0
		.amdhsa_exception_fp_denorm_src 0
		.amdhsa_exception_fp_ieee_div_zero 0
		.amdhsa_exception_fp_ieee_overflow 0
		.amdhsa_exception_fp_ieee_underflow 0
		.amdhsa_exception_fp_ieee_inexact 0
		.amdhsa_exception_int_div_zero 0
	.end_amdhsa_kernel
	.section	.text._ZN7rocprim17ROCPRIM_400000_NS6detail17trampoline_kernelINS0_14default_configENS1_20scan_config_selectorIN3c104HalfEEEZZNS1_9scan_implILNS1_25lookback_scan_determinismE0ELb0ELb0ES3_PKS6_PS6_S6_ZZZN2at6native31launch_logcumsumexp_cuda_kernelERKNSD_10TensorBaseESH_lENKUlvE_clEvENKUlvE3_clEvEUlS6_S6_E_S6_EEDaPvRmT3_T4_T5_mT6_P12ihipStream_tbENKUlT_T0_E_clISt17integral_constantIbLb1EESX_IbLb0EEEEDaST_SU_EUlST_E0_NS1_11comp_targetILNS1_3genE8ELNS1_11target_archE1030ELNS1_3gpuE2ELNS1_3repE0EEENS1_30default_config_static_selectorELNS0_4arch9wavefront6targetE1EEEvT1_,"axG",@progbits,_ZN7rocprim17ROCPRIM_400000_NS6detail17trampoline_kernelINS0_14default_configENS1_20scan_config_selectorIN3c104HalfEEEZZNS1_9scan_implILNS1_25lookback_scan_determinismE0ELb0ELb0ES3_PKS6_PS6_S6_ZZZN2at6native31launch_logcumsumexp_cuda_kernelERKNSD_10TensorBaseESH_lENKUlvE_clEvENKUlvE3_clEvEUlS6_S6_E_S6_EEDaPvRmT3_T4_T5_mT6_P12ihipStream_tbENKUlT_T0_E_clISt17integral_constantIbLb1EESX_IbLb0EEEEDaST_SU_EUlST_E0_NS1_11comp_targetILNS1_3genE8ELNS1_11target_archE1030ELNS1_3gpuE2ELNS1_3repE0EEENS1_30default_config_static_selectorELNS0_4arch9wavefront6targetE1EEEvT1_,comdat
.Lfunc_end425:
	.size	_ZN7rocprim17ROCPRIM_400000_NS6detail17trampoline_kernelINS0_14default_configENS1_20scan_config_selectorIN3c104HalfEEEZZNS1_9scan_implILNS1_25lookback_scan_determinismE0ELb0ELb0ES3_PKS6_PS6_S6_ZZZN2at6native31launch_logcumsumexp_cuda_kernelERKNSD_10TensorBaseESH_lENKUlvE_clEvENKUlvE3_clEvEUlS6_S6_E_S6_EEDaPvRmT3_T4_T5_mT6_P12ihipStream_tbENKUlT_T0_E_clISt17integral_constantIbLb1EESX_IbLb0EEEEDaST_SU_EUlST_E0_NS1_11comp_targetILNS1_3genE8ELNS1_11target_archE1030ELNS1_3gpuE2ELNS1_3repE0EEENS1_30default_config_static_selectorELNS0_4arch9wavefront6targetE1EEEvT1_, .Lfunc_end425-_ZN7rocprim17ROCPRIM_400000_NS6detail17trampoline_kernelINS0_14default_configENS1_20scan_config_selectorIN3c104HalfEEEZZNS1_9scan_implILNS1_25lookback_scan_determinismE0ELb0ELb0ES3_PKS6_PS6_S6_ZZZN2at6native31launch_logcumsumexp_cuda_kernelERKNSD_10TensorBaseESH_lENKUlvE_clEvENKUlvE3_clEvEUlS6_S6_E_S6_EEDaPvRmT3_T4_T5_mT6_P12ihipStream_tbENKUlT_T0_E_clISt17integral_constantIbLb1EESX_IbLb0EEEEDaST_SU_EUlST_E0_NS1_11comp_targetILNS1_3genE8ELNS1_11target_archE1030ELNS1_3gpuE2ELNS1_3repE0EEENS1_30default_config_static_selectorELNS0_4arch9wavefront6targetE1EEEvT1_
                                        ; -- End function
	.section	.AMDGPU.csdata,"",@progbits
; Kernel info:
; codeLenInByte = 0
; NumSgprs: 6
; NumVgprs: 0
; NumAgprs: 0
; TotalNumVgprs: 0
; ScratchSize: 0
; MemoryBound: 0
; FloatMode: 240
; IeeeMode: 1
; LDSByteSize: 0 bytes/workgroup (compile time only)
; SGPRBlocks: 0
; VGPRBlocks: 0
; NumSGPRsForWavesPerEU: 6
; NumVGPRsForWavesPerEU: 1
; AccumOffset: 4
; Occupancy: 8
; WaveLimiterHint : 0
; COMPUTE_PGM_RSRC2:SCRATCH_EN: 0
; COMPUTE_PGM_RSRC2:USER_SGPR: 2
; COMPUTE_PGM_RSRC2:TRAP_HANDLER: 0
; COMPUTE_PGM_RSRC2:TGID_X_EN: 1
; COMPUTE_PGM_RSRC2:TGID_Y_EN: 0
; COMPUTE_PGM_RSRC2:TGID_Z_EN: 0
; COMPUTE_PGM_RSRC2:TIDIG_COMP_CNT: 0
; COMPUTE_PGM_RSRC3_GFX90A:ACCUM_OFFSET: 0
; COMPUTE_PGM_RSRC3_GFX90A:TG_SPLIT: 0
	.section	.text._ZN7rocprim17ROCPRIM_400000_NS6detail31init_lookback_scan_state_kernelINS1_19lookback_scan_stateIN3c104HalfELb0ELb1EEENS1_16block_id_wrapperIjLb1EEEEEvT_jT0_jPNS9_10value_typeE,"axG",@progbits,_ZN7rocprim17ROCPRIM_400000_NS6detail31init_lookback_scan_state_kernelINS1_19lookback_scan_stateIN3c104HalfELb0ELb1EEENS1_16block_id_wrapperIjLb1EEEEEvT_jT0_jPNS9_10value_typeE,comdat
	.protected	_ZN7rocprim17ROCPRIM_400000_NS6detail31init_lookback_scan_state_kernelINS1_19lookback_scan_stateIN3c104HalfELb0ELb1EEENS1_16block_id_wrapperIjLb1EEEEEvT_jT0_jPNS9_10value_typeE ; -- Begin function _ZN7rocprim17ROCPRIM_400000_NS6detail31init_lookback_scan_state_kernelINS1_19lookback_scan_stateIN3c104HalfELb0ELb1EEENS1_16block_id_wrapperIjLb1EEEEEvT_jT0_jPNS9_10value_typeE
	.globl	_ZN7rocprim17ROCPRIM_400000_NS6detail31init_lookback_scan_state_kernelINS1_19lookback_scan_stateIN3c104HalfELb0ELb1EEENS1_16block_id_wrapperIjLb1EEEEEvT_jT0_jPNS9_10value_typeE
	.p2align	8
	.type	_ZN7rocprim17ROCPRIM_400000_NS6detail31init_lookback_scan_state_kernelINS1_19lookback_scan_stateIN3c104HalfELb0ELb1EEENS1_16block_id_wrapperIjLb1EEEEEvT_jT0_jPNS9_10value_typeE,@function
_ZN7rocprim17ROCPRIM_400000_NS6detail31init_lookback_scan_state_kernelINS1_19lookback_scan_stateIN3c104HalfELb0ELb1EEENS1_16block_id_wrapperIjLb1EEEEEvT_jT0_jPNS9_10value_typeE: ; @_ZN7rocprim17ROCPRIM_400000_NS6detail31init_lookback_scan_state_kernelINS1_19lookback_scan_stateIN3c104HalfELb0ELb1EEENS1_16block_id_wrapperIjLb1EEEEEvT_jT0_jPNS9_10value_typeE
; %bb.0:
	s_load_dword s3, s[0:1], 0x34
	s_load_dwordx2 s[6:7], s[0:1], 0x20
	s_load_dwordx2 s[4:5], s[0:1], 0x0
	s_load_dword s10, s[0:1], 0x8
	s_waitcnt lgkmcnt(0)
	s_and_b32 s3, s3, 0xffff
	s_mul_i32 s2, s2, s3
	s_cmp_eq_u64 s[6:7], 0
	v_add_u32_e32 v0, s2, v0
	s_cbranch_scc1 .LBB426_6
; %bb.1:
	s_load_dword s8, s[0:1], 0x18
	s_mov_b32 s9, 0
	s_waitcnt lgkmcnt(0)
	s_cmp_lt_u32 s8, s10
	s_cselect_b32 s2, s8, 0
	v_cmp_eq_u32_e32 vcc, s2, v0
	s_and_saveexec_b64 s[2:3], vcc
	s_cbranch_execz .LBB426_5
; %bb.2:
	s_add_i32 s8, s8, 64
	s_lshl_b64 s[8:9], s[8:9], 2
	s_add_u32 s8, s4, s8
	s_addc_u32 s9, s5, s9
	v_mov_b32_e32 v2, 0
	global_load_dword v1, v2, s[8:9] sc1
	s_waitcnt vmcnt(0)
	v_and_b32_e32 v3, 0xff0000, v1
	v_cmp_ne_u32_e32 vcc, 0, v3
	s_cbranch_vccnz .LBB426_4
.LBB426_3:                              ; =>This Inner Loop Header: Depth=1
	global_load_dword v1, v2, s[8:9] sc1
	s_waitcnt vmcnt(0)
	v_and_b32_e32 v3, 0xff0000, v1
	v_cmp_eq_u32_e32 vcc, 0, v3
	s_cbranch_vccnz .LBB426_3
.LBB426_4:
	v_mov_b32_e32 v2, 0
	global_store_short v2, v1, s[6:7]
.LBB426_5:
	s_or_b64 exec, exec, s[2:3]
.LBB426_6:
	v_cmp_eq_u32_e32 vcc, 0, v0
	s_and_saveexec_b64 s[2:3], vcc
	s_cbranch_execnz .LBB426_10
; %bb.7:
	s_or_b64 exec, exec, s[2:3]
	v_cmp_gt_u32_e32 vcc, s10, v0
	s_and_saveexec_b64 s[0:1], vcc
	s_cbranch_execnz .LBB426_11
.LBB426_8:
	s_or_b64 exec, exec, s[0:1]
	v_cmp_gt_u32_e32 vcc, 64, v0
	s_and_saveexec_b64 s[0:1], vcc
	s_cbranch_execnz .LBB426_12
.LBB426_9:
	s_endpgm
.LBB426_10:
	s_load_dwordx2 s[0:1], s[0:1], 0x10
	v_mov_b32_e32 v1, 0
	s_waitcnt lgkmcnt(0)
	global_store_dword v1, v1, s[0:1]
	s_or_b64 exec, exec, s[2:3]
	v_cmp_gt_u32_e32 vcc, s10, v0
	s_and_saveexec_b64 s[0:1], vcc
	s_cbranch_execz .LBB426_8
.LBB426_11:
	v_add_u32_e32 v2, 64, v0
	v_mov_b32_e32 v3, 0
	v_lshl_add_u64 v[4:5], v[2:3], 2, s[4:5]
	global_store_dword v[4:5], v3, off
	s_or_b64 exec, exec, s[0:1]
	v_cmp_gt_u32_e32 vcc, 64, v0
	s_and_saveexec_b64 s[0:1], vcc
	s_cbranch_execz .LBB426_9
.LBB426_12:
	v_mov_b32_e32 v1, 0
	v_lshl_add_u64 v[0:1], v[0:1], 2, s[4:5]
	v_mov_b32_e32 v2, 0xff0000
	global_store_dword v[0:1], v2, off
	s_endpgm
	.section	.rodata,"a",@progbits
	.p2align	6, 0x0
	.amdhsa_kernel _ZN7rocprim17ROCPRIM_400000_NS6detail31init_lookback_scan_state_kernelINS1_19lookback_scan_stateIN3c104HalfELb0ELb1EEENS1_16block_id_wrapperIjLb1EEEEEvT_jT0_jPNS9_10value_typeE
		.amdhsa_group_segment_fixed_size 0
		.amdhsa_private_segment_fixed_size 0
		.amdhsa_kernarg_size 296
		.amdhsa_user_sgpr_count 2
		.amdhsa_user_sgpr_dispatch_ptr 0
		.amdhsa_user_sgpr_queue_ptr 0
		.amdhsa_user_sgpr_kernarg_segment_ptr 1
		.amdhsa_user_sgpr_dispatch_id 0
		.amdhsa_user_sgpr_kernarg_preload_length 0
		.amdhsa_user_sgpr_kernarg_preload_offset 0
		.amdhsa_user_sgpr_private_segment_size 0
		.amdhsa_uses_dynamic_stack 0
		.amdhsa_enable_private_segment 0
		.amdhsa_system_sgpr_workgroup_id_x 1
		.amdhsa_system_sgpr_workgroup_id_y 0
		.amdhsa_system_sgpr_workgroup_id_z 0
		.amdhsa_system_sgpr_workgroup_info 0
		.amdhsa_system_vgpr_workitem_id 0
		.amdhsa_next_free_vgpr 6
		.amdhsa_next_free_sgpr 11
		.amdhsa_accum_offset 8
		.amdhsa_reserve_vcc 1
		.amdhsa_float_round_mode_32 0
		.amdhsa_float_round_mode_16_64 0
		.amdhsa_float_denorm_mode_32 3
		.amdhsa_float_denorm_mode_16_64 3
		.amdhsa_dx10_clamp 1
		.amdhsa_ieee_mode 1
		.amdhsa_fp16_overflow 0
		.amdhsa_tg_split 0
		.amdhsa_exception_fp_ieee_invalid_op 0
		.amdhsa_exception_fp_denorm_src 0
		.amdhsa_exception_fp_ieee_div_zero 0
		.amdhsa_exception_fp_ieee_overflow 0
		.amdhsa_exception_fp_ieee_underflow 0
		.amdhsa_exception_fp_ieee_inexact 0
		.amdhsa_exception_int_div_zero 0
	.end_amdhsa_kernel
	.section	.text._ZN7rocprim17ROCPRIM_400000_NS6detail31init_lookback_scan_state_kernelINS1_19lookback_scan_stateIN3c104HalfELb0ELb1EEENS1_16block_id_wrapperIjLb1EEEEEvT_jT0_jPNS9_10value_typeE,"axG",@progbits,_ZN7rocprim17ROCPRIM_400000_NS6detail31init_lookback_scan_state_kernelINS1_19lookback_scan_stateIN3c104HalfELb0ELb1EEENS1_16block_id_wrapperIjLb1EEEEEvT_jT0_jPNS9_10value_typeE,comdat
.Lfunc_end426:
	.size	_ZN7rocprim17ROCPRIM_400000_NS6detail31init_lookback_scan_state_kernelINS1_19lookback_scan_stateIN3c104HalfELb0ELb1EEENS1_16block_id_wrapperIjLb1EEEEEvT_jT0_jPNS9_10value_typeE, .Lfunc_end426-_ZN7rocprim17ROCPRIM_400000_NS6detail31init_lookback_scan_state_kernelINS1_19lookback_scan_stateIN3c104HalfELb0ELb1EEENS1_16block_id_wrapperIjLb1EEEEEvT_jT0_jPNS9_10value_typeE
                                        ; -- End function
	.section	.AMDGPU.csdata,"",@progbits
; Kernel info:
; codeLenInByte = 348
; NumSgprs: 17
; NumVgprs: 6
; NumAgprs: 0
; TotalNumVgprs: 6
; ScratchSize: 0
; MemoryBound: 0
; FloatMode: 240
; IeeeMode: 1
; LDSByteSize: 0 bytes/workgroup (compile time only)
; SGPRBlocks: 2
; VGPRBlocks: 0
; NumSGPRsForWavesPerEU: 17
; NumVGPRsForWavesPerEU: 6
; AccumOffset: 8
; Occupancy: 8
; WaveLimiterHint : 0
; COMPUTE_PGM_RSRC2:SCRATCH_EN: 0
; COMPUTE_PGM_RSRC2:USER_SGPR: 2
; COMPUTE_PGM_RSRC2:TRAP_HANDLER: 0
; COMPUTE_PGM_RSRC2:TGID_X_EN: 1
; COMPUTE_PGM_RSRC2:TGID_Y_EN: 0
; COMPUTE_PGM_RSRC2:TGID_Z_EN: 0
; COMPUTE_PGM_RSRC2:TIDIG_COMP_CNT: 0
; COMPUTE_PGM_RSRC3_GFX90A:ACCUM_OFFSET: 1
; COMPUTE_PGM_RSRC3_GFX90A:TG_SPLIT: 0
	.section	.text._ZN7rocprim17ROCPRIM_400000_NS6detail17trampoline_kernelINS0_14default_configENS1_20scan_config_selectorIN3c104HalfEEEZZNS1_9scan_implILNS1_25lookback_scan_determinismE0ELb0ELb0ES3_PKS6_PS6_S6_ZZZN2at6native31launch_logcumsumexp_cuda_kernelERKNSD_10TensorBaseESH_lENKUlvE_clEvENKUlvE3_clEvEUlS6_S6_E_S6_EEDaPvRmT3_T4_T5_mT6_P12ihipStream_tbENKUlT_T0_E_clISt17integral_constantIbLb0EESX_IbLb1EEEEDaST_SU_EUlST_E_NS1_11comp_targetILNS1_3genE0ELNS1_11target_archE4294967295ELNS1_3gpuE0ELNS1_3repE0EEENS1_30default_config_static_selectorELNS0_4arch9wavefront6targetE1EEEvT1_,"axG",@progbits,_ZN7rocprim17ROCPRIM_400000_NS6detail17trampoline_kernelINS0_14default_configENS1_20scan_config_selectorIN3c104HalfEEEZZNS1_9scan_implILNS1_25lookback_scan_determinismE0ELb0ELb0ES3_PKS6_PS6_S6_ZZZN2at6native31launch_logcumsumexp_cuda_kernelERKNSD_10TensorBaseESH_lENKUlvE_clEvENKUlvE3_clEvEUlS6_S6_E_S6_EEDaPvRmT3_T4_T5_mT6_P12ihipStream_tbENKUlT_T0_E_clISt17integral_constantIbLb0EESX_IbLb1EEEEDaST_SU_EUlST_E_NS1_11comp_targetILNS1_3genE0ELNS1_11target_archE4294967295ELNS1_3gpuE0ELNS1_3repE0EEENS1_30default_config_static_selectorELNS0_4arch9wavefront6targetE1EEEvT1_,comdat
	.globl	_ZN7rocprim17ROCPRIM_400000_NS6detail17trampoline_kernelINS0_14default_configENS1_20scan_config_selectorIN3c104HalfEEEZZNS1_9scan_implILNS1_25lookback_scan_determinismE0ELb0ELb0ES3_PKS6_PS6_S6_ZZZN2at6native31launch_logcumsumexp_cuda_kernelERKNSD_10TensorBaseESH_lENKUlvE_clEvENKUlvE3_clEvEUlS6_S6_E_S6_EEDaPvRmT3_T4_T5_mT6_P12ihipStream_tbENKUlT_T0_E_clISt17integral_constantIbLb0EESX_IbLb1EEEEDaST_SU_EUlST_E_NS1_11comp_targetILNS1_3genE0ELNS1_11target_archE4294967295ELNS1_3gpuE0ELNS1_3repE0EEENS1_30default_config_static_selectorELNS0_4arch9wavefront6targetE1EEEvT1_ ; -- Begin function _ZN7rocprim17ROCPRIM_400000_NS6detail17trampoline_kernelINS0_14default_configENS1_20scan_config_selectorIN3c104HalfEEEZZNS1_9scan_implILNS1_25lookback_scan_determinismE0ELb0ELb0ES3_PKS6_PS6_S6_ZZZN2at6native31launch_logcumsumexp_cuda_kernelERKNSD_10TensorBaseESH_lENKUlvE_clEvENKUlvE3_clEvEUlS6_S6_E_S6_EEDaPvRmT3_T4_T5_mT6_P12ihipStream_tbENKUlT_T0_E_clISt17integral_constantIbLb0EESX_IbLb1EEEEDaST_SU_EUlST_E_NS1_11comp_targetILNS1_3genE0ELNS1_11target_archE4294967295ELNS1_3gpuE0ELNS1_3repE0EEENS1_30default_config_static_selectorELNS0_4arch9wavefront6targetE1EEEvT1_
	.p2align	8
	.type	_ZN7rocprim17ROCPRIM_400000_NS6detail17trampoline_kernelINS0_14default_configENS1_20scan_config_selectorIN3c104HalfEEEZZNS1_9scan_implILNS1_25lookback_scan_determinismE0ELb0ELb0ES3_PKS6_PS6_S6_ZZZN2at6native31launch_logcumsumexp_cuda_kernelERKNSD_10TensorBaseESH_lENKUlvE_clEvENKUlvE3_clEvEUlS6_S6_E_S6_EEDaPvRmT3_T4_T5_mT6_P12ihipStream_tbENKUlT_T0_E_clISt17integral_constantIbLb0EESX_IbLb1EEEEDaST_SU_EUlST_E_NS1_11comp_targetILNS1_3genE0ELNS1_11target_archE4294967295ELNS1_3gpuE0ELNS1_3repE0EEENS1_30default_config_static_selectorELNS0_4arch9wavefront6targetE1EEEvT1_,@function
_ZN7rocprim17ROCPRIM_400000_NS6detail17trampoline_kernelINS0_14default_configENS1_20scan_config_selectorIN3c104HalfEEEZZNS1_9scan_implILNS1_25lookback_scan_determinismE0ELb0ELb0ES3_PKS6_PS6_S6_ZZZN2at6native31launch_logcumsumexp_cuda_kernelERKNSD_10TensorBaseESH_lENKUlvE_clEvENKUlvE3_clEvEUlS6_S6_E_S6_EEDaPvRmT3_T4_T5_mT6_P12ihipStream_tbENKUlT_T0_E_clISt17integral_constantIbLb0EESX_IbLb1EEEEDaST_SU_EUlST_E_NS1_11comp_targetILNS1_3genE0ELNS1_11target_archE4294967295ELNS1_3gpuE0ELNS1_3repE0EEENS1_30default_config_static_selectorELNS0_4arch9wavefront6targetE1EEEvT1_: ; @_ZN7rocprim17ROCPRIM_400000_NS6detail17trampoline_kernelINS0_14default_configENS1_20scan_config_selectorIN3c104HalfEEEZZNS1_9scan_implILNS1_25lookback_scan_determinismE0ELb0ELb0ES3_PKS6_PS6_S6_ZZZN2at6native31launch_logcumsumexp_cuda_kernelERKNSD_10TensorBaseESH_lENKUlvE_clEvENKUlvE3_clEvEUlS6_S6_E_S6_EEDaPvRmT3_T4_T5_mT6_P12ihipStream_tbENKUlT_T0_E_clISt17integral_constantIbLb0EESX_IbLb1EEEEDaST_SU_EUlST_E_NS1_11comp_targetILNS1_3genE0ELNS1_11target_archE4294967295ELNS1_3gpuE0ELNS1_3repE0EEENS1_30default_config_static_selectorELNS0_4arch9wavefront6targetE1EEEvT1_
; %bb.0:
	.section	.rodata,"a",@progbits
	.p2align	6, 0x0
	.amdhsa_kernel _ZN7rocprim17ROCPRIM_400000_NS6detail17trampoline_kernelINS0_14default_configENS1_20scan_config_selectorIN3c104HalfEEEZZNS1_9scan_implILNS1_25lookback_scan_determinismE0ELb0ELb0ES3_PKS6_PS6_S6_ZZZN2at6native31launch_logcumsumexp_cuda_kernelERKNSD_10TensorBaseESH_lENKUlvE_clEvENKUlvE3_clEvEUlS6_S6_E_S6_EEDaPvRmT3_T4_T5_mT6_P12ihipStream_tbENKUlT_T0_E_clISt17integral_constantIbLb0EESX_IbLb1EEEEDaST_SU_EUlST_E_NS1_11comp_targetILNS1_3genE0ELNS1_11target_archE4294967295ELNS1_3gpuE0ELNS1_3repE0EEENS1_30default_config_static_selectorELNS0_4arch9wavefront6targetE1EEEvT1_
		.amdhsa_group_segment_fixed_size 0
		.amdhsa_private_segment_fixed_size 0
		.amdhsa_kernarg_size 96
		.amdhsa_user_sgpr_count 2
		.amdhsa_user_sgpr_dispatch_ptr 0
		.amdhsa_user_sgpr_queue_ptr 0
		.amdhsa_user_sgpr_kernarg_segment_ptr 1
		.amdhsa_user_sgpr_dispatch_id 0
		.amdhsa_user_sgpr_kernarg_preload_length 0
		.amdhsa_user_sgpr_kernarg_preload_offset 0
		.amdhsa_user_sgpr_private_segment_size 0
		.amdhsa_uses_dynamic_stack 0
		.amdhsa_enable_private_segment 0
		.amdhsa_system_sgpr_workgroup_id_x 1
		.amdhsa_system_sgpr_workgroup_id_y 0
		.amdhsa_system_sgpr_workgroup_id_z 0
		.amdhsa_system_sgpr_workgroup_info 0
		.amdhsa_system_vgpr_workitem_id 0
		.amdhsa_next_free_vgpr 1
		.amdhsa_next_free_sgpr 0
		.amdhsa_accum_offset 4
		.amdhsa_reserve_vcc 0
		.amdhsa_float_round_mode_32 0
		.amdhsa_float_round_mode_16_64 0
		.amdhsa_float_denorm_mode_32 3
		.amdhsa_float_denorm_mode_16_64 3
		.amdhsa_dx10_clamp 1
		.amdhsa_ieee_mode 1
		.amdhsa_fp16_overflow 0
		.amdhsa_tg_split 0
		.amdhsa_exception_fp_ieee_invalid_op 0
		.amdhsa_exception_fp_denorm_src 0
		.amdhsa_exception_fp_ieee_div_zero 0
		.amdhsa_exception_fp_ieee_overflow 0
		.amdhsa_exception_fp_ieee_underflow 0
		.amdhsa_exception_fp_ieee_inexact 0
		.amdhsa_exception_int_div_zero 0
	.end_amdhsa_kernel
	.section	.text._ZN7rocprim17ROCPRIM_400000_NS6detail17trampoline_kernelINS0_14default_configENS1_20scan_config_selectorIN3c104HalfEEEZZNS1_9scan_implILNS1_25lookback_scan_determinismE0ELb0ELb0ES3_PKS6_PS6_S6_ZZZN2at6native31launch_logcumsumexp_cuda_kernelERKNSD_10TensorBaseESH_lENKUlvE_clEvENKUlvE3_clEvEUlS6_S6_E_S6_EEDaPvRmT3_T4_T5_mT6_P12ihipStream_tbENKUlT_T0_E_clISt17integral_constantIbLb0EESX_IbLb1EEEEDaST_SU_EUlST_E_NS1_11comp_targetILNS1_3genE0ELNS1_11target_archE4294967295ELNS1_3gpuE0ELNS1_3repE0EEENS1_30default_config_static_selectorELNS0_4arch9wavefront6targetE1EEEvT1_,"axG",@progbits,_ZN7rocprim17ROCPRIM_400000_NS6detail17trampoline_kernelINS0_14default_configENS1_20scan_config_selectorIN3c104HalfEEEZZNS1_9scan_implILNS1_25lookback_scan_determinismE0ELb0ELb0ES3_PKS6_PS6_S6_ZZZN2at6native31launch_logcumsumexp_cuda_kernelERKNSD_10TensorBaseESH_lENKUlvE_clEvENKUlvE3_clEvEUlS6_S6_E_S6_EEDaPvRmT3_T4_T5_mT6_P12ihipStream_tbENKUlT_T0_E_clISt17integral_constantIbLb0EESX_IbLb1EEEEDaST_SU_EUlST_E_NS1_11comp_targetILNS1_3genE0ELNS1_11target_archE4294967295ELNS1_3gpuE0ELNS1_3repE0EEENS1_30default_config_static_selectorELNS0_4arch9wavefront6targetE1EEEvT1_,comdat
.Lfunc_end427:
	.size	_ZN7rocprim17ROCPRIM_400000_NS6detail17trampoline_kernelINS0_14default_configENS1_20scan_config_selectorIN3c104HalfEEEZZNS1_9scan_implILNS1_25lookback_scan_determinismE0ELb0ELb0ES3_PKS6_PS6_S6_ZZZN2at6native31launch_logcumsumexp_cuda_kernelERKNSD_10TensorBaseESH_lENKUlvE_clEvENKUlvE3_clEvEUlS6_S6_E_S6_EEDaPvRmT3_T4_T5_mT6_P12ihipStream_tbENKUlT_T0_E_clISt17integral_constantIbLb0EESX_IbLb1EEEEDaST_SU_EUlST_E_NS1_11comp_targetILNS1_3genE0ELNS1_11target_archE4294967295ELNS1_3gpuE0ELNS1_3repE0EEENS1_30default_config_static_selectorELNS0_4arch9wavefront6targetE1EEEvT1_, .Lfunc_end427-_ZN7rocprim17ROCPRIM_400000_NS6detail17trampoline_kernelINS0_14default_configENS1_20scan_config_selectorIN3c104HalfEEEZZNS1_9scan_implILNS1_25lookback_scan_determinismE0ELb0ELb0ES3_PKS6_PS6_S6_ZZZN2at6native31launch_logcumsumexp_cuda_kernelERKNSD_10TensorBaseESH_lENKUlvE_clEvENKUlvE3_clEvEUlS6_S6_E_S6_EEDaPvRmT3_T4_T5_mT6_P12ihipStream_tbENKUlT_T0_E_clISt17integral_constantIbLb0EESX_IbLb1EEEEDaST_SU_EUlST_E_NS1_11comp_targetILNS1_3genE0ELNS1_11target_archE4294967295ELNS1_3gpuE0ELNS1_3repE0EEENS1_30default_config_static_selectorELNS0_4arch9wavefront6targetE1EEEvT1_
                                        ; -- End function
	.section	.AMDGPU.csdata,"",@progbits
; Kernel info:
; codeLenInByte = 0
; NumSgprs: 6
; NumVgprs: 0
; NumAgprs: 0
; TotalNumVgprs: 0
; ScratchSize: 0
; MemoryBound: 0
; FloatMode: 240
; IeeeMode: 1
; LDSByteSize: 0 bytes/workgroup (compile time only)
; SGPRBlocks: 0
; VGPRBlocks: 0
; NumSGPRsForWavesPerEU: 6
; NumVGPRsForWavesPerEU: 1
; AccumOffset: 4
; Occupancy: 8
; WaveLimiterHint : 0
; COMPUTE_PGM_RSRC2:SCRATCH_EN: 0
; COMPUTE_PGM_RSRC2:USER_SGPR: 2
; COMPUTE_PGM_RSRC2:TRAP_HANDLER: 0
; COMPUTE_PGM_RSRC2:TGID_X_EN: 1
; COMPUTE_PGM_RSRC2:TGID_Y_EN: 0
; COMPUTE_PGM_RSRC2:TGID_Z_EN: 0
; COMPUTE_PGM_RSRC2:TIDIG_COMP_CNT: 0
; COMPUTE_PGM_RSRC3_GFX90A:ACCUM_OFFSET: 0
; COMPUTE_PGM_RSRC3_GFX90A:TG_SPLIT: 0
	.text
	.p2align	2                               ; -- Begin function _ZZZN7rocprim17ROCPRIM_400000_NS6detail9scan_implILNS1_25lookback_scan_determinismE0ELb0ELb0ENS0_14default_configEPKN3c104HalfEPS6_S6_ZZZN2at6native31launch_logcumsumexp_cuda_kernelERKNSA_10TensorBaseESE_lENKUlvE_clEvENKUlvE3_clEvEUlS6_S6_E_S6_EEDaPvRmT3_T4_T5_mT6_P12ihipStream_tbENKUlT_T0_E_clISt17integral_constantIbLb0EESU_IbLb1EEEEDaSQ_SR_ENKUlSQ_E_clINS1_13target_configIS4_NS1_20scan_config_selectorIS6_EENS1_11comp_targetILNS1_3genE5ELNS1_11target_archE942ELNS1_3gpuE9ELNS1_3repE0EEELNS0_4arch9wavefront6targetE1EEEEEDaSQ_
	.type	_ZZZN7rocprim17ROCPRIM_400000_NS6detail9scan_implILNS1_25lookback_scan_determinismE0ELb0ELb0ENS0_14default_configEPKN3c104HalfEPS6_S6_ZZZN2at6native31launch_logcumsumexp_cuda_kernelERKNSA_10TensorBaseESE_lENKUlvE_clEvENKUlvE3_clEvEUlS6_S6_E_S6_EEDaPvRmT3_T4_T5_mT6_P12ihipStream_tbENKUlT_T0_E_clISt17integral_constantIbLb0EESU_IbLb1EEEEDaSQ_SR_ENKUlSQ_E_clINS1_13target_configIS4_NS1_20scan_config_selectorIS6_EENS1_11comp_targetILNS1_3genE5ELNS1_11target_archE942ELNS1_3gpuE9ELNS1_3repE0EEELNS0_4arch9wavefront6targetE1EEEEEDaSQ_,@function
_ZZZN7rocprim17ROCPRIM_400000_NS6detail9scan_implILNS1_25lookback_scan_determinismE0ELb0ELb0ENS0_14default_configEPKN3c104HalfEPS6_S6_ZZZN2at6native31launch_logcumsumexp_cuda_kernelERKNSA_10TensorBaseESE_lENKUlvE_clEvENKUlvE3_clEvEUlS6_S6_E_S6_EEDaPvRmT3_T4_T5_mT6_P12ihipStream_tbENKUlT_T0_E_clISt17integral_constantIbLb0EESU_IbLb1EEEEDaSQ_SR_ENKUlSQ_E_clINS1_13target_configIS4_NS1_20scan_config_selectorIS6_EENS1_11comp_targetILNS1_3genE5ELNS1_11target_archE942ELNS1_3gpuE9ELNS1_3repE0EEELNS0_4arch9wavefront6targetE1EEEEEDaSQ_: ; @_ZZZN7rocprim17ROCPRIM_400000_NS6detail9scan_implILNS1_25lookback_scan_determinismE0ELb0ELb0ENS0_14default_configEPKN3c104HalfEPS6_S6_ZZZN2at6native31launch_logcumsumexp_cuda_kernelERKNSA_10TensorBaseESE_lENKUlvE_clEvENKUlvE3_clEvEUlS6_S6_E_S6_EEDaPvRmT3_T4_T5_mT6_P12ihipStream_tbENKUlT_T0_E_clISt17integral_constantIbLb0EESU_IbLb1EEEEDaSQ_SR_ENKUlSQ_E_clINS1_13target_configIS4_NS1_20scan_config_selectorIS6_EENS1_11comp_targetILNS1_3genE5ELNS1_11target_archE942ELNS1_3gpuE9ELNS1_3repE0EEELNS0_4arch9wavefront6targetE1EEEEEDaSQ_
; %bb.0:
	s_waitcnt vmcnt(0) expcnt(0) lgkmcnt(0)
	s_or_saveexec_b64 s[0:1], -1
	scratch_store_dword off, v40, s32       ; 4-byte Folded Spill
	s_mov_b64 exec, s[0:1]
	v_writelane_b32 v40, s30, 0
	s_nop 1
	v_writelane_b32 v40, s31, 1
	flat_load_dwordx4 v[10:13], v[0:1]
	flat_load_dwordx4 v[14:17], v[0:1] offset:16
	flat_load_dwordx3 v[28:30], v[0:1] offset:40
	flat_load_dwordx4 v[2:5], v[0:1] offset:56
	flat_load_dwordx4 v[6:9], v[0:1] offset:72
	v_and_b32_e32 v32, 0x3ff, v31
	v_cmp_ne_u32_e64 s[2:3], 0, v32
	v_cmp_eq_u32_e64 s[4:5], 0, v32
	s_and_saveexec_b64 s[0:1], s[4:5]
	s_cbranch_execz .LBB428_2
; %bb.1:
	flat_load_dwordx2 v[0:1], v[0:1] offset:88
	v_mov_b32_e32 v18, 1
	s_waitcnt vmcnt(0) lgkmcnt(0)
	flat_atomic_add v0, v[0:1], v18 sc0
	v_mov_b32_e32 v1, 0
	s_waitcnt vmcnt(0) lgkmcnt(0)
	ds_write_b32 v1, v0
.LBB428_2:
	s_or_b64 exec, exec, s[0:1]
	v_mov_b32_e32 v35, 0
	s_waitcnt lgkmcnt(0)
	s_barrier
	ds_read_b32 v36, v35
	s_movk_i32 s0, 0x1800
	s_waitcnt vmcnt(0)
	v_add_u32_e32 v18, -1, v30
	v_lshl_add_u64 v[0:1], v[12:13], 1, v[10:11]
	v_mul_lo_u32 v10, v18, s0
	s_waitcnt lgkmcnt(0)
	v_mul_lo_u32 v34, v36, s0
	v_sub_co_u32_e32 v10, vcc, v16, v10
	v_cmp_ne_u32_e64 s[0:1], v36, v18
	s_nop 0
	v_subbrev_co_u32_e32 v11, vcc, 0, v17, vcc
	v_lshl_add_u64 v[16:17], v[34:35], 1, v[0:1]
	v_lshlrev_b32_e32 v0, 1, v32
	s_barrier
	s_and_saveexec_b64 s[6:7], s[0:1]
	s_xor_b64 s[6:7], exec, s[6:7]
	s_cbranch_execz .LBB428_4
; %bb.3:
	v_mov_b32_e32 v1, v35
	v_lshl_add_u64 v[16:17], v[16:17], 0, v[0:1]
	v_add_co_u32_e32 v18, vcc, 0x1000, v16
	flat_load_ushort v1, v[16:17]
	flat_load_ushort v20, v[16:17] offset:512
	flat_load_ushort v21, v[16:17] offset:1024
	;; [unrolled: 1-line block ×7, first 2 shown]
	v_addc_co_u32_e32 v19, vcc, 0, v17, vcc
	v_add_co_u32_e32 v16, vcc, 0x2000, v16
	flat_load_ushort v27, v[18:19]
	flat_load_ushort v30, v[18:19] offset:512
	flat_load_ushort v31, v[18:19] offset:1024
	;; [unrolled: 1-line block ×7, first 2 shown]
	v_addc_co_u32_e32 v17, vcc, 0, v17, vcc
	flat_load_ushort v18, v[16:17]
	flat_load_ushort v19, v[16:17] offset:512
	flat_load_ushort v49, v[16:17] offset:1024
	;; [unrolled: 1-line block ×7, first 2 shown]
                                        ; implicit-def: $vgpr16_vgpr17
	s_waitcnt vmcnt(0) lgkmcnt(0)
	ds_write_b16 v0, v1
	ds_write_b16 v0, v20 offset:512
	ds_write_b16 v0, v21 offset:1024
	;; [unrolled: 1-line block ×23, first 2 shown]
	s_waitcnt lgkmcnt(0)
	s_barrier
.LBB428_4:
	s_andn2_saveexec_b64 s[6:7], s[6:7]
	s_cbranch_execz .LBB428_54
; %bb.5:
	flat_load_ushort v18, v[16:17]
	v_cmp_lt_u32_e32 vcc, v32, v10
	s_waitcnt vmcnt(0) lgkmcnt(0)
	v_mov_b32_e32 v19, v18
	s_and_saveexec_b64 s[8:9], vcc
	s_cbranch_execz .LBB428_7
; %bb.6:
	v_mov_b32_e32 v1, 0
	v_lshl_add_u64 v[20:21], v[16:17], 0, v[0:1]
	flat_load_ushort v19, v[20:21]
.LBB428_7:
	s_or_b64 exec, exec, s[8:9]
	v_add_u32_e32 v1, 0x100, v32
	v_cmp_lt_u32_e32 vcc, v1, v10
	v_mov_b32_e32 v20, v18
	s_and_saveexec_b64 s[8:9], vcc
	s_cbranch_execz .LBB428_9
; %bb.8:
	v_mov_b32_e32 v1, 0
	v_lshl_add_u64 v[20:21], v[16:17], 0, v[0:1]
	flat_load_ushort v20, v[20:21] offset:512
.LBB428_9:
	s_or_b64 exec, exec, s[8:9]
	v_add_u32_e32 v1, 0x200, v32
	v_cmp_lt_u32_e32 vcc, v1, v10
	v_mov_b32_e32 v21, v18
	s_and_saveexec_b64 s[8:9], vcc
	s_cbranch_execz .LBB428_11
; %bb.10:
	v_mov_b32_e32 v1, 0
	v_lshl_add_u64 v[22:23], v[16:17], 0, v[0:1]
	flat_load_ushort v21, v[22:23] offset:1024
.LBB428_11:
	;; [unrolled: 11-line block ×3, first 2 shown]
	s_or_b64 exec, exec, s[8:9]
	v_or_b32_e32 v1, 0x400, v32
	v_cmp_lt_u32_e32 vcc, v1, v10
	v_mov_b32_e32 v23, v18
	s_and_saveexec_b64 s[8:9], vcc
	s_cbranch_execz .LBB428_15
; %bb.14:
	v_mov_b32_e32 v1, 0
	v_lshl_add_u64 v[24:25], v[16:17], 0, v[0:1]
	flat_load_ushort v23, v[24:25] offset:2048
.LBB428_15:
	s_or_b64 exec, exec, s[8:9]
	v_add_u32_e32 v1, 0x500, v32
	v_cmp_lt_u32_e32 vcc, v1, v10
	v_mov_b32_e32 v24, v18
	s_and_saveexec_b64 s[8:9], vcc
	s_cbranch_execz .LBB428_17
; %bb.16:
	v_mov_b32_e32 v1, 0
	v_lshl_add_u64 v[24:25], v[16:17], 0, v[0:1]
	flat_load_ushort v24, v[24:25] offset:2560
.LBB428_17:
	s_or_b64 exec, exec, s[8:9]
	v_add_u32_e32 v1, 0x600, v32
	;; [unrolled: 11-line block ×3, first 2 shown]
	v_cmp_lt_u32_e32 vcc, v1, v10
	v_mov_b32_e32 v1, v18
	s_and_saveexec_b64 s[8:9], vcc
	s_cbranch_execz .LBB428_21
; %bb.20:
	v_mov_b32_e32 v1, 0
	v_lshl_add_u64 v[26:27], v[16:17], 0, v[0:1]
	flat_load_ushort v1, v[26:27] offset:3584
.LBB428_21:
	s_or_b64 exec, exec, s[8:9]
	v_or_b32_e32 v27, 0x800, v32
	v_cmp_lt_u32_e32 vcc, v27, v10
	v_mov_b32_e32 v26, v18
	s_and_saveexec_b64 s[8:9], vcc
	s_cbranch_execz .LBB428_23
; %bb.22:
	v_lshlrev_b32_e32 v26, 1, v27
	v_mov_b32_e32 v27, 0
	v_lshl_add_u64 v[26:27], v[16:17], 0, v[26:27]
	flat_load_ushort v26, v[26:27]
.LBB428_23:
	s_or_b64 exec, exec, s[8:9]
	v_add_u32_e32 v30, 0x900, v32
	v_cmp_lt_u32_e32 vcc, v30, v10
	v_mov_b32_e32 v27, v18
	s_and_saveexec_b64 s[8:9], vcc
	s_cbranch_execz .LBB428_25
; %bb.24:
	v_lshlrev_b32_e32 v30, 1, v30
	v_mov_b32_e32 v31, 0
	v_lshl_add_u64 v[30:31], v[16:17], 0, v[30:31]
	flat_load_ushort v27, v[30:31]
.LBB428_25:
	s_or_b64 exec, exec, s[8:9]
	v_add_u32_e32 v31, 0xa00, v32
	v_cmp_lt_u32_e32 vcc, v31, v10
	v_mov_b32_e32 v30, v18
	s_and_saveexec_b64 s[8:9], vcc
	s_cbranch_execz .LBB428_27
; %bb.26:
	v_lshlrev_b32_e32 v30, 1, v31
	v_mov_b32_e32 v31, 0
	v_lshl_add_u64 v[30:31], v[16:17], 0, v[30:31]
	flat_load_ushort v30, v[30:31]
.LBB428_27:
	s_or_b64 exec, exec, s[8:9]
	v_add_u32_e32 v33, 0xb00, v32
	v_cmp_lt_u32_e32 vcc, v33, v10
	v_mov_b32_e32 v31, v18
	s_and_saveexec_b64 s[8:9], vcc
	s_cbranch_execz .LBB428_29
; %bb.28:
	v_lshlrev_b32_e32 v38, 1, v33
	v_mov_b32_e32 v39, 0
	v_lshl_add_u64 v[38:39], v[16:17], 0, v[38:39]
	flat_load_ushort v31, v[38:39]
.LBB428_29:
	s_or_b64 exec, exec, s[8:9]
	v_or_b32_e32 v37, 0xc00, v32
	v_cmp_lt_u32_e32 vcc, v37, v10
	v_mov_b32_e32 v33, v18
	s_and_saveexec_b64 s[8:9], vcc
	s_cbranch_execz .LBB428_31
; %bb.30:
	v_lshlrev_b32_e32 v38, 1, v37
	v_mov_b32_e32 v39, 0
	v_lshl_add_u64 v[38:39], v[16:17], 0, v[38:39]
	flat_load_ushort v33, v[38:39]
.LBB428_31:
	s_or_b64 exec, exec, s[8:9]
	v_add_u32_e32 v38, 0xd00, v32
	v_cmp_lt_u32_e32 vcc, v38, v10
	v_mov_b32_e32 v37, v18
	s_and_saveexec_b64 s[8:9], vcc
	s_cbranch_execz .LBB428_33
; %bb.32:
	v_lshlrev_b32_e32 v38, 1, v38
	v_mov_b32_e32 v39, 0
	v_lshl_add_u64 v[38:39], v[16:17], 0, v[38:39]
	flat_load_ushort v37, v[38:39]
.LBB428_33:
	s_or_b64 exec, exec, s[8:9]
	v_add_u32_e32 v39, 0xe00, v32
	v_cmp_lt_u32_e32 vcc, v39, v10
	v_mov_b32_e32 v38, v18
	s_and_saveexec_b64 s[8:9], vcc
	s_cbranch_execz .LBB428_35
; %bb.34:
	v_lshlrev_b32_e32 v38, 1, v39
	v_mov_b32_e32 v39, 0
	v_lshl_add_u64 v[38:39], v[16:17], 0, v[38:39]
	flat_load_ushort v38, v[38:39]
.LBB428_35:
	s_or_b64 exec, exec, s[8:9]
	v_add_u32_e32 v48, 0xf00, v32
	v_cmp_lt_u32_e32 vcc, v48, v10
	v_mov_b32_e32 v39, v18
	s_and_saveexec_b64 s[8:9], vcc
	s_cbranch_execz .LBB428_37
; %bb.36:
	v_lshlrev_b32_e32 v48, 1, v48
	v_mov_b32_e32 v49, 0
	v_lshl_add_u64 v[48:49], v[16:17], 0, v[48:49]
	flat_load_ushort v39, v[48:49]
.LBB428_37:
	;; [unrolled: 48-line block ×3, first 2 shown]
	s_or_b64 exec, exec, s[8:9]
	v_or_b32_e32 v53, 0x1400, v32
	v_cmp_lt_u32_e32 vcc, v53, v10
	v_mov_b32_e32 v52, v18
	s_and_saveexec_b64 s[8:9], vcc
	s_cbranch_execz .LBB428_47
; %bb.46:
	v_lshlrev_b32_e32 v52, 1, v53
	v_mov_b32_e32 v53, 0
	v_lshl_add_u64 v[52:53], v[16:17], 0, v[52:53]
	flat_load_ushort v52, v[52:53]
.LBB428_47:
	s_or_b64 exec, exec, s[8:9]
	v_add_u32_e32 v54, 0x1500, v32
	v_cmp_lt_u32_e32 vcc, v54, v10
	v_mov_b32_e32 v53, v18
	s_and_saveexec_b64 s[8:9], vcc
	s_cbranch_execz .LBB428_49
; %bb.48:
	v_lshlrev_b32_e32 v54, 1, v54
	v_mov_b32_e32 v55, 0
	v_lshl_add_u64 v[54:55], v[16:17], 0, v[54:55]
	flat_load_ushort v53, v[54:55]
.LBB428_49:
	s_or_b64 exec, exec, s[8:9]
	v_add_u32_e32 v55, 0x1600, v32
	;; [unrolled: 12-line block ×3, first 2 shown]
	v_cmp_lt_u32_e32 vcc, v55, v10
	s_and_saveexec_b64 s[8:9], vcc
	s_cbranch_execz .LBB428_53
; %bb.52:
	v_lshlrev_b32_e32 v64, 1, v55
	v_mov_b32_e32 v65, 0
	v_lshl_add_u64 v[16:17], v[16:17], 0, v[64:65]
	flat_load_ushort v18, v[16:17]
.LBB428_53:
	s_or_b64 exec, exec, s[8:9]
	s_waitcnt vmcnt(0) lgkmcnt(0)
	ds_write_b16 v0, v19
	ds_write_b16 v0, v20 offset:512
	ds_write_b16 v0, v21 offset:1024
	;; [unrolled: 1-line block ×23, first 2 shown]
	s_waitcnt lgkmcnt(0)
	s_barrier
.LBB428_54:
	s_or_b64 exec, exec, s[6:7]
	v_mul_u32_u24_e32 v52, 24, v32
	v_lshlrev_b32_e32 v1, 1, v52
	ds_read_b128 v[24:27], v1
	ds_read_b128 v[20:23], v1 offset:16
	ds_read_b128 v[16:19], v1 offset:32
	v_cmp_ne_u32_e32 vcc, 0, v36
	s_and_b64 vcc, exec, vcc
	s_waitcnt lgkmcnt(2)
	v_cvt_f32_f16_sdwa v33, v24 dst_sel:DWORD dst_unused:UNUSED_PAD src0_sel:WORD_1
	v_cmp_u_f16_sdwa s[6:7], v24, v24 src0_sel:WORD_1 src1_sel:WORD_1
	s_waitcnt lgkmcnt(0)
	s_barrier
	s_cbranch_vccz .LBB428_265
; %bb.55:
	v_cvt_f32_f16_e32 v99, v24
	v_cmp_u_f16_e64 s[54:55], v24, v24
	s_movk_i32 s10, 0x1f8
	v_min_f32_e32 v30, v99, v33
	v_max_f32_e32 v31, v99, v33
	v_cndmask_b32_e64 v30, v30, v99, s[54:55]
	v_cndmask_b32_e64 v31, v31, v99, s[54:55]
	;; [unrolled: 1-line block ×4, first 2 shown]
	v_cmp_neq_f32_e32 vcc, v39, v38
	v_cmp_class_f32_e64 s[8:9], v39, s10
	s_or_b64 s[12:13], vcc, s[8:9]
	v_mov_b32_e32 v37, v99
	v_mov_b32_e32 v31, v24
	v_mov_b32_e32 v30, v24
	s_and_saveexec_b64 s[8:9], s[12:13]
	s_cbranch_execz .LBB428_57
; %bb.56:
	v_sub_f32_e32 v30, v39, v38
	s_mov_b32 s11, 0x3fb8aa3b
	v_mul_f32_e32 v31, 0x3fb8aa3b, v30
	v_fma_f32 v37, v30, s11, -v31
	v_rndne_f32_e32 v39, v31
	v_fmamk_f32 v37, v30, 0x32a5705f, v37
	v_sub_f32_e32 v31, v31, v39
	v_add_f32_e32 v31, v31, v37
	v_exp_f32_e32 v31, v31
	v_cvt_i32_f32_e32 v37, v39
	s_mov_b32 s11, 0xc2ce8ed0
	v_cmp_ngt_f32_e32 vcc, s11, v30
	s_mov_b32 s11, 0x42b17218
	v_ldexp_f32 v31, v31, v37
	v_cndmask_b32_e32 v31, 0, v31, vcc
	v_mov_b32_e32 v37, 0x7f800000
	v_cmp_nlt_f32_e32 vcc, s11, v30
	s_mov_b32 s11, 0x3f2aaaab
	s_mov_b32 s12, 0x7f800000
	v_cndmask_b32_e32 v39, v37, v31, vcc
	v_add_f32_e32 v37, 1.0, v39
	v_add_f32_e32 v30, -1.0, v37
	v_sub_f32_e32 v31, v30, v37
	v_add_f32_e32 v31, 1.0, v31
	v_sub_f32_e32 v30, v39, v30
	v_add_f32_e32 v48, v30, v31
	v_frexp_mant_f32_e32 v49, v37
	v_cvt_f64_f32_e32 v[30:31], v37
	v_frexp_exp_i32_f64_e32 v30, v[30:31]
	v_cmp_gt_f32_e32 vcc, s11, v49
	s_mov_b32 s11, 0x3f317218
	s_nop 0
	v_subbrev_co_u32_e32 v53, vcc, 0, v30, vcc
	v_sub_u32_e32 v30, 0, v53
	v_ldexp_f32 v31, v37, v30
	v_add_f32_e32 v37, -1.0, v31
	v_add_f32_e32 v49, 1.0, v31
	v_ldexp_f32 v30, v48, v30
	v_add_f32_e32 v48, 1.0, v37
	v_add_f32_e32 v50, -1.0, v49
	v_sub_f32_e32 v48, v31, v48
	v_sub_f32_e32 v31, v31, v50
	v_add_f32_e32 v48, v30, v48
	v_add_f32_e32 v30, v30, v31
	;; [unrolled: 1-line block ×3, first 2 shown]
	v_rcp_f32_e32 v66, v64
	v_sub_f32_e32 v31, v49, v64
	v_add_f32_e32 v65, v30, v31
	v_add_f32_e32 v31, v37, v48
	v_sub_f32_e32 v30, v37, v31
	v_mul_f32_e32 v67, v31, v66
	v_add_f32_e32 v37, v48, v30
	v_mul_f32_e32 v48, v64, v67
	v_fma_f32 v50, v67, v64, -v48
	v_fmac_f32_e32 v50, v67, v65
	v_add_f32_e32 v30, v48, v50
	v_sub_f32_e32 v49, v31, v30
	v_pk_add_f32 v[54:55], v[30:31], v[48:49] neg_lo:[0,1] neg_hi:[0,1]
	v_mov_b32_e32 v51, v30
	v_pk_add_f32 v[30:31], v[54:55], v[50:51] neg_lo:[0,1] neg_hi:[0,1]
	v_cmp_eq_f32_e32 vcc, s12, v39
	v_add_f32_e32 v31, v37, v31
	v_add_f32_e32 v30, v30, v31
	;; [unrolled: 1-line block ×3, first 2 shown]
	v_mul_f32_e32 v37, v66, v31
	v_mul_f32_e32 v48, v64, v37
	v_fma_f32 v50, v37, v64, -v48
	v_fmac_f32_e32 v50, v37, v65
	v_sub_f32_e32 v49, v49, v31
	v_add_f32_e32 v64, v30, v49
	v_add_f32_e32 v30, v48, v50
	v_sub_f32_e32 v49, v31, v30
	v_pk_add_f32 v[54:55], v[30:31], v[48:49] neg_lo:[0,1] neg_hi:[0,1]
	v_mov_b32_e32 v51, v30
	v_pk_add_f32 v[30:31], v[54:55], v[50:51] neg_lo:[0,1] neg_hi:[0,1]
	v_cvt_f32_i32_e32 v48, v53
	v_add_f32_e32 v31, v64, v31
	v_add_f32_e32 v30, v30, v31
	;; [unrolled: 1-line block ×4, first 2 shown]
	v_sub_f32_e32 v31, v49, v67
	v_mul_f32_e32 v30, v66, v30
	v_sub_f32_e32 v31, v37, v31
	v_add_f32_e32 v30, v31, v30
	v_add_f32_e32 v37, v49, v30
	v_mul_f32_e32 v50, v37, v37
	v_mov_b32_e32 v31, 0x3ecc95a3
	v_sub_f32_e32 v49, v37, v49
	v_fmac_f32_e32 v31, 0x3e9b6dac, v50
	v_sub_f32_e32 v30, v30, v49
	v_fmaak_f32 v31, v50, v31, 0x3f2aaada
	v_ldexp_f32 v53, v30, 1
	v_mul_f32_e32 v49, v37, v50
	v_mov_b32_e32 v30, 0x3f317218
	v_pk_mul_f32 v[30:31], v[48:49], v[30:31]
	v_ldexp_f32 v51, v37, 1
	v_fma_f32 v37, v48, s11, -v30
	v_fmamk_f32 v50, v48, 0xb102e308, v37
	v_pk_add_f32 v[48:49], v[30:31], v[50:51]
	v_mov_b32_e32 v54, v30
	v_sub_f32_e32 v37, v49, v51
	v_sub_f32_e32 v37, v31, v37
	v_add_f32_e32 v55, v53, v37
	v_pk_add_f32 v[30:31], v[48:49], v[30:31] neg_lo:[0,1] neg_hi:[0,1]
	v_pk_add_f32 v[64:65], v[48:49], v[54:55]
	v_mov_b32_e32 v51, v48
	v_mov_b32_e32 v31, v65
	v_pk_add_f32 v[66:67], v[50:51], v[30:31] neg_lo:[0,1] neg_hi:[0,1]
	v_pk_add_f32 v[30:31], v[50:51], v[30:31]
	v_mov_b32_e32 v54, v55
	v_mov_b32_e32 v50, v31
	v_pk_add_f32 v[68:69], v[50:51], v[48:49] neg_lo:[0,1] neg_hi:[0,1]
	v_mov_b32_e32 v30, v65
	v_mov_b32_e32 v37, v68
	v_pk_add_f32 v[70:71], v[64:65], v[36:37] neg_lo:[0,1] neg_hi:[0,1]
	v_mov_b32_e32 v64, v49
	v_mov_b32_e32 v65, v68
	;; [unrolled: 1-line block ×3, first 2 shown]
	v_pk_add_f32 v[30:31], v[30:31], v[64:65] neg_lo:[0,1] neg_hi:[0,1]
	v_mov_b32_e32 v55, v48
	v_pk_add_f32 v[30:31], v[54:55], v[30:31] neg_lo:[0,1] neg_hi:[0,1]
	v_mov_b32_e32 v70, v66
	v_pk_add_f32 v[48:49], v[70:71], v[30:31]
	s_mov_b32 s11, 0x33800000
	v_mov_b32_e32 v54, v49
	v_pk_add_f32 v[54:55], v[48:49], v[54:55]
	v_cmp_lt_f32_e64 s[12:13], |v39|, s11
	v_pk_add_f32 v[50:51], v[50:51], v[54:55]
	v_mov_b32_e32 v31, v54
	v_mov_b32_e32 v49, v50
	v_pk_add_f32 v[64:65], v[48:49], v[66:67] neg_lo:[0,1] neg_hi:[0,1]
	s_or_b64 vcc, vcc, s[12:13]
	v_sub_f32_e32 v37, v48, v64
	v_pk_add_f32 v[30:31], v[30:31], v[64:65] neg_lo:[0,1] neg_hi:[0,1]
	v_sub_f32_e32 v37, v66, v37
	v_add_f32_e32 v30, v30, v37
	v_add_f32_e32 v30, v30, v31
	;; [unrolled: 1-line block ×3, first 2 shown]
	v_cndmask_b32_e32 v30, v30, v39, vcc
	v_add_f32_e32 v30, v38, v30
	v_cvt_f16_f32_e32 v31, v30
	v_cvt_f32_f16_e32 v37, v31
	v_mov_b32_e32 v30, v31
.LBB428_57:
	s_or_b64 exec, exec, s[8:9]
	v_cvt_f32_f16_e32 v53, v25
	v_max_f32_e32 v38, v37, v37
	v_cmp_u_f16_e32 vcc, v31, v31
	v_cmp_u_f16_e64 s[8:9], v25, v25
	v_min_f32_e32 v39, v38, v53
	v_max_f32_e32 v38, v38, v53
	v_cndmask_b32_e32 v39, v39, v37, vcc
	v_cndmask_b32_e32 v38, v38, v37, vcc
	v_cndmask_b32_e64 v39, v39, v53, s[8:9]
	v_cndmask_b32_e64 v38, v38, v53, s[8:9]
	v_cmp_neq_f32_e32 vcc, v39, v38
	v_cmp_class_f32_e64 s[10:11], v39, s10
	s_or_b64 s[12:13], vcc, s[10:11]
	s_and_saveexec_b64 s[10:11], s[12:13]
	s_cbranch_execz .LBB428_59
; %bb.58:
	v_sub_f32_e32 v30, v39, v38
	s_mov_b32 s12, 0x3fb8aa3b
	v_mul_f32_e32 v31, 0x3fb8aa3b, v30
	v_fma_f32 v37, v30, s12, -v31
	v_rndne_f32_e32 v39, v31
	v_fmamk_f32 v37, v30, 0x32a5705f, v37
	v_sub_f32_e32 v31, v31, v39
	v_add_f32_e32 v31, v31, v37
	v_exp_f32_e32 v31, v31
	v_cvt_i32_f32_e32 v37, v39
	s_mov_b32 s12, 0xc2ce8ed0
	v_cmp_ngt_f32_e32 vcc, s12, v30
	s_mov_b32 s12, 0x42b17218
	v_ldexp_f32 v31, v31, v37
	v_cndmask_b32_e32 v31, 0, v31, vcc
	v_mov_b32_e32 v37, 0x7f800000
	v_cmp_nlt_f32_e32 vcc, s12, v30
	s_mov_b32 s12, 0x3f2aaaab
	s_mov_b32 s13, 0x7f800000
	v_cndmask_b32_e32 v39, v37, v31, vcc
	v_add_f32_e32 v37, 1.0, v39
	v_add_f32_e32 v30, -1.0, v37
	v_sub_f32_e32 v31, v30, v37
	v_add_f32_e32 v31, 1.0, v31
	v_sub_f32_e32 v30, v39, v30
	v_add_f32_e32 v48, v30, v31
	v_frexp_mant_f32_e32 v49, v37
	v_cvt_f64_f32_e32 v[30:31], v37
	v_frexp_exp_i32_f64_e32 v30, v[30:31]
	v_cmp_gt_f32_e32 vcc, s12, v49
	s_mov_b32 s12, 0x3f317218
	s_nop 0
	v_subbrev_co_u32_e32 v64, vcc, 0, v30, vcc
	v_sub_u32_e32 v30, 0, v64
	v_ldexp_f32 v31, v37, v30
	v_add_f32_e32 v37, -1.0, v31
	v_add_f32_e32 v49, 1.0, v31
	v_ldexp_f32 v30, v48, v30
	v_add_f32_e32 v48, 1.0, v37
	v_add_f32_e32 v50, -1.0, v49
	v_sub_f32_e32 v48, v31, v48
	v_sub_f32_e32 v31, v31, v50
	v_add_f32_e32 v48, v30, v48
	v_add_f32_e32 v30, v30, v31
	;; [unrolled: 1-line block ×3, first 2 shown]
	v_rcp_f32_e32 v67, v65
	v_sub_f32_e32 v31, v49, v65
	v_add_f32_e32 v66, v30, v31
	v_add_f32_e32 v31, v37, v48
	v_sub_f32_e32 v30, v37, v31
	v_mul_f32_e32 v68, v31, v67
	v_add_f32_e32 v37, v48, v30
	v_mul_f32_e32 v48, v65, v68
	v_fma_f32 v50, v68, v65, -v48
	v_fmac_f32_e32 v50, v68, v66
	v_add_f32_e32 v30, v48, v50
	v_sub_f32_e32 v49, v31, v30
	v_pk_add_f32 v[54:55], v[30:31], v[48:49] neg_lo:[0,1] neg_hi:[0,1]
	v_mov_b32_e32 v51, v30
	v_pk_add_f32 v[30:31], v[54:55], v[50:51] neg_lo:[0,1] neg_hi:[0,1]
	v_cmp_eq_f32_e32 vcc, s13, v39
	v_add_f32_e32 v31, v37, v31
	v_add_f32_e32 v30, v30, v31
	;; [unrolled: 1-line block ×3, first 2 shown]
	v_mul_f32_e32 v37, v67, v31
	v_mul_f32_e32 v48, v65, v37
	v_fma_f32 v50, v37, v65, -v48
	v_fmac_f32_e32 v50, v37, v66
	v_sub_f32_e32 v49, v49, v31
	v_add_f32_e32 v65, v30, v49
	v_add_f32_e32 v30, v48, v50
	v_sub_f32_e32 v49, v31, v30
	v_pk_add_f32 v[54:55], v[30:31], v[48:49] neg_lo:[0,1] neg_hi:[0,1]
	v_mov_b32_e32 v51, v30
	v_pk_add_f32 v[30:31], v[54:55], v[50:51] neg_lo:[0,1] neg_hi:[0,1]
	v_cvt_f32_i32_e32 v48, v64
	v_add_f32_e32 v31, v65, v31
	v_add_f32_e32 v30, v30, v31
	;; [unrolled: 1-line block ×4, first 2 shown]
	v_sub_f32_e32 v31, v49, v68
	v_mul_f32_e32 v30, v67, v30
	v_sub_f32_e32 v31, v37, v31
	v_add_f32_e32 v30, v31, v30
	v_add_f32_e32 v37, v49, v30
	v_mul_f32_e32 v50, v37, v37
	v_mov_b32_e32 v31, 0x3ecc95a3
	v_sub_f32_e32 v49, v37, v49
	v_fmac_f32_e32 v31, 0x3e9b6dac, v50
	v_sub_f32_e32 v30, v30, v49
	v_fmaak_f32 v31, v50, v31, 0x3f2aaada
	v_ldexp_f32 v54, v30, 1
	v_mul_f32_e32 v49, v37, v50
	v_mov_b32_e32 v30, 0x3f317218
	v_pk_mul_f32 v[30:31], v[48:49], v[30:31]
	v_ldexp_f32 v51, v37, 1
	v_fma_f32 v37, v48, s12, -v30
	v_fmamk_f32 v50, v48, 0xb102e308, v37
	v_pk_add_f32 v[48:49], v[30:31], v[50:51]
	s_mov_b32 s12, 0x33800000
	v_sub_f32_e32 v37, v49, v51
	v_sub_f32_e32 v37, v31, v37
	v_add_f32_e32 v55, v54, v37
	v_mov_b32_e32 v54, v30
	v_pk_add_f32 v[30:31], v[48:49], v[30:31] neg_lo:[0,1] neg_hi:[0,1]
	v_pk_add_f32 v[64:65], v[48:49], v[54:55]
	v_mov_b32_e32 v51, v48
	v_mov_b32_e32 v31, v65
	v_pk_add_f32 v[66:67], v[50:51], v[30:31] neg_lo:[0,1] neg_hi:[0,1]
	v_pk_add_f32 v[30:31], v[50:51], v[30:31]
	v_mov_b32_e32 v54, v55
	v_mov_b32_e32 v50, v31
	v_pk_add_f32 v[68:69], v[50:51], v[48:49] neg_lo:[0,1] neg_hi:[0,1]
	v_mov_b32_e32 v30, v65
	v_mov_b32_e32 v37, v68
	v_pk_add_f32 v[70:71], v[64:65], v[36:37] neg_lo:[0,1] neg_hi:[0,1]
	v_mov_b32_e32 v64, v49
	v_mov_b32_e32 v65, v68
	;; [unrolled: 1-line block ×3, first 2 shown]
	v_pk_add_f32 v[30:31], v[30:31], v[64:65] neg_lo:[0,1] neg_hi:[0,1]
	v_mov_b32_e32 v55, v48
	v_pk_add_f32 v[30:31], v[54:55], v[30:31] neg_lo:[0,1] neg_hi:[0,1]
	v_mov_b32_e32 v70, v66
	v_pk_add_f32 v[48:49], v[70:71], v[30:31]
	v_cmp_lt_f32_e64 s[12:13], |v39|, s12
	v_mov_b32_e32 v54, v49
	v_pk_add_f32 v[54:55], v[48:49], v[54:55]
	s_or_b64 vcc, vcc, s[12:13]
	v_pk_add_f32 v[50:51], v[50:51], v[54:55]
	v_mov_b32_e32 v31, v54
	v_mov_b32_e32 v49, v50
	v_pk_add_f32 v[64:65], v[48:49], v[66:67] neg_lo:[0,1] neg_hi:[0,1]
	s_nop 0
	v_sub_f32_e32 v37, v48, v64
	v_pk_add_f32 v[30:31], v[30:31], v[64:65] neg_lo:[0,1] neg_hi:[0,1]
	v_sub_f32_e32 v37, v66, v37
	v_add_f32_e32 v30, v30, v37
	v_add_f32_e32 v30, v30, v31
	;; [unrolled: 1-line block ×3, first 2 shown]
	v_cndmask_b32_e32 v30, v30, v39, vcc
	v_add_f32_e32 v30, v38, v30
	v_cvt_f16_f32_e32 v31, v30
	v_cvt_f32_f16_e32 v37, v31
	v_mov_b32_e32 v30, v31
.LBB428_59:
	s_or_b64 exec, exec, s[10:11]
	v_cvt_f32_f16_sdwa v54, v25 dst_sel:DWORD dst_unused:UNUSED_PAD src0_sel:WORD_1
	v_max_f32_e32 v38, v37, v37
	v_cmp_u_f16_e32 vcc, v31, v31
	v_cmp_u_f16_sdwa s[10:11], v25, v25 src0_sel:WORD_1 src1_sel:WORD_1
	v_min_f32_e32 v39, v38, v54
	v_max_f32_e32 v38, v38, v54
	v_cndmask_b32_e32 v39, v39, v37, vcc
	v_cndmask_b32_e32 v38, v38, v37, vcc
	v_cndmask_b32_e64 v39, v39, v54, s[10:11]
	v_cndmask_b32_e64 v38, v38, v54, s[10:11]
	s_movk_i32 s14, 0x1f8
	v_cmp_neq_f32_e32 vcc, v39, v38
	v_cmp_class_f32_e64 s[12:13], v39, s14
	s_or_b64 s[16:17], vcc, s[12:13]
	s_and_saveexec_b64 s[12:13], s[16:17]
	s_cbranch_execz .LBB428_61
; %bb.60:
	v_sub_f32_e32 v30, v39, v38
	s_mov_b32 s15, 0x3fb8aa3b
	v_mul_f32_e32 v31, 0x3fb8aa3b, v30
	v_fma_f32 v37, v30, s15, -v31
	v_rndne_f32_e32 v39, v31
	v_fmamk_f32 v37, v30, 0x32a5705f, v37
	v_sub_f32_e32 v31, v31, v39
	v_add_f32_e32 v31, v31, v37
	v_exp_f32_e32 v31, v31
	v_cvt_i32_f32_e32 v37, v39
	s_mov_b32 s15, 0xc2ce8ed0
	v_cmp_ngt_f32_e32 vcc, s15, v30
	s_mov_b32 s15, 0x42b17218
	v_ldexp_f32 v31, v31, v37
	v_cndmask_b32_e32 v31, 0, v31, vcc
	v_mov_b32_e32 v37, 0x7f800000
	v_cmp_nlt_f32_e32 vcc, s15, v30
	s_mov_b32 s15, 0x3f2aaaab
	s_mov_b32 s16, 0x7f800000
	v_cndmask_b32_e32 v39, v37, v31, vcc
	v_add_f32_e32 v37, 1.0, v39
	v_add_f32_e32 v30, -1.0, v37
	v_sub_f32_e32 v31, v30, v37
	v_add_f32_e32 v31, 1.0, v31
	v_sub_f32_e32 v30, v39, v30
	v_add_f32_e32 v48, v30, v31
	v_frexp_mant_f32_e32 v49, v37
	v_cvt_f64_f32_e32 v[30:31], v37
	v_frexp_exp_i32_f64_e32 v30, v[30:31]
	v_cmp_gt_f32_e32 vcc, s15, v49
	s_mov_b32 s15, 0x3f317218
	s_nop 0
	v_subbrev_co_u32_e32 v55, vcc, 0, v30, vcc
	v_sub_u32_e32 v30, 0, v55
	v_ldexp_f32 v31, v37, v30
	v_add_f32_e32 v37, -1.0, v31
	v_add_f32_e32 v49, 1.0, v31
	v_ldexp_f32 v30, v48, v30
	v_add_f32_e32 v48, 1.0, v37
	v_add_f32_e32 v50, -1.0, v49
	v_sub_f32_e32 v48, v31, v48
	v_sub_f32_e32 v31, v31, v50
	v_add_f32_e32 v48, v30, v48
	v_add_f32_e32 v30, v30, v31
	;; [unrolled: 1-line block ×3, first 2 shown]
	v_rcp_f32_e32 v68, v66
	v_sub_f32_e32 v31, v49, v66
	v_add_f32_e32 v67, v30, v31
	v_add_f32_e32 v31, v37, v48
	v_sub_f32_e32 v30, v37, v31
	v_mul_f32_e32 v69, v31, v68
	v_add_f32_e32 v37, v48, v30
	v_mul_f32_e32 v48, v66, v69
	v_fma_f32 v50, v69, v66, -v48
	v_fmac_f32_e32 v50, v69, v67
	v_add_f32_e32 v30, v48, v50
	v_sub_f32_e32 v49, v31, v30
	v_pk_add_f32 v[64:65], v[30:31], v[48:49] neg_lo:[0,1] neg_hi:[0,1]
	v_mov_b32_e32 v51, v30
	v_pk_add_f32 v[30:31], v[64:65], v[50:51] neg_lo:[0,1] neg_hi:[0,1]
	v_cmp_eq_f32_e32 vcc, s16, v39
	v_add_f32_e32 v31, v37, v31
	v_add_f32_e32 v30, v30, v31
	;; [unrolled: 1-line block ×3, first 2 shown]
	v_mul_f32_e32 v37, v68, v31
	v_mul_f32_e32 v48, v66, v37
	v_fma_f32 v50, v37, v66, -v48
	v_fmac_f32_e32 v50, v37, v67
	v_sub_f32_e32 v49, v49, v31
	v_add_f32_e32 v66, v30, v49
	v_add_f32_e32 v30, v48, v50
	v_sub_f32_e32 v49, v31, v30
	v_pk_add_f32 v[64:65], v[30:31], v[48:49] neg_lo:[0,1] neg_hi:[0,1]
	v_mov_b32_e32 v51, v30
	v_pk_add_f32 v[30:31], v[64:65], v[50:51] neg_lo:[0,1] neg_hi:[0,1]
	v_cvt_f32_i32_e32 v48, v55
	v_add_f32_e32 v31, v66, v31
	v_add_f32_e32 v30, v30, v31
	;; [unrolled: 1-line block ×4, first 2 shown]
	v_sub_f32_e32 v31, v49, v69
	v_mul_f32_e32 v30, v68, v30
	v_sub_f32_e32 v31, v37, v31
	v_add_f32_e32 v30, v31, v30
	v_add_f32_e32 v37, v49, v30
	v_mul_f32_e32 v50, v37, v37
	v_mov_b32_e32 v31, 0x3ecc95a3
	v_sub_f32_e32 v49, v37, v49
	v_fmac_f32_e32 v31, 0x3e9b6dac, v50
	v_sub_f32_e32 v30, v30, v49
	v_fmaak_f32 v31, v50, v31, 0x3f2aaada
	v_ldexp_f32 v55, v30, 1
	v_mul_f32_e32 v49, v37, v50
	v_mov_b32_e32 v30, 0x3f317218
	v_pk_mul_f32 v[30:31], v[48:49], v[30:31]
	v_ldexp_f32 v51, v37, 1
	v_fma_f32 v37, v48, s15, -v30
	v_fmamk_f32 v50, v48, 0xb102e308, v37
	v_pk_add_f32 v[48:49], v[30:31], v[50:51]
	v_mov_b32_e32 v64, v30
	v_sub_f32_e32 v37, v49, v51
	v_sub_f32_e32 v37, v31, v37
	v_add_f32_e32 v65, v55, v37
	v_pk_add_f32 v[30:31], v[48:49], v[30:31] neg_lo:[0,1] neg_hi:[0,1]
	v_pk_add_f32 v[66:67], v[48:49], v[64:65]
	v_mov_b32_e32 v51, v48
	v_mov_b32_e32 v31, v67
	v_pk_add_f32 v[68:69], v[50:51], v[30:31] neg_lo:[0,1] neg_hi:[0,1]
	v_pk_add_f32 v[30:31], v[50:51], v[30:31]
	v_mov_b32_e32 v64, v65
	v_mov_b32_e32 v50, v31
	v_pk_add_f32 v[70:71], v[50:51], v[48:49] neg_lo:[0,1] neg_hi:[0,1]
	v_mov_b32_e32 v30, v67
	v_mov_b32_e32 v37, v70
	v_pk_add_f32 v[80:81], v[66:67], v[36:37] neg_lo:[0,1] neg_hi:[0,1]
	v_mov_b32_e32 v66, v49
	v_mov_b32_e32 v67, v70
	;; [unrolled: 1-line block ×3, first 2 shown]
	v_pk_add_f32 v[30:31], v[30:31], v[66:67] neg_lo:[0,1] neg_hi:[0,1]
	v_mov_b32_e32 v65, v48
	v_pk_add_f32 v[30:31], v[64:65], v[30:31] neg_lo:[0,1] neg_hi:[0,1]
	v_mov_b32_e32 v80, v68
	v_pk_add_f32 v[48:49], v[80:81], v[30:31]
	s_mov_b32 s15, 0x33800000
	v_mov_b32_e32 v64, v49
	v_pk_add_f32 v[64:65], v[48:49], v[64:65]
	v_cmp_lt_f32_e64 s[16:17], |v39|, s15
	v_pk_add_f32 v[50:51], v[50:51], v[64:65]
	v_mov_b32_e32 v31, v64
	v_mov_b32_e32 v49, v50
	v_pk_add_f32 v[66:67], v[48:49], v[68:69] neg_lo:[0,1] neg_hi:[0,1]
	s_or_b64 vcc, vcc, s[16:17]
	v_sub_f32_e32 v37, v48, v66
	v_pk_add_f32 v[30:31], v[30:31], v[66:67] neg_lo:[0,1] neg_hi:[0,1]
	v_sub_f32_e32 v37, v68, v37
	v_add_f32_e32 v30, v30, v37
	v_add_f32_e32 v30, v30, v31
	;; [unrolled: 1-line block ×3, first 2 shown]
	v_cndmask_b32_e32 v30, v30, v39, vcc
	v_add_f32_e32 v30, v38, v30
	v_cvt_f16_f32_e32 v31, v30
	v_cvt_f32_f16_e32 v37, v31
	v_mov_b32_e32 v30, v31
.LBB428_61:
	s_or_b64 exec, exec, s[12:13]
	v_cvt_f32_f16_e32 v55, v26
	v_max_f32_e32 v38, v37, v37
	v_cmp_u_f16_e32 vcc, v31, v31
	v_cmp_u_f16_e64 s[12:13], v26, v26
	v_min_f32_e32 v39, v38, v55
	v_max_f32_e32 v38, v38, v55
	v_cndmask_b32_e32 v39, v39, v37, vcc
	v_cndmask_b32_e32 v38, v38, v37, vcc
	v_cndmask_b32_e64 v39, v39, v55, s[12:13]
	v_cndmask_b32_e64 v38, v38, v55, s[12:13]
	v_cmp_neq_f32_e32 vcc, v39, v38
	v_cmp_class_f32_e64 s[14:15], v39, s14
	s_or_b64 s[16:17], vcc, s[14:15]
	s_and_saveexec_b64 s[14:15], s[16:17]
	s_cbranch_execz .LBB428_63
; %bb.62:
	v_sub_f32_e32 v30, v39, v38
	s_mov_b32 s16, 0x3fb8aa3b
	v_mul_f32_e32 v31, 0x3fb8aa3b, v30
	v_fma_f32 v37, v30, s16, -v31
	v_rndne_f32_e32 v39, v31
	v_fmamk_f32 v37, v30, 0x32a5705f, v37
	v_sub_f32_e32 v31, v31, v39
	v_add_f32_e32 v31, v31, v37
	v_exp_f32_e32 v31, v31
	v_cvt_i32_f32_e32 v37, v39
	s_mov_b32 s16, 0xc2ce8ed0
	v_cmp_ngt_f32_e32 vcc, s16, v30
	s_mov_b32 s16, 0x42b17218
	v_ldexp_f32 v31, v31, v37
	v_cndmask_b32_e32 v31, 0, v31, vcc
	v_mov_b32_e32 v37, 0x7f800000
	v_cmp_nlt_f32_e32 vcc, s16, v30
	s_mov_b32 s16, 0x3f2aaaab
	s_mov_b32 s17, 0x7f800000
	v_cndmask_b32_e32 v39, v37, v31, vcc
	v_add_f32_e32 v37, 1.0, v39
	v_add_f32_e32 v30, -1.0, v37
	v_sub_f32_e32 v31, v30, v37
	v_add_f32_e32 v31, 1.0, v31
	v_sub_f32_e32 v30, v39, v30
	v_add_f32_e32 v48, v30, v31
	v_frexp_mant_f32_e32 v49, v37
	v_cvt_f64_f32_e32 v[30:31], v37
	v_frexp_exp_i32_f64_e32 v30, v[30:31]
	v_cmp_gt_f32_e32 vcc, s16, v49
	s_mov_b32 s16, 0x3f317218
	s_nop 0
	v_subbrev_co_u32_e32 v66, vcc, 0, v30, vcc
	v_sub_u32_e32 v30, 0, v66
	v_ldexp_f32 v31, v37, v30
	v_add_f32_e32 v37, -1.0, v31
	v_add_f32_e32 v49, 1.0, v31
	v_ldexp_f32 v30, v48, v30
	v_add_f32_e32 v48, 1.0, v37
	v_add_f32_e32 v50, -1.0, v49
	v_sub_f32_e32 v48, v31, v48
	v_sub_f32_e32 v31, v31, v50
	v_add_f32_e32 v48, v30, v48
	v_add_f32_e32 v30, v30, v31
	v_add_f32_e32 v67, v49, v30
	v_rcp_f32_e32 v69, v67
	v_sub_f32_e32 v31, v49, v67
	v_add_f32_e32 v68, v30, v31
	v_add_f32_e32 v31, v37, v48
	v_sub_f32_e32 v30, v37, v31
	v_mul_f32_e32 v70, v31, v69
	v_add_f32_e32 v37, v48, v30
	v_mul_f32_e32 v48, v67, v70
	v_fma_f32 v50, v70, v67, -v48
	v_fmac_f32_e32 v50, v70, v68
	v_add_f32_e32 v30, v48, v50
	v_sub_f32_e32 v49, v31, v30
	v_pk_add_f32 v[64:65], v[30:31], v[48:49] neg_lo:[0,1] neg_hi:[0,1]
	v_mov_b32_e32 v51, v30
	v_pk_add_f32 v[30:31], v[64:65], v[50:51] neg_lo:[0,1] neg_hi:[0,1]
	v_cmp_eq_f32_e32 vcc, s17, v39
	v_add_f32_e32 v31, v37, v31
	v_add_f32_e32 v30, v30, v31
	v_add_f32_e32 v31, v49, v30
	v_mul_f32_e32 v37, v69, v31
	v_mul_f32_e32 v48, v67, v37
	v_fma_f32 v50, v37, v67, -v48
	v_fmac_f32_e32 v50, v37, v68
	v_sub_f32_e32 v49, v49, v31
	v_add_f32_e32 v67, v30, v49
	v_add_f32_e32 v30, v48, v50
	v_sub_f32_e32 v49, v31, v30
	v_pk_add_f32 v[64:65], v[30:31], v[48:49] neg_lo:[0,1] neg_hi:[0,1]
	v_mov_b32_e32 v51, v30
	v_pk_add_f32 v[30:31], v[64:65], v[50:51] neg_lo:[0,1] neg_hi:[0,1]
	v_cvt_f32_i32_e32 v48, v66
	v_add_f32_e32 v31, v67, v31
	v_add_f32_e32 v30, v30, v31
	;; [unrolled: 1-line block ×4, first 2 shown]
	v_sub_f32_e32 v31, v49, v70
	v_mul_f32_e32 v30, v69, v30
	v_sub_f32_e32 v31, v37, v31
	v_add_f32_e32 v30, v31, v30
	v_add_f32_e32 v37, v49, v30
	v_mul_f32_e32 v50, v37, v37
	v_mov_b32_e32 v31, 0x3ecc95a3
	v_sub_f32_e32 v49, v37, v49
	v_fmac_f32_e32 v31, 0x3e9b6dac, v50
	v_sub_f32_e32 v30, v30, v49
	v_fmaak_f32 v31, v50, v31, 0x3f2aaada
	v_ldexp_f32 v64, v30, 1
	v_mul_f32_e32 v49, v37, v50
	v_mov_b32_e32 v30, 0x3f317218
	v_pk_mul_f32 v[30:31], v[48:49], v[30:31]
	v_ldexp_f32 v51, v37, 1
	v_fma_f32 v37, v48, s16, -v30
	v_fmamk_f32 v50, v48, 0xb102e308, v37
	v_pk_add_f32 v[48:49], v[30:31], v[50:51]
	s_mov_b32 s16, 0x33800000
	v_sub_f32_e32 v37, v49, v51
	v_sub_f32_e32 v37, v31, v37
	v_add_f32_e32 v65, v64, v37
	v_mov_b32_e32 v64, v30
	v_pk_add_f32 v[30:31], v[48:49], v[30:31] neg_lo:[0,1] neg_hi:[0,1]
	v_pk_add_f32 v[66:67], v[48:49], v[64:65]
	v_mov_b32_e32 v51, v48
	v_mov_b32_e32 v31, v67
	v_pk_add_f32 v[68:69], v[50:51], v[30:31] neg_lo:[0,1] neg_hi:[0,1]
	v_pk_add_f32 v[30:31], v[50:51], v[30:31]
	v_mov_b32_e32 v64, v65
	v_mov_b32_e32 v50, v31
	v_pk_add_f32 v[70:71], v[50:51], v[48:49] neg_lo:[0,1] neg_hi:[0,1]
	v_mov_b32_e32 v30, v67
	v_mov_b32_e32 v37, v70
	v_pk_add_f32 v[80:81], v[66:67], v[36:37] neg_lo:[0,1] neg_hi:[0,1]
	v_mov_b32_e32 v66, v49
	v_mov_b32_e32 v67, v70
	;; [unrolled: 1-line block ×3, first 2 shown]
	v_pk_add_f32 v[30:31], v[30:31], v[66:67] neg_lo:[0,1] neg_hi:[0,1]
	v_mov_b32_e32 v65, v48
	v_pk_add_f32 v[30:31], v[64:65], v[30:31] neg_lo:[0,1] neg_hi:[0,1]
	v_mov_b32_e32 v80, v68
	v_pk_add_f32 v[48:49], v[80:81], v[30:31]
	v_cmp_lt_f32_e64 s[16:17], |v39|, s16
	v_mov_b32_e32 v64, v49
	v_pk_add_f32 v[64:65], v[48:49], v[64:65]
	s_or_b64 vcc, vcc, s[16:17]
	v_pk_add_f32 v[50:51], v[50:51], v[64:65]
	v_mov_b32_e32 v31, v64
	v_mov_b32_e32 v49, v50
	v_pk_add_f32 v[66:67], v[48:49], v[68:69] neg_lo:[0,1] neg_hi:[0,1]
	s_nop 0
	v_sub_f32_e32 v37, v48, v66
	v_pk_add_f32 v[30:31], v[30:31], v[66:67] neg_lo:[0,1] neg_hi:[0,1]
	v_sub_f32_e32 v37, v68, v37
	v_add_f32_e32 v30, v30, v37
	v_add_f32_e32 v30, v30, v31
	;; [unrolled: 1-line block ×3, first 2 shown]
	v_cndmask_b32_e32 v30, v30, v39, vcc
	v_add_f32_e32 v30, v38, v30
	v_cvt_f16_f32_e32 v31, v30
	v_cvt_f32_f16_e32 v37, v31
	v_mov_b32_e32 v30, v31
.LBB428_63:
	s_or_b64 exec, exec, s[14:15]
	v_cvt_f32_f16_sdwa v64, v26 dst_sel:DWORD dst_unused:UNUSED_PAD src0_sel:WORD_1
	v_max_f32_e32 v38, v37, v37
	v_cmp_u_f16_e32 vcc, v31, v31
	v_cmp_u_f16_sdwa s[14:15], v26, v26 src0_sel:WORD_1 src1_sel:WORD_1
	v_min_f32_e32 v39, v38, v64
	v_max_f32_e32 v38, v38, v64
	v_cndmask_b32_e32 v39, v39, v37, vcc
	v_cndmask_b32_e32 v38, v38, v37, vcc
	v_cndmask_b32_e64 v39, v39, v64, s[14:15]
	v_cndmask_b32_e64 v38, v38, v64, s[14:15]
	s_movk_i32 s18, 0x1f8
	v_cmp_neq_f32_e32 vcc, v39, v38
	v_cmp_class_f32_e64 s[16:17], v39, s18
	s_or_b64 s[20:21], vcc, s[16:17]
	s_and_saveexec_b64 s[16:17], s[20:21]
	s_cbranch_execz .LBB428_65
; %bb.64:
	v_sub_f32_e32 v30, v39, v38
	s_mov_b32 s19, 0x3fb8aa3b
	v_mul_f32_e32 v31, 0x3fb8aa3b, v30
	v_fma_f32 v37, v30, s19, -v31
	v_rndne_f32_e32 v39, v31
	v_fmamk_f32 v37, v30, 0x32a5705f, v37
	v_sub_f32_e32 v31, v31, v39
	v_add_f32_e32 v31, v31, v37
	v_exp_f32_e32 v31, v31
	v_cvt_i32_f32_e32 v37, v39
	s_mov_b32 s19, 0xc2ce8ed0
	v_cmp_ngt_f32_e32 vcc, s19, v30
	s_mov_b32 s19, 0x42b17218
	v_ldexp_f32 v31, v31, v37
	v_cndmask_b32_e32 v31, 0, v31, vcc
	v_mov_b32_e32 v37, 0x7f800000
	v_cmp_nlt_f32_e32 vcc, s19, v30
	s_mov_b32 s19, 0x3f2aaaab
	s_mov_b32 s20, 0x7f800000
	v_cndmask_b32_e32 v39, v37, v31, vcc
	v_add_f32_e32 v37, 1.0, v39
	v_add_f32_e32 v30, -1.0, v37
	v_sub_f32_e32 v31, v30, v37
	v_add_f32_e32 v31, 1.0, v31
	v_sub_f32_e32 v30, v39, v30
	v_add_f32_e32 v48, v30, v31
	v_frexp_mant_f32_e32 v49, v37
	v_cvt_f64_f32_e32 v[30:31], v37
	v_frexp_exp_i32_f64_e32 v30, v[30:31]
	v_cmp_gt_f32_e32 vcc, s19, v49
	s_mov_b32 s19, 0x3f317218
	s_nop 0
	v_subbrev_co_u32_e32 v65, vcc, 0, v30, vcc
	v_sub_u32_e32 v30, 0, v65
	v_ldexp_f32 v31, v37, v30
	v_add_f32_e32 v37, -1.0, v31
	v_add_f32_e32 v49, 1.0, v31
	v_ldexp_f32 v30, v48, v30
	v_add_f32_e32 v48, 1.0, v37
	v_add_f32_e32 v50, -1.0, v49
	v_sub_f32_e32 v48, v31, v48
	v_sub_f32_e32 v31, v31, v50
	v_add_f32_e32 v48, v30, v48
	v_add_f32_e32 v30, v30, v31
	;; [unrolled: 1-line block ×3, first 2 shown]
	v_rcp_f32_e32 v70, v68
	v_sub_f32_e32 v31, v49, v68
	v_add_f32_e32 v69, v30, v31
	v_add_f32_e32 v31, v37, v48
	v_sub_f32_e32 v30, v37, v31
	v_mul_f32_e32 v71, v31, v70
	v_add_f32_e32 v37, v48, v30
	v_mul_f32_e32 v48, v68, v71
	v_fma_f32 v50, v71, v68, -v48
	v_fmac_f32_e32 v50, v71, v69
	v_add_f32_e32 v30, v48, v50
	v_sub_f32_e32 v49, v31, v30
	v_pk_add_f32 v[66:67], v[30:31], v[48:49] neg_lo:[0,1] neg_hi:[0,1]
	v_mov_b32_e32 v51, v30
	v_pk_add_f32 v[30:31], v[66:67], v[50:51] neg_lo:[0,1] neg_hi:[0,1]
	v_cmp_eq_f32_e32 vcc, s20, v39
	v_add_f32_e32 v31, v37, v31
	v_add_f32_e32 v30, v30, v31
	;; [unrolled: 1-line block ×3, first 2 shown]
	v_mul_f32_e32 v37, v70, v31
	v_mul_f32_e32 v48, v68, v37
	v_fma_f32 v50, v37, v68, -v48
	v_fmac_f32_e32 v50, v37, v69
	v_sub_f32_e32 v49, v49, v31
	v_add_f32_e32 v68, v30, v49
	v_add_f32_e32 v30, v48, v50
	v_sub_f32_e32 v49, v31, v30
	v_pk_add_f32 v[66:67], v[30:31], v[48:49] neg_lo:[0,1] neg_hi:[0,1]
	v_mov_b32_e32 v51, v30
	v_pk_add_f32 v[30:31], v[66:67], v[50:51] neg_lo:[0,1] neg_hi:[0,1]
	v_cvt_f32_i32_e32 v48, v65
	v_add_f32_e32 v31, v68, v31
	v_add_f32_e32 v30, v30, v31
	;; [unrolled: 1-line block ×4, first 2 shown]
	v_sub_f32_e32 v31, v49, v71
	v_mul_f32_e32 v30, v70, v30
	v_sub_f32_e32 v31, v37, v31
	v_add_f32_e32 v30, v31, v30
	v_add_f32_e32 v37, v49, v30
	v_mul_f32_e32 v50, v37, v37
	v_mov_b32_e32 v31, 0x3ecc95a3
	v_sub_f32_e32 v49, v37, v49
	v_fmac_f32_e32 v31, 0x3e9b6dac, v50
	v_sub_f32_e32 v30, v30, v49
	v_fmaak_f32 v31, v50, v31, 0x3f2aaada
	v_ldexp_f32 v65, v30, 1
	v_mul_f32_e32 v49, v37, v50
	v_mov_b32_e32 v30, 0x3f317218
	v_pk_mul_f32 v[30:31], v[48:49], v[30:31]
	v_ldexp_f32 v51, v37, 1
	v_fma_f32 v37, v48, s19, -v30
	v_fmamk_f32 v50, v48, 0xb102e308, v37
	v_pk_add_f32 v[48:49], v[30:31], v[50:51]
	v_mov_b32_e32 v66, v30
	v_sub_f32_e32 v37, v49, v51
	v_sub_f32_e32 v37, v31, v37
	v_add_f32_e32 v67, v65, v37
	v_pk_add_f32 v[30:31], v[48:49], v[30:31] neg_lo:[0,1] neg_hi:[0,1]
	v_pk_add_f32 v[68:69], v[48:49], v[66:67]
	v_mov_b32_e32 v51, v48
	v_mov_b32_e32 v31, v69
	v_pk_add_f32 v[70:71], v[50:51], v[30:31] neg_lo:[0,1] neg_hi:[0,1]
	v_pk_add_f32 v[30:31], v[50:51], v[30:31]
	v_mov_b32_e32 v66, v67
	v_mov_b32_e32 v50, v31
	v_pk_add_f32 v[80:81], v[50:51], v[48:49] neg_lo:[0,1] neg_hi:[0,1]
	v_mov_b32_e32 v30, v69
	v_mov_b32_e32 v37, v80
	v_pk_add_f32 v[82:83], v[68:69], v[36:37] neg_lo:[0,1] neg_hi:[0,1]
	v_mov_b32_e32 v68, v49
	v_mov_b32_e32 v69, v80
	;; [unrolled: 1-line block ×3, first 2 shown]
	v_pk_add_f32 v[30:31], v[30:31], v[68:69] neg_lo:[0,1] neg_hi:[0,1]
	v_mov_b32_e32 v67, v48
	v_pk_add_f32 v[30:31], v[66:67], v[30:31] neg_lo:[0,1] neg_hi:[0,1]
	v_mov_b32_e32 v82, v70
	v_pk_add_f32 v[48:49], v[82:83], v[30:31]
	s_mov_b32 s19, 0x33800000
	v_mov_b32_e32 v66, v49
	v_pk_add_f32 v[66:67], v[48:49], v[66:67]
	v_cmp_lt_f32_e64 s[20:21], |v39|, s19
	v_pk_add_f32 v[50:51], v[50:51], v[66:67]
	v_mov_b32_e32 v31, v66
	v_mov_b32_e32 v49, v50
	v_pk_add_f32 v[68:69], v[48:49], v[70:71] neg_lo:[0,1] neg_hi:[0,1]
	s_or_b64 vcc, vcc, s[20:21]
	v_sub_f32_e32 v37, v48, v68
	v_pk_add_f32 v[30:31], v[30:31], v[68:69] neg_lo:[0,1] neg_hi:[0,1]
	v_sub_f32_e32 v37, v70, v37
	v_add_f32_e32 v30, v30, v37
	v_add_f32_e32 v30, v30, v31
	;; [unrolled: 1-line block ×3, first 2 shown]
	v_cndmask_b32_e32 v30, v30, v39, vcc
	v_add_f32_e32 v30, v38, v30
	v_cvt_f16_f32_e32 v31, v30
	v_cvt_f32_f16_e32 v37, v31
	v_mov_b32_e32 v30, v31
.LBB428_65:
	s_or_b64 exec, exec, s[16:17]
	v_cvt_f32_f16_e32 v65, v27
	v_max_f32_e32 v38, v37, v37
	v_cmp_u_f16_e32 vcc, v31, v31
	v_cmp_u_f16_e64 s[16:17], v27, v27
	v_min_f32_e32 v39, v38, v65
	v_max_f32_e32 v38, v38, v65
	v_cndmask_b32_e32 v39, v39, v37, vcc
	v_cndmask_b32_e32 v38, v38, v37, vcc
	v_cndmask_b32_e64 v39, v39, v65, s[16:17]
	v_cndmask_b32_e64 v38, v38, v65, s[16:17]
	v_cmp_neq_f32_e32 vcc, v39, v38
	v_cmp_class_f32_e64 s[18:19], v39, s18
	s_or_b64 s[20:21], vcc, s[18:19]
	s_and_saveexec_b64 s[18:19], s[20:21]
	s_cbranch_execz .LBB428_67
; %bb.66:
	v_sub_f32_e32 v30, v39, v38
	s_mov_b32 s20, 0x3fb8aa3b
	v_mul_f32_e32 v31, 0x3fb8aa3b, v30
	v_fma_f32 v37, v30, s20, -v31
	v_rndne_f32_e32 v39, v31
	v_fmamk_f32 v37, v30, 0x32a5705f, v37
	v_sub_f32_e32 v31, v31, v39
	v_add_f32_e32 v31, v31, v37
	v_exp_f32_e32 v31, v31
	v_cvt_i32_f32_e32 v37, v39
	s_mov_b32 s20, 0xc2ce8ed0
	v_cmp_ngt_f32_e32 vcc, s20, v30
	s_mov_b32 s20, 0x42b17218
	v_ldexp_f32 v31, v31, v37
	v_cndmask_b32_e32 v31, 0, v31, vcc
	v_mov_b32_e32 v37, 0x7f800000
	v_cmp_nlt_f32_e32 vcc, s20, v30
	s_mov_b32 s20, 0x3f2aaaab
	s_mov_b32 s21, 0x7f800000
	v_cndmask_b32_e32 v39, v37, v31, vcc
	v_add_f32_e32 v37, 1.0, v39
	v_add_f32_e32 v30, -1.0, v37
	v_sub_f32_e32 v31, v30, v37
	v_add_f32_e32 v31, 1.0, v31
	v_sub_f32_e32 v30, v39, v30
	v_add_f32_e32 v48, v30, v31
	v_frexp_mant_f32_e32 v49, v37
	v_cvt_f64_f32_e32 v[30:31], v37
	v_frexp_exp_i32_f64_e32 v30, v[30:31]
	v_cmp_gt_f32_e32 vcc, s20, v49
	s_mov_b32 s20, 0x3f317218
	s_nop 0
	v_subbrev_co_u32_e32 v68, vcc, 0, v30, vcc
	v_sub_u32_e32 v30, 0, v68
	v_ldexp_f32 v31, v37, v30
	v_add_f32_e32 v37, -1.0, v31
	v_add_f32_e32 v49, 1.0, v31
	v_ldexp_f32 v30, v48, v30
	v_add_f32_e32 v48, 1.0, v37
	v_add_f32_e32 v50, -1.0, v49
	v_sub_f32_e32 v48, v31, v48
	v_sub_f32_e32 v31, v31, v50
	v_add_f32_e32 v48, v30, v48
	v_add_f32_e32 v30, v30, v31
	;; [unrolled: 1-line block ×3, first 2 shown]
	v_rcp_f32_e32 v71, v69
	v_sub_f32_e32 v31, v49, v69
	v_add_f32_e32 v70, v30, v31
	v_add_f32_e32 v31, v37, v48
	v_sub_f32_e32 v30, v37, v31
	v_mul_f32_e32 v80, v31, v71
	v_add_f32_e32 v37, v48, v30
	v_mul_f32_e32 v48, v69, v80
	v_fma_f32 v50, v80, v69, -v48
	v_fmac_f32_e32 v50, v80, v70
	v_add_f32_e32 v30, v48, v50
	v_sub_f32_e32 v49, v31, v30
	v_pk_add_f32 v[66:67], v[30:31], v[48:49] neg_lo:[0,1] neg_hi:[0,1]
	v_mov_b32_e32 v51, v30
	v_pk_add_f32 v[30:31], v[66:67], v[50:51] neg_lo:[0,1] neg_hi:[0,1]
	v_cmp_eq_f32_e32 vcc, s21, v39
	v_add_f32_e32 v31, v37, v31
	v_add_f32_e32 v30, v30, v31
	;; [unrolled: 1-line block ×3, first 2 shown]
	v_mul_f32_e32 v37, v71, v31
	v_mul_f32_e32 v48, v69, v37
	v_fma_f32 v50, v37, v69, -v48
	v_fmac_f32_e32 v50, v37, v70
	v_sub_f32_e32 v49, v49, v31
	v_add_f32_e32 v69, v30, v49
	v_add_f32_e32 v30, v48, v50
	v_sub_f32_e32 v49, v31, v30
	v_pk_add_f32 v[66:67], v[30:31], v[48:49] neg_lo:[0,1] neg_hi:[0,1]
	v_mov_b32_e32 v51, v30
	v_pk_add_f32 v[30:31], v[66:67], v[50:51] neg_lo:[0,1] neg_hi:[0,1]
	v_cvt_f32_i32_e32 v48, v68
	v_add_f32_e32 v31, v69, v31
	v_add_f32_e32 v30, v30, v31
	;; [unrolled: 1-line block ×4, first 2 shown]
	v_sub_f32_e32 v31, v49, v80
	v_mul_f32_e32 v30, v71, v30
	v_sub_f32_e32 v31, v37, v31
	v_add_f32_e32 v30, v31, v30
	v_add_f32_e32 v37, v49, v30
	v_mul_f32_e32 v50, v37, v37
	v_mov_b32_e32 v31, 0x3ecc95a3
	v_sub_f32_e32 v49, v37, v49
	v_fmac_f32_e32 v31, 0x3e9b6dac, v50
	v_sub_f32_e32 v30, v30, v49
	v_fmaak_f32 v31, v50, v31, 0x3f2aaada
	v_ldexp_f32 v66, v30, 1
	v_mul_f32_e32 v49, v37, v50
	v_mov_b32_e32 v30, 0x3f317218
	v_pk_mul_f32 v[30:31], v[48:49], v[30:31]
	v_ldexp_f32 v51, v37, 1
	v_fma_f32 v37, v48, s20, -v30
	v_fmamk_f32 v50, v48, 0xb102e308, v37
	v_pk_add_f32 v[48:49], v[30:31], v[50:51]
	s_mov_b32 s20, 0x33800000
	v_sub_f32_e32 v37, v49, v51
	v_sub_f32_e32 v37, v31, v37
	v_add_f32_e32 v67, v66, v37
	v_mov_b32_e32 v66, v30
	v_pk_add_f32 v[30:31], v[48:49], v[30:31] neg_lo:[0,1] neg_hi:[0,1]
	v_pk_add_f32 v[68:69], v[48:49], v[66:67]
	v_mov_b32_e32 v51, v48
	v_mov_b32_e32 v31, v69
	v_pk_add_f32 v[70:71], v[50:51], v[30:31] neg_lo:[0,1] neg_hi:[0,1]
	v_pk_add_f32 v[30:31], v[50:51], v[30:31]
	v_mov_b32_e32 v66, v67
	v_mov_b32_e32 v50, v31
	v_pk_add_f32 v[80:81], v[50:51], v[48:49] neg_lo:[0,1] neg_hi:[0,1]
	v_mov_b32_e32 v30, v69
	v_mov_b32_e32 v37, v80
	v_pk_add_f32 v[82:83], v[68:69], v[36:37] neg_lo:[0,1] neg_hi:[0,1]
	v_mov_b32_e32 v68, v49
	v_mov_b32_e32 v69, v80
	;; [unrolled: 1-line block ×3, first 2 shown]
	v_pk_add_f32 v[30:31], v[30:31], v[68:69] neg_lo:[0,1] neg_hi:[0,1]
	v_mov_b32_e32 v67, v48
	v_pk_add_f32 v[30:31], v[66:67], v[30:31] neg_lo:[0,1] neg_hi:[0,1]
	v_mov_b32_e32 v82, v70
	v_pk_add_f32 v[48:49], v[82:83], v[30:31]
	v_cmp_lt_f32_e64 s[20:21], |v39|, s20
	v_mov_b32_e32 v66, v49
	v_pk_add_f32 v[66:67], v[48:49], v[66:67]
	s_or_b64 vcc, vcc, s[20:21]
	v_pk_add_f32 v[50:51], v[50:51], v[66:67]
	v_mov_b32_e32 v31, v66
	v_mov_b32_e32 v49, v50
	v_pk_add_f32 v[68:69], v[48:49], v[70:71] neg_lo:[0,1] neg_hi:[0,1]
	s_nop 0
	v_sub_f32_e32 v37, v48, v68
	v_pk_add_f32 v[30:31], v[30:31], v[68:69] neg_lo:[0,1] neg_hi:[0,1]
	v_sub_f32_e32 v37, v70, v37
	v_add_f32_e32 v30, v30, v37
	v_add_f32_e32 v30, v30, v31
	;; [unrolled: 1-line block ×3, first 2 shown]
	v_cndmask_b32_e32 v30, v30, v39, vcc
	v_add_f32_e32 v30, v38, v30
	v_cvt_f16_f32_e32 v31, v30
	v_cvt_f32_f16_e32 v37, v31
	v_mov_b32_e32 v30, v31
.LBB428_67:
	s_or_b64 exec, exec, s[18:19]
	v_cvt_f32_f16_sdwa v66, v27 dst_sel:DWORD dst_unused:UNUSED_PAD src0_sel:WORD_1
	v_max_f32_e32 v38, v37, v37
	v_cmp_u_f16_e32 vcc, v31, v31
	v_cmp_u_f16_sdwa s[18:19], v27, v27 src0_sel:WORD_1 src1_sel:WORD_1
	v_min_f32_e32 v39, v38, v66
	v_max_f32_e32 v38, v38, v66
	v_cndmask_b32_e32 v39, v39, v37, vcc
	v_cndmask_b32_e32 v38, v38, v37, vcc
	v_cndmask_b32_e64 v39, v39, v66, s[18:19]
	v_cndmask_b32_e64 v38, v38, v66, s[18:19]
	s_movk_i32 s22, 0x1f8
	v_cmp_neq_f32_e32 vcc, v39, v38
	v_cmp_class_f32_e64 s[20:21], v39, s22
	s_or_b64 s[24:25], vcc, s[20:21]
	s_and_saveexec_b64 s[20:21], s[24:25]
	s_cbranch_execz .LBB428_69
; %bb.68:
	v_sub_f32_e32 v30, v39, v38
	s_mov_b32 s23, 0x3fb8aa3b
	v_mul_f32_e32 v31, 0x3fb8aa3b, v30
	v_fma_f32 v37, v30, s23, -v31
	v_rndne_f32_e32 v39, v31
	v_fmamk_f32 v37, v30, 0x32a5705f, v37
	v_sub_f32_e32 v31, v31, v39
	v_add_f32_e32 v31, v31, v37
	v_exp_f32_e32 v31, v31
	v_cvt_i32_f32_e32 v37, v39
	s_mov_b32 s23, 0xc2ce8ed0
	v_cmp_ngt_f32_e32 vcc, s23, v30
	s_mov_b32 s23, 0x42b17218
	v_ldexp_f32 v31, v31, v37
	v_cndmask_b32_e32 v31, 0, v31, vcc
	v_mov_b32_e32 v37, 0x7f800000
	v_cmp_nlt_f32_e32 vcc, s23, v30
	s_mov_b32 s23, 0x3f2aaaab
	s_mov_b32 s24, 0x7f800000
	v_cndmask_b32_e32 v39, v37, v31, vcc
	v_add_f32_e32 v37, 1.0, v39
	v_add_f32_e32 v30, -1.0, v37
	v_sub_f32_e32 v31, v30, v37
	v_add_f32_e32 v31, 1.0, v31
	v_sub_f32_e32 v30, v39, v30
	v_add_f32_e32 v48, v30, v31
	v_frexp_mant_f32_e32 v49, v37
	v_cvt_f64_f32_e32 v[30:31], v37
	v_frexp_exp_i32_f64_e32 v30, v[30:31]
	v_cmp_gt_f32_e32 vcc, s23, v49
	s_mov_b32 s23, 0x3f317218
	s_nop 0
	v_subbrev_co_u32_e32 v67, vcc, 0, v30, vcc
	v_sub_u32_e32 v30, 0, v67
	v_ldexp_f32 v31, v37, v30
	v_add_f32_e32 v37, -1.0, v31
	v_add_f32_e32 v49, 1.0, v31
	v_ldexp_f32 v30, v48, v30
	v_add_f32_e32 v48, 1.0, v37
	v_add_f32_e32 v50, -1.0, v49
	v_sub_f32_e32 v48, v31, v48
	v_sub_f32_e32 v31, v31, v50
	v_add_f32_e32 v48, v30, v48
	v_add_f32_e32 v30, v30, v31
	;; [unrolled: 1-line block ×3, first 2 shown]
	v_rcp_f32_e32 v80, v70
	v_sub_f32_e32 v31, v49, v70
	v_add_f32_e32 v71, v30, v31
	v_add_f32_e32 v31, v37, v48
	v_sub_f32_e32 v30, v37, v31
	v_mul_f32_e32 v81, v31, v80
	v_add_f32_e32 v37, v48, v30
	v_mul_f32_e32 v48, v70, v81
	v_fma_f32 v50, v81, v70, -v48
	v_fmac_f32_e32 v50, v81, v71
	v_add_f32_e32 v30, v48, v50
	v_sub_f32_e32 v49, v31, v30
	v_pk_add_f32 v[68:69], v[30:31], v[48:49] neg_lo:[0,1] neg_hi:[0,1]
	v_mov_b32_e32 v51, v30
	v_pk_add_f32 v[30:31], v[68:69], v[50:51] neg_lo:[0,1] neg_hi:[0,1]
	v_cmp_eq_f32_e32 vcc, s24, v39
	v_add_f32_e32 v31, v37, v31
	v_add_f32_e32 v30, v30, v31
	;; [unrolled: 1-line block ×3, first 2 shown]
	v_mul_f32_e32 v37, v80, v31
	v_mul_f32_e32 v48, v70, v37
	v_fma_f32 v50, v37, v70, -v48
	v_fmac_f32_e32 v50, v37, v71
	v_sub_f32_e32 v49, v49, v31
	v_add_f32_e32 v70, v30, v49
	v_add_f32_e32 v30, v48, v50
	v_sub_f32_e32 v49, v31, v30
	v_pk_add_f32 v[68:69], v[30:31], v[48:49] neg_lo:[0,1] neg_hi:[0,1]
	v_mov_b32_e32 v51, v30
	v_pk_add_f32 v[30:31], v[68:69], v[50:51] neg_lo:[0,1] neg_hi:[0,1]
	v_cvt_f32_i32_e32 v48, v67
	v_add_f32_e32 v31, v70, v31
	v_add_f32_e32 v30, v30, v31
	;; [unrolled: 1-line block ×4, first 2 shown]
	v_sub_f32_e32 v31, v49, v81
	v_mul_f32_e32 v30, v80, v30
	v_sub_f32_e32 v31, v37, v31
	v_add_f32_e32 v30, v31, v30
	v_add_f32_e32 v37, v49, v30
	v_mul_f32_e32 v50, v37, v37
	v_mov_b32_e32 v31, 0x3ecc95a3
	v_sub_f32_e32 v49, v37, v49
	v_fmac_f32_e32 v31, 0x3e9b6dac, v50
	v_sub_f32_e32 v30, v30, v49
	v_fmaak_f32 v31, v50, v31, 0x3f2aaada
	v_ldexp_f32 v67, v30, 1
	v_mul_f32_e32 v49, v37, v50
	v_mov_b32_e32 v30, 0x3f317218
	v_pk_mul_f32 v[30:31], v[48:49], v[30:31]
	v_ldexp_f32 v51, v37, 1
	v_fma_f32 v37, v48, s23, -v30
	v_fmamk_f32 v50, v48, 0xb102e308, v37
	v_pk_add_f32 v[48:49], v[30:31], v[50:51]
	v_mov_b32_e32 v68, v30
	v_sub_f32_e32 v37, v49, v51
	v_sub_f32_e32 v37, v31, v37
	v_add_f32_e32 v69, v67, v37
	v_pk_add_f32 v[30:31], v[48:49], v[30:31] neg_lo:[0,1] neg_hi:[0,1]
	v_pk_add_f32 v[70:71], v[48:49], v[68:69]
	v_mov_b32_e32 v51, v48
	v_mov_b32_e32 v31, v71
	v_pk_add_f32 v[80:81], v[50:51], v[30:31] neg_lo:[0,1] neg_hi:[0,1]
	v_pk_add_f32 v[30:31], v[50:51], v[30:31]
	v_mov_b32_e32 v68, v69
	v_mov_b32_e32 v50, v31
	v_pk_add_f32 v[82:83], v[50:51], v[48:49] neg_lo:[0,1] neg_hi:[0,1]
	v_mov_b32_e32 v30, v71
	v_mov_b32_e32 v37, v82
	v_pk_add_f32 v[84:85], v[70:71], v[36:37] neg_lo:[0,1] neg_hi:[0,1]
	v_mov_b32_e32 v70, v49
	v_mov_b32_e32 v71, v82
	;; [unrolled: 1-line block ×3, first 2 shown]
	v_pk_add_f32 v[30:31], v[30:31], v[70:71] neg_lo:[0,1] neg_hi:[0,1]
	v_mov_b32_e32 v69, v48
	v_pk_add_f32 v[30:31], v[68:69], v[30:31] neg_lo:[0,1] neg_hi:[0,1]
	v_mov_b32_e32 v84, v80
	v_pk_add_f32 v[48:49], v[84:85], v[30:31]
	s_mov_b32 s23, 0x33800000
	v_mov_b32_e32 v68, v49
	v_pk_add_f32 v[68:69], v[48:49], v[68:69]
	v_cmp_lt_f32_e64 s[24:25], |v39|, s23
	v_pk_add_f32 v[50:51], v[50:51], v[68:69]
	v_mov_b32_e32 v31, v68
	v_mov_b32_e32 v49, v50
	v_pk_add_f32 v[70:71], v[48:49], v[80:81] neg_lo:[0,1] neg_hi:[0,1]
	s_or_b64 vcc, vcc, s[24:25]
	v_sub_f32_e32 v37, v48, v70
	v_pk_add_f32 v[30:31], v[30:31], v[70:71] neg_lo:[0,1] neg_hi:[0,1]
	v_sub_f32_e32 v37, v80, v37
	v_add_f32_e32 v30, v30, v37
	v_add_f32_e32 v30, v30, v31
	;; [unrolled: 1-line block ×3, first 2 shown]
	v_cndmask_b32_e32 v30, v30, v39, vcc
	v_add_f32_e32 v30, v38, v30
	v_cvt_f16_f32_e32 v31, v30
	v_cvt_f32_f16_e32 v37, v31
	v_mov_b32_e32 v30, v31
.LBB428_69:
	s_or_b64 exec, exec, s[20:21]
	v_cvt_f32_f16_e32 v67, v20
	v_max_f32_e32 v38, v37, v37
	v_cmp_u_f16_e32 vcc, v31, v31
	v_cmp_u_f16_e64 s[20:21], v20, v20
	v_min_f32_e32 v39, v38, v67
	v_max_f32_e32 v38, v38, v67
	v_cndmask_b32_e32 v39, v39, v37, vcc
	v_cndmask_b32_e32 v38, v38, v37, vcc
	v_cndmask_b32_e64 v39, v39, v67, s[20:21]
	v_cndmask_b32_e64 v38, v38, v67, s[20:21]
	v_cmp_neq_f32_e32 vcc, v39, v38
	v_cmp_class_f32_e64 s[22:23], v39, s22
	s_or_b64 s[24:25], vcc, s[22:23]
	s_and_saveexec_b64 s[22:23], s[24:25]
	s_cbranch_execz .LBB428_71
; %bb.70:
	v_sub_f32_e32 v30, v39, v38
	s_mov_b32 s24, 0x3fb8aa3b
	v_mul_f32_e32 v31, 0x3fb8aa3b, v30
	v_fma_f32 v37, v30, s24, -v31
	v_rndne_f32_e32 v39, v31
	v_fmamk_f32 v37, v30, 0x32a5705f, v37
	v_sub_f32_e32 v31, v31, v39
	v_add_f32_e32 v31, v31, v37
	v_exp_f32_e32 v31, v31
	v_cvt_i32_f32_e32 v37, v39
	s_mov_b32 s24, 0xc2ce8ed0
	v_cmp_ngt_f32_e32 vcc, s24, v30
	s_mov_b32 s24, 0x42b17218
	v_ldexp_f32 v31, v31, v37
	v_cndmask_b32_e32 v31, 0, v31, vcc
	v_mov_b32_e32 v37, 0x7f800000
	v_cmp_nlt_f32_e32 vcc, s24, v30
	s_mov_b32 s24, 0x3f2aaaab
	s_mov_b32 s25, 0x7f800000
	v_cndmask_b32_e32 v39, v37, v31, vcc
	v_add_f32_e32 v37, 1.0, v39
	v_add_f32_e32 v30, -1.0, v37
	v_sub_f32_e32 v31, v30, v37
	v_add_f32_e32 v31, 1.0, v31
	v_sub_f32_e32 v30, v39, v30
	v_add_f32_e32 v48, v30, v31
	v_frexp_mant_f32_e32 v49, v37
	v_cvt_f64_f32_e32 v[30:31], v37
	v_frexp_exp_i32_f64_e32 v30, v[30:31]
	v_cmp_gt_f32_e32 vcc, s24, v49
	s_mov_b32 s24, 0x3f317218
	s_nop 0
	v_subbrev_co_u32_e32 v70, vcc, 0, v30, vcc
	v_sub_u32_e32 v30, 0, v70
	v_ldexp_f32 v31, v37, v30
	v_add_f32_e32 v37, -1.0, v31
	v_add_f32_e32 v49, 1.0, v31
	v_ldexp_f32 v30, v48, v30
	v_add_f32_e32 v48, 1.0, v37
	v_add_f32_e32 v50, -1.0, v49
	v_sub_f32_e32 v48, v31, v48
	v_sub_f32_e32 v31, v31, v50
	v_add_f32_e32 v48, v30, v48
	v_add_f32_e32 v30, v30, v31
	;; [unrolled: 1-line block ×3, first 2 shown]
	v_rcp_f32_e32 v81, v71
	v_sub_f32_e32 v31, v49, v71
	v_add_f32_e32 v80, v30, v31
	v_add_f32_e32 v31, v37, v48
	v_sub_f32_e32 v30, v37, v31
	v_mul_f32_e32 v82, v31, v81
	v_add_f32_e32 v37, v48, v30
	v_mul_f32_e32 v48, v71, v82
	v_fma_f32 v50, v82, v71, -v48
	v_fmac_f32_e32 v50, v82, v80
	v_add_f32_e32 v30, v48, v50
	v_sub_f32_e32 v49, v31, v30
	v_pk_add_f32 v[68:69], v[30:31], v[48:49] neg_lo:[0,1] neg_hi:[0,1]
	v_mov_b32_e32 v51, v30
	v_pk_add_f32 v[30:31], v[68:69], v[50:51] neg_lo:[0,1] neg_hi:[0,1]
	v_cmp_eq_f32_e32 vcc, s25, v39
	v_add_f32_e32 v31, v37, v31
	v_add_f32_e32 v30, v30, v31
	v_add_f32_e32 v31, v49, v30
	v_mul_f32_e32 v37, v81, v31
	v_mul_f32_e32 v48, v71, v37
	v_fma_f32 v50, v37, v71, -v48
	v_fmac_f32_e32 v50, v37, v80
	v_sub_f32_e32 v49, v49, v31
	v_add_f32_e32 v71, v30, v49
	v_add_f32_e32 v30, v48, v50
	v_sub_f32_e32 v49, v31, v30
	v_pk_add_f32 v[68:69], v[30:31], v[48:49] neg_lo:[0,1] neg_hi:[0,1]
	v_mov_b32_e32 v51, v30
	v_pk_add_f32 v[30:31], v[68:69], v[50:51] neg_lo:[0,1] neg_hi:[0,1]
	v_cvt_f32_i32_e32 v48, v70
	v_add_f32_e32 v31, v71, v31
	v_add_f32_e32 v30, v30, v31
	v_add_f32_e32 v30, v49, v30
	v_add_f32_e32 v49, v82, v37
	v_sub_f32_e32 v31, v49, v82
	v_mul_f32_e32 v30, v81, v30
	v_sub_f32_e32 v31, v37, v31
	v_add_f32_e32 v30, v31, v30
	v_add_f32_e32 v37, v49, v30
	v_mul_f32_e32 v50, v37, v37
	v_mov_b32_e32 v31, 0x3ecc95a3
	v_sub_f32_e32 v49, v37, v49
	v_fmac_f32_e32 v31, 0x3e9b6dac, v50
	v_sub_f32_e32 v30, v30, v49
	v_fmaak_f32 v31, v50, v31, 0x3f2aaada
	v_ldexp_f32 v68, v30, 1
	v_mul_f32_e32 v49, v37, v50
	v_mov_b32_e32 v30, 0x3f317218
	v_pk_mul_f32 v[30:31], v[48:49], v[30:31]
	v_ldexp_f32 v51, v37, 1
	v_fma_f32 v37, v48, s24, -v30
	v_fmamk_f32 v50, v48, 0xb102e308, v37
	v_pk_add_f32 v[48:49], v[30:31], v[50:51]
	s_mov_b32 s24, 0x33800000
	v_sub_f32_e32 v37, v49, v51
	v_sub_f32_e32 v37, v31, v37
	v_add_f32_e32 v69, v68, v37
	v_mov_b32_e32 v68, v30
	v_pk_add_f32 v[30:31], v[48:49], v[30:31] neg_lo:[0,1] neg_hi:[0,1]
	v_pk_add_f32 v[70:71], v[48:49], v[68:69]
	v_mov_b32_e32 v51, v48
	v_mov_b32_e32 v31, v71
	v_pk_add_f32 v[80:81], v[50:51], v[30:31] neg_lo:[0,1] neg_hi:[0,1]
	v_pk_add_f32 v[30:31], v[50:51], v[30:31]
	v_mov_b32_e32 v68, v69
	v_mov_b32_e32 v50, v31
	v_pk_add_f32 v[82:83], v[50:51], v[48:49] neg_lo:[0,1] neg_hi:[0,1]
	v_mov_b32_e32 v30, v71
	v_mov_b32_e32 v37, v82
	v_pk_add_f32 v[84:85], v[70:71], v[36:37] neg_lo:[0,1] neg_hi:[0,1]
	v_mov_b32_e32 v70, v49
	v_mov_b32_e32 v71, v82
	;; [unrolled: 1-line block ×3, first 2 shown]
	v_pk_add_f32 v[30:31], v[30:31], v[70:71] neg_lo:[0,1] neg_hi:[0,1]
	v_mov_b32_e32 v69, v48
	v_pk_add_f32 v[30:31], v[68:69], v[30:31] neg_lo:[0,1] neg_hi:[0,1]
	v_mov_b32_e32 v84, v80
	v_pk_add_f32 v[48:49], v[84:85], v[30:31]
	v_cmp_lt_f32_e64 s[24:25], |v39|, s24
	v_mov_b32_e32 v68, v49
	v_pk_add_f32 v[68:69], v[48:49], v[68:69]
	s_or_b64 vcc, vcc, s[24:25]
	v_pk_add_f32 v[50:51], v[50:51], v[68:69]
	v_mov_b32_e32 v31, v68
	v_mov_b32_e32 v49, v50
	v_pk_add_f32 v[70:71], v[48:49], v[80:81] neg_lo:[0,1] neg_hi:[0,1]
	s_nop 0
	v_sub_f32_e32 v37, v48, v70
	v_pk_add_f32 v[30:31], v[30:31], v[70:71] neg_lo:[0,1] neg_hi:[0,1]
	v_sub_f32_e32 v37, v80, v37
	v_add_f32_e32 v30, v30, v37
	v_add_f32_e32 v30, v30, v31
	;; [unrolled: 1-line block ×3, first 2 shown]
	v_cndmask_b32_e32 v30, v30, v39, vcc
	v_add_f32_e32 v30, v38, v30
	v_cvt_f16_f32_e32 v31, v30
	v_cvt_f32_f16_e32 v37, v31
	v_mov_b32_e32 v30, v31
.LBB428_71:
	s_or_b64 exec, exec, s[22:23]
	v_cvt_f32_f16_sdwa v68, v20 dst_sel:DWORD dst_unused:UNUSED_PAD src0_sel:WORD_1
	v_max_f32_e32 v38, v37, v37
	v_cmp_u_f16_e32 vcc, v31, v31
	v_cmp_u_f16_sdwa s[22:23], v20, v20 src0_sel:WORD_1 src1_sel:WORD_1
	v_min_f32_e32 v39, v38, v68
	v_max_f32_e32 v38, v38, v68
	v_cndmask_b32_e32 v39, v39, v37, vcc
	v_cndmask_b32_e32 v38, v38, v37, vcc
	v_cndmask_b32_e64 v39, v39, v68, s[22:23]
	v_cndmask_b32_e64 v38, v38, v68, s[22:23]
	s_movk_i32 s26, 0x1f8
	v_cmp_neq_f32_e32 vcc, v39, v38
	v_cmp_class_f32_e64 s[24:25], v39, s26
	s_or_b64 s[28:29], vcc, s[24:25]
	s_and_saveexec_b64 s[24:25], s[28:29]
	s_cbranch_execz .LBB428_73
; %bb.72:
	v_sub_f32_e32 v30, v39, v38
	s_mov_b32 s27, 0x3fb8aa3b
	v_mul_f32_e32 v31, 0x3fb8aa3b, v30
	v_fma_f32 v37, v30, s27, -v31
	v_rndne_f32_e32 v39, v31
	v_fmamk_f32 v37, v30, 0x32a5705f, v37
	v_sub_f32_e32 v31, v31, v39
	v_add_f32_e32 v31, v31, v37
	v_exp_f32_e32 v31, v31
	v_cvt_i32_f32_e32 v37, v39
	s_mov_b32 s27, 0xc2ce8ed0
	v_cmp_ngt_f32_e32 vcc, s27, v30
	s_mov_b32 s27, 0x42b17218
	v_ldexp_f32 v31, v31, v37
	v_cndmask_b32_e32 v31, 0, v31, vcc
	v_mov_b32_e32 v37, 0x7f800000
	v_cmp_nlt_f32_e32 vcc, s27, v30
	s_mov_b32 s27, 0x3f2aaaab
	s_mov_b32 s28, 0x7f800000
	v_cndmask_b32_e32 v39, v37, v31, vcc
	v_add_f32_e32 v37, 1.0, v39
	v_add_f32_e32 v30, -1.0, v37
	v_sub_f32_e32 v31, v30, v37
	v_add_f32_e32 v31, 1.0, v31
	v_sub_f32_e32 v30, v39, v30
	v_add_f32_e32 v48, v30, v31
	v_frexp_mant_f32_e32 v49, v37
	v_cvt_f64_f32_e32 v[30:31], v37
	v_frexp_exp_i32_f64_e32 v30, v[30:31]
	v_cmp_gt_f32_e32 vcc, s27, v49
	s_mov_b32 s27, 0x3f317218
	s_nop 0
	v_subbrev_co_u32_e32 v69, vcc, 0, v30, vcc
	v_sub_u32_e32 v30, 0, v69
	v_ldexp_f32 v31, v37, v30
	v_add_f32_e32 v37, -1.0, v31
	v_add_f32_e32 v49, 1.0, v31
	v_ldexp_f32 v30, v48, v30
	v_add_f32_e32 v48, 1.0, v37
	v_add_f32_e32 v50, -1.0, v49
	v_sub_f32_e32 v48, v31, v48
	v_sub_f32_e32 v31, v31, v50
	v_add_f32_e32 v48, v30, v48
	v_add_f32_e32 v30, v30, v31
	v_add_f32_e32 v80, v49, v30
	v_rcp_f32_e32 v82, v80
	v_sub_f32_e32 v31, v49, v80
	v_add_f32_e32 v81, v30, v31
	v_add_f32_e32 v31, v37, v48
	v_sub_f32_e32 v30, v37, v31
	v_mul_f32_e32 v83, v31, v82
	v_add_f32_e32 v37, v48, v30
	v_mul_f32_e32 v48, v80, v83
	v_fma_f32 v50, v83, v80, -v48
	v_fmac_f32_e32 v50, v83, v81
	v_add_f32_e32 v30, v48, v50
	v_sub_f32_e32 v49, v31, v30
	v_pk_add_f32 v[70:71], v[30:31], v[48:49] neg_lo:[0,1] neg_hi:[0,1]
	v_mov_b32_e32 v51, v30
	v_pk_add_f32 v[30:31], v[70:71], v[50:51] neg_lo:[0,1] neg_hi:[0,1]
	v_cmp_eq_f32_e32 vcc, s28, v39
	v_add_f32_e32 v31, v37, v31
	v_add_f32_e32 v30, v30, v31
	;; [unrolled: 1-line block ×3, first 2 shown]
	v_mul_f32_e32 v37, v82, v31
	v_mul_f32_e32 v48, v80, v37
	v_fma_f32 v50, v37, v80, -v48
	v_fmac_f32_e32 v50, v37, v81
	v_sub_f32_e32 v49, v49, v31
	v_add_f32_e32 v80, v30, v49
	v_add_f32_e32 v30, v48, v50
	v_sub_f32_e32 v49, v31, v30
	v_pk_add_f32 v[70:71], v[30:31], v[48:49] neg_lo:[0,1] neg_hi:[0,1]
	v_mov_b32_e32 v51, v30
	v_pk_add_f32 v[30:31], v[70:71], v[50:51] neg_lo:[0,1] neg_hi:[0,1]
	v_cvt_f32_i32_e32 v48, v69
	v_add_f32_e32 v31, v80, v31
	v_add_f32_e32 v30, v30, v31
	;; [unrolled: 1-line block ×4, first 2 shown]
	v_sub_f32_e32 v31, v49, v83
	v_mul_f32_e32 v30, v82, v30
	v_sub_f32_e32 v31, v37, v31
	v_add_f32_e32 v30, v31, v30
	v_add_f32_e32 v37, v49, v30
	v_mul_f32_e32 v50, v37, v37
	v_mov_b32_e32 v31, 0x3ecc95a3
	v_sub_f32_e32 v49, v37, v49
	v_fmac_f32_e32 v31, 0x3e9b6dac, v50
	v_sub_f32_e32 v30, v30, v49
	v_fmaak_f32 v31, v50, v31, 0x3f2aaada
	v_ldexp_f32 v69, v30, 1
	v_mul_f32_e32 v49, v37, v50
	v_mov_b32_e32 v30, 0x3f317218
	v_pk_mul_f32 v[30:31], v[48:49], v[30:31]
	v_ldexp_f32 v51, v37, 1
	v_fma_f32 v37, v48, s27, -v30
	v_fmamk_f32 v50, v48, 0xb102e308, v37
	v_pk_add_f32 v[48:49], v[30:31], v[50:51]
	v_mov_b32_e32 v70, v30
	v_sub_f32_e32 v37, v49, v51
	v_sub_f32_e32 v37, v31, v37
	v_add_f32_e32 v71, v69, v37
	v_pk_add_f32 v[30:31], v[48:49], v[30:31] neg_lo:[0,1] neg_hi:[0,1]
	v_pk_add_f32 v[80:81], v[48:49], v[70:71]
	v_mov_b32_e32 v51, v48
	v_mov_b32_e32 v31, v81
	v_pk_add_f32 v[82:83], v[50:51], v[30:31] neg_lo:[0,1] neg_hi:[0,1]
	v_pk_add_f32 v[30:31], v[50:51], v[30:31]
	v_mov_b32_e32 v70, v71
	v_mov_b32_e32 v50, v31
	v_pk_add_f32 v[84:85], v[50:51], v[48:49] neg_lo:[0,1] neg_hi:[0,1]
	v_mov_b32_e32 v30, v81
	v_mov_b32_e32 v37, v84
	v_pk_add_f32 v[86:87], v[80:81], v[36:37] neg_lo:[0,1] neg_hi:[0,1]
	v_mov_b32_e32 v80, v49
	v_mov_b32_e32 v81, v84
	;; [unrolled: 1-line block ×3, first 2 shown]
	v_pk_add_f32 v[30:31], v[30:31], v[80:81] neg_lo:[0,1] neg_hi:[0,1]
	v_mov_b32_e32 v71, v48
	v_pk_add_f32 v[30:31], v[70:71], v[30:31] neg_lo:[0,1] neg_hi:[0,1]
	v_mov_b32_e32 v86, v82
	v_pk_add_f32 v[48:49], v[86:87], v[30:31]
	s_mov_b32 s27, 0x33800000
	v_mov_b32_e32 v70, v49
	v_pk_add_f32 v[70:71], v[48:49], v[70:71]
	v_cmp_lt_f32_e64 s[28:29], |v39|, s27
	v_pk_add_f32 v[50:51], v[50:51], v[70:71]
	v_mov_b32_e32 v31, v70
	v_mov_b32_e32 v49, v50
	v_pk_add_f32 v[80:81], v[48:49], v[82:83] neg_lo:[0,1] neg_hi:[0,1]
	s_or_b64 vcc, vcc, s[28:29]
	v_sub_f32_e32 v37, v48, v80
	v_pk_add_f32 v[30:31], v[30:31], v[80:81] neg_lo:[0,1] neg_hi:[0,1]
	v_sub_f32_e32 v37, v82, v37
	v_add_f32_e32 v30, v30, v37
	v_add_f32_e32 v30, v30, v31
	;; [unrolled: 1-line block ×3, first 2 shown]
	v_cndmask_b32_e32 v30, v30, v39, vcc
	v_add_f32_e32 v30, v38, v30
	v_cvt_f16_f32_e32 v31, v30
	v_cvt_f32_f16_e32 v37, v31
	v_mov_b32_e32 v30, v31
.LBB428_73:
	s_or_b64 exec, exec, s[24:25]
	v_cvt_f32_f16_e32 v69, v21
	v_max_f32_e32 v38, v37, v37
	v_cmp_u_f16_e32 vcc, v31, v31
	v_cmp_u_f16_e64 s[24:25], v21, v21
	v_min_f32_e32 v39, v38, v69
	v_max_f32_e32 v38, v38, v69
	v_cndmask_b32_e32 v39, v39, v37, vcc
	v_cndmask_b32_e32 v38, v38, v37, vcc
	v_cndmask_b32_e64 v39, v39, v69, s[24:25]
	v_cndmask_b32_e64 v38, v38, v69, s[24:25]
	v_cmp_neq_f32_e32 vcc, v39, v38
	v_cmp_class_f32_e64 s[26:27], v39, s26
	s_or_b64 s[28:29], vcc, s[26:27]
	s_and_saveexec_b64 s[26:27], s[28:29]
	s_cbranch_execz .LBB428_75
; %bb.74:
	v_sub_f32_e32 v30, v39, v38
	s_mov_b32 s28, 0x3fb8aa3b
	v_mul_f32_e32 v31, 0x3fb8aa3b, v30
	v_fma_f32 v37, v30, s28, -v31
	v_rndne_f32_e32 v39, v31
	v_fmamk_f32 v37, v30, 0x32a5705f, v37
	v_sub_f32_e32 v31, v31, v39
	v_add_f32_e32 v31, v31, v37
	v_exp_f32_e32 v31, v31
	v_cvt_i32_f32_e32 v37, v39
	s_mov_b32 s28, 0xc2ce8ed0
	v_cmp_ngt_f32_e32 vcc, s28, v30
	s_mov_b32 s28, 0x42b17218
	v_ldexp_f32 v31, v31, v37
	v_cndmask_b32_e32 v31, 0, v31, vcc
	v_mov_b32_e32 v37, 0x7f800000
	v_cmp_nlt_f32_e32 vcc, s28, v30
	s_mov_b32 s28, 0x3f2aaaab
	s_mov_b32 s29, 0x7f800000
	v_cndmask_b32_e32 v39, v37, v31, vcc
	v_add_f32_e32 v37, 1.0, v39
	v_add_f32_e32 v30, -1.0, v37
	v_sub_f32_e32 v31, v30, v37
	v_add_f32_e32 v31, 1.0, v31
	v_sub_f32_e32 v30, v39, v30
	v_add_f32_e32 v48, v30, v31
	v_frexp_mant_f32_e32 v49, v37
	v_cvt_f64_f32_e32 v[30:31], v37
	v_frexp_exp_i32_f64_e32 v30, v[30:31]
	v_cmp_gt_f32_e32 vcc, s28, v49
	s_mov_b32 s28, 0x3f317218
	s_nop 0
	v_subbrev_co_u32_e32 v80, vcc, 0, v30, vcc
	v_sub_u32_e32 v30, 0, v80
	v_ldexp_f32 v31, v37, v30
	v_add_f32_e32 v37, -1.0, v31
	v_add_f32_e32 v49, 1.0, v31
	v_ldexp_f32 v30, v48, v30
	v_add_f32_e32 v48, 1.0, v37
	v_add_f32_e32 v50, -1.0, v49
	v_sub_f32_e32 v48, v31, v48
	v_sub_f32_e32 v31, v31, v50
	v_add_f32_e32 v48, v30, v48
	v_add_f32_e32 v30, v30, v31
	;; [unrolled: 1-line block ×3, first 2 shown]
	v_rcp_f32_e32 v83, v81
	v_sub_f32_e32 v31, v49, v81
	v_add_f32_e32 v82, v30, v31
	v_add_f32_e32 v31, v37, v48
	v_sub_f32_e32 v30, v37, v31
	v_mul_f32_e32 v84, v31, v83
	v_add_f32_e32 v37, v48, v30
	v_mul_f32_e32 v48, v81, v84
	v_fma_f32 v50, v84, v81, -v48
	v_fmac_f32_e32 v50, v84, v82
	v_add_f32_e32 v30, v48, v50
	v_sub_f32_e32 v49, v31, v30
	v_pk_add_f32 v[70:71], v[30:31], v[48:49] neg_lo:[0,1] neg_hi:[0,1]
	v_mov_b32_e32 v51, v30
	v_pk_add_f32 v[30:31], v[70:71], v[50:51] neg_lo:[0,1] neg_hi:[0,1]
	v_cmp_eq_f32_e32 vcc, s29, v39
	v_add_f32_e32 v31, v37, v31
	v_add_f32_e32 v30, v30, v31
	v_add_f32_e32 v31, v49, v30
	v_mul_f32_e32 v37, v83, v31
	v_mul_f32_e32 v48, v81, v37
	v_fma_f32 v50, v37, v81, -v48
	v_fmac_f32_e32 v50, v37, v82
	v_sub_f32_e32 v49, v49, v31
	v_add_f32_e32 v81, v30, v49
	v_add_f32_e32 v30, v48, v50
	v_sub_f32_e32 v49, v31, v30
	v_pk_add_f32 v[70:71], v[30:31], v[48:49] neg_lo:[0,1] neg_hi:[0,1]
	v_mov_b32_e32 v51, v30
	v_pk_add_f32 v[30:31], v[70:71], v[50:51] neg_lo:[0,1] neg_hi:[0,1]
	v_cvt_f32_i32_e32 v48, v80
	v_add_f32_e32 v31, v81, v31
	v_add_f32_e32 v30, v30, v31
	;; [unrolled: 1-line block ×4, first 2 shown]
	v_sub_f32_e32 v31, v49, v84
	v_mul_f32_e32 v30, v83, v30
	v_sub_f32_e32 v31, v37, v31
	v_add_f32_e32 v30, v31, v30
	v_add_f32_e32 v37, v49, v30
	v_mul_f32_e32 v50, v37, v37
	v_mov_b32_e32 v31, 0x3ecc95a3
	v_sub_f32_e32 v49, v37, v49
	v_fmac_f32_e32 v31, 0x3e9b6dac, v50
	v_sub_f32_e32 v30, v30, v49
	v_fmaak_f32 v31, v50, v31, 0x3f2aaada
	v_ldexp_f32 v70, v30, 1
	v_mul_f32_e32 v49, v37, v50
	v_mov_b32_e32 v30, 0x3f317218
	v_pk_mul_f32 v[30:31], v[48:49], v[30:31]
	v_ldexp_f32 v51, v37, 1
	v_fma_f32 v37, v48, s28, -v30
	v_fmamk_f32 v50, v48, 0xb102e308, v37
	v_pk_add_f32 v[48:49], v[30:31], v[50:51]
	s_mov_b32 s28, 0x33800000
	v_sub_f32_e32 v37, v49, v51
	v_sub_f32_e32 v37, v31, v37
	v_add_f32_e32 v71, v70, v37
	v_mov_b32_e32 v70, v30
	v_pk_add_f32 v[30:31], v[48:49], v[30:31] neg_lo:[0,1] neg_hi:[0,1]
	v_pk_add_f32 v[80:81], v[48:49], v[70:71]
	v_mov_b32_e32 v51, v48
	v_mov_b32_e32 v31, v81
	v_pk_add_f32 v[82:83], v[50:51], v[30:31] neg_lo:[0,1] neg_hi:[0,1]
	v_pk_add_f32 v[30:31], v[50:51], v[30:31]
	v_mov_b32_e32 v70, v71
	v_mov_b32_e32 v50, v31
	v_pk_add_f32 v[84:85], v[50:51], v[48:49] neg_lo:[0,1] neg_hi:[0,1]
	v_mov_b32_e32 v30, v81
	v_mov_b32_e32 v37, v84
	v_pk_add_f32 v[86:87], v[80:81], v[36:37] neg_lo:[0,1] neg_hi:[0,1]
	v_mov_b32_e32 v80, v49
	v_mov_b32_e32 v81, v84
	;; [unrolled: 1-line block ×3, first 2 shown]
	v_pk_add_f32 v[30:31], v[30:31], v[80:81] neg_lo:[0,1] neg_hi:[0,1]
	v_mov_b32_e32 v71, v48
	v_pk_add_f32 v[30:31], v[70:71], v[30:31] neg_lo:[0,1] neg_hi:[0,1]
	v_mov_b32_e32 v86, v82
	v_pk_add_f32 v[48:49], v[86:87], v[30:31]
	v_cmp_lt_f32_e64 s[28:29], |v39|, s28
	v_mov_b32_e32 v70, v49
	v_pk_add_f32 v[70:71], v[48:49], v[70:71]
	s_or_b64 vcc, vcc, s[28:29]
	v_pk_add_f32 v[50:51], v[50:51], v[70:71]
	v_mov_b32_e32 v31, v70
	v_mov_b32_e32 v49, v50
	v_pk_add_f32 v[80:81], v[48:49], v[82:83] neg_lo:[0,1] neg_hi:[0,1]
	s_nop 0
	v_sub_f32_e32 v37, v48, v80
	v_pk_add_f32 v[30:31], v[30:31], v[80:81] neg_lo:[0,1] neg_hi:[0,1]
	v_sub_f32_e32 v37, v82, v37
	v_add_f32_e32 v30, v30, v37
	v_add_f32_e32 v30, v30, v31
	v_add_f32_e32 v30, v50, v30
	v_cndmask_b32_e32 v30, v30, v39, vcc
	v_add_f32_e32 v30, v38, v30
	v_cvt_f16_f32_e32 v31, v30
	v_cvt_f32_f16_e32 v37, v31
	v_mov_b32_e32 v30, v31
.LBB428_75:
	s_or_b64 exec, exec, s[26:27]
	v_cvt_f32_f16_sdwa v70, v21 dst_sel:DWORD dst_unused:UNUSED_PAD src0_sel:WORD_1
	v_max_f32_e32 v38, v37, v37
	v_cmp_u_f16_e32 vcc, v31, v31
	v_cmp_u_f16_sdwa s[26:27], v21, v21 src0_sel:WORD_1 src1_sel:WORD_1
	v_min_f32_e32 v39, v38, v70
	v_max_f32_e32 v38, v38, v70
	v_cndmask_b32_e32 v39, v39, v37, vcc
	v_cndmask_b32_e32 v38, v38, v37, vcc
	v_cndmask_b32_e64 v39, v39, v70, s[26:27]
	v_cndmask_b32_e64 v38, v38, v70, s[26:27]
	s_movk_i32 s30, 0x1f8
	v_cmp_neq_f32_e32 vcc, v39, v38
	v_cmp_class_f32_e64 s[28:29], v39, s30
	s_or_b64 vcc, vcc, s[28:29]
	s_and_saveexec_b64 s[28:29], vcc
	s_cbranch_execz .LBB428_77
; %bb.76:
	v_sub_f32_e32 v30, v39, v38
	s_mov_b32 s31, 0x3fb8aa3b
	v_mul_f32_e32 v31, 0x3fb8aa3b, v30
	v_fma_f32 v37, v30, s31, -v31
	v_rndne_f32_e32 v39, v31
	v_fmamk_f32 v37, v30, 0x32a5705f, v37
	v_sub_f32_e32 v31, v31, v39
	v_add_f32_e32 v31, v31, v37
	v_exp_f32_e32 v31, v31
	v_cvt_i32_f32_e32 v37, v39
	s_mov_b32 s31, 0xc2ce8ed0
	v_cmp_ngt_f32_e32 vcc, s31, v30
	s_mov_b32 s31, 0x42b17218
	v_ldexp_f32 v31, v31, v37
	v_cndmask_b32_e32 v31, 0, v31, vcc
	v_mov_b32_e32 v37, 0x7f800000
	v_cmp_nlt_f32_e32 vcc, s31, v30
	s_mov_b32 s31, 0x3f2aaaab
	s_mov_b32 s34, 0x7f800000
	v_cndmask_b32_e32 v39, v37, v31, vcc
	v_add_f32_e32 v37, 1.0, v39
	v_add_f32_e32 v30, -1.0, v37
	v_sub_f32_e32 v31, v30, v37
	v_add_f32_e32 v31, 1.0, v31
	v_sub_f32_e32 v30, v39, v30
	v_add_f32_e32 v48, v30, v31
	v_frexp_mant_f32_e32 v49, v37
	v_cvt_f64_f32_e32 v[30:31], v37
	v_frexp_exp_i32_f64_e32 v30, v[30:31]
	v_cmp_gt_f32_e32 vcc, s31, v49
	s_mov_b32 s31, 0x3f317218
	s_nop 0
	v_subbrev_co_u32_e32 v71, vcc, 0, v30, vcc
	v_sub_u32_e32 v30, 0, v71
	v_ldexp_f32 v31, v37, v30
	v_add_f32_e32 v37, -1.0, v31
	v_add_f32_e32 v49, 1.0, v31
	v_ldexp_f32 v30, v48, v30
	v_add_f32_e32 v48, 1.0, v37
	v_add_f32_e32 v50, -1.0, v49
	v_sub_f32_e32 v48, v31, v48
	v_sub_f32_e32 v31, v31, v50
	v_add_f32_e32 v48, v30, v48
	v_add_f32_e32 v30, v30, v31
	;; [unrolled: 1-line block ×3, first 2 shown]
	v_rcp_f32_e32 v84, v82
	v_sub_f32_e32 v31, v49, v82
	v_add_f32_e32 v83, v30, v31
	v_add_f32_e32 v31, v37, v48
	v_sub_f32_e32 v30, v37, v31
	v_mul_f32_e32 v85, v31, v84
	v_add_f32_e32 v37, v48, v30
	v_mul_f32_e32 v48, v82, v85
	v_fma_f32 v50, v85, v82, -v48
	v_fmac_f32_e32 v50, v85, v83
	v_add_f32_e32 v30, v48, v50
	v_sub_f32_e32 v49, v31, v30
	v_pk_add_f32 v[80:81], v[30:31], v[48:49] neg_lo:[0,1] neg_hi:[0,1]
	v_mov_b32_e32 v51, v30
	v_pk_add_f32 v[30:31], v[80:81], v[50:51] neg_lo:[0,1] neg_hi:[0,1]
	v_cmp_eq_f32_e32 vcc, s34, v39
	v_add_f32_e32 v31, v37, v31
	v_add_f32_e32 v30, v30, v31
	v_add_f32_e32 v31, v49, v30
	v_mul_f32_e32 v37, v84, v31
	v_mul_f32_e32 v48, v82, v37
	v_fma_f32 v50, v37, v82, -v48
	v_fmac_f32_e32 v50, v37, v83
	v_sub_f32_e32 v49, v49, v31
	v_add_f32_e32 v82, v30, v49
	v_add_f32_e32 v30, v48, v50
	v_sub_f32_e32 v49, v31, v30
	v_pk_add_f32 v[80:81], v[30:31], v[48:49] neg_lo:[0,1] neg_hi:[0,1]
	v_mov_b32_e32 v51, v30
	v_pk_add_f32 v[30:31], v[80:81], v[50:51] neg_lo:[0,1] neg_hi:[0,1]
	v_cvt_f32_i32_e32 v48, v71
	v_add_f32_e32 v31, v82, v31
	v_add_f32_e32 v30, v30, v31
	;; [unrolled: 1-line block ×4, first 2 shown]
	v_sub_f32_e32 v31, v49, v85
	v_mul_f32_e32 v30, v84, v30
	v_sub_f32_e32 v31, v37, v31
	v_add_f32_e32 v30, v31, v30
	v_add_f32_e32 v37, v49, v30
	v_mul_f32_e32 v50, v37, v37
	v_mov_b32_e32 v31, 0x3ecc95a3
	v_sub_f32_e32 v49, v37, v49
	v_fmac_f32_e32 v31, 0x3e9b6dac, v50
	v_sub_f32_e32 v30, v30, v49
	v_fmaak_f32 v31, v50, v31, 0x3f2aaada
	v_ldexp_f32 v71, v30, 1
	v_mul_f32_e32 v49, v37, v50
	v_mov_b32_e32 v30, 0x3f317218
	v_pk_mul_f32 v[30:31], v[48:49], v[30:31]
	v_ldexp_f32 v51, v37, 1
	v_fma_f32 v37, v48, s31, -v30
	v_fmamk_f32 v50, v48, 0xb102e308, v37
	v_pk_add_f32 v[48:49], v[30:31], v[50:51]
	v_mov_b32_e32 v80, v30
	v_sub_f32_e32 v37, v49, v51
	v_sub_f32_e32 v37, v31, v37
	v_add_f32_e32 v81, v71, v37
	v_pk_add_f32 v[30:31], v[48:49], v[30:31] neg_lo:[0,1] neg_hi:[0,1]
	v_pk_add_f32 v[82:83], v[48:49], v[80:81]
	v_mov_b32_e32 v51, v48
	v_mov_b32_e32 v31, v83
	v_pk_add_f32 v[84:85], v[50:51], v[30:31] neg_lo:[0,1] neg_hi:[0,1]
	v_pk_add_f32 v[30:31], v[50:51], v[30:31]
	v_mov_b32_e32 v80, v81
	v_mov_b32_e32 v50, v31
	v_pk_add_f32 v[86:87], v[50:51], v[48:49] neg_lo:[0,1] neg_hi:[0,1]
	v_mov_b32_e32 v30, v83
	v_mov_b32_e32 v37, v86
	v_pk_add_f32 v[96:97], v[82:83], v[36:37] neg_lo:[0,1] neg_hi:[0,1]
	v_mov_b32_e32 v82, v49
	v_mov_b32_e32 v83, v86
	v_mov_b32_e32 v85, v31
	v_pk_add_f32 v[30:31], v[30:31], v[82:83] neg_lo:[0,1] neg_hi:[0,1]
	v_mov_b32_e32 v81, v48
	v_pk_add_f32 v[30:31], v[80:81], v[30:31] neg_lo:[0,1] neg_hi:[0,1]
	v_mov_b32_e32 v96, v84
	v_pk_add_f32 v[48:49], v[96:97], v[30:31]
	s_mov_b32 s31, 0x33800000
	v_mov_b32_e32 v80, v49
	v_pk_add_f32 v[80:81], v[48:49], v[80:81]
	v_cmp_lt_f32_e64 s[34:35], |v39|, s31
	v_pk_add_f32 v[50:51], v[50:51], v[80:81]
	v_mov_b32_e32 v31, v80
	v_mov_b32_e32 v49, v50
	v_pk_add_f32 v[82:83], v[48:49], v[84:85] neg_lo:[0,1] neg_hi:[0,1]
	s_or_b64 vcc, vcc, s[34:35]
	v_sub_f32_e32 v37, v48, v82
	v_pk_add_f32 v[30:31], v[30:31], v[82:83] neg_lo:[0,1] neg_hi:[0,1]
	v_sub_f32_e32 v37, v84, v37
	v_add_f32_e32 v30, v30, v37
	v_add_f32_e32 v30, v30, v31
	v_add_f32_e32 v30, v50, v30
	v_cndmask_b32_e32 v30, v30, v39, vcc
	v_add_f32_e32 v30, v38, v30
	v_cvt_f16_f32_e32 v31, v30
	v_cvt_f32_f16_e32 v37, v31
	v_mov_b32_e32 v30, v31
.LBB428_77:
	s_or_b64 exec, exec, s[28:29]
	v_cvt_f32_f16_e32 v71, v22
	v_max_f32_e32 v38, v37, v37
	v_cmp_u_f16_e32 vcc, v31, v31
	v_cmp_u_f16_e64 s[28:29], v22, v22
	v_min_f32_e32 v39, v38, v71
	v_max_f32_e32 v38, v38, v71
	v_cndmask_b32_e32 v39, v39, v37, vcc
	v_cndmask_b32_e32 v38, v38, v37, vcc
	v_cndmask_b32_e64 v39, v39, v71, s[28:29]
	v_cndmask_b32_e64 v38, v38, v71, s[28:29]
	v_cmp_neq_f32_e32 vcc, v39, v38
	v_cmp_class_f32_e64 s[30:31], v39, s30
	s_or_b64 vcc, vcc, s[30:31]
	s_and_saveexec_b64 s[30:31], vcc
	s_cbranch_execz .LBB428_79
; %bb.78:
	v_sub_f32_e32 v30, v39, v38
	s_mov_b32 s34, 0x3fb8aa3b
	v_mul_f32_e32 v31, 0x3fb8aa3b, v30
	v_fma_f32 v37, v30, s34, -v31
	v_rndne_f32_e32 v39, v31
	v_fmamk_f32 v37, v30, 0x32a5705f, v37
	v_sub_f32_e32 v31, v31, v39
	v_add_f32_e32 v31, v31, v37
	v_exp_f32_e32 v31, v31
	v_cvt_i32_f32_e32 v37, v39
	s_mov_b32 s34, 0xc2ce8ed0
	v_cmp_ngt_f32_e32 vcc, s34, v30
	s_mov_b32 s34, 0x42b17218
	v_ldexp_f32 v31, v31, v37
	v_cndmask_b32_e32 v31, 0, v31, vcc
	v_mov_b32_e32 v37, 0x7f800000
	v_cmp_nlt_f32_e32 vcc, s34, v30
	s_mov_b32 s34, 0x3f2aaaab
	s_mov_b32 s35, 0x7f800000
	v_cndmask_b32_e32 v39, v37, v31, vcc
	v_add_f32_e32 v37, 1.0, v39
	v_add_f32_e32 v30, -1.0, v37
	v_sub_f32_e32 v31, v30, v37
	v_add_f32_e32 v31, 1.0, v31
	v_sub_f32_e32 v30, v39, v30
	v_add_f32_e32 v48, v30, v31
	v_frexp_mant_f32_e32 v49, v37
	v_cvt_f64_f32_e32 v[30:31], v37
	v_frexp_exp_i32_f64_e32 v30, v[30:31]
	v_cmp_gt_f32_e32 vcc, s34, v49
	s_mov_b32 s34, 0x3f317218
	s_nop 0
	v_subbrev_co_u32_e32 v82, vcc, 0, v30, vcc
	v_sub_u32_e32 v30, 0, v82
	v_ldexp_f32 v31, v37, v30
	v_add_f32_e32 v37, -1.0, v31
	v_add_f32_e32 v49, 1.0, v31
	v_ldexp_f32 v30, v48, v30
	v_add_f32_e32 v48, 1.0, v37
	v_add_f32_e32 v50, -1.0, v49
	v_sub_f32_e32 v48, v31, v48
	v_sub_f32_e32 v31, v31, v50
	v_add_f32_e32 v48, v30, v48
	v_add_f32_e32 v30, v30, v31
	;; [unrolled: 1-line block ×3, first 2 shown]
	v_rcp_f32_e32 v85, v83
	v_sub_f32_e32 v31, v49, v83
	v_add_f32_e32 v84, v30, v31
	v_add_f32_e32 v31, v37, v48
	v_sub_f32_e32 v30, v37, v31
	v_mul_f32_e32 v86, v31, v85
	v_add_f32_e32 v37, v48, v30
	v_mul_f32_e32 v48, v83, v86
	v_fma_f32 v50, v86, v83, -v48
	v_fmac_f32_e32 v50, v86, v84
	v_add_f32_e32 v30, v48, v50
	v_sub_f32_e32 v49, v31, v30
	v_pk_add_f32 v[80:81], v[30:31], v[48:49] neg_lo:[0,1] neg_hi:[0,1]
	v_mov_b32_e32 v51, v30
	v_pk_add_f32 v[30:31], v[80:81], v[50:51] neg_lo:[0,1] neg_hi:[0,1]
	v_cmp_eq_f32_e32 vcc, s35, v39
	v_add_f32_e32 v31, v37, v31
	v_add_f32_e32 v30, v30, v31
	;; [unrolled: 1-line block ×3, first 2 shown]
	v_mul_f32_e32 v37, v85, v31
	v_mul_f32_e32 v48, v83, v37
	v_fma_f32 v50, v37, v83, -v48
	v_fmac_f32_e32 v50, v37, v84
	v_sub_f32_e32 v49, v49, v31
	v_add_f32_e32 v83, v30, v49
	v_add_f32_e32 v30, v48, v50
	v_sub_f32_e32 v49, v31, v30
	v_pk_add_f32 v[80:81], v[30:31], v[48:49] neg_lo:[0,1] neg_hi:[0,1]
	v_mov_b32_e32 v51, v30
	v_pk_add_f32 v[30:31], v[80:81], v[50:51] neg_lo:[0,1] neg_hi:[0,1]
	v_cvt_f32_i32_e32 v48, v82
	v_add_f32_e32 v31, v83, v31
	v_add_f32_e32 v30, v30, v31
	;; [unrolled: 1-line block ×4, first 2 shown]
	v_sub_f32_e32 v31, v49, v86
	v_mul_f32_e32 v30, v85, v30
	v_sub_f32_e32 v31, v37, v31
	v_add_f32_e32 v30, v31, v30
	v_add_f32_e32 v37, v49, v30
	v_mul_f32_e32 v50, v37, v37
	v_mov_b32_e32 v31, 0x3ecc95a3
	v_sub_f32_e32 v49, v37, v49
	v_fmac_f32_e32 v31, 0x3e9b6dac, v50
	v_sub_f32_e32 v30, v30, v49
	v_fmaak_f32 v31, v50, v31, 0x3f2aaada
	v_ldexp_f32 v80, v30, 1
	v_mul_f32_e32 v49, v37, v50
	v_mov_b32_e32 v30, 0x3f317218
	v_pk_mul_f32 v[30:31], v[48:49], v[30:31]
	v_ldexp_f32 v51, v37, 1
	v_fma_f32 v37, v48, s34, -v30
	v_fmamk_f32 v50, v48, 0xb102e308, v37
	v_pk_add_f32 v[48:49], v[30:31], v[50:51]
	s_mov_b32 s34, 0x33800000
	v_sub_f32_e32 v37, v49, v51
	v_sub_f32_e32 v37, v31, v37
	v_add_f32_e32 v81, v80, v37
	v_mov_b32_e32 v80, v30
	v_pk_add_f32 v[30:31], v[48:49], v[30:31] neg_lo:[0,1] neg_hi:[0,1]
	v_pk_add_f32 v[82:83], v[48:49], v[80:81]
	v_mov_b32_e32 v51, v48
	v_mov_b32_e32 v31, v83
	v_pk_add_f32 v[84:85], v[50:51], v[30:31] neg_lo:[0,1] neg_hi:[0,1]
	v_pk_add_f32 v[30:31], v[50:51], v[30:31]
	v_mov_b32_e32 v80, v81
	v_mov_b32_e32 v50, v31
	v_pk_add_f32 v[86:87], v[50:51], v[48:49] neg_lo:[0,1] neg_hi:[0,1]
	v_mov_b32_e32 v30, v83
	v_mov_b32_e32 v37, v86
	v_pk_add_f32 v[96:97], v[82:83], v[36:37] neg_lo:[0,1] neg_hi:[0,1]
	v_mov_b32_e32 v82, v49
	v_mov_b32_e32 v83, v86
	;; [unrolled: 1-line block ×3, first 2 shown]
	v_pk_add_f32 v[30:31], v[30:31], v[82:83] neg_lo:[0,1] neg_hi:[0,1]
	v_mov_b32_e32 v81, v48
	v_pk_add_f32 v[30:31], v[80:81], v[30:31] neg_lo:[0,1] neg_hi:[0,1]
	v_mov_b32_e32 v96, v84
	v_pk_add_f32 v[48:49], v[96:97], v[30:31]
	v_cmp_lt_f32_e64 s[34:35], |v39|, s34
	v_mov_b32_e32 v80, v49
	v_pk_add_f32 v[80:81], v[48:49], v[80:81]
	s_or_b64 vcc, vcc, s[34:35]
	v_pk_add_f32 v[50:51], v[50:51], v[80:81]
	v_mov_b32_e32 v31, v80
	v_mov_b32_e32 v49, v50
	v_pk_add_f32 v[82:83], v[48:49], v[84:85] neg_lo:[0,1] neg_hi:[0,1]
	s_nop 0
	v_sub_f32_e32 v37, v48, v82
	v_pk_add_f32 v[30:31], v[30:31], v[82:83] neg_lo:[0,1] neg_hi:[0,1]
	v_sub_f32_e32 v37, v84, v37
	v_add_f32_e32 v30, v30, v37
	v_add_f32_e32 v30, v30, v31
	;; [unrolled: 1-line block ×3, first 2 shown]
	v_cndmask_b32_e32 v30, v30, v39, vcc
	v_add_f32_e32 v30, v38, v30
	v_cvt_f16_f32_e32 v31, v30
	v_cvt_f32_f16_e32 v37, v31
	v_mov_b32_e32 v30, v31
.LBB428_79:
	s_or_b64 exec, exec, s[30:31]
	v_cvt_f32_f16_sdwa v80, v22 dst_sel:DWORD dst_unused:UNUSED_PAD src0_sel:WORD_1
	v_max_f32_e32 v38, v37, v37
	v_cmp_u_f16_e32 vcc, v31, v31
	v_cmp_u_f16_sdwa s[30:31], v22, v22 src0_sel:WORD_1 src1_sel:WORD_1
	v_min_f32_e32 v39, v38, v80
	v_max_f32_e32 v38, v38, v80
	v_cndmask_b32_e32 v39, v39, v37, vcc
	v_cndmask_b32_e32 v38, v38, v37, vcc
	v_cndmask_b32_e64 v39, v39, v80, s[30:31]
	v_cndmask_b32_e64 v38, v38, v80, s[30:31]
	s_movk_i32 s36, 0x1f8
	v_cmp_neq_f32_e32 vcc, v39, v38
	v_cmp_class_f32_e64 s[34:35], v39, s36
	s_or_b64 vcc, vcc, s[34:35]
	s_and_saveexec_b64 s[34:35], vcc
	s_cbranch_execz .LBB428_81
; %bb.80:
	v_sub_f32_e32 v30, v39, v38
	s_mov_b32 s37, 0x3fb8aa3b
	v_mul_f32_e32 v31, 0x3fb8aa3b, v30
	v_fma_f32 v37, v30, s37, -v31
	v_rndne_f32_e32 v39, v31
	v_fmamk_f32 v37, v30, 0x32a5705f, v37
	v_sub_f32_e32 v31, v31, v39
	v_add_f32_e32 v31, v31, v37
	v_exp_f32_e32 v31, v31
	v_cvt_i32_f32_e32 v37, v39
	s_mov_b32 s37, 0xc2ce8ed0
	v_cmp_ngt_f32_e32 vcc, s37, v30
	s_mov_b32 s37, 0x42b17218
	v_ldexp_f32 v31, v31, v37
	v_cndmask_b32_e32 v31, 0, v31, vcc
	v_mov_b32_e32 v37, 0x7f800000
	v_cmp_nlt_f32_e32 vcc, s37, v30
	s_mov_b32 s37, 0x3f2aaaab
	s_mov_b32 s38, 0x7f800000
	v_cndmask_b32_e32 v39, v37, v31, vcc
	v_add_f32_e32 v37, 1.0, v39
	v_add_f32_e32 v30, -1.0, v37
	v_sub_f32_e32 v31, v30, v37
	v_add_f32_e32 v31, 1.0, v31
	v_sub_f32_e32 v30, v39, v30
	v_add_f32_e32 v48, v30, v31
	v_frexp_mant_f32_e32 v49, v37
	v_cvt_f64_f32_e32 v[30:31], v37
	v_frexp_exp_i32_f64_e32 v30, v[30:31]
	v_cmp_gt_f32_e32 vcc, s37, v49
	s_mov_b32 s37, 0x3f317218
	s_nop 0
	v_subbrev_co_u32_e32 v81, vcc, 0, v30, vcc
	v_sub_u32_e32 v30, 0, v81
	v_ldexp_f32 v31, v37, v30
	v_add_f32_e32 v37, -1.0, v31
	v_add_f32_e32 v49, 1.0, v31
	v_ldexp_f32 v30, v48, v30
	v_add_f32_e32 v48, 1.0, v37
	v_add_f32_e32 v50, -1.0, v49
	v_sub_f32_e32 v48, v31, v48
	v_sub_f32_e32 v31, v31, v50
	v_add_f32_e32 v48, v30, v48
	v_add_f32_e32 v30, v30, v31
	;; [unrolled: 1-line block ×3, first 2 shown]
	v_rcp_f32_e32 v86, v84
	v_sub_f32_e32 v31, v49, v84
	v_add_f32_e32 v85, v30, v31
	v_add_f32_e32 v31, v37, v48
	v_sub_f32_e32 v30, v37, v31
	v_mul_f32_e32 v87, v31, v86
	v_add_f32_e32 v37, v48, v30
	v_mul_f32_e32 v48, v84, v87
	v_fma_f32 v50, v87, v84, -v48
	v_fmac_f32_e32 v50, v87, v85
	v_add_f32_e32 v30, v48, v50
	v_sub_f32_e32 v49, v31, v30
	v_pk_add_f32 v[82:83], v[30:31], v[48:49] neg_lo:[0,1] neg_hi:[0,1]
	v_mov_b32_e32 v51, v30
	v_pk_add_f32 v[30:31], v[82:83], v[50:51] neg_lo:[0,1] neg_hi:[0,1]
	v_cmp_eq_f32_e32 vcc, s38, v39
	v_add_f32_e32 v31, v37, v31
	v_add_f32_e32 v30, v30, v31
	;; [unrolled: 1-line block ×3, first 2 shown]
	v_mul_f32_e32 v37, v86, v31
	v_mul_f32_e32 v48, v84, v37
	v_fma_f32 v50, v37, v84, -v48
	v_fmac_f32_e32 v50, v37, v85
	v_sub_f32_e32 v49, v49, v31
	v_add_f32_e32 v84, v30, v49
	v_add_f32_e32 v30, v48, v50
	v_sub_f32_e32 v49, v31, v30
	v_pk_add_f32 v[82:83], v[30:31], v[48:49] neg_lo:[0,1] neg_hi:[0,1]
	v_mov_b32_e32 v51, v30
	v_pk_add_f32 v[30:31], v[82:83], v[50:51] neg_lo:[0,1] neg_hi:[0,1]
	v_cvt_f32_i32_e32 v48, v81
	v_add_f32_e32 v31, v84, v31
	v_add_f32_e32 v30, v30, v31
	;; [unrolled: 1-line block ×4, first 2 shown]
	v_sub_f32_e32 v31, v49, v87
	v_mul_f32_e32 v30, v86, v30
	v_sub_f32_e32 v31, v37, v31
	v_add_f32_e32 v30, v31, v30
	v_add_f32_e32 v37, v49, v30
	v_mul_f32_e32 v50, v37, v37
	v_mov_b32_e32 v31, 0x3ecc95a3
	v_sub_f32_e32 v49, v37, v49
	v_fmac_f32_e32 v31, 0x3e9b6dac, v50
	v_sub_f32_e32 v30, v30, v49
	v_fmaak_f32 v31, v50, v31, 0x3f2aaada
	v_ldexp_f32 v81, v30, 1
	v_mul_f32_e32 v49, v37, v50
	v_mov_b32_e32 v30, 0x3f317218
	v_pk_mul_f32 v[30:31], v[48:49], v[30:31]
	v_ldexp_f32 v51, v37, 1
	v_fma_f32 v37, v48, s37, -v30
	v_fmamk_f32 v50, v48, 0xb102e308, v37
	v_pk_add_f32 v[48:49], v[30:31], v[50:51]
	v_mov_b32_e32 v82, v30
	v_sub_f32_e32 v37, v49, v51
	v_sub_f32_e32 v37, v31, v37
	v_add_f32_e32 v83, v81, v37
	v_pk_add_f32 v[30:31], v[48:49], v[30:31] neg_lo:[0,1] neg_hi:[0,1]
	v_pk_add_f32 v[84:85], v[48:49], v[82:83]
	v_mov_b32_e32 v51, v48
	v_mov_b32_e32 v31, v85
	v_pk_add_f32 v[86:87], v[50:51], v[30:31] neg_lo:[0,1] neg_hi:[0,1]
	v_pk_add_f32 v[30:31], v[50:51], v[30:31]
	v_mov_b32_e32 v82, v83
	v_mov_b32_e32 v50, v31
	v_pk_add_f32 v[96:97], v[50:51], v[48:49] neg_lo:[0,1] neg_hi:[0,1]
	v_mov_b32_e32 v30, v85
	v_mov_b32_e32 v37, v96
	v_pk_add_f32 v[100:101], v[84:85], v[36:37] neg_lo:[0,1] neg_hi:[0,1]
	v_mov_b32_e32 v84, v49
	v_mov_b32_e32 v85, v96
	v_mov_b32_e32 v87, v31
	v_pk_add_f32 v[30:31], v[30:31], v[84:85] neg_lo:[0,1] neg_hi:[0,1]
	v_mov_b32_e32 v83, v48
	v_pk_add_f32 v[30:31], v[82:83], v[30:31] neg_lo:[0,1] neg_hi:[0,1]
	v_mov_b32_e32 v100, v86
	v_pk_add_f32 v[48:49], v[100:101], v[30:31]
	s_mov_b32 s37, 0x33800000
	v_mov_b32_e32 v82, v49
	v_pk_add_f32 v[82:83], v[48:49], v[82:83]
	v_cmp_lt_f32_e64 s[38:39], |v39|, s37
	v_pk_add_f32 v[50:51], v[50:51], v[82:83]
	v_mov_b32_e32 v31, v82
	v_mov_b32_e32 v49, v50
	v_pk_add_f32 v[84:85], v[48:49], v[86:87] neg_lo:[0,1] neg_hi:[0,1]
	s_or_b64 vcc, vcc, s[38:39]
	v_sub_f32_e32 v37, v48, v84
	v_pk_add_f32 v[30:31], v[30:31], v[84:85] neg_lo:[0,1] neg_hi:[0,1]
	v_sub_f32_e32 v37, v86, v37
	v_add_f32_e32 v30, v30, v37
	v_add_f32_e32 v30, v30, v31
	;; [unrolled: 1-line block ×3, first 2 shown]
	v_cndmask_b32_e32 v30, v30, v39, vcc
	v_add_f32_e32 v30, v38, v30
	v_cvt_f16_f32_e32 v31, v30
	v_cvt_f32_f16_e32 v37, v31
	v_mov_b32_e32 v30, v31
.LBB428_81:
	s_or_b64 exec, exec, s[34:35]
	v_cvt_f32_f16_e32 v81, v23
	v_max_f32_e32 v38, v37, v37
	v_cmp_u_f16_e32 vcc, v31, v31
	v_cmp_u_f16_e64 s[34:35], v23, v23
	v_min_f32_e32 v39, v38, v81
	v_max_f32_e32 v38, v38, v81
	v_cndmask_b32_e32 v39, v39, v37, vcc
	v_cndmask_b32_e32 v38, v38, v37, vcc
	v_cndmask_b32_e64 v39, v39, v81, s[34:35]
	v_cndmask_b32_e64 v38, v38, v81, s[34:35]
	v_cmp_neq_f32_e32 vcc, v39, v38
	v_cmp_class_f32_e64 s[36:37], v39, s36
	s_or_b64 vcc, vcc, s[36:37]
	s_and_saveexec_b64 s[36:37], vcc
	s_cbranch_execz .LBB428_83
; %bb.82:
	v_sub_f32_e32 v30, v39, v38
	s_mov_b32 s38, 0x3fb8aa3b
	v_mul_f32_e32 v31, 0x3fb8aa3b, v30
	v_fma_f32 v37, v30, s38, -v31
	v_rndne_f32_e32 v39, v31
	v_fmamk_f32 v37, v30, 0x32a5705f, v37
	v_sub_f32_e32 v31, v31, v39
	v_add_f32_e32 v31, v31, v37
	v_exp_f32_e32 v31, v31
	v_cvt_i32_f32_e32 v37, v39
	s_mov_b32 s38, 0xc2ce8ed0
	v_cmp_ngt_f32_e32 vcc, s38, v30
	s_mov_b32 s38, 0x42b17218
	v_ldexp_f32 v31, v31, v37
	v_cndmask_b32_e32 v31, 0, v31, vcc
	v_mov_b32_e32 v37, 0x7f800000
	v_cmp_nlt_f32_e32 vcc, s38, v30
	s_mov_b32 s38, 0x3f2aaaab
	s_mov_b32 s39, 0x7f800000
	v_cndmask_b32_e32 v39, v37, v31, vcc
	v_add_f32_e32 v37, 1.0, v39
	v_add_f32_e32 v30, -1.0, v37
	v_sub_f32_e32 v31, v30, v37
	v_add_f32_e32 v31, 1.0, v31
	v_sub_f32_e32 v30, v39, v30
	v_add_f32_e32 v48, v30, v31
	v_frexp_mant_f32_e32 v49, v37
	v_cvt_f64_f32_e32 v[30:31], v37
	v_frexp_exp_i32_f64_e32 v30, v[30:31]
	v_cmp_gt_f32_e32 vcc, s38, v49
	s_mov_b32 s38, 0x3f317218
	s_nop 0
	v_subbrev_co_u32_e32 v84, vcc, 0, v30, vcc
	v_sub_u32_e32 v30, 0, v84
	v_ldexp_f32 v31, v37, v30
	v_add_f32_e32 v37, -1.0, v31
	v_add_f32_e32 v49, 1.0, v31
	v_ldexp_f32 v30, v48, v30
	v_add_f32_e32 v48, 1.0, v37
	v_add_f32_e32 v50, -1.0, v49
	v_sub_f32_e32 v48, v31, v48
	v_sub_f32_e32 v31, v31, v50
	v_add_f32_e32 v48, v30, v48
	v_add_f32_e32 v30, v30, v31
	;; [unrolled: 1-line block ×3, first 2 shown]
	v_rcp_f32_e32 v87, v85
	v_sub_f32_e32 v31, v49, v85
	v_add_f32_e32 v86, v30, v31
	v_add_f32_e32 v31, v37, v48
	v_sub_f32_e32 v30, v37, v31
	v_mul_f32_e32 v96, v31, v87
	v_add_f32_e32 v37, v48, v30
	v_mul_f32_e32 v48, v85, v96
	v_fma_f32 v50, v96, v85, -v48
	v_fmac_f32_e32 v50, v96, v86
	v_add_f32_e32 v30, v48, v50
	v_sub_f32_e32 v49, v31, v30
	v_pk_add_f32 v[82:83], v[30:31], v[48:49] neg_lo:[0,1] neg_hi:[0,1]
	v_mov_b32_e32 v51, v30
	v_pk_add_f32 v[30:31], v[82:83], v[50:51] neg_lo:[0,1] neg_hi:[0,1]
	v_cmp_eq_f32_e32 vcc, s39, v39
	v_add_f32_e32 v31, v37, v31
	v_add_f32_e32 v30, v30, v31
	;; [unrolled: 1-line block ×3, first 2 shown]
	v_mul_f32_e32 v37, v87, v31
	v_mul_f32_e32 v48, v85, v37
	v_fma_f32 v50, v37, v85, -v48
	v_fmac_f32_e32 v50, v37, v86
	v_sub_f32_e32 v49, v49, v31
	v_add_f32_e32 v85, v30, v49
	v_add_f32_e32 v30, v48, v50
	v_sub_f32_e32 v49, v31, v30
	v_pk_add_f32 v[82:83], v[30:31], v[48:49] neg_lo:[0,1] neg_hi:[0,1]
	v_mov_b32_e32 v51, v30
	v_pk_add_f32 v[30:31], v[82:83], v[50:51] neg_lo:[0,1] neg_hi:[0,1]
	v_cvt_f32_i32_e32 v48, v84
	v_add_f32_e32 v31, v85, v31
	v_add_f32_e32 v30, v30, v31
	;; [unrolled: 1-line block ×4, first 2 shown]
	v_sub_f32_e32 v31, v49, v96
	v_mul_f32_e32 v30, v87, v30
	v_sub_f32_e32 v31, v37, v31
	v_add_f32_e32 v30, v31, v30
	v_add_f32_e32 v37, v49, v30
	v_mul_f32_e32 v50, v37, v37
	v_mov_b32_e32 v31, 0x3ecc95a3
	v_sub_f32_e32 v49, v37, v49
	v_fmac_f32_e32 v31, 0x3e9b6dac, v50
	v_sub_f32_e32 v30, v30, v49
	v_fmaak_f32 v31, v50, v31, 0x3f2aaada
	v_ldexp_f32 v82, v30, 1
	v_mul_f32_e32 v49, v37, v50
	v_mov_b32_e32 v30, 0x3f317218
	v_pk_mul_f32 v[30:31], v[48:49], v[30:31]
	v_ldexp_f32 v51, v37, 1
	v_fma_f32 v37, v48, s38, -v30
	v_fmamk_f32 v50, v48, 0xb102e308, v37
	v_pk_add_f32 v[48:49], v[30:31], v[50:51]
	s_mov_b32 s38, 0x33800000
	v_sub_f32_e32 v37, v49, v51
	v_sub_f32_e32 v37, v31, v37
	v_add_f32_e32 v83, v82, v37
	v_mov_b32_e32 v82, v30
	v_pk_add_f32 v[30:31], v[48:49], v[30:31] neg_lo:[0,1] neg_hi:[0,1]
	v_pk_add_f32 v[84:85], v[48:49], v[82:83]
	v_mov_b32_e32 v51, v48
	v_mov_b32_e32 v31, v85
	v_pk_add_f32 v[86:87], v[50:51], v[30:31] neg_lo:[0,1] neg_hi:[0,1]
	v_pk_add_f32 v[30:31], v[50:51], v[30:31]
	v_mov_b32_e32 v82, v83
	v_mov_b32_e32 v50, v31
	v_pk_add_f32 v[96:97], v[50:51], v[48:49] neg_lo:[0,1] neg_hi:[0,1]
	v_mov_b32_e32 v30, v85
	v_mov_b32_e32 v37, v96
	v_pk_add_f32 v[100:101], v[84:85], v[36:37] neg_lo:[0,1] neg_hi:[0,1]
	v_mov_b32_e32 v84, v49
	v_mov_b32_e32 v85, v96
	;; [unrolled: 1-line block ×3, first 2 shown]
	v_pk_add_f32 v[30:31], v[30:31], v[84:85] neg_lo:[0,1] neg_hi:[0,1]
	v_mov_b32_e32 v83, v48
	v_pk_add_f32 v[30:31], v[82:83], v[30:31] neg_lo:[0,1] neg_hi:[0,1]
	v_mov_b32_e32 v100, v86
	v_pk_add_f32 v[48:49], v[100:101], v[30:31]
	v_cmp_lt_f32_e64 s[38:39], |v39|, s38
	v_mov_b32_e32 v82, v49
	v_pk_add_f32 v[82:83], v[48:49], v[82:83]
	s_or_b64 vcc, vcc, s[38:39]
	v_pk_add_f32 v[50:51], v[50:51], v[82:83]
	v_mov_b32_e32 v31, v82
	v_mov_b32_e32 v49, v50
	v_pk_add_f32 v[84:85], v[48:49], v[86:87] neg_lo:[0,1] neg_hi:[0,1]
	s_nop 0
	v_sub_f32_e32 v37, v48, v84
	v_pk_add_f32 v[30:31], v[30:31], v[84:85] neg_lo:[0,1] neg_hi:[0,1]
	v_sub_f32_e32 v37, v86, v37
	v_add_f32_e32 v30, v30, v37
	v_add_f32_e32 v30, v30, v31
	;; [unrolled: 1-line block ×3, first 2 shown]
	v_cndmask_b32_e32 v30, v30, v39, vcc
	v_add_f32_e32 v30, v38, v30
	v_cvt_f16_f32_e32 v31, v30
	v_cvt_f32_f16_e32 v37, v31
	v_mov_b32_e32 v30, v31
.LBB428_83:
	s_or_b64 exec, exec, s[36:37]
	v_cvt_f32_f16_sdwa v82, v23 dst_sel:DWORD dst_unused:UNUSED_PAD src0_sel:WORD_1
	v_max_f32_e32 v38, v37, v37
	v_cmp_u_f16_e32 vcc, v31, v31
	v_cmp_u_f16_sdwa s[36:37], v23, v23 src0_sel:WORD_1 src1_sel:WORD_1
	v_min_f32_e32 v39, v38, v82
	v_max_f32_e32 v38, v38, v82
	v_cndmask_b32_e32 v39, v39, v37, vcc
	v_cndmask_b32_e32 v38, v38, v37, vcc
	v_cndmask_b32_e64 v39, v39, v82, s[36:37]
	v_cndmask_b32_e64 v38, v38, v82, s[36:37]
	s_movk_i32 s40, 0x1f8
	v_cmp_neq_f32_e32 vcc, v39, v38
	v_cmp_class_f32_e64 s[38:39], v39, s40
	s_or_b64 vcc, vcc, s[38:39]
	s_and_saveexec_b64 s[38:39], vcc
	s_cbranch_execz .LBB428_85
; %bb.84:
	v_sub_f32_e32 v30, v39, v38
	s_mov_b32 s41, 0x3fb8aa3b
	v_mul_f32_e32 v31, 0x3fb8aa3b, v30
	v_fma_f32 v37, v30, s41, -v31
	v_rndne_f32_e32 v39, v31
	v_fmamk_f32 v37, v30, 0x32a5705f, v37
	v_sub_f32_e32 v31, v31, v39
	v_add_f32_e32 v31, v31, v37
	v_exp_f32_e32 v31, v31
	v_cvt_i32_f32_e32 v37, v39
	s_mov_b32 s41, 0xc2ce8ed0
	v_cmp_ngt_f32_e32 vcc, s41, v30
	s_mov_b32 s41, 0x42b17218
	v_ldexp_f32 v31, v31, v37
	v_cndmask_b32_e32 v31, 0, v31, vcc
	v_mov_b32_e32 v37, 0x7f800000
	v_cmp_nlt_f32_e32 vcc, s41, v30
	s_mov_b32 s41, 0x3f2aaaab
	s_mov_b32 s42, 0x7f800000
	v_cndmask_b32_e32 v39, v37, v31, vcc
	v_add_f32_e32 v37, 1.0, v39
	v_add_f32_e32 v30, -1.0, v37
	v_sub_f32_e32 v31, v30, v37
	v_add_f32_e32 v31, 1.0, v31
	v_sub_f32_e32 v30, v39, v30
	v_add_f32_e32 v48, v30, v31
	v_frexp_mant_f32_e32 v49, v37
	v_cvt_f64_f32_e32 v[30:31], v37
	v_frexp_exp_i32_f64_e32 v30, v[30:31]
	v_cmp_gt_f32_e32 vcc, s41, v49
	s_mov_b32 s41, 0x3f317218
	s_nop 0
	v_subbrev_co_u32_e32 v83, vcc, 0, v30, vcc
	v_sub_u32_e32 v30, 0, v83
	v_ldexp_f32 v31, v37, v30
	v_add_f32_e32 v37, -1.0, v31
	v_add_f32_e32 v49, 1.0, v31
	v_ldexp_f32 v30, v48, v30
	v_add_f32_e32 v48, 1.0, v37
	v_add_f32_e32 v50, -1.0, v49
	v_sub_f32_e32 v48, v31, v48
	v_sub_f32_e32 v31, v31, v50
	v_add_f32_e32 v48, v30, v48
	v_add_f32_e32 v30, v30, v31
	;; [unrolled: 1-line block ×3, first 2 shown]
	v_rcp_f32_e32 v96, v86
	v_sub_f32_e32 v31, v49, v86
	v_add_f32_e32 v87, v30, v31
	v_add_f32_e32 v31, v37, v48
	v_sub_f32_e32 v30, v37, v31
	v_mul_f32_e32 v97, v31, v96
	v_add_f32_e32 v37, v48, v30
	v_mul_f32_e32 v48, v86, v97
	v_fma_f32 v50, v97, v86, -v48
	v_fmac_f32_e32 v50, v97, v87
	v_add_f32_e32 v30, v48, v50
	v_sub_f32_e32 v49, v31, v30
	v_pk_add_f32 v[84:85], v[30:31], v[48:49] neg_lo:[0,1] neg_hi:[0,1]
	v_mov_b32_e32 v51, v30
	v_pk_add_f32 v[30:31], v[84:85], v[50:51] neg_lo:[0,1] neg_hi:[0,1]
	v_cmp_eq_f32_e32 vcc, s42, v39
	v_add_f32_e32 v31, v37, v31
	v_add_f32_e32 v30, v30, v31
	v_add_f32_e32 v31, v49, v30
	v_mul_f32_e32 v37, v96, v31
	v_mul_f32_e32 v48, v86, v37
	v_fma_f32 v50, v37, v86, -v48
	v_fmac_f32_e32 v50, v37, v87
	v_sub_f32_e32 v49, v49, v31
	v_add_f32_e32 v86, v30, v49
	v_add_f32_e32 v30, v48, v50
	v_sub_f32_e32 v49, v31, v30
	v_pk_add_f32 v[84:85], v[30:31], v[48:49] neg_lo:[0,1] neg_hi:[0,1]
	v_mov_b32_e32 v51, v30
	v_pk_add_f32 v[30:31], v[84:85], v[50:51] neg_lo:[0,1] neg_hi:[0,1]
	v_cvt_f32_i32_e32 v48, v83
	v_add_f32_e32 v31, v86, v31
	v_add_f32_e32 v30, v30, v31
	;; [unrolled: 1-line block ×4, first 2 shown]
	v_sub_f32_e32 v31, v49, v97
	v_mul_f32_e32 v30, v96, v30
	v_sub_f32_e32 v31, v37, v31
	v_add_f32_e32 v30, v31, v30
	v_add_f32_e32 v37, v49, v30
	v_mul_f32_e32 v50, v37, v37
	v_mov_b32_e32 v31, 0x3ecc95a3
	v_sub_f32_e32 v49, v37, v49
	v_fmac_f32_e32 v31, 0x3e9b6dac, v50
	v_sub_f32_e32 v30, v30, v49
	v_fmaak_f32 v31, v50, v31, 0x3f2aaada
	v_ldexp_f32 v83, v30, 1
	v_mul_f32_e32 v49, v37, v50
	v_mov_b32_e32 v30, 0x3f317218
	v_pk_mul_f32 v[30:31], v[48:49], v[30:31]
	v_ldexp_f32 v51, v37, 1
	v_fma_f32 v37, v48, s41, -v30
	v_fmamk_f32 v50, v48, 0xb102e308, v37
	v_pk_add_f32 v[48:49], v[30:31], v[50:51]
	v_mov_b32_e32 v84, v30
	v_sub_f32_e32 v37, v49, v51
	v_sub_f32_e32 v37, v31, v37
	v_add_f32_e32 v85, v83, v37
	v_pk_add_f32 v[30:31], v[48:49], v[30:31] neg_lo:[0,1] neg_hi:[0,1]
	v_pk_add_f32 v[86:87], v[48:49], v[84:85]
	v_mov_b32_e32 v51, v48
	v_mov_b32_e32 v31, v87
	v_pk_add_f32 v[96:97], v[50:51], v[30:31] neg_lo:[0,1] neg_hi:[0,1]
	v_pk_add_f32 v[30:31], v[50:51], v[30:31]
	v_mov_b32_e32 v84, v85
	v_mov_b32_e32 v50, v31
	v_pk_add_f32 v[100:101], v[50:51], v[48:49] neg_lo:[0,1] neg_hi:[0,1]
	v_mov_b32_e32 v30, v87
	v_mov_b32_e32 v37, v100
	v_pk_add_f32 v[102:103], v[86:87], v[36:37] neg_lo:[0,1] neg_hi:[0,1]
	v_mov_b32_e32 v86, v49
	v_mov_b32_e32 v87, v100
	;; [unrolled: 1-line block ×3, first 2 shown]
	v_pk_add_f32 v[30:31], v[30:31], v[86:87] neg_lo:[0,1] neg_hi:[0,1]
	v_mov_b32_e32 v85, v48
	v_pk_add_f32 v[30:31], v[84:85], v[30:31] neg_lo:[0,1] neg_hi:[0,1]
	v_mov_b32_e32 v102, v96
	v_pk_add_f32 v[48:49], v[102:103], v[30:31]
	s_mov_b32 s41, 0x33800000
	v_mov_b32_e32 v84, v49
	v_pk_add_f32 v[84:85], v[48:49], v[84:85]
	v_cmp_lt_f32_e64 s[42:43], |v39|, s41
	v_pk_add_f32 v[50:51], v[50:51], v[84:85]
	v_mov_b32_e32 v31, v84
	v_mov_b32_e32 v49, v50
	v_pk_add_f32 v[86:87], v[48:49], v[96:97] neg_lo:[0,1] neg_hi:[0,1]
	s_or_b64 vcc, vcc, s[42:43]
	v_sub_f32_e32 v37, v48, v86
	v_pk_add_f32 v[30:31], v[30:31], v[86:87] neg_lo:[0,1] neg_hi:[0,1]
	v_sub_f32_e32 v37, v96, v37
	v_add_f32_e32 v30, v30, v37
	v_add_f32_e32 v30, v30, v31
	;; [unrolled: 1-line block ×3, first 2 shown]
	v_cndmask_b32_e32 v30, v30, v39, vcc
	v_add_f32_e32 v30, v38, v30
	v_cvt_f16_f32_e32 v31, v30
	v_cvt_f32_f16_e32 v37, v31
	v_mov_b32_e32 v30, v31
.LBB428_85:
	s_or_b64 exec, exec, s[38:39]
	v_cvt_f32_f16_e32 v83, v16
	v_max_f32_e32 v38, v37, v37
	v_cmp_u_f16_e32 vcc, v31, v31
	v_cmp_u_f16_e64 s[38:39], v16, v16
	v_min_f32_e32 v39, v38, v83
	v_max_f32_e32 v38, v38, v83
	v_cndmask_b32_e32 v39, v39, v37, vcc
	v_cndmask_b32_e32 v38, v38, v37, vcc
	v_cndmask_b32_e64 v39, v39, v83, s[38:39]
	v_cndmask_b32_e64 v38, v38, v83, s[38:39]
	v_cmp_neq_f32_e32 vcc, v39, v38
	v_cmp_class_f32_e64 s[40:41], v39, s40
	s_or_b64 vcc, vcc, s[40:41]
	s_and_saveexec_b64 s[40:41], vcc
	s_cbranch_execz .LBB428_87
; %bb.86:
	v_sub_f32_e32 v30, v39, v38
	s_mov_b32 s42, 0x3fb8aa3b
	v_mul_f32_e32 v31, 0x3fb8aa3b, v30
	v_fma_f32 v37, v30, s42, -v31
	v_rndne_f32_e32 v39, v31
	v_fmamk_f32 v37, v30, 0x32a5705f, v37
	v_sub_f32_e32 v31, v31, v39
	v_add_f32_e32 v31, v31, v37
	v_exp_f32_e32 v31, v31
	v_cvt_i32_f32_e32 v37, v39
	s_mov_b32 s42, 0xc2ce8ed0
	v_cmp_ngt_f32_e32 vcc, s42, v30
	s_mov_b32 s42, 0x42b17218
	v_ldexp_f32 v31, v31, v37
	v_cndmask_b32_e32 v31, 0, v31, vcc
	v_mov_b32_e32 v37, 0x7f800000
	v_cmp_nlt_f32_e32 vcc, s42, v30
	s_mov_b32 s42, 0x3f2aaaab
	s_mov_b32 s43, 0x7f800000
	v_cndmask_b32_e32 v39, v37, v31, vcc
	v_add_f32_e32 v37, 1.0, v39
	v_add_f32_e32 v30, -1.0, v37
	v_sub_f32_e32 v31, v30, v37
	v_add_f32_e32 v31, 1.0, v31
	v_sub_f32_e32 v30, v39, v30
	v_add_f32_e32 v48, v30, v31
	v_frexp_mant_f32_e32 v49, v37
	v_cvt_f64_f32_e32 v[30:31], v37
	v_frexp_exp_i32_f64_e32 v30, v[30:31]
	v_cmp_gt_f32_e32 vcc, s42, v49
	s_mov_b32 s42, 0x3f317218
	s_nop 0
	v_subbrev_co_u32_e32 v86, vcc, 0, v30, vcc
	v_sub_u32_e32 v30, 0, v86
	v_ldexp_f32 v31, v37, v30
	v_add_f32_e32 v37, -1.0, v31
	v_add_f32_e32 v49, 1.0, v31
	v_ldexp_f32 v30, v48, v30
	v_add_f32_e32 v48, 1.0, v37
	v_add_f32_e32 v50, -1.0, v49
	v_sub_f32_e32 v48, v31, v48
	v_sub_f32_e32 v31, v31, v50
	v_add_f32_e32 v48, v30, v48
	v_add_f32_e32 v30, v30, v31
	;; [unrolled: 1-line block ×3, first 2 shown]
	v_rcp_f32_e32 v97, v87
	v_sub_f32_e32 v31, v49, v87
	v_add_f32_e32 v96, v30, v31
	v_add_f32_e32 v31, v37, v48
	v_sub_f32_e32 v30, v37, v31
	v_mul_f32_e32 v98, v31, v97
	v_add_f32_e32 v37, v48, v30
	v_mul_f32_e32 v48, v87, v98
	v_fma_f32 v50, v98, v87, -v48
	v_fmac_f32_e32 v50, v98, v96
	v_add_f32_e32 v30, v48, v50
	v_sub_f32_e32 v49, v31, v30
	v_pk_add_f32 v[84:85], v[30:31], v[48:49] neg_lo:[0,1] neg_hi:[0,1]
	v_mov_b32_e32 v51, v30
	v_pk_add_f32 v[30:31], v[84:85], v[50:51] neg_lo:[0,1] neg_hi:[0,1]
	v_cmp_eq_f32_e32 vcc, s43, v39
	v_add_f32_e32 v31, v37, v31
	v_add_f32_e32 v30, v30, v31
	;; [unrolled: 1-line block ×3, first 2 shown]
	v_mul_f32_e32 v37, v97, v31
	v_mul_f32_e32 v48, v87, v37
	v_fma_f32 v50, v37, v87, -v48
	v_fmac_f32_e32 v50, v37, v96
	v_sub_f32_e32 v49, v49, v31
	v_add_f32_e32 v87, v30, v49
	v_add_f32_e32 v30, v48, v50
	v_sub_f32_e32 v49, v31, v30
	v_pk_add_f32 v[84:85], v[30:31], v[48:49] neg_lo:[0,1] neg_hi:[0,1]
	v_mov_b32_e32 v51, v30
	v_pk_add_f32 v[30:31], v[84:85], v[50:51] neg_lo:[0,1] neg_hi:[0,1]
	v_cvt_f32_i32_e32 v48, v86
	v_add_f32_e32 v31, v87, v31
	v_add_f32_e32 v30, v30, v31
	;; [unrolled: 1-line block ×4, first 2 shown]
	v_sub_f32_e32 v31, v49, v98
	v_mul_f32_e32 v30, v97, v30
	v_sub_f32_e32 v31, v37, v31
	v_add_f32_e32 v30, v31, v30
	v_add_f32_e32 v37, v49, v30
	v_mul_f32_e32 v50, v37, v37
	v_mov_b32_e32 v31, 0x3ecc95a3
	v_sub_f32_e32 v49, v37, v49
	v_fmac_f32_e32 v31, 0x3e9b6dac, v50
	v_sub_f32_e32 v30, v30, v49
	v_fmaak_f32 v31, v50, v31, 0x3f2aaada
	v_ldexp_f32 v84, v30, 1
	v_mul_f32_e32 v49, v37, v50
	v_mov_b32_e32 v30, 0x3f317218
	v_pk_mul_f32 v[30:31], v[48:49], v[30:31]
	v_ldexp_f32 v51, v37, 1
	v_fma_f32 v37, v48, s42, -v30
	v_fmamk_f32 v50, v48, 0xb102e308, v37
	v_pk_add_f32 v[48:49], v[30:31], v[50:51]
	s_mov_b32 s42, 0x33800000
	v_sub_f32_e32 v37, v49, v51
	v_sub_f32_e32 v37, v31, v37
	v_add_f32_e32 v85, v84, v37
	v_mov_b32_e32 v84, v30
	v_pk_add_f32 v[30:31], v[48:49], v[30:31] neg_lo:[0,1] neg_hi:[0,1]
	v_pk_add_f32 v[86:87], v[48:49], v[84:85]
	v_mov_b32_e32 v51, v48
	v_mov_b32_e32 v31, v87
	v_pk_add_f32 v[96:97], v[50:51], v[30:31] neg_lo:[0,1] neg_hi:[0,1]
	v_pk_add_f32 v[30:31], v[50:51], v[30:31]
	v_mov_b32_e32 v84, v85
	v_mov_b32_e32 v50, v31
	v_pk_add_f32 v[100:101], v[50:51], v[48:49] neg_lo:[0,1] neg_hi:[0,1]
	v_mov_b32_e32 v30, v87
	v_mov_b32_e32 v37, v100
	v_pk_add_f32 v[102:103], v[86:87], v[36:37] neg_lo:[0,1] neg_hi:[0,1]
	v_mov_b32_e32 v86, v49
	v_mov_b32_e32 v87, v100
	;; [unrolled: 1-line block ×3, first 2 shown]
	v_pk_add_f32 v[30:31], v[30:31], v[86:87] neg_lo:[0,1] neg_hi:[0,1]
	v_mov_b32_e32 v85, v48
	v_pk_add_f32 v[30:31], v[84:85], v[30:31] neg_lo:[0,1] neg_hi:[0,1]
	v_mov_b32_e32 v102, v96
	v_pk_add_f32 v[48:49], v[102:103], v[30:31]
	v_cmp_lt_f32_e64 s[42:43], |v39|, s42
	v_mov_b32_e32 v84, v49
	v_pk_add_f32 v[84:85], v[48:49], v[84:85]
	s_or_b64 vcc, vcc, s[42:43]
	v_pk_add_f32 v[50:51], v[50:51], v[84:85]
	v_mov_b32_e32 v31, v84
	v_mov_b32_e32 v49, v50
	v_pk_add_f32 v[86:87], v[48:49], v[96:97] neg_lo:[0,1] neg_hi:[0,1]
	s_nop 0
	v_sub_f32_e32 v37, v48, v86
	v_pk_add_f32 v[30:31], v[30:31], v[86:87] neg_lo:[0,1] neg_hi:[0,1]
	v_sub_f32_e32 v37, v96, v37
	v_add_f32_e32 v30, v30, v37
	v_add_f32_e32 v30, v30, v31
	v_add_f32_e32 v30, v50, v30
	v_cndmask_b32_e32 v30, v30, v39, vcc
	v_add_f32_e32 v30, v38, v30
	v_cvt_f16_f32_e32 v31, v30
	v_cvt_f32_f16_e32 v37, v31
	v_mov_b32_e32 v30, v31
.LBB428_87:
	s_or_b64 exec, exec, s[40:41]
	v_cvt_f32_f16_sdwa v84, v16 dst_sel:DWORD dst_unused:UNUSED_PAD src0_sel:WORD_1
	v_max_f32_e32 v38, v37, v37
	v_cmp_u_f16_e32 vcc, v31, v31
	v_cmp_u_f16_sdwa s[40:41], v16, v16 src0_sel:WORD_1 src1_sel:WORD_1
	v_min_f32_e32 v39, v38, v84
	v_max_f32_e32 v38, v38, v84
	v_cndmask_b32_e32 v39, v39, v37, vcc
	v_cndmask_b32_e32 v38, v38, v37, vcc
	v_cndmask_b32_e64 v39, v39, v84, s[40:41]
	v_cndmask_b32_e64 v38, v38, v84, s[40:41]
	s_movk_i32 s44, 0x1f8
	v_cmp_neq_f32_e32 vcc, v39, v38
	v_cmp_class_f32_e64 s[42:43], v39, s44
	s_or_b64 vcc, vcc, s[42:43]
	s_and_saveexec_b64 s[42:43], vcc
	s_cbranch_execz .LBB428_89
; %bb.88:
	v_sub_f32_e32 v30, v39, v38
	s_mov_b32 s45, 0x3fb8aa3b
	v_mul_f32_e32 v31, 0x3fb8aa3b, v30
	v_fma_f32 v37, v30, s45, -v31
	v_rndne_f32_e32 v39, v31
	v_fmamk_f32 v37, v30, 0x32a5705f, v37
	v_sub_f32_e32 v31, v31, v39
	v_add_f32_e32 v31, v31, v37
	v_exp_f32_e32 v31, v31
	v_cvt_i32_f32_e32 v37, v39
	s_mov_b32 s45, 0xc2ce8ed0
	v_cmp_ngt_f32_e32 vcc, s45, v30
	s_mov_b32 s45, 0x42b17218
	v_ldexp_f32 v31, v31, v37
	v_cndmask_b32_e32 v31, 0, v31, vcc
	v_mov_b32_e32 v37, 0x7f800000
	v_cmp_nlt_f32_e32 vcc, s45, v30
	s_mov_b32 s45, 0x3f2aaaab
	s_mov_b32 s46, 0x7f800000
	v_cndmask_b32_e32 v39, v37, v31, vcc
	v_add_f32_e32 v37, 1.0, v39
	v_add_f32_e32 v30, -1.0, v37
	v_sub_f32_e32 v31, v30, v37
	v_add_f32_e32 v31, 1.0, v31
	v_sub_f32_e32 v30, v39, v30
	v_add_f32_e32 v48, v30, v31
	v_frexp_mant_f32_e32 v49, v37
	v_cvt_f64_f32_e32 v[30:31], v37
	v_frexp_exp_i32_f64_e32 v30, v[30:31]
	v_cmp_gt_f32_e32 vcc, s45, v49
	s_mov_b32 s45, 0x3f317218
	s_nop 0
	v_subbrev_co_u32_e32 v85, vcc, 0, v30, vcc
	v_sub_u32_e32 v30, 0, v85
	v_ldexp_f32 v31, v37, v30
	v_add_f32_e32 v37, -1.0, v31
	v_add_f32_e32 v49, 1.0, v31
	v_ldexp_f32 v30, v48, v30
	v_add_f32_e32 v48, 1.0, v37
	v_add_f32_e32 v50, -1.0, v49
	v_sub_f32_e32 v48, v31, v48
	v_sub_f32_e32 v31, v31, v50
	v_add_f32_e32 v48, v30, v48
	v_add_f32_e32 v30, v30, v31
	;; [unrolled: 1-line block ×3, first 2 shown]
	v_rcp_f32_e32 v98, v96
	v_sub_f32_e32 v31, v49, v96
	v_add_f32_e32 v97, v30, v31
	v_add_f32_e32 v31, v37, v48
	v_sub_f32_e32 v30, v37, v31
	v_mul_f32_e32 v100, v31, v98
	v_add_f32_e32 v37, v48, v30
	v_mul_f32_e32 v48, v96, v100
	v_fma_f32 v50, v100, v96, -v48
	v_fmac_f32_e32 v50, v100, v97
	v_add_f32_e32 v30, v48, v50
	v_sub_f32_e32 v49, v31, v30
	v_pk_add_f32 v[86:87], v[30:31], v[48:49] neg_lo:[0,1] neg_hi:[0,1]
	v_mov_b32_e32 v51, v30
	v_pk_add_f32 v[30:31], v[86:87], v[50:51] neg_lo:[0,1] neg_hi:[0,1]
	v_cmp_eq_f32_e32 vcc, s46, v39
	v_add_f32_e32 v31, v37, v31
	v_add_f32_e32 v30, v30, v31
	;; [unrolled: 1-line block ×3, first 2 shown]
	v_mul_f32_e32 v37, v98, v31
	v_mul_f32_e32 v48, v96, v37
	v_fma_f32 v50, v37, v96, -v48
	v_fmac_f32_e32 v50, v37, v97
	v_sub_f32_e32 v49, v49, v31
	v_add_f32_e32 v96, v30, v49
	v_add_f32_e32 v30, v48, v50
	v_sub_f32_e32 v49, v31, v30
	v_pk_add_f32 v[86:87], v[30:31], v[48:49] neg_lo:[0,1] neg_hi:[0,1]
	v_mov_b32_e32 v51, v30
	v_pk_add_f32 v[30:31], v[86:87], v[50:51] neg_lo:[0,1] neg_hi:[0,1]
	v_cvt_f32_i32_e32 v48, v85
	v_add_f32_e32 v31, v96, v31
	v_add_f32_e32 v30, v30, v31
	;; [unrolled: 1-line block ×4, first 2 shown]
	v_sub_f32_e32 v31, v49, v100
	v_mul_f32_e32 v30, v98, v30
	v_sub_f32_e32 v31, v37, v31
	v_add_f32_e32 v30, v31, v30
	v_add_f32_e32 v37, v49, v30
	v_mul_f32_e32 v50, v37, v37
	v_mov_b32_e32 v31, 0x3ecc95a3
	v_sub_f32_e32 v49, v37, v49
	v_fmac_f32_e32 v31, 0x3e9b6dac, v50
	v_sub_f32_e32 v30, v30, v49
	v_fmaak_f32 v31, v50, v31, 0x3f2aaada
	v_ldexp_f32 v85, v30, 1
	v_mul_f32_e32 v49, v37, v50
	v_mov_b32_e32 v30, 0x3f317218
	v_pk_mul_f32 v[30:31], v[48:49], v[30:31]
	v_ldexp_f32 v51, v37, 1
	v_fma_f32 v37, v48, s45, -v30
	v_fmamk_f32 v50, v48, 0xb102e308, v37
	v_pk_add_f32 v[48:49], v[30:31], v[50:51]
	v_mov_b32_e32 v86, v30
	v_sub_f32_e32 v37, v49, v51
	v_sub_f32_e32 v37, v31, v37
	v_add_f32_e32 v87, v85, v37
	v_pk_add_f32 v[30:31], v[48:49], v[30:31] neg_lo:[0,1] neg_hi:[0,1]
	v_pk_add_f32 v[96:97], v[48:49], v[86:87]
	v_mov_b32_e32 v51, v48
	v_mov_b32_e32 v31, v97
	v_pk_add_f32 v[100:101], v[50:51], v[30:31] neg_lo:[0,1] neg_hi:[0,1]
	v_pk_add_f32 v[30:31], v[50:51], v[30:31]
	v_mov_b32_e32 v86, v87
	v_mov_b32_e32 v50, v31
	v_pk_add_f32 v[102:103], v[50:51], v[48:49] neg_lo:[0,1] neg_hi:[0,1]
	v_mov_b32_e32 v30, v97
	v_mov_b32_e32 v37, v102
	v_pk_add_f32 v[112:113], v[96:97], v[36:37] neg_lo:[0,1] neg_hi:[0,1]
	v_mov_b32_e32 v96, v49
	v_mov_b32_e32 v97, v102
	;; [unrolled: 1-line block ×3, first 2 shown]
	v_pk_add_f32 v[30:31], v[30:31], v[96:97] neg_lo:[0,1] neg_hi:[0,1]
	v_mov_b32_e32 v87, v48
	v_pk_add_f32 v[30:31], v[86:87], v[30:31] neg_lo:[0,1] neg_hi:[0,1]
	v_mov_b32_e32 v112, v100
	v_pk_add_f32 v[48:49], v[112:113], v[30:31]
	s_mov_b32 s45, 0x33800000
	v_mov_b32_e32 v86, v49
	v_pk_add_f32 v[86:87], v[48:49], v[86:87]
	v_cmp_lt_f32_e64 s[46:47], |v39|, s45
	v_pk_add_f32 v[50:51], v[50:51], v[86:87]
	v_mov_b32_e32 v31, v86
	v_mov_b32_e32 v49, v50
	v_pk_add_f32 v[96:97], v[48:49], v[100:101] neg_lo:[0,1] neg_hi:[0,1]
	s_or_b64 vcc, vcc, s[46:47]
	v_sub_f32_e32 v37, v48, v96
	v_pk_add_f32 v[30:31], v[30:31], v[96:97] neg_lo:[0,1] neg_hi:[0,1]
	v_sub_f32_e32 v37, v100, v37
	v_add_f32_e32 v30, v30, v37
	v_add_f32_e32 v30, v30, v31
	;; [unrolled: 1-line block ×3, first 2 shown]
	v_cndmask_b32_e32 v30, v30, v39, vcc
	v_add_f32_e32 v30, v38, v30
	v_cvt_f16_f32_e32 v31, v30
	v_cvt_f32_f16_e32 v37, v31
	v_mov_b32_e32 v30, v31
.LBB428_89:
	s_or_b64 exec, exec, s[42:43]
	v_cvt_f32_f16_e32 v85, v17
	v_max_f32_e32 v38, v37, v37
	v_cmp_u_f16_e32 vcc, v31, v31
	v_cmp_u_f16_e64 s[42:43], v17, v17
	v_min_f32_e32 v39, v38, v85
	v_max_f32_e32 v38, v38, v85
	v_cndmask_b32_e32 v39, v39, v37, vcc
	v_cndmask_b32_e32 v38, v38, v37, vcc
	v_cndmask_b32_e64 v39, v39, v85, s[42:43]
	v_cndmask_b32_e64 v38, v38, v85, s[42:43]
	v_cmp_neq_f32_e32 vcc, v39, v38
	v_cmp_class_f32_e64 s[44:45], v39, s44
	s_or_b64 vcc, vcc, s[44:45]
	s_and_saveexec_b64 s[44:45], vcc
	s_cbranch_execz .LBB428_91
; %bb.90:
	v_sub_f32_e32 v30, v39, v38
	s_mov_b32 s46, 0x3fb8aa3b
	v_mul_f32_e32 v31, 0x3fb8aa3b, v30
	v_fma_f32 v37, v30, s46, -v31
	v_rndne_f32_e32 v39, v31
	v_fmamk_f32 v37, v30, 0x32a5705f, v37
	v_sub_f32_e32 v31, v31, v39
	v_add_f32_e32 v31, v31, v37
	v_exp_f32_e32 v31, v31
	v_cvt_i32_f32_e32 v37, v39
	s_mov_b32 s46, 0xc2ce8ed0
	v_cmp_ngt_f32_e32 vcc, s46, v30
	s_mov_b32 s46, 0x42b17218
	v_ldexp_f32 v31, v31, v37
	v_cndmask_b32_e32 v31, 0, v31, vcc
	v_mov_b32_e32 v37, 0x7f800000
	v_cmp_nlt_f32_e32 vcc, s46, v30
	s_mov_b32 s46, 0x3f2aaaab
	s_mov_b32 s47, 0x7f800000
	v_cndmask_b32_e32 v39, v37, v31, vcc
	v_add_f32_e32 v37, 1.0, v39
	v_add_f32_e32 v30, -1.0, v37
	v_sub_f32_e32 v31, v30, v37
	v_add_f32_e32 v31, 1.0, v31
	v_sub_f32_e32 v30, v39, v30
	v_add_f32_e32 v48, v30, v31
	v_frexp_mant_f32_e32 v49, v37
	v_cvt_f64_f32_e32 v[30:31], v37
	v_frexp_exp_i32_f64_e32 v30, v[30:31]
	v_cmp_gt_f32_e32 vcc, s46, v49
	s_mov_b32 s46, 0x3f317218
	s_nop 0
	v_subbrev_co_u32_e32 v96, vcc, 0, v30, vcc
	v_sub_u32_e32 v30, 0, v96
	v_ldexp_f32 v31, v37, v30
	v_add_f32_e32 v37, -1.0, v31
	v_add_f32_e32 v49, 1.0, v31
	v_ldexp_f32 v30, v48, v30
	v_add_f32_e32 v48, 1.0, v37
	v_add_f32_e32 v50, -1.0, v49
	v_sub_f32_e32 v48, v31, v48
	v_sub_f32_e32 v31, v31, v50
	v_add_f32_e32 v48, v30, v48
	v_add_f32_e32 v30, v30, v31
	;; [unrolled: 1-line block ×3, first 2 shown]
	v_rcp_f32_e32 v100, v97
	v_sub_f32_e32 v31, v49, v97
	v_add_f32_e32 v98, v30, v31
	v_add_f32_e32 v31, v37, v48
	v_sub_f32_e32 v30, v37, v31
	v_mul_f32_e32 v101, v31, v100
	v_add_f32_e32 v37, v48, v30
	v_mul_f32_e32 v48, v97, v101
	v_fma_f32 v50, v101, v97, -v48
	v_fmac_f32_e32 v50, v101, v98
	v_add_f32_e32 v30, v48, v50
	v_sub_f32_e32 v49, v31, v30
	v_pk_add_f32 v[86:87], v[30:31], v[48:49] neg_lo:[0,1] neg_hi:[0,1]
	v_mov_b32_e32 v51, v30
	v_pk_add_f32 v[30:31], v[86:87], v[50:51] neg_lo:[0,1] neg_hi:[0,1]
	v_cmp_eq_f32_e32 vcc, s47, v39
	v_add_f32_e32 v31, v37, v31
	v_add_f32_e32 v30, v30, v31
	;; [unrolled: 1-line block ×3, first 2 shown]
	v_mul_f32_e32 v37, v100, v31
	v_mul_f32_e32 v48, v97, v37
	v_fma_f32 v50, v37, v97, -v48
	v_fmac_f32_e32 v50, v37, v98
	v_sub_f32_e32 v49, v49, v31
	v_add_f32_e32 v97, v30, v49
	v_add_f32_e32 v30, v48, v50
	v_sub_f32_e32 v49, v31, v30
	v_pk_add_f32 v[86:87], v[30:31], v[48:49] neg_lo:[0,1] neg_hi:[0,1]
	v_mov_b32_e32 v51, v30
	v_pk_add_f32 v[30:31], v[86:87], v[50:51] neg_lo:[0,1] neg_hi:[0,1]
	v_cvt_f32_i32_e32 v48, v96
	v_add_f32_e32 v31, v97, v31
	v_add_f32_e32 v30, v30, v31
	;; [unrolled: 1-line block ×4, first 2 shown]
	v_sub_f32_e32 v31, v49, v101
	v_mul_f32_e32 v30, v100, v30
	v_sub_f32_e32 v31, v37, v31
	v_add_f32_e32 v30, v31, v30
	v_add_f32_e32 v37, v49, v30
	v_mul_f32_e32 v50, v37, v37
	v_mov_b32_e32 v31, 0x3ecc95a3
	v_sub_f32_e32 v49, v37, v49
	v_fmac_f32_e32 v31, 0x3e9b6dac, v50
	v_sub_f32_e32 v30, v30, v49
	v_fmaak_f32 v31, v50, v31, 0x3f2aaada
	v_ldexp_f32 v86, v30, 1
	v_mul_f32_e32 v49, v37, v50
	v_mov_b32_e32 v30, 0x3f317218
	v_pk_mul_f32 v[30:31], v[48:49], v[30:31]
	v_ldexp_f32 v51, v37, 1
	v_fma_f32 v37, v48, s46, -v30
	v_fmamk_f32 v50, v48, 0xb102e308, v37
	v_pk_add_f32 v[48:49], v[30:31], v[50:51]
	s_mov_b32 s46, 0x33800000
	v_sub_f32_e32 v37, v49, v51
	v_sub_f32_e32 v37, v31, v37
	v_add_f32_e32 v87, v86, v37
	v_mov_b32_e32 v86, v30
	v_pk_add_f32 v[30:31], v[48:49], v[30:31] neg_lo:[0,1] neg_hi:[0,1]
	v_pk_add_f32 v[96:97], v[48:49], v[86:87]
	v_mov_b32_e32 v51, v48
	v_mov_b32_e32 v31, v97
	v_pk_add_f32 v[100:101], v[50:51], v[30:31] neg_lo:[0,1] neg_hi:[0,1]
	v_pk_add_f32 v[30:31], v[50:51], v[30:31]
	v_mov_b32_e32 v86, v87
	v_mov_b32_e32 v50, v31
	v_pk_add_f32 v[102:103], v[50:51], v[48:49] neg_lo:[0,1] neg_hi:[0,1]
	v_mov_b32_e32 v30, v97
	v_mov_b32_e32 v37, v102
	v_pk_add_f32 v[112:113], v[96:97], v[36:37] neg_lo:[0,1] neg_hi:[0,1]
	v_mov_b32_e32 v96, v49
	v_mov_b32_e32 v97, v102
	;; [unrolled: 1-line block ×3, first 2 shown]
	v_pk_add_f32 v[30:31], v[30:31], v[96:97] neg_lo:[0,1] neg_hi:[0,1]
	v_mov_b32_e32 v87, v48
	v_pk_add_f32 v[30:31], v[86:87], v[30:31] neg_lo:[0,1] neg_hi:[0,1]
	v_mov_b32_e32 v112, v100
	v_pk_add_f32 v[48:49], v[112:113], v[30:31]
	v_cmp_lt_f32_e64 s[46:47], |v39|, s46
	v_mov_b32_e32 v86, v49
	v_pk_add_f32 v[86:87], v[48:49], v[86:87]
	s_or_b64 vcc, vcc, s[46:47]
	v_pk_add_f32 v[50:51], v[50:51], v[86:87]
	v_mov_b32_e32 v31, v86
	v_mov_b32_e32 v49, v50
	v_pk_add_f32 v[96:97], v[48:49], v[100:101] neg_lo:[0,1] neg_hi:[0,1]
	s_nop 0
	v_sub_f32_e32 v37, v48, v96
	v_pk_add_f32 v[30:31], v[30:31], v[96:97] neg_lo:[0,1] neg_hi:[0,1]
	v_sub_f32_e32 v37, v100, v37
	v_add_f32_e32 v30, v30, v37
	v_add_f32_e32 v30, v30, v31
	;; [unrolled: 1-line block ×3, first 2 shown]
	v_cndmask_b32_e32 v30, v30, v39, vcc
	v_add_f32_e32 v30, v38, v30
	v_cvt_f16_f32_e32 v31, v30
	v_cvt_f32_f16_e32 v37, v31
	v_mov_b32_e32 v30, v31
.LBB428_91:
	s_or_b64 exec, exec, s[44:45]
	v_cvt_f32_f16_sdwa v86, v17 dst_sel:DWORD dst_unused:UNUSED_PAD src0_sel:WORD_1
	v_max_f32_e32 v38, v37, v37
	v_cmp_u_f16_e32 vcc, v31, v31
	v_cmp_u_f16_sdwa s[44:45], v17, v17 src0_sel:WORD_1 src1_sel:WORD_1
	v_min_f32_e32 v39, v38, v86
	v_max_f32_e32 v38, v38, v86
	v_cndmask_b32_e32 v39, v39, v37, vcc
	v_cndmask_b32_e32 v38, v38, v37, vcc
	v_cndmask_b32_e64 v39, v39, v86, s[44:45]
	v_cndmask_b32_e64 v38, v38, v86, s[44:45]
	s_movk_i32 s48, 0x1f8
	v_cmp_neq_f32_e32 vcc, v39, v38
	v_cmp_class_f32_e64 s[46:47], v39, s48
	s_or_b64 vcc, vcc, s[46:47]
	s_and_saveexec_b64 s[46:47], vcc
	s_cbranch_execz .LBB428_93
; %bb.92:
	v_sub_f32_e32 v30, v39, v38
	s_mov_b32 s49, 0x3fb8aa3b
	v_mul_f32_e32 v31, 0x3fb8aa3b, v30
	v_fma_f32 v37, v30, s49, -v31
	v_rndne_f32_e32 v39, v31
	v_fmamk_f32 v37, v30, 0x32a5705f, v37
	v_sub_f32_e32 v31, v31, v39
	v_add_f32_e32 v31, v31, v37
	v_exp_f32_e32 v31, v31
	v_cvt_i32_f32_e32 v37, v39
	s_mov_b32 s49, 0xc2ce8ed0
	v_cmp_ngt_f32_e32 vcc, s49, v30
	s_mov_b32 s49, 0x42b17218
	v_ldexp_f32 v31, v31, v37
	v_cndmask_b32_e32 v31, 0, v31, vcc
	v_mov_b32_e32 v37, 0x7f800000
	v_cmp_nlt_f32_e32 vcc, s49, v30
	s_mov_b32 s49, 0x3f2aaaab
	s_mov_b32 s50, 0x7f800000
	v_cndmask_b32_e32 v39, v37, v31, vcc
	v_add_f32_e32 v37, 1.0, v39
	v_add_f32_e32 v30, -1.0, v37
	v_sub_f32_e32 v31, v30, v37
	v_add_f32_e32 v31, 1.0, v31
	v_sub_f32_e32 v30, v39, v30
	v_add_f32_e32 v48, v30, v31
	v_frexp_mant_f32_e32 v49, v37
	v_cvt_f64_f32_e32 v[30:31], v37
	v_frexp_exp_i32_f64_e32 v30, v[30:31]
	v_cmp_gt_f32_e32 vcc, s49, v49
	s_mov_b32 s49, 0x3f317218
	s_nop 0
	v_subbrev_co_u32_e32 v87, vcc, 0, v30, vcc
	v_sub_u32_e32 v30, 0, v87
	v_ldexp_f32 v31, v37, v30
	v_add_f32_e32 v37, -1.0, v31
	v_add_f32_e32 v49, 1.0, v31
	v_ldexp_f32 v30, v48, v30
	v_add_f32_e32 v48, 1.0, v37
	v_add_f32_e32 v50, -1.0, v49
	v_sub_f32_e32 v48, v31, v48
	v_sub_f32_e32 v31, v31, v50
	v_add_f32_e32 v48, v30, v48
	v_add_f32_e32 v30, v30, v31
	;; [unrolled: 1-line block ×3, first 2 shown]
	v_rcp_f32_e32 v101, v98
	v_sub_f32_e32 v31, v49, v98
	v_add_f32_e32 v100, v30, v31
	v_add_f32_e32 v31, v37, v48
	v_sub_f32_e32 v30, v37, v31
	v_mul_f32_e32 v102, v31, v101
	v_add_f32_e32 v37, v48, v30
	v_mul_f32_e32 v48, v98, v102
	v_fma_f32 v50, v102, v98, -v48
	v_fmac_f32_e32 v50, v102, v100
	v_add_f32_e32 v30, v48, v50
	v_sub_f32_e32 v49, v31, v30
	v_pk_add_f32 v[96:97], v[30:31], v[48:49] neg_lo:[0,1] neg_hi:[0,1]
	v_mov_b32_e32 v51, v30
	v_pk_add_f32 v[30:31], v[96:97], v[50:51] neg_lo:[0,1] neg_hi:[0,1]
	v_cmp_eq_f32_e32 vcc, s50, v39
	v_add_f32_e32 v31, v37, v31
	v_add_f32_e32 v30, v30, v31
	;; [unrolled: 1-line block ×3, first 2 shown]
	v_mul_f32_e32 v37, v101, v31
	v_mul_f32_e32 v48, v98, v37
	v_fma_f32 v50, v37, v98, -v48
	v_fmac_f32_e32 v50, v37, v100
	v_sub_f32_e32 v49, v49, v31
	v_add_f32_e32 v98, v30, v49
	v_add_f32_e32 v30, v48, v50
	v_sub_f32_e32 v49, v31, v30
	v_pk_add_f32 v[96:97], v[30:31], v[48:49] neg_lo:[0,1] neg_hi:[0,1]
	v_mov_b32_e32 v51, v30
	v_pk_add_f32 v[30:31], v[96:97], v[50:51] neg_lo:[0,1] neg_hi:[0,1]
	v_cvt_f32_i32_e32 v48, v87
	v_add_f32_e32 v31, v98, v31
	v_add_f32_e32 v30, v30, v31
	;; [unrolled: 1-line block ×4, first 2 shown]
	v_sub_f32_e32 v31, v49, v102
	v_mul_f32_e32 v30, v101, v30
	v_sub_f32_e32 v31, v37, v31
	v_add_f32_e32 v30, v31, v30
	v_add_f32_e32 v37, v49, v30
	v_mul_f32_e32 v50, v37, v37
	v_mov_b32_e32 v31, 0x3ecc95a3
	v_sub_f32_e32 v49, v37, v49
	v_fmac_f32_e32 v31, 0x3e9b6dac, v50
	v_sub_f32_e32 v30, v30, v49
	v_fmaak_f32 v31, v50, v31, 0x3f2aaada
	v_ldexp_f32 v87, v30, 1
	v_mul_f32_e32 v49, v37, v50
	v_mov_b32_e32 v30, 0x3f317218
	v_pk_mul_f32 v[30:31], v[48:49], v[30:31]
	v_ldexp_f32 v51, v37, 1
	v_fma_f32 v37, v48, s49, -v30
	v_fmamk_f32 v50, v48, 0xb102e308, v37
	v_pk_add_f32 v[48:49], v[30:31], v[50:51]
	v_mov_b32_e32 v96, v30
	v_sub_f32_e32 v37, v49, v51
	v_sub_f32_e32 v37, v31, v37
	v_add_f32_e32 v97, v87, v37
	v_pk_add_f32 v[30:31], v[48:49], v[30:31] neg_lo:[0,1] neg_hi:[0,1]
	v_pk_add_f32 v[100:101], v[48:49], v[96:97]
	v_mov_b32_e32 v51, v48
	v_mov_b32_e32 v31, v101
	v_pk_add_f32 v[102:103], v[50:51], v[30:31] neg_lo:[0,1] neg_hi:[0,1]
	v_pk_add_f32 v[30:31], v[50:51], v[30:31]
	v_mov_b32_e32 v96, v97
	v_mov_b32_e32 v50, v31
	v_pk_add_f32 v[112:113], v[50:51], v[48:49] neg_lo:[0,1] neg_hi:[0,1]
	v_mov_b32_e32 v30, v101
	v_mov_b32_e32 v37, v112
	v_pk_add_f32 v[114:115], v[100:101], v[36:37] neg_lo:[0,1] neg_hi:[0,1]
	v_mov_b32_e32 v100, v49
	v_mov_b32_e32 v101, v112
	;; [unrolled: 1-line block ×3, first 2 shown]
	v_pk_add_f32 v[30:31], v[30:31], v[100:101] neg_lo:[0,1] neg_hi:[0,1]
	v_mov_b32_e32 v97, v48
	v_pk_add_f32 v[30:31], v[96:97], v[30:31] neg_lo:[0,1] neg_hi:[0,1]
	v_mov_b32_e32 v114, v102
	v_pk_add_f32 v[48:49], v[114:115], v[30:31]
	s_mov_b32 s49, 0x33800000
	v_mov_b32_e32 v96, v49
	v_pk_add_f32 v[96:97], v[48:49], v[96:97]
	v_cmp_lt_f32_e64 s[50:51], |v39|, s49
	v_pk_add_f32 v[50:51], v[50:51], v[96:97]
	v_mov_b32_e32 v31, v96
	v_mov_b32_e32 v49, v50
	v_pk_add_f32 v[100:101], v[48:49], v[102:103] neg_lo:[0,1] neg_hi:[0,1]
	s_or_b64 vcc, vcc, s[50:51]
	v_sub_f32_e32 v37, v48, v100
	v_pk_add_f32 v[30:31], v[30:31], v[100:101] neg_lo:[0,1] neg_hi:[0,1]
	v_sub_f32_e32 v37, v102, v37
	v_add_f32_e32 v30, v30, v37
	v_add_f32_e32 v30, v30, v31
	;; [unrolled: 1-line block ×3, first 2 shown]
	v_cndmask_b32_e32 v30, v30, v39, vcc
	v_add_f32_e32 v30, v38, v30
	v_cvt_f16_f32_e32 v31, v30
	v_cvt_f32_f16_e32 v37, v31
	v_mov_b32_e32 v30, v31
.LBB428_93:
	s_or_b64 exec, exec, s[46:47]
	v_cvt_f32_f16_e32 v87, v18
	v_max_f32_e32 v38, v37, v37
	v_cmp_u_f16_e32 vcc, v31, v31
	v_cmp_u_f16_e64 s[46:47], v18, v18
	v_min_f32_e32 v39, v38, v87
	v_max_f32_e32 v38, v38, v87
	v_cndmask_b32_e32 v39, v39, v37, vcc
	v_cndmask_b32_e32 v38, v38, v37, vcc
	v_cndmask_b32_e64 v39, v39, v87, s[46:47]
	v_cndmask_b32_e64 v38, v38, v87, s[46:47]
	v_cmp_neq_f32_e32 vcc, v39, v38
	v_cmp_class_f32_e64 s[48:49], v39, s48
	s_or_b64 vcc, vcc, s[48:49]
	s_and_saveexec_b64 s[48:49], vcc
	s_cbranch_execz .LBB428_95
; %bb.94:
	v_sub_f32_e32 v30, v39, v38
	s_mov_b32 s50, 0x3fb8aa3b
	v_mul_f32_e32 v31, 0x3fb8aa3b, v30
	v_fma_f32 v37, v30, s50, -v31
	v_rndne_f32_e32 v39, v31
	v_fmamk_f32 v37, v30, 0x32a5705f, v37
	v_sub_f32_e32 v31, v31, v39
	v_add_f32_e32 v31, v31, v37
	v_exp_f32_e32 v31, v31
	v_cvt_i32_f32_e32 v37, v39
	s_mov_b32 s50, 0xc2ce8ed0
	v_cmp_ngt_f32_e32 vcc, s50, v30
	s_mov_b32 s50, 0x42b17218
	v_ldexp_f32 v31, v31, v37
	v_cndmask_b32_e32 v31, 0, v31, vcc
	v_mov_b32_e32 v37, 0x7f800000
	v_cmp_nlt_f32_e32 vcc, s50, v30
	s_mov_b32 s50, 0x3f2aaaab
	s_mov_b32 s51, 0x7f800000
	v_cndmask_b32_e32 v39, v37, v31, vcc
	v_add_f32_e32 v37, 1.0, v39
	v_add_f32_e32 v30, -1.0, v37
	v_sub_f32_e32 v31, v30, v37
	v_add_f32_e32 v31, 1.0, v31
	v_sub_f32_e32 v30, v39, v30
	v_add_f32_e32 v48, v30, v31
	v_frexp_mant_f32_e32 v49, v37
	v_cvt_f64_f32_e32 v[30:31], v37
	v_frexp_exp_i32_f64_e32 v30, v[30:31]
	v_cmp_gt_f32_e32 vcc, s50, v49
	s_mov_b32 s50, 0x3f317218
	s_nop 0
	v_subbrev_co_u32_e32 v98, vcc, 0, v30, vcc
	v_sub_u32_e32 v30, 0, v98
	v_ldexp_f32 v31, v37, v30
	v_add_f32_e32 v37, -1.0, v31
	v_add_f32_e32 v49, 1.0, v31
	v_ldexp_f32 v30, v48, v30
	v_add_f32_e32 v48, 1.0, v37
	v_add_f32_e32 v50, -1.0, v49
	v_sub_f32_e32 v48, v31, v48
	v_sub_f32_e32 v31, v31, v50
	v_add_f32_e32 v48, v30, v48
	v_add_f32_e32 v30, v30, v31
	;; [unrolled: 1-line block ×3, first 2 shown]
	v_rcp_f32_e32 v102, v100
	v_sub_f32_e32 v31, v49, v100
	v_add_f32_e32 v101, v30, v31
	v_add_f32_e32 v31, v37, v48
	v_sub_f32_e32 v30, v37, v31
	v_mul_f32_e32 v103, v31, v102
	v_add_f32_e32 v37, v48, v30
	v_mul_f32_e32 v48, v100, v103
	v_fma_f32 v50, v103, v100, -v48
	v_fmac_f32_e32 v50, v103, v101
	v_add_f32_e32 v30, v48, v50
	v_sub_f32_e32 v49, v31, v30
	v_pk_add_f32 v[96:97], v[30:31], v[48:49] neg_lo:[0,1] neg_hi:[0,1]
	v_mov_b32_e32 v51, v30
	v_pk_add_f32 v[30:31], v[96:97], v[50:51] neg_lo:[0,1] neg_hi:[0,1]
	v_cmp_eq_f32_e32 vcc, s51, v39
	v_add_f32_e32 v31, v37, v31
	v_add_f32_e32 v30, v30, v31
	v_add_f32_e32 v31, v49, v30
	v_mul_f32_e32 v37, v102, v31
	v_mul_f32_e32 v48, v100, v37
	v_fma_f32 v50, v37, v100, -v48
	v_fmac_f32_e32 v50, v37, v101
	v_sub_f32_e32 v49, v49, v31
	v_add_f32_e32 v100, v30, v49
	v_add_f32_e32 v30, v48, v50
	v_sub_f32_e32 v49, v31, v30
	v_pk_add_f32 v[96:97], v[30:31], v[48:49] neg_lo:[0,1] neg_hi:[0,1]
	v_mov_b32_e32 v51, v30
	v_pk_add_f32 v[30:31], v[96:97], v[50:51] neg_lo:[0,1] neg_hi:[0,1]
	v_cvt_f32_i32_e32 v48, v98
	v_add_f32_e32 v31, v100, v31
	v_add_f32_e32 v30, v30, v31
	;; [unrolled: 1-line block ×4, first 2 shown]
	v_sub_f32_e32 v31, v49, v103
	v_mul_f32_e32 v30, v102, v30
	v_sub_f32_e32 v31, v37, v31
	v_add_f32_e32 v30, v31, v30
	v_add_f32_e32 v37, v49, v30
	v_mul_f32_e32 v50, v37, v37
	v_mov_b32_e32 v31, 0x3ecc95a3
	v_sub_f32_e32 v49, v37, v49
	v_fmac_f32_e32 v31, 0x3e9b6dac, v50
	v_sub_f32_e32 v30, v30, v49
	v_fmaak_f32 v31, v50, v31, 0x3f2aaada
	v_ldexp_f32 v96, v30, 1
	v_mul_f32_e32 v49, v37, v50
	v_mov_b32_e32 v30, 0x3f317218
	v_pk_mul_f32 v[30:31], v[48:49], v[30:31]
	v_ldexp_f32 v51, v37, 1
	v_fma_f32 v37, v48, s50, -v30
	v_fmamk_f32 v50, v48, 0xb102e308, v37
	v_pk_add_f32 v[48:49], v[30:31], v[50:51]
	s_mov_b32 s50, 0x33800000
	v_sub_f32_e32 v37, v49, v51
	v_sub_f32_e32 v37, v31, v37
	v_add_f32_e32 v97, v96, v37
	v_mov_b32_e32 v96, v30
	v_pk_add_f32 v[30:31], v[48:49], v[30:31] neg_lo:[0,1] neg_hi:[0,1]
	v_pk_add_f32 v[100:101], v[48:49], v[96:97]
	v_mov_b32_e32 v51, v48
	v_mov_b32_e32 v31, v101
	v_pk_add_f32 v[102:103], v[50:51], v[30:31] neg_lo:[0,1] neg_hi:[0,1]
	v_pk_add_f32 v[30:31], v[50:51], v[30:31]
	v_mov_b32_e32 v96, v97
	v_mov_b32_e32 v50, v31
	v_pk_add_f32 v[112:113], v[50:51], v[48:49] neg_lo:[0,1] neg_hi:[0,1]
	v_mov_b32_e32 v30, v101
	v_mov_b32_e32 v37, v112
	v_pk_add_f32 v[114:115], v[100:101], v[36:37] neg_lo:[0,1] neg_hi:[0,1]
	v_mov_b32_e32 v100, v49
	v_mov_b32_e32 v101, v112
	;; [unrolled: 1-line block ×3, first 2 shown]
	v_pk_add_f32 v[30:31], v[30:31], v[100:101] neg_lo:[0,1] neg_hi:[0,1]
	v_mov_b32_e32 v97, v48
	v_pk_add_f32 v[30:31], v[96:97], v[30:31] neg_lo:[0,1] neg_hi:[0,1]
	v_mov_b32_e32 v114, v102
	v_pk_add_f32 v[48:49], v[114:115], v[30:31]
	v_cmp_lt_f32_e64 s[50:51], |v39|, s50
	v_mov_b32_e32 v96, v49
	v_pk_add_f32 v[96:97], v[48:49], v[96:97]
	s_or_b64 vcc, vcc, s[50:51]
	v_pk_add_f32 v[50:51], v[50:51], v[96:97]
	v_mov_b32_e32 v31, v96
	v_mov_b32_e32 v49, v50
	v_pk_add_f32 v[100:101], v[48:49], v[102:103] neg_lo:[0,1] neg_hi:[0,1]
	s_nop 0
	v_sub_f32_e32 v37, v48, v100
	v_pk_add_f32 v[30:31], v[30:31], v[100:101] neg_lo:[0,1] neg_hi:[0,1]
	v_sub_f32_e32 v37, v102, v37
	v_add_f32_e32 v30, v30, v37
	v_add_f32_e32 v30, v30, v31
	;; [unrolled: 1-line block ×3, first 2 shown]
	v_cndmask_b32_e32 v30, v30, v39, vcc
	v_add_f32_e32 v30, v38, v30
	v_cvt_f16_f32_e32 v31, v30
	v_cvt_f32_f16_e32 v37, v31
	v_mov_b32_e32 v30, v31
.LBB428_95:
	s_or_b64 exec, exec, s[48:49]
	v_cvt_f32_f16_sdwa v96, v18 dst_sel:DWORD dst_unused:UNUSED_PAD src0_sel:WORD_1
	v_max_f32_e32 v38, v37, v37
	v_cmp_u_f16_e32 vcc, v31, v31
	v_cmp_u_f16_sdwa s[48:49], v18, v18 src0_sel:WORD_1 src1_sel:WORD_1
	v_min_f32_e32 v39, v38, v96
	v_max_f32_e32 v38, v38, v96
	v_cndmask_b32_e32 v39, v39, v37, vcc
	v_cndmask_b32_e32 v38, v38, v37, vcc
	v_cndmask_b32_e64 v39, v39, v96, s[48:49]
	v_cndmask_b32_e64 v38, v38, v96, s[48:49]
	s_movk_i32 s52, 0x1f8
	v_cmp_neq_f32_e32 vcc, v39, v38
	v_cmp_class_f32_e64 s[50:51], v39, s52
	s_or_b64 vcc, vcc, s[50:51]
	s_and_saveexec_b64 s[50:51], vcc
	s_cbranch_execz .LBB428_97
; %bb.96:
	v_sub_f32_e32 v30, v39, v38
	s_mov_b32 s53, 0x3fb8aa3b
	v_mul_f32_e32 v31, 0x3fb8aa3b, v30
	v_fma_f32 v37, v30, s53, -v31
	v_rndne_f32_e32 v39, v31
	v_fmamk_f32 v37, v30, 0x32a5705f, v37
	v_sub_f32_e32 v31, v31, v39
	v_add_f32_e32 v31, v31, v37
	v_exp_f32_e32 v31, v31
	v_cvt_i32_f32_e32 v37, v39
	s_mov_b32 s53, 0xc2ce8ed0
	v_cmp_ngt_f32_e32 vcc, s53, v30
	s_mov_b32 s53, 0x42b17218
	v_ldexp_f32 v31, v31, v37
	v_cndmask_b32_e32 v31, 0, v31, vcc
	v_mov_b32_e32 v37, 0x7f800000
	v_cmp_nlt_f32_e32 vcc, s53, v30
	s_mov_b32 s53, 0x3f2aaaab
	s_mov_b32 s56, 0x7f800000
	v_cndmask_b32_e32 v39, v37, v31, vcc
	v_add_f32_e32 v37, 1.0, v39
	v_add_f32_e32 v30, -1.0, v37
	v_sub_f32_e32 v31, v30, v37
	v_add_f32_e32 v31, 1.0, v31
	v_sub_f32_e32 v30, v39, v30
	v_add_f32_e32 v48, v30, v31
	v_frexp_mant_f32_e32 v49, v37
	v_cvt_f64_f32_e32 v[30:31], v37
	v_frexp_exp_i32_f64_e32 v30, v[30:31]
	v_cmp_gt_f32_e32 vcc, s53, v49
	s_mov_b32 s53, 0x3f317218
	s_nop 0
	v_subbrev_co_u32_e32 v97, vcc, 0, v30, vcc
	v_sub_u32_e32 v30, 0, v97
	v_ldexp_f32 v31, v37, v30
	v_add_f32_e32 v37, -1.0, v31
	v_add_f32_e32 v49, 1.0, v31
	v_ldexp_f32 v30, v48, v30
	v_add_f32_e32 v48, 1.0, v37
	v_add_f32_e32 v50, -1.0, v49
	v_sub_f32_e32 v48, v31, v48
	v_sub_f32_e32 v31, v31, v50
	v_add_f32_e32 v48, v30, v48
	v_add_f32_e32 v30, v30, v31
	;; [unrolled: 1-line block ×3, first 2 shown]
	v_rcp_f32_e32 v103, v98
	v_sub_f32_e32 v31, v49, v98
	v_add_f32_e32 v102, v30, v31
	v_add_f32_e32 v31, v37, v48
	v_sub_f32_e32 v30, v37, v31
	v_mul_f32_e32 v112, v31, v103
	v_add_f32_e32 v37, v48, v30
	v_mul_f32_e32 v48, v98, v112
	v_fma_f32 v50, v112, v98, -v48
	v_fmac_f32_e32 v50, v112, v102
	v_add_f32_e32 v30, v48, v50
	v_sub_f32_e32 v49, v31, v30
	v_pk_add_f32 v[100:101], v[30:31], v[48:49] neg_lo:[0,1] neg_hi:[0,1]
	v_mov_b32_e32 v51, v30
	v_pk_add_f32 v[30:31], v[100:101], v[50:51] neg_lo:[0,1] neg_hi:[0,1]
	v_cmp_eq_f32_e32 vcc, s56, v39
	v_add_f32_e32 v31, v37, v31
	v_add_f32_e32 v30, v30, v31
	;; [unrolled: 1-line block ×3, first 2 shown]
	v_mul_f32_e32 v37, v103, v31
	v_mul_f32_e32 v48, v98, v37
	v_fma_f32 v50, v37, v98, -v48
	v_fmac_f32_e32 v50, v37, v102
	v_sub_f32_e32 v49, v49, v31
	v_add_f32_e32 v98, v30, v49
	v_add_f32_e32 v30, v48, v50
	v_sub_f32_e32 v49, v31, v30
	v_pk_add_f32 v[100:101], v[30:31], v[48:49] neg_lo:[0,1] neg_hi:[0,1]
	v_mov_b32_e32 v51, v30
	v_pk_add_f32 v[30:31], v[100:101], v[50:51] neg_lo:[0,1] neg_hi:[0,1]
	v_cvt_f32_i32_e32 v48, v97
	v_add_f32_e32 v31, v98, v31
	v_add_f32_e32 v30, v30, v31
	v_add_f32_e32 v30, v49, v30
	v_add_f32_e32 v49, v112, v37
	v_sub_f32_e32 v31, v49, v112
	v_mul_f32_e32 v30, v103, v30
	v_sub_f32_e32 v31, v37, v31
	v_add_f32_e32 v30, v31, v30
	v_add_f32_e32 v37, v49, v30
	v_mul_f32_e32 v50, v37, v37
	v_mov_b32_e32 v31, 0x3ecc95a3
	v_sub_f32_e32 v49, v37, v49
	v_fmac_f32_e32 v31, 0x3e9b6dac, v50
	v_sub_f32_e32 v30, v30, v49
	v_fmaak_f32 v31, v50, v31, 0x3f2aaada
	v_ldexp_f32 v97, v30, 1
	v_mul_f32_e32 v49, v37, v50
	v_mov_b32_e32 v30, 0x3f317218
	v_pk_mul_f32 v[30:31], v[48:49], v[30:31]
	v_ldexp_f32 v51, v37, 1
	v_fma_f32 v37, v48, s53, -v30
	v_fmamk_f32 v50, v48, 0xb102e308, v37
	v_pk_add_f32 v[48:49], v[30:31], v[50:51]
	v_mov_b32_e32 v100, v30
	v_sub_f32_e32 v37, v49, v51
	v_sub_f32_e32 v37, v31, v37
	v_add_f32_e32 v101, v97, v37
	v_pk_add_f32 v[30:31], v[48:49], v[30:31] neg_lo:[0,1] neg_hi:[0,1]
	v_pk_add_f32 v[102:103], v[48:49], v[100:101]
	v_mov_b32_e32 v51, v48
	v_mov_b32_e32 v31, v103
	v_pk_add_f32 v[112:113], v[50:51], v[30:31] neg_lo:[0,1] neg_hi:[0,1]
	v_pk_add_f32 v[30:31], v[50:51], v[30:31]
	v_mov_b32_e32 v100, v101
	v_mov_b32_e32 v50, v31
	v_pk_add_f32 v[114:115], v[50:51], v[48:49] neg_lo:[0,1] neg_hi:[0,1]
	v_mov_b32_e32 v30, v103
	v_mov_b32_e32 v37, v114
	v_pk_add_f32 v[116:117], v[102:103], v[36:37] neg_lo:[0,1] neg_hi:[0,1]
	v_mov_b32_e32 v102, v49
	v_mov_b32_e32 v103, v114
	;; [unrolled: 1-line block ×3, first 2 shown]
	v_pk_add_f32 v[30:31], v[30:31], v[102:103] neg_lo:[0,1] neg_hi:[0,1]
	v_mov_b32_e32 v101, v48
	v_pk_add_f32 v[30:31], v[100:101], v[30:31] neg_lo:[0,1] neg_hi:[0,1]
	v_mov_b32_e32 v116, v112
	v_pk_add_f32 v[48:49], v[116:117], v[30:31]
	s_mov_b32 s53, 0x33800000
	v_mov_b32_e32 v98, v49
	v_pk_add_f32 v[100:101], v[48:49], v[98:99]
	v_cmp_lt_f32_e64 s[56:57], |v39|, s53
	v_pk_add_f32 v[50:51], v[50:51], v[100:101]
	v_mov_b32_e32 v31, v100
	v_mov_b32_e32 v49, v50
	v_pk_add_f32 v[102:103], v[48:49], v[112:113] neg_lo:[0,1] neg_hi:[0,1]
	s_or_b64 vcc, vcc, s[56:57]
	v_sub_f32_e32 v37, v48, v102
	v_pk_add_f32 v[30:31], v[30:31], v[102:103] neg_lo:[0,1] neg_hi:[0,1]
	v_sub_f32_e32 v37, v112, v37
	v_add_f32_e32 v30, v30, v37
	v_add_f32_e32 v30, v30, v31
	;; [unrolled: 1-line block ×3, first 2 shown]
	v_cndmask_b32_e32 v30, v30, v39, vcc
	v_add_f32_e32 v30, v38, v30
	v_cvt_f16_f32_e32 v31, v30
	v_cvt_f32_f16_e32 v37, v31
	v_mov_b32_e32 v30, v31
.LBB428_97:
	s_or_b64 exec, exec, s[50:51]
	v_cvt_f32_f16_e32 v97, v19
	v_max_f32_e32 v38, v37, v37
	v_cmp_u_f16_e32 vcc, v31, v31
	v_cmp_u_f16_e64 s[50:51], v19, v19
	v_min_f32_e32 v39, v38, v97
	v_max_f32_e32 v38, v38, v97
	v_cndmask_b32_e32 v39, v39, v37, vcc
	v_cndmask_b32_e32 v38, v38, v37, vcc
	v_cndmask_b32_e64 v39, v39, v97, s[50:51]
	v_cndmask_b32_e64 v38, v38, v97, s[50:51]
	v_cmp_neq_f32_e32 vcc, v39, v38
	v_cmp_class_f32_e64 s[52:53], v39, s52
	s_or_b64 vcc, vcc, s[52:53]
	s_and_saveexec_b64 s[52:53], vcc
	s_cbranch_execz .LBB428_99
; %bb.98:
	v_sub_f32_e32 v30, v39, v38
	s_mov_b32 s56, 0x3fb8aa3b
	v_mul_f32_e32 v31, 0x3fb8aa3b, v30
	v_fma_f32 v37, v30, s56, -v31
	v_rndne_f32_e32 v39, v31
	v_fmamk_f32 v37, v30, 0x32a5705f, v37
	v_sub_f32_e32 v31, v31, v39
	v_add_f32_e32 v31, v31, v37
	v_exp_f32_e32 v31, v31
	v_cvt_i32_f32_e32 v37, v39
	s_mov_b32 s56, 0xc2ce8ed0
	v_cmp_ngt_f32_e32 vcc, s56, v30
	s_mov_b32 s56, 0x42b17218
	v_ldexp_f32 v31, v31, v37
	v_cndmask_b32_e32 v31, 0, v31, vcc
	v_mov_b32_e32 v37, 0x7f800000
	v_cmp_nlt_f32_e32 vcc, s56, v30
	s_mov_b32 s56, 0x3f2aaaab
	s_mov_b32 s57, 0x7f800000
	v_cndmask_b32_e32 v39, v37, v31, vcc
	v_add_f32_e32 v37, 1.0, v39
	v_add_f32_e32 v30, -1.0, v37
	v_sub_f32_e32 v31, v30, v37
	v_add_f32_e32 v31, 1.0, v31
	v_sub_f32_e32 v30, v39, v30
	v_add_f32_e32 v48, v30, v31
	v_frexp_mant_f32_e32 v49, v37
	v_cvt_f64_f32_e32 v[30:31], v37
	v_frexp_exp_i32_f64_e32 v30, v[30:31]
	v_cmp_gt_f32_e32 vcc, s56, v49
	s_mov_b32 s56, 0x3f317218
	s_nop 0
	v_subbrev_co_u32_e32 v98, vcc, 0, v30, vcc
	v_sub_u32_e32 v30, 0, v98
	v_ldexp_f32 v31, v37, v30
	v_add_f32_e32 v37, -1.0, v31
	v_add_f32_e32 v49, 1.0, v31
	v_ldexp_f32 v30, v48, v30
	v_add_f32_e32 v48, 1.0, v37
	v_add_f32_e32 v50, -1.0, v49
	v_sub_f32_e32 v48, v31, v48
	v_sub_f32_e32 v31, v31, v50
	v_add_f32_e32 v48, v30, v48
	v_add_f32_e32 v30, v30, v31
	v_add_f32_e32 v102, v49, v30
	v_rcp_f32_e32 v112, v102
	v_sub_f32_e32 v31, v49, v102
	v_add_f32_e32 v103, v30, v31
	v_add_f32_e32 v31, v37, v48
	v_sub_f32_e32 v30, v37, v31
	v_mul_f32_e32 v113, v31, v112
	v_add_f32_e32 v37, v48, v30
	v_mul_f32_e32 v48, v102, v113
	v_fma_f32 v50, v113, v102, -v48
	v_fmac_f32_e32 v50, v113, v103
	v_add_f32_e32 v30, v48, v50
	v_sub_f32_e32 v49, v31, v30
	v_pk_add_f32 v[100:101], v[30:31], v[48:49] neg_lo:[0,1] neg_hi:[0,1]
	v_mov_b32_e32 v51, v30
	v_pk_add_f32 v[30:31], v[100:101], v[50:51] neg_lo:[0,1] neg_hi:[0,1]
	v_cmp_eq_f32_e32 vcc, s57, v39
	v_add_f32_e32 v31, v37, v31
	v_add_f32_e32 v30, v30, v31
	;; [unrolled: 1-line block ×3, first 2 shown]
	v_mul_f32_e32 v37, v112, v31
	v_mul_f32_e32 v48, v102, v37
	v_fma_f32 v50, v37, v102, -v48
	v_fmac_f32_e32 v50, v37, v103
	v_sub_f32_e32 v49, v49, v31
	v_add_f32_e32 v102, v30, v49
	v_add_f32_e32 v30, v48, v50
	v_sub_f32_e32 v49, v31, v30
	v_pk_add_f32 v[100:101], v[30:31], v[48:49] neg_lo:[0,1] neg_hi:[0,1]
	v_mov_b32_e32 v51, v30
	v_pk_add_f32 v[30:31], v[100:101], v[50:51] neg_lo:[0,1] neg_hi:[0,1]
	v_cvt_f32_i32_e32 v48, v98
	v_add_f32_e32 v31, v102, v31
	v_add_f32_e32 v30, v30, v31
	;; [unrolled: 1-line block ×4, first 2 shown]
	v_sub_f32_e32 v31, v49, v113
	v_mul_f32_e32 v30, v112, v30
	v_sub_f32_e32 v31, v37, v31
	v_add_f32_e32 v30, v31, v30
	v_add_f32_e32 v37, v49, v30
	v_mul_f32_e32 v50, v37, v37
	v_mov_b32_e32 v31, 0x3ecc95a3
	v_sub_f32_e32 v49, v37, v49
	v_fmac_f32_e32 v31, 0x3e9b6dac, v50
	v_sub_f32_e32 v30, v30, v49
	v_fmaak_f32 v31, v50, v31, 0x3f2aaada
	v_ldexp_f32 v98, v30, 1
	v_mul_f32_e32 v49, v37, v50
	v_mov_b32_e32 v30, 0x3f317218
	v_pk_mul_f32 v[30:31], v[48:49], v[30:31]
	v_ldexp_f32 v51, v37, 1
	v_fma_f32 v37, v48, s56, -v30
	v_fmamk_f32 v50, v48, 0xb102e308, v37
	v_pk_add_f32 v[48:49], v[30:31], v[50:51]
	v_mov_b32_e32 v100, v30
	v_sub_f32_e32 v37, v49, v51
	v_sub_f32_e32 v37, v31, v37
	v_add_f32_e32 v101, v98, v37
	v_pk_add_f32 v[30:31], v[48:49], v[30:31] neg_lo:[0,1] neg_hi:[0,1]
	v_pk_add_f32 v[102:103], v[48:49], v[100:101]
	v_mov_b32_e32 v51, v48
	v_mov_b32_e32 v31, v103
	v_pk_add_f32 v[112:113], v[50:51], v[30:31] neg_lo:[0,1] neg_hi:[0,1]
	v_pk_add_f32 v[30:31], v[50:51], v[30:31]
	v_mov_b32_e32 v100, v101
	v_mov_b32_e32 v50, v31
	v_pk_add_f32 v[114:115], v[50:51], v[48:49] neg_lo:[0,1] neg_hi:[0,1]
	v_mov_b32_e32 v30, v103
	v_mov_b32_e32 v37, v114
	v_pk_add_f32 v[116:117], v[102:103], v[36:37] neg_lo:[0,1] neg_hi:[0,1]
	v_mov_b32_e32 v102, v49
	v_mov_b32_e32 v103, v114
	v_mov_b32_e32 v113, v31
	v_pk_add_f32 v[30:31], v[30:31], v[102:103] neg_lo:[0,1] neg_hi:[0,1]
	v_mov_b32_e32 v101, v48
	v_pk_add_f32 v[30:31], v[100:101], v[30:31] neg_lo:[0,1] neg_hi:[0,1]
	v_mov_b32_e32 v116, v112
	v_pk_add_f32 v[48:49], v[116:117], v[30:31]
	s_mov_b32 s56, 0x33800000
	v_mov_b32_e32 v98, v49
	v_pk_add_f32 v[100:101], v[48:49], v[98:99]
	v_cmp_lt_f32_e64 s[56:57], |v39|, s56
	v_pk_add_f32 v[50:51], v[50:51], v[100:101]
	v_mov_b32_e32 v31, v100
	v_mov_b32_e32 v49, v50
	v_pk_add_f32 v[102:103], v[48:49], v[112:113] neg_lo:[0,1] neg_hi:[0,1]
	s_or_b64 vcc, vcc, s[56:57]
	v_sub_f32_e32 v37, v48, v102
	v_pk_add_f32 v[30:31], v[30:31], v[102:103] neg_lo:[0,1] neg_hi:[0,1]
	v_sub_f32_e32 v37, v112, v37
	v_add_f32_e32 v30, v30, v37
	v_add_f32_e32 v30, v30, v31
	;; [unrolled: 1-line block ×3, first 2 shown]
	v_cndmask_b32_e32 v30, v30, v39, vcc
	v_add_f32_e32 v30, v38, v30
	v_cvt_f16_f32_e32 v31, v30
	v_cvt_f32_f16_e32 v37, v31
	v_mov_b32_e32 v30, v31
.LBB428_99:
	s_or_b64 exec, exec, s[52:53]
	v_cvt_f32_f16_sdwa v98, v19 dst_sel:DWORD dst_unused:UNUSED_PAD src0_sel:WORD_1
	v_max_f32_e32 v39, v37, v37
	v_cmp_u_f16_e32 vcc, v31, v31
	v_cmp_u_f16_sdwa s[52:53], v19, v19 src0_sel:WORD_1 src1_sel:WORD_1
	v_min_f32_e32 v38, v39, v98
	v_cndmask_b32_e32 v31, v38, v37, vcc
	v_cndmask_b32_e64 v38, v31, v98, s[52:53]
	v_max_f32_e32 v31, v39, v98
	v_cndmask_b32_e32 v31, v31, v37, vcc
	v_cndmask_b32_e64 v31, v31, v98, s[52:53]
	s_movk_i32 s56, 0x1f8
	v_cmp_neq_f32_e32 vcc, v38, v31
	v_cmp_class_f32_e64 s[56:57], v38, s56
	s_or_b64 vcc, vcc, s[56:57]
	s_and_saveexec_b64 s[56:57], vcc
	s_cbranch_execz .LBB428_101
; %bb.100:
	v_sub_f32_e32 v30, v38, v31
	s_mov_b32 s58, 0x3fb8aa3b
	v_mul_f32_e32 v37, 0x3fb8aa3b, v30
	v_fma_f32 v38, v30, s58, -v37
	v_rndne_f32_e32 v39, v37
	v_fmamk_f32 v38, v30, 0x32a5705f, v38
	v_sub_f32_e32 v37, v37, v39
	v_add_f32_e32 v37, v37, v38
	v_exp_f32_e32 v37, v37
	v_cvt_i32_f32_e32 v38, v39
	s_mov_b32 s58, 0xc2ce8ed0
	v_cmp_ngt_f32_e32 vcc, s58, v30
	s_mov_b32 s58, 0x42b17218
	v_ldexp_f32 v37, v37, v38
	v_cndmask_b32_e32 v37, 0, v37, vcc
	v_mov_b32_e32 v38, 0x7f800000
	v_cmp_nlt_f32_e32 vcc, s58, v30
	s_mov_b32 s58, 0x3f2aaaab
	s_mov_b32 s59, 0x7f800000
	v_cndmask_b32_e32 v116, v38, v37, vcc
	v_add_f32_e32 v30, 1.0, v116
	v_add_f32_e32 v37, -1.0, v30
	v_sub_f32_e32 v38, v37, v30
	v_add_f32_e32 v38, 1.0, v38
	v_sub_f32_e32 v37, v116, v37
	v_add_f32_e32 v37, v37, v38
	v_frexp_mant_f32_e32 v48, v30
	v_cvt_f64_f32_e32 v[38:39], v30
	v_frexp_exp_i32_f64_e32 v38, v[38:39]
	v_cmp_gt_f32_e32 vcc, s58, v48
	s_mov_b32 s58, 0x3f317218
	s_nop 0
	v_subbrev_co_u32_e32 v102, vcc, 0, v38, vcc
	v_sub_u32_e32 v38, 0, v102
	v_ldexp_f32 v30, v30, v38
	v_ldexp_f32 v37, v37, v38
	v_add_f32_e32 v38, -1.0, v30
	v_add_f32_e32 v39, 1.0, v38
	v_sub_f32_e32 v39, v30, v39
	v_add_f32_e32 v48, v37, v39
	v_add_f32_e32 v39, 1.0, v30
	v_add_f32_e32 v49, -1.0, v39
	v_sub_f32_e32 v30, v30, v49
	v_add_f32_e32 v30, v37, v30
	v_add_f32_e32 v37, v39, v30
	v_rcp_f32_e32 v103, v37
	v_sub_f32_e32 v39, v39, v37
	v_add_f32_e32 v30, v30, v39
	v_add_f32_e32 v39, v38, v48
	v_sub_f32_e32 v38, v38, v39
	v_mul_f32_e32 v113, v39, v103
	v_add_f32_e32 v112, v48, v38
	v_mul_f32_e32 v48, v37, v113
	v_fma_f32 v50, v113, v37, -v48
	v_fmac_f32_e32 v50, v113, v30
	v_add_f32_e32 v38, v48, v50
	v_sub_f32_e32 v49, v39, v38
	v_pk_add_f32 v[100:101], v[38:39], v[48:49] neg_lo:[0,1] neg_hi:[0,1]
	v_mov_b32_e32 v51, v38
	v_pk_add_f32 v[38:39], v[100:101], v[50:51] neg_lo:[0,1] neg_hi:[0,1]
	v_cmp_eq_f32_e32 vcc, s59, v116
	v_add_f32_e32 v39, v112, v39
	v_add_f32_e32 v38, v38, v39
	;; [unrolled: 1-line block ×3, first 2 shown]
	v_mul_f32_e32 v112, v103, v39
	v_mul_f32_e32 v48, v37, v112
	v_fma_f32 v50, v112, v37, -v48
	v_fmac_f32_e32 v50, v112, v30
	v_sub_f32_e32 v30, v49, v39
	v_add_f32_e32 v30, v38, v30
	v_add_f32_e32 v38, v48, v50
	v_sub_f32_e32 v49, v39, v38
	v_pk_add_f32 v[100:101], v[38:39], v[48:49] neg_lo:[0,1] neg_hi:[0,1]
	v_mov_b32_e32 v51, v38
	v_pk_add_f32 v[38:39], v[100:101], v[50:51] neg_lo:[0,1] neg_hi:[0,1]
	v_add_f32_e32 v37, v113, v112
	v_add_f32_e32 v30, v30, v39
	;; [unrolled: 1-line block ×4, first 2 shown]
	v_sub_f32_e32 v38, v37, v113
	v_mul_f32_e32 v30, v103, v30
	v_sub_f32_e32 v38, v112, v38
	v_add_f32_e32 v30, v38, v30
	v_add_f32_e32 v38, v37, v30
	v_cvt_f32_i32_e32 v48, v102
	v_mul_f32_e32 v49, v38, v38
	v_mov_b32_e32 v39, 0x3ecc95a3
	v_fmac_f32_e32 v39, 0x3e9b6dac, v49
	v_fmaak_f32 v39, v49, v39, 0x3f2aaada
	v_sub_f32_e32 v37, v38, v37
	v_ldexp_f32 v51, v38, 1
	v_mul_f32_e32 v49, v38, v49
	v_mov_b32_e32 v38, 0x3f317218
	v_pk_mul_f32 v[38:39], v[48:49], v[38:39]
	v_sub_f32_e32 v30, v30, v37
	v_fma_f32 v37, v48, s58, -v38
	v_fmamk_f32 v50, v48, 0xb102e308, v37
	v_pk_add_f32 v[48:49], v[38:39], v[50:51]
	v_ldexp_f32 v30, v30, 1
	v_sub_f32_e32 v37, v49, v51
	v_sub_f32_e32 v37, v39, v37
	v_add_f32_e32 v101, v30, v37
	v_mov_b32_e32 v100, v38
	v_pk_add_f32 v[38:39], v[48:49], v[38:39] neg_lo:[0,1] neg_hi:[0,1]
	v_pk_add_f32 v[102:103], v[48:49], v[100:101]
	v_mov_b32_e32 v51, v48
	v_mov_b32_e32 v39, v103
	v_pk_add_f32 v[112:113], v[50:51], v[38:39] neg_lo:[0,1] neg_hi:[0,1]
	v_pk_add_f32 v[38:39], v[50:51], v[38:39]
	s_mov_b32 s58, 0x33800000
	v_mov_b32_e32 v30, v39
	v_pk_add_f32 v[50:51], v[30:31], v[48:49] neg_lo:[0,1] neg_hi:[0,1]
	v_mov_b32_e32 v38, v103
	v_mov_b32_e32 v37, v50
	v_pk_add_f32 v[114:115], v[102:103], v[36:37] neg_lo:[0,1] neg_hi:[0,1]
	v_mov_b32_e32 v102, v49
	v_mov_b32_e32 v103, v50
	;; [unrolled: 1-line block ×3, first 2 shown]
	v_pk_add_f32 v[38:39], v[38:39], v[102:103] neg_lo:[0,1] neg_hi:[0,1]
	v_mov_b32_e32 v50, v101
	v_mov_b32_e32 v51, v48
	v_pk_add_f32 v[38:39], v[50:51], v[38:39] neg_lo:[0,1] neg_hi:[0,1]
	v_mov_b32_e32 v114, v112
	v_pk_add_f32 v[48:49], v[114:115], v[38:39]
	v_cmp_lt_f32_e64 s[58:59], |v116|, s58
	v_mov_b32_e32 v50, v49
	v_pk_add_f32 v[50:51], v[48:49], v[50:51]
	s_or_b64 vcc, vcc, s[58:59]
	v_pk_add_f32 v[100:101], v[30:31], v[50:51]
	v_mov_b32_e32 v39, v50
	v_mov_b32_e32 v49, v100
	v_pk_add_f32 v[102:103], v[48:49], v[112:113] neg_lo:[0,1] neg_hi:[0,1]
	s_nop 0
	v_sub_f32_e32 v30, v48, v102
	v_pk_add_f32 v[38:39], v[38:39], v[102:103] neg_lo:[0,1] neg_hi:[0,1]
	v_sub_f32_e32 v30, v112, v30
	v_add_f32_e32 v30, v38, v30
	v_add_f32_e32 v30, v30, v39
	;; [unrolled: 1-line block ×3, first 2 shown]
	v_cndmask_b32_e32 v30, v30, v116, vcc
	v_add_f32_e32 v30, v31, v30
	v_cvt_f16_f32_e32 v30, v30
.LBB428_101:
	s_or_b64 exec, exec, s[56:57]
	v_mbcnt_lo_u32_b32 v31, -1, 0
	v_mbcnt_hi_u32_b32 v37, -1, v31
	v_and_b32_e32 v31, 15, v37
	v_and_b32_e32 v38, 0xffff, v30
	v_cmp_ne_u32_e32 vcc, 0, v31
	s_nop 0
	v_mov_b32_dpp v39, v38 row_shr:1 row_mask:0xf bank_mask:0xf
	s_and_saveexec_b64 s[58:59], vcc
	s_cbranch_execz .LBB428_105
; %bb.102:
	v_cvt_f32_f16_e32 v48, v39
	v_cvt_f32_f16_e32 v49, v30
	v_cmp_u_f16_e32 vcc, v39, v39
	v_cmp_u_f16_e64 s[56:57], v30, v30
	v_min_f32_e32 v38, v48, v49
	v_max_f32_e32 v30, v48, v49
	v_cndmask_b32_e32 v38, v38, v48, vcc
	v_cndmask_b32_e32 v30, v30, v48, vcc
	v_cndmask_b32_e64 v38, v38, v49, s[56:57]
	v_cndmask_b32_e64 v30, v30, v49, s[56:57]
	s_movk_i32 s56, 0x1f8
	v_cmp_neq_f32_e32 vcc, v38, v30
	v_cmp_class_f32_e64 s[56:57], v38, s56
	s_or_b64 vcc, vcc, s[56:57]
	s_and_saveexec_b64 s[56:57], vcc
	s_cbranch_execz .LBB428_104
; %bb.103:
	v_sub_f32_e32 v38, v38, v30
	s_mov_b32 s60, 0x3fb8aa3b
	v_mul_f32_e32 v39, 0x3fb8aa3b, v38
	v_fma_f32 v48, v38, s60, -v39
	v_rndne_f32_e32 v49, v39
	v_fmamk_f32 v48, v38, 0x32a5705f, v48
	v_sub_f32_e32 v39, v39, v49
	v_add_f32_e32 v39, v39, v48
	v_exp_f32_e32 v39, v39
	v_cvt_i32_f32_e32 v48, v49
	s_mov_b32 s60, 0xc2ce8ed0
	v_cmp_ngt_f32_e32 vcc, s60, v38
	s_mov_b32 s60, 0x42b17218
	v_ldexp_f32 v39, v39, v48
	v_cndmask_b32_e32 v39, 0, v39, vcc
	v_mov_b32_e32 v48, 0x7f800000
	v_cmp_nlt_f32_e32 vcc, s60, v38
	s_mov_b32 s60, 0x3f2aaaab
	s_mov_b32 s61, 0x7f800000
	v_cndmask_b32_e32 v118, v48, v39, vcc
	v_add_f32_e32 v48, 1.0, v118
	v_add_f32_e32 v38, -1.0, v48
	v_sub_f32_e32 v39, v38, v48
	v_add_f32_e32 v39, 1.0, v39
	v_sub_f32_e32 v38, v118, v38
	v_add_f32_e32 v49, v38, v39
	v_frexp_mant_f32_e32 v50, v48
	v_cvt_f64_f32_e32 v[38:39], v48
	v_frexp_exp_i32_f64_e32 v38, v[38:39]
	v_cmp_gt_f32_e32 vcc, s60, v50
	s_mov_b32 s60, 0x3f317218
	s_nop 0
	v_subbrev_co_u32_e32 v102, vcc, 0, v38, vcc
	v_sub_u32_e32 v38, 0, v102
	v_ldexp_f32 v39, v48, v38
	v_add_f32_e32 v48, -1.0, v39
	v_add_f32_e32 v50, 1.0, v39
	v_ldexp_f32 v38, v49, v38
	v_add_f32_e32 v49, 1.0, v48
	v_add_f32_e32 v51, -1.0, v50
	v_sub_f32_e32 v49, v39, v49
	v_sub_f32_e32 v39, v39, v51
	v_add_f32_e32 v49, v38, v49
	v_add_f32_e32 v38, v38, v39
	;; [unrolled: 1-line block ×3, first 2 shown]
	v_rcp_f32_e32 v113, v103
	v_sub_f32_e32 v39, v50, v103
	v_add_f32_e32 v112, v38, v39
	v_add_f32_e32 v39, v48, v49
	v_mul_f32_e32 v115, v39, v113
	v_sub_f32_e32 v38, v48, v39
	v_mul_f32_e32 v48, v103, v115
	v_fma_f32 v50, v115, v103, -v48
	v_fmac_f32_e32 v50, v115, v112
	v_add_f32_e32 v114, v49, v38
	v_add_f32_e32 v38, v48, v50
	v_sub_f32_e32 v49, v39, v38
	v_pk_add_f32 v[100:101], v[38:39], v[48:49] neg_lo:[0,1] neg_hi:[0,1]
	v_mov_b32_e32 v51, v38
	v_pk_add_f32 v[38:39], v[100:101], v[50:51] neg_lo:[0,1] neg_hi:[0,1]
	v_cmp_eq_f32_e32 vcc, s61, v118
	v_add_f32_e32 v39, v114, v39
	v_add_f32_e32 v38, v38, v39
	;; [unrolled: 1-line block ×3, first 2 shown]
	v_mul_f32_e32 v114, v113, v39
	v_mul_f32_e32 v48, v103, v114
	v_fma_f32 v50, v114, v103, -v48
	v_fmac_f32_e32 v50, v114, v112
	v_sub_f32_e32 v49, v49, v39
	v_add_f32_e32 v103, v38, v49
	v_add_f32_e32 v38, v48, v50
	v_sub_f32_e32 v49, v39, v38
	v_pk_add_f32 v[100:101], v[38:39], v[48:49] neg_lo:[0,1] neg_hi:[0,1]
	v_mov_b32_e32 v51, v38
	v_pk_add_f32 v[38:39], v[100:101], v[50:51] neg_lo:[0,1] neg_hi:[0,1]
	v_cvt_f32_i32_e32 v48, v102
	v_add_f32_e32 v39, v103, v39
	v_add_f32_e32 v38, v38, v39
	;; [unrolled: 1-line block ×4, first 2 shown]
	v_sub_f32_e32 v39, v49, v115
	v_mul_f32_e32 v38, v113, v38
	v_sub_f32_e32 v39, v114, v39
	v_add_f32_e32 v38, v39, v38
	v_add_f32_e32 v50, v49, v38
	v_mul_f32_e32 v100, v50, v50
	v_mov_b32_e32 v39, 0x3ecc95a3
	v_sub_f32_e32 v49, v50, v49
	v_fmac_f32_e32 v39, 0x3e9b6dac, v100
	v_sub_f32_e32 v38, v38, v49
	v_fmaak_f32 v39, v100, v39, 0x3f2aaada
	v_ldexp_f32 v101, v38, 1
	v_mul_f32_e32 v49, v50, v100
	v_mov_b32_e32 v38, 0x3f317218
	v_pk_mul_f32 v[38:39], v[48:49], v[38:39]
	v_ldexp_f32 v51, v50, 1
	v_fma_f32 v49, v48, s60, -v38
	v_fmamk_f32 v50, v48, 0xb102e308, v49
	v_pk_add_f32 v[48:49], v[38:39], v[50:51]
	v_mov_b32_e32 v100, v38
	v_sub_f32_e32 v51, v49, v51
	v_sub_f32_e32 v51, v39, v51
	v_add_f32_e32 v101, v101, v51
	v_pk_add_f32 v[38:39], v[48:49], v[38:39] neg_lo:[0,1] neg_hi:[0,1]
	v_pk_add_f32 v[102:103], v[48:49], v[100:101]
	v_mov_b32_e32 v51, v48
	v_mov_b32_e32 v39, v103
	v_pk_add_f32 v[112:113], v[50:51], v[38:39] neg_lo:[0,1] neg_hi:[0,1]
	v_pk_add_f32 v[38:39], v[50:51], v[38:39]
	v_mov_b32_e32 v100, v101
	v_mov_b32_e32 v50, v39
	v_pk_add_f32 v[114:115], v[50:51], v[48:49] neg_lo:[0,1] neg_hi:[0,1]
	v_mov_b32_e32 v38, v103
	v_mov_b32_e32 v51, v114
	v_pk_add_f32 v[116:117], v[102:103], v[50:51] neg_lo:[0,1] neg_hi:[0,1]
	v_mov_b32_e32 v102, v49
	v_mov_b32_e32 v103, v114
	;; [unrolled: 1-line block ×3, first 2 shown]
	v_pk_add_f32 v[38:39], v[38:39], v[102:103] neg_lo:[0,1] neg_hi:[0,1]
	v_mov_b32_e32 v101, v48
	v_pk_add_f32 v[38:39], v[100:101], v[38:39] neg_lo:[0,1] neg_hi:[0,1]
	v_mov_b32_e32 v116, v112
	v_pk_add_f32 v[48:49], v[116:117], v[38:39]
	s_mov_b32 s60, 0x33800000
	v_mov_b32_e32 v100, v49
	v_pk_add_f32 v[100:101], v[48:49], v[100:101]
	v_cmp_lt_f32_e64 s[60:61], |v118|, s60
	v_pk_add_f32 v[50:51], v[50:51], v[100:101]
	v_mov_b32_e32 v39, v100
	v_mov_b32_e32 v49, v50
	v_pk_add_f32 v[102:103], v[48:49], v[112:113] neg_lo:[0,1] neg_hi:[0,1]
	s_or_b64 vcc, vcc, s[60:61]
	v_sub_f32_e32 v48, v48, v102
	v_pk_add_f32 v[38:39], v[38:39], v[102:103] neg_lo:[0,1] neg_hi:[0,1]
	v_sub_f32_e32 v48, v112, v48
	v_add_f32_e32 v38, v38, v48
	v_add_f32_e32 v38, v38, v39
	;; [unrolled: 1-line block ×3, first 2 shown]
	v_cndmask_b32_e32 v38, v38, v118, vcc
	v_add_f32_e32 v30, v30, v38
	v_cvt_f16_f32_e32 v39, v30
.LBB428_104:
	s_or_b64 exec, exec, s[56:57]
	v_and_b32_e32 v38, 0xffff, v39
	v_mov_b32_e32 v30, v39
.LBB428_105:
	s_or_b64 exec, exec, s[58:59]
	v_mov_b32_dpp v39, v38 row_shr:2 row_mask:0xf bank_mask:0xf
	v_cmp_lt_u32_e32 vcc, 1, v31
	s_and_saveexec_b64 s[58:59], vcc
	s_cbranch_execz .LBB428_109
; %bb.106:
	v_cvt_f32_f16_e32 v48, v39
	v_cvt_f32_f16_e32 v49, v30
	v_cmp_u_f16_e32 vcc, v39, v39
	v_cmp_u_f16_e64 s[56:57], v30, v30
	v_min_f32_e32 v38, v48, v49
	v_max_f32_e32 v30, v48, v49
	v_cndmask_b32_e32 v38, v38, v48, vcc
	v_cndmask_b32_e32 v30, v30, v48, vcc
	v_cndmask_b32_e64 v38, v38, v49, s[56:57]
	v_cndmask_b32_e64 v30, v30, v49, s[56:57]
	s_movk_i32 s56, 0x1f8
	v_cmp_neq_f32_e32 vcc, v38, v30
	v_cmp_class_f32_e64 s[56:57], v38, s56
	s_or_b64 vcc, vcc, s[56:57]
	s_and_saveexec_b64 s[56:57], vcc
	s_cbranch_execz .LBB428_108
; %bb.107:
	v_sub_f32_e32 v38, v38, v30
	s_mov_b32 s60, 0x3fb8aa3b
	v_mul_f32_e32 v39, 0x3fb8aa3b, v38
	v_fma_f32 v48, v38, s60, -v39
	v_rndne_f32_e32 v49, v39
	v_fmamk_f32 v48, v38, 0x32a5705f, v48
	v_sub_f32_e32 v39, v39, v49
	v_add_f32_e32 v39, v39, v48
	v_exp_f32_e32 v39, v39
	v_cvt_i32_f32_e32 v48, v49
	s_mov_b32 s60, 0xc2ce8ed0
	v_cmp_ngt_f32_e32 vcc, s60, v38
	s_mov_b32 s60, 0x42b17218
	v_ldexp_f32 v39, v39, v48
	v_cndmask_b32_e32 v39, 0, v39, vcc
	v_mov_b32_e32 v48, 0x7f800000
	v_cmp_nlt_f32_e32 vcc, s60, v38
	s_mov_b32 s60, 0x3f2aaaab
	s_mov_b32 s61, 0x7f800000
	v_cndmask_b32_e32 v118, v48, v39, vcc
	v_add_f32_e32 v48, 1.0, v118
	v_add_f32_e32 v38, -1.0, v48
	v_sub_f32_e32 v39, v38, v48
	v_add_f32_e32 v39, 1.0, v39
	v_sub_f32_e32 v38, v118, v38
	v_add_f32_e32 v49, v38, v39
	v_frexp_mant_f32_e32 v50, v48
	v_cvt_f64_f32_e32 v[38:39], v48
	v_frexp_exp_i32_f64_e32 v38, v[38:39]
	v_cmp_gt_f32_e32 vcc, s60, v50
	s_mov_b32 s60, 0x3f317218
	s_nop 0
	v_subbrev_co_u32_e32 v102, vcc, 0, v38, vcc
	v_sub_u32_e32 v38, 0, v102
	v_ldexp_f32 v39, v48, v38
	v_add_f32_e32 v48, -1.0, v39
	v_add_f32_e32 v50, 1.0, v39
	v_ldexp_f32 v38, v49, v38
	v_add_f32_e32 v49, 1.0, v48
	v_add_f32_e32 v51, -1.0, v50
	v_sub_f32_e32 v49, v39, v49
	v_sub_f32_e32 v39, v39, v51
	v_add_f32_e32 v49, v38, v49
	v_add_f32_e32 v38, v38, v39
	;; [unrolled: 1-line block ×3, first 2 shown]
	v_rcp_f32_e32 v113, v103
	v_sub_f32_e32 v39, v50, v103
	v_add_f32_e32 v112, v38, v39
	v_add_f32_e32 v39, v48, v49
	v_mul_f32_e32 v115, v39, v113
	v_sub_f32_e32 v38, v48, v39
	v_mul_f32_e32 v48, v103, v115
	v_fma_f32 v50, v115, v103, -v48
	v_fmac_f32_e32 v50, v115, v112
	v_add_f32_e32 v114, v49, v38
	v_add_f32_e32 v38, v48, v50
	v_sub_f32_e32 v49, v39, v38
	v_pk_add_f32 v[100:101], v[38:39], v[48:49] neg_lo:[0,1] neg_hi:[0,1]
	v_mov_b32_e32 v51, v38
	v_pk_add_f32 v[38:39], v[100:101], v[50:51] neg_lo:[0,1] neg_hi:[0,1]
	v_cmp_eq_f32_e32 vcc, s61, v118
	v_add_f32_e32 v39, v114, v39
	v_add_f32_e32 v38, v38, v39
	;; [unrolled: 1-line block ×3, first 2 shown]
	v_mul_f32_e32 v114, v113, v39
	v_mul_f32_e32 v48, v103, v114
	v_fma_f32 v50, v114, v103, -v48
	v_fmac_f32_e32 v50, v114, v112
	v_sub_f32_e32 v49, v49, v39
	v_add_f32_e32 v103, v38, v49
	v_add_f32_e32 v38, v48, v50
	v_sub_f32_e32 v49, v39, v38
	v_pk_add_f32 v[100:101], v[38:39], v[48:49] neg_lo:[0,1] neg_hi:[0,1]
	v_mov_b32_e32 v51, v38
	v_pk_add_f32 v[38:39], v[100:101], v[50:51] neg_lo:[0,1] neg_hi:[0,1]
	v_cvt_f32_i32_e32 v48, v102
	v_add_f32_e32 v39, v103, v39
	v_add_f32_e32 v38, v38, v39
	;; [unrolled: 1-line block ×4, first 2 shown]
	v_sub_f32_e32 v39, v49, v115
	v_mul_f32_e32 v38, v113, v38
	v_sub_f32_e32 v39, v114, v39
	v_add_f32_e32 v38, v39, v38
	v_add_f32_e32 v50, v49, v38
	v_mul_f32_e32 v100, v50, v50
	v_mov_b32_e32 v39, 0x3ecc95a3
	v_sub_f32_e32 v49, v50, v49
	v_fmac_f32_e32 v39, 0x3e9b6dac, v100
	v_sub_f32_e32 v38, v38, v49
	v_fmaak_f32 v39, v100, v39, 0x3f2aaada
	v_ldexp_f32 v101, v38, 1
	v_mul_f32_e32 v49, v50, v100
	v_mov_b32_e32 v38, 0x3f317218
	v_pk_mul_f32 v[38:39], v[48:49], v[38:39]
	v_ldexp_f32 v51, v50, 1
	v_fma_f32 v49, v48, s60, -v38
	v_fmamk_f32 v50, v48, 0xb102e308, v49
	v_pk_add_f32 v[48:49], v[38:39], v[50:51]
	v_mov_b32_e32 v100, v38
	v_sub_f32_e32 v51, v49, v51
	v_sub_f32_e32 v51, v39, v51
	v_add_f32_e32 v101, v101, v51
	v_pk_add_f32 v[38:39], v[48:49], v[38:39] neg_lo:[0,1] neg_hi:[0,1]
	v_pk_add_f32 v[102:103], v[48:49], v[100:101]
	v_mov_b32_e32 v51, v48
	v_mov_b32_e32 v39, v103
	v_pk_add_f32 v[112:113], v[50:51], v[38:39] neg_lo:[0,1] neg_hi:[0,1]
	v_pk_add_f32 v[38:39], v[50:51], v[38:39]
	v_mov_b32_e32 v100, v101
	v_mov_b32_e32 v50, v39
	v_pk_add_f32 v[114:115], v[50:51], v[48:49] neg_lo:[0,1] neg_hi:[0,1]
	v_mov_b32_e32 v38, v103
	v_mov_b32_e32 v51, v114
	v_pk_add_f32 v[116:117], v[102:103], v[50:51] neg_lo:[0,1] neg_hi:[0,1]
	v_mov_b32_e32 v102, v49
	v_mov_b32_e32 v103, v114
	;; [unrolled: 1-line block ×3, first 2 shown]
	v_pk_add_f32 v[38:39], v[38:39], v[102:103] neg_lo:[0,1] neg_hi:[0,1]
	v_mov_b32_e32 v101, v48
	v_pk_add_f32 v[38:39], v[100:101], v[38:39] neg_lo:[0,1] neg_hi:[0,1]
	v_mov_b32_e32 v116, v112
	v_pk_add_f32 v[48:49], v[116:117], v[38:39]
	s_mov_b32 s60, 0x33800000
	v_mov_b32_e32 v100, v49
	v_pk_add_f32 v[100:101], v[48:49], v[100:101]
	v_cmp_lt_f32_e64 s[60:61], |v118|, s60
	v_pk_add_f32 v[50:51], v[50:51], v[100:101]
	v_mov_b32_e32 v39, v100
	v_mov_b32_e32 v49, v50
	v_pk_add_f32 v[102:103], v[48:49], v[112:113] neg_lo:[0,1] neg_hi:[0,1]
	s_or_b64 vcc, vcc, s[60:61]
	v_sub_f32_e32 v48, v48, v102
	v_pk_add_f32 v[38:39], v[38:39], v[102:103] neg_lo:[0,1] neg_hi:[0,1]
	v_sub_f32_e32 v48, v112, v48
	v_add_f32_e32 v38, v38, v48
	v_add_f32_e32 v38, v38, v39
	;; [unrolled: 1-line block ×3, first 2 shown]
	v_cndmask_b32_e32 v38, v38, v118, vcc
	v_add_f32_e32 v30, v30, v38
	v_cvt_f16_f32_e32 v39, v30
.LBB428_108:
	s_or_b64 exec, exec, s[56:57]
	v_and_b32_e32 v38, 0xffff, v39
	v_mov_b32_e32 v30, v39
.LBB428_109:
	s_or_b64 exec, exec, s[58:59]
	v_mov_b32_dpp v39, v38 row_shr:4 row_mask:0xf bank_mask:0xf
	v_cmp_lt_u32_e32 vcc, 3, v31
	s_and_saveexec_b64 s[58:59], vcc
	s_cbranch_execz .LBB428_113
; %bb.110:
	v_cvt_f32_f16_e32 v48, v39
	v_cvt_f32_f16_e32 v49, v30
	v_cmp_u_f16_e32 vcc, v39, v39
	v_cmp_u_f16_e64 s[56:57], v30, v30
	v_min_f32_e32 v38, v48, v49
	v_max_f32_e32 v30, v48, v49
	v_cndmask_b32_e32 v38, v38, v48, vcc
	v_cndmask_b32_e32 v30, v30, v48, vcc
	v_cndmask_b32_e64 v38, v38, v49, s[56:57]
	v_cndmask_b32_e64 v30, v30, v49, s[56:57]
	s_movk_i32 s56, 0x1f8
	v_cmp_neq_f32_e32 vcc, v38, v30
	v_cmp_class_f32_e64 s[56:57], v38, s56
	s_or_b64 vcc, vcc, s[56:57]
	s_and_saveexec_b64 s[56:57], vcc
	s_cbranch_execz .LBB428_112
; %bb.111:
	v_sub_f32_e32 v38, v38, v30
	s_mov_b32 s60, 0x3fb8aa3b
	v_mul_f32_e32 v39, 0x3fb8aa3b, v38
	v_fma_f32 v48, v38, s60, -v39
	v_rndne_f32_e32 v49, v39
	v_fmamk_f32 v48, v38, 0x32a5705f, v48
	v_sub_f32_e32 v39, v39, v49
	v_add_f32_e32 v39, v39, v48
	v_exp_f32_e32 v39, v39
	v_cvt_i32_f32_e32 v48, v49
	s_mov_b32 s60, 0xc2ce8ed0
	v_cmp_ngt_f32_e32 vcc, s60, v38
	s_mov_b32 s60, 0x42b17218
	v_ldexp_f32 v39, v39, v48
	v_cndmask_b32_e32 v39, 0, v39, vcc
	v_mov_b32_e32 v48, 0x7f800000
	v_cmp_nlt_f32_e32 vcc, s60, v38
	s_mov_b32 s60, 0x3f2aaaab
	s_mov_b32 s61, 0x7f800000
	v_cndmask_b32_e32 v118, v48, v39, vcc
	v_add_f32_e32 v48, 1.0, v118
	v_add_f32_e32 v38, -1.0, v48
	v_sub_f32_e32 v39, v38, v48
	v_add_f32_e32 v39, 1.0, v39
	v_sub_f32_e32 v38, v118, v38
	v_add_f32_e32 v49, v38, v39
	v_frexp_mant_f32_e32 v50, v48
	v_cvt_f64_f32_e32 v[38:39], v48
	v_frexp_exp_i32_f64_e32 v38, v[38:39]
	v_cmp_gt_f32_e32 vcc, s60, v50
	s_mov_b32 s60, 0x3f317218
	s_nop 0
	v_subbrev_co_u32_e32 v102, vcc, 0, v38, vcc
	v_sub_u32_e32 v38, 0, v102
	v_ldexp_f32 v39, v48, v38
	v_add_f32_e32 v48, -1.0, v39
	v_add_f32_e32 v50, 1.0, v39
	v_ldexp_f32 v38, v49, v38
	v_add_f32_e32 v49, 1.0, v48
	v_add_f32_e32 v51, -1.0, v50
	v_sub_f32_e32 v49, v39, v49
	v_sub_f32_e32 v39, v39, v51
	v_add_f32_e32 v49, v38, v49
	v_add_f32_e32 v38, v38, v39
	;; [unrolled: 1-line block ×3, first 2 shown]
	v_rcp_f32_e32 v113, v103
	v_sub_f32_e32 v39, v50, v103
	v_add_f32_e32 v112, v38, v39
	v_add_f32_e32 v39, v48, v49
	v_mul_f32_e32 v115, v39, v113
	v_sub_f32_e32 v38, v48, v39
	v_mul_f32_e32 v48, v103, v115
	v_fma_f32 v50, v115, v103, -v48
	v_fmac_f32_e32 v50, v115, v112
	v_add_f32_e32 v114, v49, v38
	v_add_f32_e32 v38, v48, v50
	v_sub_f32_e32 v49, v39, v38
	v_pk_add_f32 v[100:101], v[38:39], v[48:49] neg_lo:[0,1] neg_hi:[0,1]
	v_mov_b32_e32 v51, v38
	v_pk_add_f32 v[38:39], v[100:101], v[50:51] neg_lo:[0,1] neg_hi:[0,1]
	v_cmp_eq_f32_e32 vcc, s61, v118
	v_add_f32_e32 v39, v114, v39
	v_add_f32_e32 v38, v38, v39
	;; [unrolled: 1-line block ×3, first 2 shown]
	v_mul_f32_e32 v114, v113, v39
	v_mul_f32_e32 v48, v103, v114
	v_fma_f32 v50, v114, v103, -v48
	v_fmac_f32_e32 v50, v114, v112
	v_sub_f32_e32 v49, v49, v39
	v_add_f32_e32 v103, v38, v49
	v_add_f32_e32 v38, v48, v50
	v_sub_f32_e32 v49, v39, v38
	v_pk_add_f32 v[100:101], v[38:39], v[48:49] neg_lo:[0,1] neg_hi:[0,1]
	v_mov_b32_e32 v51, v38
	v_pk_add_f32 v[38:39], v[100:101], v[50:51] neg_lo:[0,1] neg_hi:[0,1]
	v_cvt_f32_i32_e32 v48, v102
	v_add_f32_e32 v39, v103, v39
	v_add_f32_e32 v38, v38, v39
	;; [unrolled: 1-line block ×4, first 2 shown]
	v_sub_f32_e32 v39, v49, v115
	v_mul_f32_e32 v38, v113, v38
	v_sub_f32_e32 v39, v114, v39
	v_add_f32_e32 v38, v39, v38
	v_add_f32_e32 v50, v49, v38
	v_mul_f32_e32 v100, v50, v50
	v_mov_b32_e32 v39, 0x3ecc95a3
	v_sub_f32_e32 v49, v50, v49
	v_fmac_f32_e32 v39, 0x3e9b6dac, v100
	v_sub_f32_e32 v38, v38, v49
	v_fmaak_f32 v39, v100, v39, 0x3f2aaada
	v_ldexp_f32 v101, v38, 1
	v_mul_f32_e32 v49, v50, v100
	v_mov_b32_e32 v38, 0x3f317218
	v_pk_mul_f32 v[38:39], v[48:49], v[38:39]
	v_ldexp_f32 v51, v50, 1
	v_fma_f32 v49, v48, s60, -v38
	v_fmamk_f32 v50, v48, 0xb102e308, v49
	v_pk_add_f32 v[48:49], v[38:39], v[50:51]
	v_mov_b32_e32 v100, v38
	v_sub_f32_e32 v51, v49, v51
	v_sub_f32_e32 v51, v39, v51
	v_add_f32_e32 v101, v101, v51
	v_pk_add_f32 v[38:39], v[48:49], v[38:39] neg_lo:[0,1] neg_hi:[0,1]
	v_pk_add_f32 v[102:103], v[48:49], v[100:101]
	v_mov_b32_e32 v51, v48
	v_mov_b32_e32 v39, v103
	v_pk_add_f32 v[112:113], v[50:51], v[38:39] neg_lo:[0,1] neg_hi:[0,1]
	v_pk_add_f32 v[38:39], v[50:51], v[38:39]
	v_mov_b32_e32 v100, v101
	v_mov_b32_e32 v50, v39
	v_pk_add_f32 v[114:115], v[50:51], v[48:49] neg_lo:[0,1] neg_hi:[0,1]
	v_mov_b32_e32 v38, v103
	v_mov_b32_e32 v51, v114
	v_pk_add_f32 v[116:117], v[102:103], v[50:51] neg_lo:[0,1] neg_hi:[0,1]
	v_mov_b32_e32 v102, v49
	v_mov_b32_e32 v103, v114
	;; [unrolled: 1-line block ×3, first 2 shown]
	v_pk_add_f32 v[38:39], v[38:39], v[102:103] neg_lo:[0,1] neg_hi:[0,1]
	v_mov_b32_e32 v101, v48
	v_pk_add_f32 v[38:39], v[100:101], v[38:39] neg_lo:[0,1] neg_hi:[0,1]
	v_mov_b32_e32 v116, v112
	v_pk_add_f32 v[48:49], v[116:117], v[38:39]
	s_mov_b32 s60, 0x33800000
	v_mov_b32_e32 v100, v49
	v_pk_add_f32 v[100:101], v[48:49], v[100:101]
	v_cmp_lt_f32_e64 s[60:61], |v118|, s60
	v_pk_add_f32 v[50:51], v[50:51], v[100:101]
	v_mov_b32_e32 v39, v100
	v_mov_b32_e32 v49, v50
	v_pk_add_f32 v[102:103], v[48:49], v[112:113] neg_lo:[0,1] neg_hi:[0,1]
	s_or_b64 vcc, vcc, s[60:61]
	v_sub_f32_e32 v48, v48, v102
	v_pk_add_f32 v[38:39], v[38:39], v[102:103] neg_lo:[0,1] neg_hi:[0,1]
	v_sub_f32_e32 v48, v112, v48
	v_add_f32_e32 v38, v38, v48
	v_add_f32_e32 v38, v38, v39
	;; [unrolled: 1-line block ×3, first 2 shown]
	v_cndmask_b32_e32 v38, v38, v118, vcc
	v_add_f32_e32 v30, v30, v38
	v_cvt_f16_f32_e32 v39, v30
.LBB428_112:
	s_or_b64 exec, exec, s[56:57]
	v_and_b32_e32 v38, 0xffff, v39
	v_mov_b32_e32 v30, v39
.LBB428_113:
	s_or_b64 exec, exec, s[58:59]
	v_mov_b32_dpp v39, v38 row_shr:8 row_mask:0xf bank_mask:0xf
	v_cmp_lt_u32_e32 vcc, 7, v31
	s_and_saveexec_b64 s[58:59], vcc
	s_cbranch_execz .LBB428_117
; %bb.114:
	v_cvt_f32_f16_e32 v38, v39
	v_cvt_f32_f16_e32 v48, v30
	v_cmp_u_f16_e32 vcc, v39, v39
	v_cmp_u_f16_e64 s[56:57], v30, v30
	v_min_f32_e32 v31, v38, v48
	v_max_f32_e32 v30, v38, v48
	v_cndmask_b32_e32 v31, v31, v38, vcc
	v_cndmask_b32_e32 v30, v30, v38, vcc
	v_cndmask_b32_e64 v31, v31, v48, s[56:57]
	v_cndmask_b32_e64 v30, v30, v48, s[56:57]
	s_movk_i32 s56, 0x1f8
	v_cmp_neq_f32_e32 vcc, v31, v30
	v_cmp_class_f32_e64 s[56:57], v31, s56
	s_or_b64 vcc, vcc, s[56:57]
	s_and_saveexec_b64 s[56:57], vcc
	s_cbranch_execz .LBB428_116
; %bb.115:
	v_sub_f32_e32 v31, v31, v30
	s_mov_b32 s60, 0x3fb8aa3b
	v_mul_f32_e32 v38, 0x3fb8aa3b, v31
	v_fma_f32 v39, v31, s60, -v38
	v_rndne_f32_e32 v48, v38
	v_fmamk_f32 v39, v31, 0x32a5705f, v39
	v_sub_f32_e32 v38, v38, v48
	v_add_f32_e32 v38, v38, v39
	v_exp_f32_e32 v38, v38
	v_cvt_i32_f32_e32 v39, v48
	s_mov_b32 s60, 0xc2ce8ed0
	v_cmp_ngt_f32_e32 vcc, s60, v31
	s_mov_b32 s60, 0x42b17218
	v_ldexp_f32 v38, v38, v39
	v_cndmask_b32_e32 v38, 0, v38, vcc
	v_mov_b32_e32 v39, 0x7f800000
	v_cmp_nlt_f32_e32 vcc, s60, v31
	s_mov_b32 s60, 0x3f2aaaab
	s_mov_b32 s61, 0x7f800000
	v_cndmask_b32_e32 v118, v39, v38, vcc
	v_add_f32_e32 v31, 1.0, v118
	v_add_f32_e32 v38, -1.0, v31
	v_sub_f32_e32 v39, v38, v31
	v_add_f32_e32 v39, 1.0, v39
	v_sub_f32_e32 v38, v118, v38
	v_add_f32_e32 v48, v38, v39
	v_frexp_mant_f32_e32 v49, v31
	v_cvt_f64_f32_e32 v[38:39], v31
	v_frexp_exp_i32_f64_e32 v38, v[38:39]
	v_cmp_gt_f32_e32 vcc, s60, v49
	s_mov_b32 s60, 0x3f317218
	s_nop 0
	v_subbrev_co_u32_e32 v102, vcc, 0, v38, vcc
	v_sub_u32_e32 v38, 0, v102
	v_ldexp_f32 v31, v31, v38
	v_ldexp_f32 v38, v48, v38
	v_add_f32_e32 v48, -1.0, v31
	v_add_f32_e32 v39, 1.0, v48
	v_sub_f32_e32 v39, v31, v39
	v_add_f32_e32 v49, v38, v39
	v_add_f32_e32 v39, 1.0, v31
	v_add_f32_e32 v50, -1.0, v39
	v_sub_f32_e32 v31, v31, v50
	v_add_f32_e32 v31, v38, v31
	v_add_f32_e32 v103, v39, v31
	v_rcp_f32_e32 v112, v103
	v_sub_f32_e32 v38, v39, v103
	v_add_f32_e32 v39, v48, v49
	v_add_f32_e32 v31, v31, v38
	v_mul_f32_e32 v114, v39, v112
	v_sub_f32_e32 v38, v48, v39
	v_mul_f32_e32 v48, v103, v114
	v_fma_f32 v50, v114, v103, -v48
	v_fmac_f32_e32 v50, v114, v31
	v_add_f32_e32 v113, v49, v38
	v_add_f32_e32 v38, v48, v50
	v_sub_f32_e32 v49, v39, v38
	v_pk_add_f32 v[100:101], v[38:39], v[48:49] neg_lo:[0,1] neg_hi:[0,1]
	v_mov_b32_e32 v51, v38
	v_pk_add_f32 v[38:39], v[100:101], v[50:51] neg_lo:[0,1] neg_hi:[0,1]
	v_cmp_eq_f32_e32 vcc, s61, v118
	v_add_f32_e32 v39, v113, v39
	v_add_f32_e32 v38, v38, v39
	v_add_f32_e32 v39, v49, v38
	v_mul_f32_e32 v113, v112, v39
	v_mul_f32_e32 v48, v103, v113
	v_fma_f32 v50, v113, v103, -v48
	v_fmac_f32_e32 v50, v113, v31
	v_sub_f32_e32 v31, v49, v39
	v_add_f32_e32 v31, v38, v31
	v_add_f32_e32 v38, v48, v50
	v_sub_f32_e32 v49, v39, v38
	v_pk_add_f32 v[100:101], v[38:39], v[48:49] neg_lo:[0,1] neg_hi:[0,1]
	v_mov_b32_e32 v51, v38
	v_pk_add_f32 v[38:39], v[100:101], v[50:51] neg_lo:[0,1] neg_hi:[0,1]
	v_cvt_f32_i32_e32 v48, v102
	v_add_f32_e32 v31, v31, v39
	v_add_f32_e32 v31, v38, v31
	;; [unrolled: 1-line block ×4, first 2 shown]
	v_sub_f32_e32 v39, v38, v114
	v_mul_f32_e32 v31, v112, v31
	v_sub_f32_e32 v39, v113, v39
	v_add_f32_e32 v31, v39, v31
	v_add_f32_e32 v49, v38, v31
	v_mul_f32_e32 v50, v49, v49
	v_mov_b32_e32 v39, 0x3ecc95a3
	v_fmac_f32_e32 v39, 0x3e9b6dac, v50
	v_sub_f32_e32 v38, v49, v38
	v_fmaak_f32 v39, v50, v39, 0x3f2aaada
	v_sub_f32_e32 v31, v31, v38
	v_ldexp_f32 v51, v49, 1
	v_mul_f32_e32 v49, v49, v50
	v_mov_b32_e32 v38, 0x3f317218
	v_pk_mul_f32 v[38:39], v[48:49], v[38:39]
	v_ldexp_f32 v31, v31, 1
	v_fma_f32 v49, v48, s60, -v38
	v_fmamk_f32 v50, v48, 0xb102e308, v49
	v_pk_add_f32 v[48:49], v[38:39], v[50:51]
	v_mov_b32_e32 v100, v38
	v_sub_f32_e32 v51, v49, v51
	v_sub_f32_e32 v51, v39, v51
	v_add_f32_e32 v101, v31, v51
	v_pk_add_f32 v[38:39], v[48:49], v[38:39] neg_lo:[0,1] neg_hi:[0,1]
	v_pk_add_f32 v[102:103], v[48:49], v[100:101]
	v_mov_b32_e32 v51, v48
	v_mov_b32_e32 v39, v103
	v_pk_add_f32 v[112:113], v[50:51], v[38:39] neg_lo:[0,1] neg_hi:[0,1]
	v_pk_add_f32 v[38:39], v[50:51], v[38:39]
	v_mov_b32_e32 v100, v101
	v_mov_b32_e32 v50, v39
	v_pk_add_f32 v[114:115], v[50:51], v[48:49] neg_lo:[0,1] neg_hi:[0,1]
	v_mov_b32_e32 v38, v103
	v_mov_b32_e32 v31, v114
	v_pk_add_f32 v[116:117], v[102:103], v[30:31] neg_lo:[0,1] neg_hi:[0,1]
	v_mov_b32_e32 v102, v49
	v_mov_b32_e32 v103, v114
	;; [unrolled: 1-line block ×3, first 2 shown]
	v_pk_add_f32 v[38:39], v[38:39], v[102:103] neg_lo:[0,1] neg_hi:[0,1]
	v_mov_b32_e32 v101, v48
	v_pk_add_f32 v[38:39], v[100:101], v[38:39] neg_lo:[0,1] neg_hi:[0,1]
	v_mov_b32_e32 v116, v112
	v_pk_add_f32 v[48:49], v[116:117], v[38:39]
	s_mov_b32 s60, 0x33800000
	v_mov_b32_e32 v100, v49
	v_pk_add_f32 v[100:101], v[48:49], v[100:101]
	v_cmp_lt_f32_e64 s[60:61], |v118|, s60
	v_pk_add_f32 v[50:51], v[50:51], v[100:101]
	v_mov_b32_e32 v39, v100
	v_mov_b32_e32 v49, v50
	v_pk_add_f32 v[102:103], v[48:49], v[112:113] neg_lo:[0,1] neg_hi:[0,1]
	s_or_b64 vcc, vcc, s[60:61]
	v_sub_f32_e32 v31, v48, v102
	v_pk_add_f32 v[38:39], v[38:39], v[102:103] neg_lo:[0,1] neg_hi:[0,1]
	v_sub_f32_e32 v31, v112, v31
	v_add_f32_e32 v31, v38, v31
	v_add_f32_e32 v31, v31, v39
	;; [unrolled: 1-line block ×3, first 2 shown]
	v_cndmask_b32_e32 v31, v31, v118, vcc
	v_add_f32_e32 v30, v30, v31
	v_cvt_f16_f32_e32 v39, v30
.LBB428_116:
	s_or_b64 exec, exec, s[56:57]
	v_and_b32_e32 v38, 0xffff, v39
	v_mov_b32_e32 v30, v39
.LBB428_117:
	s_or_b64 exec, exec, s[58:59]
	v_and_b32_e32 v39, 16, v37
	v_mov_b32_dpp v31, v38 row_bcast:15 row_mask:0xf bank_mask:0xf
	v_cmp_ne_u32_e32 vcc, 0, v39
	s_and_saveexec_b64 s[58:59], vcc
	s_cbranch_execz .LBB428_121
; %bb.118:
	v_cvt_f32_f16_e32 v39, v31
	v_cvt_f32_f16_e32 v48, v30
	v_cmp_u_f16_e32 vcc, v31, v31
	v_cmp_u_f16_e64 s[56:57], v30, v30
	v_min_f32_e32 v38, v39, v48
	v_max_f32_e32 v30, v39, v48
	v_cndmask_b32_e32 v38, v38, v39, vcc
	v_cndmask_b32_e32 v30, v30, v39, vcc
	v_cndmask_b32_e64 v38, v38, v48, s[56:57]
	v_cndmask_b32_e64 v30, v30, v48, s[56:57]
	s_movk_i32 s56, 0x1f8
	v_cmp_neq_f32_e32 vcc, v38, v30
	v_cmp_class_f32_e64 s[56:57], v38, s56
	s_or_b64 vcc, vcc, s[56:57]
	s_and_saveexec_b64 s[56:57], vcc
	s_cbranch_execz .LBB428_120
; %bb.119:
	v_sub_f32_e32 v31, v38, v30
	s_mov_b32 s60, 0x3fb8aa3b
	v_mul_f32_e32 v38, 0x3fb8aa3b, v31
	v_fma_f32 v39, v31, s60, -v38
	v_rndne_f32_e32 v48, v38
	v_fmamk_f32 v39, v31, 0x32a5705f, v39
	v_sub_f32_e32 v38, v38, v48
	v_add_f32_e32 v38, v38, v39
	v_exp_f32_e32 v38, v38
	v_cvt_i32_f32_e32 v39, v48
	s_mov_b32 s60, 0xc2ce8ed0
	v_cmp_ngt_f32_e32 vcc, s60, v31
	s_mov_b32 s60, 0x42b17218
	v_ldexp_f32 v38, v38, v39
	v_cndmask_b32_e32 v38, 0, v38, vcc
	v_mov_b32_e32 v39, 0x7f800000
	v_cmp_nlt_f32_e32 vcc, s60, v31
	s_mov_b32 s60, 0x3f2aaaab
	s_mov_b32 s61, 0x7f800000
	v_cndmask_b32_e32 v118, v39, v38, vcc
	v_add_f32_e32 v31, 1.0, v118
	v_add_f32_e32 v38, -1.0, v31
	v_sub_f32_e32 v39, v38, v31
	v_add_f32_e32 v39, 1.0, v39
	v_sub_f32_e32 v38, v118, v38
	v_add_f32_e32 v48, v38, v39
	v_frexp_mant_f32_e32 v49, v31
	v_cvt_f64_f32_e32 v[38:39], v31
	v_frexp_exp_i32_f64_e32 v38, v[38:39]
	v_cmp_gt_f32_e32 vcc, s60, v49
	s_mov_b32 s60, 0x3f317218
	s_nop 0
	v_subbrev_co_u32_e32 v102, vcc, 0, v38, vcc
	v_sub_u32_e32 v38, 0, v102
	v_ldexp_f32 v31, v31, v38
	v_ldexp_f32 v38, v48, v38
	v_add_f32_e32 v48, -1.0, v31
	v_add_f32_e32 v39, 1.0, v48
	v_sub_f32_e32 v39, v31, v39
	v_add_f32_e32 v49, v38, v39
	v_add_f32_e32 v39, 1.0, v31
	v_add_f32_e32 v50, -1.0, v39
	v_sub_f32_e32 v31, v31, v50
	v_add_f32_e32 v31, v38, v31
	v_add_f32_e32 v103, v39, v31
	v_rcp_f32_e32 v112, v103
	v_sub_f32_e32 v38, v39, v103
	v_add_f32_e32 v39, v48, v49
	v_add_f32_e32 v31, v31, v38
	v_mul_f32_e32 v114, v39, v112
	v_sub_f32_e32 v38, v48, v39
	v_mul_f32_e32 v48, v103, v114
	v_fma_f32 v50, v114, v103, -v48
	v_fmac_f32_e32 v50, v114, v31
	v_add_f32_e32 v113, v49, v38
	v_add_f32_e32 v38, v48, v50
	v_sub_f32_e32 v49, v39, v38
	v_pk_add_f32 v[100:101], v[38:39], v[48:49] neg_lo:[0,1] neg_hi:[0,1]
	v_mov_b32_e32 v51, v38
	v_pk_add_f32 v[38:39], v[100:101], v[50:51] neg_lo:[0,1] neg_hi:[0,1]
	v_cmp_eq_f32_e32 vcc, s61, v118
	v_add_f32_e32 v39, v113, v39
	v_add_f32_e32 v38, v38, v39
	;; [unrolled: 1-line block ×3, first 2 shown]
	v_mul_f32_e32 v113, v112, v39
	v_mul_f32_e32 v48, v103, v113
	v_fma_f32 v50, v113, v103, -v48
	v_fmac_f32_e32 v50, v113, v31
	v_sub_f32_e32 v31, v49, v39
	v_add_f32_e32 v31, v38, v31
	v_add_f32_e32 v38, v48, v50
	v_sub_f32_e32 v49, v39, v38
	v_pk_add_f32 v[100:101], v[38:39], v[48:49] neg_lo:[0,1] neg_hi:[0,1]
	v_mov_b32_e32 v51, v38
	v_pk_add_f32 v[38:39], v[100:101], v[50:51] neg_lo:[0,1] neg_hi:[0,1]
	v_cvt_f32_i32_e32 v48, v102
	v_add_f32_e32 v31, v31, v39
	v_add_f32_e32 v31, v38, v31
	;; [unrolled: 1-line block ×4, first 2 shown]
	v_sub_f32_e32 v39, v38, v114
	v_mul_f32_e32 v31, v112, v31
	v_sub_f32_e32 v39, v113, v39
	v_add_f32_e32 v31, v39, v31
	v_add_f32_e32 v49, v38, v31
	v_mul_f32_e32 v50, v49, v49
	v_mov_b32_e32 v39, 0x3ecc95a3
	v_fmac_f32_e32 v39, 0x3e9b6dac, v50
	v_sub_f32_e32 v38, v49, v38
	v_fmaak_f32 v39, v50, v39, 0x3f2aaada
	v_sub_f32_e32 v31, v31, v38
	v_ldexp_f32 v51, v49, 1
	v_mul_f32_e32 v49, v49, v50
	v_mov_b32_e32 v38, 0x3f317218
	v_pk_mul_f32 v[38:39], v[48:49], v[38:39]
	v_ldexp_f32 v31, v31, 1
	v_fma_f32 v49, v48, s60, -v38
	v_fmamk_f32 v50, v48, 0xb102e308, v49
	v_pk_add_f32 v[48:49], v[38:39], v[50:51]
	v_mov_b32_e32 v100, v38
	v_sub_f32_e32 v51, v49, v51
	v_sub_f32_e32 v51, v39, v51
	v_add_f32_e32 v101, v31, v51
	v_pk_add_f32 v[38:39], v[48:49], v[38:39] neg_lo:[0,1] neg_hi:[0,1]
	v_pk_add_f32 v[102:103], v[48:49], v[100:101]
	v_mov_b32_e32 v51, v48
	v_mov_b32_e32 v39, v103
	v_pk_add_f32 v[112:113], v[50:51], v[38:39] neg_lo:[0,1] neg_hi:[0,1]
	v_pk_add_f32 v[38:39], v[50:51], v[38:39]
	v_mov_b32_e32 v100, v101
	v_mov_b32_e32 v50, v39
	v_pk_add_f32 v[114:115], v[50:51], v[48:49] neg_lo:[0,1] neg_hi:[0,1]
	v_mov_b32_e32 v38, v103
	v_mov_b32_e32 v31, v114
	v_pk_add_f32 v[116:117], v[102:103], v[30:31] neg_lo:[0,1] neg_hi:[0,1]
	v_mov_b32_e32 v102, v49
	v_mov_b32_e32 v103, v114
	;; [unrolled: 1-line block ×3, first 2 shown]
	v_pk_add_f32 v[38:39], v[38:39], v[102:103] neg_lo:[0,1] neg_hi:[0,1]
	v_mov_b32_e32 v101, v48
	v_pk_add_f32 v[38:39], v[100:101], v[38:39] neg_lo:[0,1] neg_hi:[0,1]
	v_mov_b32_e32 v116, v112
	v_pk_add_f32 v[48:49], v[116:117], v[38:39]
	s_mov_b32 s60, 0x33800000
	v_mov_b32_e32 v100, v49
	v_pk_add_f32 v[100:101], v[48:49], v[100:101]
	v_cmp_lt_f32_e64 s[60:61], |v118|, s60
	v_pk_add_f32 v[50:51], v[50:51], v[100:101]
	v_mov_b32_e32 v39, v100
	v_mov_b32_e32 v49, v50
	v_pk_add_f32 v[102:103], v[48:49], v[112:113] neg_lo:[0,1] neg_hi:[0,1]
	s_or_b64 vcc, vcc, s[60:61]
	v_sub_f32_e32 v31, v48, v102
	v_pk_add_f32 v[38:39], v[38:39], v[102:103] neg_lo:[0,1] neg_hi:[0,1]
	v_sub_f32_e32 v31, v112, v31
	v_add_f32_e32 v31, v38, v31
	v_add_f32_e32 v31, v31, v39
	;; [unrolled: 1-line block ×3, first 2 shown]
	v_cndmask_b32_e32 v31, v31, v118, vcc
	v_add_f32_e32 v30, v30, v31
	v_cvt_f16_f32_e32 v31, v30
.LBB428_120:
	s_or_b64 exec, exec, s[56:57]
	v_and_b32_e32 v38, 0xffff, v31
	v_mov_b32_e32 v30, v31
.LBB428_121:
	s_or_b64 exec, exec, s[58:59]
	v_mov_b32_dpp v31, v38 row_bcast:31 row_mask:0xf bank_mask:0xf
	v_cmp_lt_u32_e32 vcc, 31, v37
	s_and_saveexec_b64 s[58:59], vcc
	s_cbranch_execz .LBB428_125
; %bb.122:
	v_cvt_f32_f16_e32 v39, v31
	v_cvt_f32_f16_e32 v48, v30
	v_cmp_u_f16_e32 vcc, v31, v31
	v_cmp_u_f16_e64 s[56:57], v30, v30
	v_min_f32_e32 v38, v39, v48
	v_max_f32_e32 v30, v39, v48
	v_cndmask_b32_e32 v38, v38, v39, vcc
	v_cndmask_b32_e32 v30, v30, v39, vcc
	v_cndmask_b32_e64 v38, v38, v48, s[56:57]
	v_cndmask_b32_e64 v30, v30, v48, s[56:57]
	s_movk_i32 s56, 0x1f8
	v_cmp_neq_f32_e32 vcc, v38, v30
	v_cmp_class_f32_e64 s[56:57], v38, s56
	s_or_b64 vcc, vcc, s[56:57]
	s_and_saveexec_b64 s[56:57], vcc
	s_cbranch_execz .LBB428_124
; %bb.123:
	v_sub_f32_e32 v31, v38, v30
	s_mov_b32 s60, 0x3fb8aa3b
	v_mul_f32_e32 v38, 0x3fb8aa3b, v31
	v_fma_f32 v39, v31, s60, -v38
	v_rndne_f32_e32 v48, v38
	v_fmamk_f32 v39, v31, 0x32a5705f, v39
	v_sub_f32_e32 v38, v38, v48
	v_add_f32_e32 v38, v38, v39
	v_exp_f32_e32 v38, v38
	v_cvt_i32_f32_e32 v39, v48
	s_mov_b32 s60, 0xc2ce8ed0
	v_cmp_ngt_f32_e32 vcc, s60, v31
	s_mov_b32 s60, 0x42b17218
	v_ldexp_f32 v38, v38, v39
	v_cndmask_b32_e32 v38, 0, v38, vcc
	v_mov_b32_e32 v39, 0x7f800000
	v_cmp_nlt_f32_e32 vcc, s60, v31
	s_mov_b32 s60, 0x3f2aaaab
	s_mov_b32 s61, 0x7f800000
	v_cndmask_b32_e32 v118, v39, v38, vcc
	v_add_f32_e32 v31, 1.0, v118
	v_add_f32_e32 v38, -1.0, v31
	v_sub_f32_e32 v39, v38, v31
	v_add_f32_e32 v39, 1.0, v39
	v_sub_f32_e32 v38, v118, v38
	v_add_f32_e32 v48, v38, v39
	v_frexp_mant_f32_e32 v49, v31
	v_cvt_f64_f32_e32 v[38:39], v31
	v_frexp_exp_i32_f64_e32 v38, v[38:39]
	v_cmp_gt_f32_e32 vcc, s60, v49
	s_mov_b32 s60, 0x3f317218
	s_nop 0
	v_subbrev_co_u32_e32 v102, vcc, 0, v38, vcc
	v_sub_u32_e32 v38, 0, v102
	v_ldexp_f32 v31, v31, v38
	v_ldexp_f32 v38, v48, v38
	v_add_f32_e32 v48, -1.0, v31
	v_add_f32_e32 v39, 1.0, v48
	v_sub_f32_e32 v39, v31, v39
	v_add_f32_e32 v49, v38, v39
	v_add_f32_e32 v39, 1.0, v31
	v_add_f32_e32 v50, -1.0, v39
	v_sub_f32_e32 v31, v31, v50
	v_add_f32_e32 v31, v38, v31
	v_add_f32_e32 v103, v39, v31
	v_rcp_f32_e32 v112, v103
	v_sub_f32_e32 v38, v39, v103
	v_add_f32_e32 v39, v48, v49
	v_add_f32_e32 v31, v31, v38
	v_mul_f32_e32 v114, v39, v112
	v_sub_f32_e32 v38, v48, v39
	v_mul_f32_e32 v48, v103, v114
	v_fma_f32 v50, v114, v103, -v48
	v_fmac_f32_e32 v50, v114, v31
	v_add_f32_e32 v113, v49, v38
	v_add_f32_e32 v38, v48, v50
	v_sub_f32_e32 v49, v39, v38
	v_pk_add_f32 v[100:101], v[38:39], v[48:49] neg_lo:[0,1] neg_hi:[0,1]
	v_mov_b32_e32 v51, v38
	v_pk_add_f32 v[38:39], v[100:101], v[50:51] neg_lo:[0,1] neg_hi:[0,1]
	v_cmp_eq_f32_e32 vcc, s61, v118
	v_add_f32_e32 v39, v113, v39
	v_add_f32_e32 v38, v38, v39
	;; [unrolled: 1-line block ×3, first 2 shown]
	v_mul_f32_e32 v113, v112, v39
	v_mul_f32_e32 v48, v103, v113
	v_fma_f32 v50, v113, v103, -v48
	v_fmac_f32_e32 v50, v113, v31
	v_sub_f32_e32 v31, v49, v39
	v_add_f32_e32 v31, v38, v31
	v_add_f32_e32 v38, v48, v50
	v_sub_f32_e32 v49, v39, v38
	v_pk_add_f32 v[100:101], v[38:39], v[48:49] neg_lo:[0,1] neg_hi:[0,1]
	v_mov_b32_e32 v51, v38
	v_pk_add_f32 v[38:39], v[100:101], v[50:51] neg_lo:[0,1] neg_hi:[0,1]
	v_cvt_f32_i32_e32 v48, v102
	v_add_f32_e32 v31, v31, v39
	v_add_f32_e32 v31, v38, v31
	;; [unrolled: 1-line block ×4, first 2 shown]
	v_sub_f32_e32 v39, v38, v114
	v_mul_f32_e32 v31, v112, v31
	v_sub_f32_e32 v39, v113, v39
	v_add_f32_e32 v31, v39, v31
	v_add_f32_e32 v49, v38, v31
	v_mul_f32_e32 v50, v49, v49
	v_mov_b32_e32 v39, 0x3ecc95a3
	v_fmac_f32_e32 v39, 0x3e9b6dac, v50
	v_sub_f32_e32 v38, v49, v38
	v_fmaak_f32 v39, v50, v39, 0x3f2aaada
	v_sub_f32_e32 v31, v31, v38
	v_ldexp_f32 v51, v49, 1
	v_mul_f32_e32 v49, v49, v50
	v_mov_b32_e32 v38, 0x3f317218
	v_pk_mul_f32 v[38:39], v[48:49], v[38:39]
	v_ldexp_f32 v31, v31, 1
	v_fma_f32 v49, v48, s60, -v38
	v_fmamk_f32 v50, v48, 0xb102e308, v49
	v_pk_add_f32 v[48:49], v[38:39], v[50:51]
	v_mov_b32_e32 v100, v38
	v_sub_f32_e32 v51, v49, v51
	v_sub_f32_e32 v51, v39, v51
	v_add_f32_e32 v101, v31, v51
	v_pk_add_f32 v[38:39], v[48:49], v[38:39] neg_lo:[0,1] neg_hi:[0,1]
	v_pk_add_f32 v[102:103], v[48:49], v[100:101]
	v_mov_b32_e32 v51, v48
	v_mov_b32_e32 v39, v103
	v_pk_add_f32 v[112:113], v[50:51], v[38:39] neg_lo:[0,1] neg_hi:[0,1]
	v_pk_add_f32 v[38:39], v[50:51], v[38:39]
	v_mov_b32_e32 v100, v101
	v_mov_b32_e32 v50, v39
	v_pk_add_f32 v[114:115], v[50:51], v[48:49] neg_lo:[0,1] neg_hi:[0,1]
	v_mov_b32_e32 v38, v103
	v_mov_b32_e32 v31, v114
	v_pk_add_f32 v[116:117], v[102:103], v[30:31] neg_lo:[0,1] neg_hi:[0,1]
	v_mov_b32_e32 v102, v49
	v_mov_b32_e32 v103, v114
	;; [unrolled: 1-line block ×3, first 2 shown]
	v_pk_add_f32 v[38:39], v[38:39], v[102:103] neg_lo:[0,1] neg_hi:[0,1]
	v_mov_b32_e32 v101, v48
	v_pk_add_f32 v[38:39], v[100:101], v[38:39] neg_lo:[0,1] neg_hi:[0,1]
	v_mov_b32_e32 v116, v112
	v_pk_add_f32 v[48:49], v[116:117], v[38:39]
	s_mov_b32 s60, 0x33800000
	v_mov_b32_e32 v100, v49
	v_pk_add_f32 v[100:101], v[48:49], v[100:101]
	v_cmp_lt_f32_e64 s[60:61], |v118|, s60
	v_pk_add_f32 v[50:51], v[50:51], v[100:101]
	v_mov_b32_e32 v39, v100
	v_mov_b32_e32 v49, v50
	v_pk_add_f32 v[102:103], v[48:49], v[112:113] neg_lo:[0,1] neg_hi:[0,1]
	s_or_b64 vcc, vcc, s[60:61]
	v_sub_f32_e32 v31, v48, v102
	v_pk_add_f32 v[38:39], v[38:39], v[102:103] neg_lo:[0,1] neg_hi:[0,1]
	v_sub_f32_e32 v31, v112, v31
	v_add_f32_e32 v31, v38, v31
	v_add_f32_e32 v31, v31, v39
	;; [unrolled: 1-line block ×3, first 2 shown]
	v_cndmask_b32_e32 v31, v31, v118, vcc
	v_add_f32_e32 v30, v30, v31
	v_cvt_f16_f32_e32 v31, v30
.LBB428_124:
	s_or_b64 exec, exec, s[56:57]
	v_mov_b32_e32 v30, v31
.LBB428_125:
	s_or_b64 exec, exec, s[58:59]
	v_and_b32_e32 v38, 0x3c0, v32
	v_min_u32_e32 v38, 0xc0, v38
	v_or_b32_e32 v38, 63, v38
	v_lshrrev_b32_e32 v31, 6, v32
	v_cmp_eq_u32_e32 vcc, v38, v32
	s_and_saveexec_b64 s[56:57], vcc
	s_cbranch_execz .LBB428_127
; %bb.126:
	v_lshlrev_b32_e32 v38, 1, v31
	ds_write_b16 v38, v30
.LBB428_127:
	s_or_b64 exec, exec, s[56:57]
	v_cmp_gt_u32_e32 vcc, 4, v32
	s_waitcnt lgkmcnt(0)
	s_barrier
	s_and_saveexec_b64 s[58:59], vcc
	s_cbranch_execz .LBB428_137
; %bb.128:
	ds_read_u16 v39, v0
	v_and_b32_e32 v38, 3, v37
	v_cmp_ne_u32_e32 vcc, 0, v38
	s_waitcnt lgkmcnt(0)
	v_and_b32_e32 v49, 0xffff, v39
	s_nop 1
	v_mov_b32_dpp v48, v49 row_shr:1 row_mask:0xf bank_mask:0xf
	s_and_saveexec_b64 s[60:61], vcc
	s_cbranch_execz .LBB428_132
; %bb.129:
	v_cvt_f32_f16_e32 v50, v48
	v_cvt_f32_f16_e32 v51, v39
	v_cmp_u_f16_e32 vcc, v48, v48
	v_cmp_u_f16_e64 s[56:57], v39, v39
	v_min_f32_e32 v49, v50, v51
	v_max_f32_e32 v39, v50, v51
	v_cndmask_b32_e32 v49, v49, v50, vcc
	v_cndmask_b32_e32 v39, v39, v50, vcc
	v_cndmask_b32_e64 v49, v49, v51, s[56:57]
	v_cndmask_b32_e64 v39, v39, v51, s[56:57]
	s_movk_i32 s56, 0x1f8
	v_cmp_neq_f32_e32 vcc, v49, v39
	v_cmp_class_f32_e64 s[56:57], v49, s56
	s_or_b64 vcc, vcc, s[56:57]
	s_and_saveexec_b64 s[56:57], vcc
	s_cbranch_execz .LBB428_131
; %bb.130:
	v_sub_f32_e32 v48, v49, v39
	s_mov_b32 s62, 0x3fb8aa3b
	v_mul_f32_e32 v49, 0x3fb8aa3b, v48
	v_fma_f32 v50, v48, s62, -v49
	v_rndne_f32_e32 v51, v49
	v_fmamk_f32 v50, v48, 0x32a5705f, v50
	v_sub_f32_e32 v49, v49, v51
	v_add_f32_e32 v49, v49, v50
	v_exp_f32_e32 v49, v49
	v_cvt_i32_f32_e32 v50, v51
	s_mov_b32 s62, 0xc2ce8ed0
	v_cmp_ngt_f32_e32 vcc, s62, v48
	s_mov_b32 s62, 0x42b17218
	v_ldexp_f32 v49, v49, v50
	v_cndmask_b32_e32 v49, 0, v49, vcc
	v_mov_b32_e32 v50, 0x7f800000
	v_cmp_nlt_f32_e32 vcc, s62, v48
	s_mov_b32 s62, 0x3f2aaaab
	s_mov_b32 s63, 0x7f800000
	v_cndmask_b32_e32 v128, v50, v49, vcc
	v_add_f32_e32 v50, 1.0, v128
	v_add_f32_e32 v48, -1.0, v50
	v_sub_f32_e32 v49, v48, v50
	v_add_f32_e32 v49, 1.0, v49
	v_sub_f32_e32 v48, v128, v48
	v_add_f32_e32 v51, v48, v49
	v_frexp_mant_f32_e32 v100, v50
	v_cvt_f64_f32_e32 v[48:49], v50
	v_frexp_exp_i32_f64_e32 v48, v[48:49]
	v_cmp_gt_f32_e32 vcc, s62, v100
	s_mov_b32 s62, 0x3f317218
	s_nop 0
	v_subbrev_co_u32_e32 v112, vcc, 0, v48, vcc
	v_sub_u32_e32 v48, 0, v112
	v_ldexp_f32 v49, v50, v48
	v_add_f32_e32 v50, -1.0, v49
	v_add_f32_e32 v100, 1.0, v49
	v_ldexp_f32 v48, v51, v48
	v_add_f32_e32 v51, 1.0, v50
	v_add_f32_e32 v101, -1.0, v100
	v_sub_f32_e32 v51, v49, v51
	v_sub_f32_e32 v49, v49, v101
	v_add_f32_e32 v51, v48, v51
	v_add_f32_e32 v48, v48, v49
	;; [unrolled: 1-line block ×3, first 2 shown]
	v_rcp_f32_e32 v115, v113
	v_sub_f32_e32 v49, v100, v113
	v_add_f32_e32 v114, v48, v49
	v_add_f32_e32 v49, v50, v51
	v_mul_f32_e32 v117, v49, v115
	v_sub_f32_e32 v48, v50, v49
	v_mul_f32_e32 v50, v113, v117
	v_fma_f32 v100, v117, v113, -v50
	v_fmac_f32_e32 v100, v117, v114
	v_add_f32_e32 v116, v51, v48
	v_add_f32_e32 v48, v50, v100
	v_sub_f32_e32 v51, v49, v48
	v_pk_add_f32 v[102:103], v[48:49], v[50:51] neg_lo:[0,1] neg_hi:[0,1]
	v_mov_b32_e32 v101, v48
	v_pk_add_f32 v[48:49], v[102:103], v[100:101] neg_lo:[0,1] neg_hi:[0,1]
	v_cmp_eq_f32_e32 vcc, s63, v128
	v_add_f32_e32 v49, v116, v49
	v_add_f32_e32 v48, v48, v49
	;; [unrolled: 1-line block ×3, first 2 shown]
	v_mul_f32_e32 v116, v115, v49
	v_mul_f32_e32 v50, v113, v116
	v_fma_f32 v100, v116, v113, -v50
	v_fmac_f32_e32 v100, v116, v114
	v_sub_f32_e32 v51, v51, v49
	v_add_f32_e32 v113, v48, v51
	v_add_f32_e32 v48, v50, v100
	v_sub_f32_e32 v51, v49, v48
	v_pk_add_f32 v[102:103], v[48:49], v[50:51] neg_lo:[0,1] neg_hi:[0,1]
	v_mov_b32_e32 v101, v48
	v_pk_add_f32 v[48:49], v[102:103], v[100:101] neg_lo:[0,1] neg_hi:[0,1]
	v_cvt_f32_i32_e32 v50, v112
	v_add_f32_e32 v49, v113, v49
	v_add_f32_e32 v48, v48, v49
	;; [unrolled: 1-line block ×4, first 2 shown]
	v_sub_f32_e32 v49, v51, v117
	v_mul_f32_e32 v48, v115, v48
	v_sub_f32_e32 v49, v116, v49
	v_add_f32_e32 v48, v49, v48
	v_add_f32_e32 v100, v51, v48
	v_mul_f32_e32 v102, v100, v100
	v_mov_b32_e32 v49, 0x3ecc95a3
	v_sub_f32_e32 v51, v100, v51
	v_fmac_f32_e32 v49, 0x3e9b6dac, v102
	v_sub_f32_e32 v48, v48, v51
	v_fmaak_f32 v49, v102, v49, 0x3f2aaada
	v_ldexp_f32 v103, v48, 1
	v_mul_f32_e32 v51, v100, v102
	v_mov_b32_e32 v48, 0x3f317218
	v_pk_mul_f32 v[48:49], v[50:51], v[48:49]
	v_ldexp_f32 v101, v100, 1
	v_fma_f32 v51, v50, s62, -v48
	v_fmamk_f32 v100, v50, 0xb102e308, v51
	v_pk_add_f32 v[50:51], v[48:49], v[100:101]
	v_mov_b32_e32 v102, v48
	v_sub_f32_e32 v101, v51, v101
	v_sub_f32_e32 v101, v49, v101
	v_add_f32_e32 v103, v103, v101
	v_pk_add_f32 v[48:49], v[50:51], v[48:49] neg_lo:[0,1] neg_hi:[0,1]
	v_pk_add_f32 v[112:113], v[50:51], v[102:103]
	v_mov_b32_e32 v101, v50
	v_mov_b32_e32 v49, v113
	v_pk_add_f32 v[114:115], v[100:101], v[48:49] neg_lo:[0,1] neg_hi:[0,1]
	v_pk_add_f32 v[48:49], v[100:101], v[48:49]
	v_mov_b32_e32 v102, v103
	v_mov_b32_e32 v100, v49
	v_pk_add_f32 v[116:117], v[100:101], v[50:51] neg_lo:[0,1] neg_hi:[0,1]
	v_mov_b32_e32 v48, v113
	v_mov_b32_e32 v101, v116
	v_pk_add_f32 v[118:119], v[112:113], v[100:101] neg_lo:[0,1] neg_hi:[0,1]
	v_mov_b32_e32 v112, v51
	v_mov_b32_e32 v113, v116
	v_mov_b32_e32 v115, v49
	v_pk_add_f32 v[48:49], v[48:49], v[112:113] neg_lo:[0,1] neg_hi:[0,1]
	v_mov_b32_e32 v103, v50
	v_pk_add_f32 v[48:49], v[102:103], v[48:49] neg_lo:[0,1] neg_hi:[0,1]
	v_mov_b32_e32 v118, v114
	v_pk_add_f32 v[50:51], v[118:119], v[48:49]
	s_mov_b32 s62, 0x33800000
	v_mov_b32_e32 v102, v51
	v_pk_add_f32 v[102:103], v[50:51], v[102:103]
	v_cmp_lt_f32_e64 s[62:63], |v128|, s62
	v_pk_add_f32 v[100:101], v[100:101], v[102:103]
	v_mov_b32_e32 v49, v102
	v_mov_b32_e32 v51, v100
	v_pk_add_f32 v[112:113], v[50:51], v[114:115] neg_lo:[0,1] neg_hi:[0,1]
	s_or_b64 vcc, vcc, s[62:63]
	v_sub_f32_e32 v50, v50, v112
	v_pk_add_f32 v[48:49], v[48:49], v[112:113] neg_lo:[0,1] neg_hi:[0,1]
	v_sub_f32_e32 v50, v114, v50
	v_add_f32_e32 v48, v48, v50
	v_add_f32_e32 v48, v48, v49
	;; [unrolled: 1-line block ×3, first 2 shown]
	v_cndmask_b32_e32 v48, v48, v128, vcc
	v_add_f32_e32 v39, v39, v48
	v_cvt_f16_f32_e32 v48, v39
.LBB428_131:
	s_or_b64 exec, exec, s[56:57]
	v_and_b32_e32 v49, 0xffff, v48
	v_mov_b32_e32 v39, v48
.LBB428_132:
	s_or_b64 exec, exec, s[60:61]
	v_mov_b32_dpp v48, v49 row_shr:2 row_mask:0xf bank_mask:0xf
	v_cmp_lt_u32_e32 vcc, 1, v38
	s_and_saveexec_b64 s[60:61], vcc
	s_cbranch_execz .LBB428_136
; %bb.133:
	v_cvt_f32_f16_e32 v38, v48
	v_cvt_f32_f16_e32 v49, v39
	v_cmp_u_f16_e32 vcc, v48, v48
	v_cmp_u_f16_e64 s[56:57], v39, v39
	v_min_f32_e32 v50, v38, v49
	v_cndmask_b32_e32 v50, v50, v38, vcc
	v_cndmask_b32_e64 v39, v50, v49, s[56:57]
	v_max_f32_e32 v50, v38, v49
	v_cndmask_b32_e32 v38, v50, v38, vcc
	v_cndmask_b32_e64 v38, v38, v49, s[56:57]
	s_movk_i32 s56, 0x1f8
	v_cmp_neq_f32_e32 vcc, v39, v38
	v_cmp_class_f32_e64 s[56:57], v39, s56
	s_or_b64 vcc, vcc, s[56:57]
	s_and_saveexec_b64 s[56:57], vcc
	s_cbranch_execz .LBB428_135
; %bb.134:
	v_sub_f32_e32 v39, v39, v38
	s_mov_b32 s62, 0x3fb8aa3b
	v_mul_f32_e32 v48, 0x3fb8aa3b, v39
	v_fma_f32 v49, v39, s62, -v48
	v_rndne_f32_e32 v50, v48
	v_fmamk_f32 v49, v39, 0x32a5705f, v49
	v_sub_f32_e32 v48, v48, v50
	v_add_f32_e32 v48, v48, v49
	v_exp_f32_e32 v48, v48
	v_cvt_i32_f32_e32 v49, v50
	s_mov_b32 s62, 0xc2ce8ed0
	v_cmp_ngt_f32_e32 vcc, s62, v39
	s_mov_b32 s62, 0x42b17218
	v_ldexp_f32 v48, v48, v49
	v_cndmask_b32_e32 v48, 0, v48, vcc
	v_mov_b32_e32 v49, 0x7f800000
	v_cmp_nlt_f32_e32 vcc, s62, v39
	s_mov_b32 s62, 0x3f2aaaab
	s_mov_b32 s63, 0x7f800000
	v_cndmask_b32_e32 v128, v49, v48, vcc
	v_add_f32_e32 v39, 1.0, v128
	v_add_f32_e32 v48, -1.0, v39
	v_sub_f32_e32 v49, v48, v39
	v_add_f32_e32 v49, 1.0, v49
	v_sub_f32_e32 v48, v128, v48
	v_add_f32_e32 v50, v48, v49
	v_frexp_mant_f32_e32 v51, v39
	v_cvt_f64_f32_e32 v[48:49], v39
	v_frexp_exp_i32_f64_e32 v48, v[48:49]
	v_cmp_gt_f32_e32 vcc, s62, v51
	s_mov_b32 s62, 0x3f317218
	s_nop 0
	v_subbrev_co_u32_e32 v112, vcc, 0, v48, vcc
	v_sub_u32_e32 v48, 0, v112
	v_ldexp_f32 v39, v39, v48
	v_ldexp_f32 v48, v50, v48
	v_add_f32_e32 v50, -1.0, v39
	v_add_f32_e32 v49, 1.0, v50
	v_sub_f32_e32 v49, v39, v49
	v_add_f32_e32 v51, v48, v49
	v_add_f32_e32 v49, 1.0, v39
	v_add_f32_e32 v100, -1.0, v49
	v_sub_f32_e32 v39, v39, v100
	v_add_f32_e32 v39, v48, v39
	v_add_f32_e32 v113, v49, v39
	v_rcp_f32_e32 v114, v113
	v_sub_f32_e32 v48, v49, v113
	v_add_f32_e32 v49, v50, v51
	v_add_f32_e32 v39, v39, v48
	v_mul_f32_e32 v116, v49, v114
	v_sub_f32_e32 v48, v50, v49
	v_mul_f32_e32 v50, v113, v116
	v_fma_f32 v100, v116, v113, -v50
	v_fmac_f32_e32 v100, v116, v39
	v_add_f32_e32 v115, v51, v48
	v_add_f32_e32 v48, v50, v100
	v_sub_f32_e32 v51, v49, v48
	v_pk_add_f32 v[102:103], v[48:49], v[50:51] neg_lo:[0,1] neg_hi:[0,1]
	v_mov_b32_e32 v101, v48
	v_pk_add_f32 v[48:49], v[102:103], v[100:101] neg_lo:[0,1] neg_hi:[0,1]
	v_cmp_eq_f32_e32 vcc, s63, v128
	v_add_f32_e32 v49, v115, v49
	v_add_f32_e32 v48, v48, v49
	;; [unrolled: 1-line block ×3, first 2 shown]
	v_mul_f32_e32 v115, v114, v49
	v_mul_f32_e32 v50, v113, v115
	v_fma_f32 v100, v115, v113, -v50
	v_fmac_f32_e32 v100, v115, v39
	v_sub_f32_e32 v39, v51, v49
	v_add_f32_e32 v39, v48, v39
	v_add_f32_e32 v48, v50, v100
	v_sub_f32_e32 v51, v49, v48
	v_pk_add_f32 v[102:103], v[48:49], v[50:51] neg_lo:[0,1] neg_hi:[0,1]
	v_mov_b32_e32 v101, v48
	v_pk_add_f32 v[48:49], v[102:103], v[100:101] neg_lo:[0,1] neg_hi:[0,1]
	v_cvt_f32_i32_e32 v50, v112
	v_add_f32_e32 v39, v39, v49
	v_add_f32_e32 v39, v48, v39
	v_add_f32_e32 v48, v116, v115
	v_add_f32_e32 v39, v51, v39
	v_sub_f32_e32 v49, v48, v116
	v_mul_f32_e32 v39, v114, v39
	v_sub_f32_e32 v49, v115, v49
	v_add_f32_e32 v39, v49, v39
	v_add_f32_e32 v51, v48, v39
	v_mul_f32_e32 v100, v51, v51
	v_mov_b32_e32 v49, 0x3ecc95a3
	v_fmac_f32_e32 v49, 0x3e9b6dac, v100
	v_sub_f32_e32 v48, v51, v48
	v_fmaak_f32 v49, v100, v49, 0x3f2aaada
	v_sub_f32_e32 v39, v39, v48
	v_ldexp_f32 v101, v51, 1
	v_mul_f32_e32 v51, v51, v100
	v_mov_b32_e32 v48, 0x3f317218
	v_pk_mul_f32 v[48:49], v[50:51], v[48:49]
	v_ldexp_f32 v39, v39, 1
	v_fma_f32 v51, v50, s62, -v48
	v_fmamk_f32 v100, v50, 0xb102e308, v51
	v_pk_add_f32 v[50:51], v[48:49], v[100:101]
	v_mov_b32_e32 v102, v48
	v_sub_f32_e32 v101, v51, v101
	v_sub_f32_e32 v101, v49, v101
	v_add_f32_e32 v103, v39, v101
	v_pk_add_f32 v[48:49], v[50:51], v[48:49] neg_lo:[0,1] neg_hi:[0,1]
	v_pk_add_f32 v[112:113], v[50:51], v[102:103]
	v_mov_b32_e32 v101, v50
	v_mov_b32_e32 v49, v113
	v_pk_add_f32 v[114:115], v[100:101], v[48:49] neg_lo:[0,1] neg_hi:[0,1]
	v_pk_add_f32 v[48:49], v[100:101], v[48:49]
	v_mov_b32_e32 v102, v103
	v_mov_b32_e32 v100, v49
	v_pk_add_f32 v[116:117], v[100:101], v[50:51] neg_lo:[0,1] neg_hi:[0,1]
	v_mov_b32_e32 v48, v113
	v_mov_b32_e32 v39, v116
	v_pk_add_f32 v[118:119], v[112:113], v[38:39] neg_lo:[0,1] neg_hi:[0,1]
	v_mov_b32_e32 v112, v51
	v_mov_b32_e32 v113, v116
	;; [unrolled: 1-line block ×3, first 2 shown]
	v_pk_add_f32 v[48:49], v[48:49], v[112:113] neg_lo:[0,1] neg_hi:[0,1]
	v_mov_b32_e32 v103, v50
	v_pk_add_f32 v[48:49], v[102:103], v[48:49] neg_lo:[0,1] neg_hi:[0,1]
	v_mov_b32_e32 v118, v114
	v_pk_add_f32 v[50:51], v[118:119], v[48:49]
	s_mov_b32 s62, 0x33800000
	v_mov_b32_e32 v102, v51
	v_pk_add_f32 v[102:103], v[50:51], v[102:103]
	v_cmp_lt_f32_e64 s[62:63], |v128|, s62
	v_pk_add_f32 v[100:101], v[100:101], v[102:103]
	v_mov_b32_e32 v49, v102
	v_mov_b32_e32 v51, v100
	v_pk_add_f32 v[112:113], v[50:51], v[114:115] neg_lo:[0,1] neg_hi:[0,1]
	s_or_b64 vcc, vcc, s[62:63]
	v_sub_f32_e32 v39, v50, v112
	v_pk_add_f32 v[48:49], v[48:49], v[112:113] neg_lo:[0,1] neg_hi:[0,1]
	v_sub_f32_e32 v39, v114, v39
	v_add_f32_e32 v39, v48, v39
	v_add_f32_e32 v39, v39, v49
	;; [unrolled: 1-line block ×3, first 2 shown]
	v_cndmask_b32_e32 v39, v39, v128, vcc
	v_add_f32_e32 v38, v38, v39
	v_cvt_f16_f32_e32 v48, v38
.LBB428_135:
	s_or_b64 exec, exec, s[56:57]
	v_mov_b32_e32 v39, v48
.LBB428_136:
	s_or_b64 exec, exec, s[60:61]
	ds_write_b16 v0, v39
.LBB428_137:
	s_or_b64 exec, exec, s[58:59]
	v_cmp_gt_u32_e32 vcc, 64, v32
	v_cmp_lt_u32_e64 s[56:57], 63, v32
	s_waitcnt lgkmcnt(0)
	s_barrier
	s_waitcnt lgkmcnt(0)
                                        ; implicit-def: $vgpr100
	s_and_saveexec_b64 s[58:59], s[56:57]
	s_cbranch_execz .LBB428_141
; %bb.138:
	v_lshl_add_u32 v31, v31, 1, -2
	ds_read_u16 v100, v31
	v_cvt_f32_f16_e32 v31, v30
	s_movk_i32 s60, 0x1f8
	s_waitcnt lgkmcnt(0)
	v_cvt_f32_f16_e32 v38, v100
	v_cmp_u_f16_e64 s[56:57], v100, v100
	v_min_f32_e32 v39, v38, v31
	v_max_f32_e32 v48, v38, v31
	v_cndmask_b32_e64 v39, v39, v38, s[56:57]
	v_cndmask_b32_e64 v48, v48, v38, s[56:57]
	v_cmp_u_f16_e64 s[56:57], v30, v30
	v_mov_b32_e32 v30, v100
	s_nop 0
	v_cndmask_b32_e64 v38, v39, v31, s[56:57]
	v_cndmask_b32_e64 v31, v48, v31, s[56:57]
	v_cmp_neq_f32_e64 s[56:57], v38, v31
	v_cmp_class_f32_e64 s[60:61], v38, s60
	s_or_b64 s[56:57], s[56:57], s[60:61]
	s_and_saveexec_b64 s[60:61], s[56:57]
	s_cbranch_execz .LBB428_140
; %bb.139:
	v_sub_f32_e32 v30, v38, v31
	s_mov_b32 s56, 0x3fb8aa3b
	v_mul_f32_e32 v38, 0x3fb8aa3b, v30
	v_fma_f32 v39, v30, s56, -v38
	v_rndne_f32_e32 v48, v38
	v_fmamk_f32 v39, v30, 0x32a5705f, v39
	v_sub_f32_e32 v38, v38, v48
	v_add_f32_e32 v38, v38, v39
	v_exp_f32_e32 v38, v38
	v_cvt_i32_f32_e32 v39, v48
	s_mov_b32 s56, 0xc2ce8ed0
	v_cmp_ngt_f32_e64 s[56:57], s56, v30
	s_mov_b32 s62, 0x7f800000
	v_ldexp_f32 v38, v38, v39
	v_cndmask_b32_e64 v38, 0, v38, s[56:57]
	s_mov_b32 s56, 0x42b17218
	v_mov_b32_e32 v39, 0x7f800000
	v_cmp_nlt_f32_e64 s[56:57], s56, v30
	s_nop 1
	v_cndmask_b32_e64 v101, v39, v38, s[56:57]
	v_add_f32_e32 v30, 1.0, v101
	v_add_f32_e32 v38, -1.0, v30
	v_sub_f32_e32 v39, v38, v30
	v_add_f32_e32 v39, 1.0, v39
	v_sub_f32_e32 v38, v101, v38
	v_add_f32_e32 v48, v38, v39
	v_frexp_mant_f32_e32 v49, v30
	s_mov_b32 s56, 0x3f2aaaab
	v_cvt_f64_f32_e32 v[38:39], v30
	v_frexp_exp_i32_f64_e32 v38, v[38:39]
	v_cmp_gt_f32_e64 s[56:57], s56, v49
	s_nop 1
	v_subbrev_co_u32_e64 v112, s[56:57], 0, v38, s[56:57]
	v_sub_u32_e32 v38, 0, v112
	v_ldexp_f32 v30, v30, v38
	v_ldexp_f32 v38, v48, v38
	v_add_f32_e32 v48, -1.0, v30
	v_add_f32_e32 v39, 1.0, v48
	v_sub_f32_e32 v39, v30, v39
	v_add_f32_e32 v49, v38, v39
	v_add_f32_e32 v39, 1.0, v30
	v_add_f32_e32 v50, -1.0, v39
	v_sub_f32_e32 v30, v30, v50
	v_add_f32_e32 v30, v38, v30
	v_add_f32_e32 v113, v39, v30
	v_rcp_f32_e32 v114, v113
	v_sub_f32_e32 v38, v39, v113
	v_add_f32_e32 v39, v48, v49
	v_add_f32_e32 v30, v30, v38
	v_mul_f32_e32 v116, v39, v114
	v_sub_f32_e32 v38, v48, v39
	v_mul_f32_e32 v48, v113, v116
	v_fma_f32 v50, v116, v113, -v48
	v_fmac_f32_e32 v50, v116, v30
	v_add_f32_e32 v115, v49, v38
	v_add_f32_e32 v38, v48, v50
	v_sub_f32_e32 v49, v39, v38
	v_pk_add_f32 v[102:103], v[38:39], v[48:49] neg_lo:[0,1] neg_hi:[0,1]
	v_mov_b32_e32 v51, v38
	v_pk_add_f32 v[38:39], v[102:103], v[50:51] neg_lo:[0,1] neg_hi:[0,1]
	s_mov_b32 s56, 0x3f317218
	v_add_f32_e32 v39, v115, v39
	v_add_f32_e32 v38, v38, v39
	;; [unrolled: 1-line block ×3, first 2 shown]
	v_mul_f32_e32 v115, v114, v39
	v_mul_f32_e32 v48, v113, v115
	v_fma_f32 v50, v115, v113, -v48
	v_fmac_f32_e32 v50, v115, v30
	v_sub_f32_e32 v30, v49, v39
	v_add_f32_e32 v30, v38, v30
	v_add_f32_e32 v38, v48, v50
	v_sub_f32_e32 v49, v39, v38
	v_pk_add_f32 v[102:103], v[38:39], v[48:49] neg_lo:[0,1] neg_hi:[0,1]
	v_mov_b32_e32 v51, v38
	v_pk_add_f32 v[38:39], v[102:103], v[50:51] neg_lo:[0,1] neg_hi:[0,1]
	v_cvt_f32_i32_e32 v48, v112
	v_add_f32_e32 v30, v30, v39
	v_add_f32_e32 v30, v38, v30
	;; [unrolled: 1-line block ×4, first 2 shown]
	v_sub_f32_e32 v39, v38, v116
	v_mul_f32_e32 v30, v114, v30
	v_sub_f32_e32 v39, v115, v39
	v_add_f32_e32 v30, v39, v30
	v_add_f32_e32 v49, v38, v30
	v_mul_f32_e32 v50, v49, v49
	v_mov_b32_e32 v39, 0x3ecc95a3
	v_fmac_f32_e32 v39, 0x3e9b6dac, v50
	v_sub_f32_e32 v38, v49, v38
	v_fmaak_f32 v39, v50, v39, 0x3f2aaada
	v_sub_f32_e32 v30, v30, v38
	v_ldexp_f32 v51, v49, 1
	v_mul_f32_e32 v49, v49, v50
	v_mov_b32_e32 v38, 0x3f317218
	v_pk_mul_f32 v[38:39], v[48:49], v[38:39]
	v_ldexp_f32 v30, v30, 1
	v_fma_f32 v49, v48, s56, -v38
	v_fmamk_f32 v50, v48, 0xb102e308, v49
	v_pk_add_f32 v[48:49], v[38:39], v[50:51]
	v_mov_b32_e32 v102, v38
	v_sub_f32_e32 v51, v49, v51
	v_sub_f32_e32 v51, v39, v51
	v_add_f32_e32 v103, v30, v51
	v_pk_add_f32 v[38:39], v[48:49], v[38:39] neg_lo:[0,1] neg_hi:[0,1]
	v_pk_add_f32 v[112:113], v[48:49], v[102:103]
	v_mov_b32_e32 v51, v48
	v_mov_b32_e32 v39, v113
	v_pk_add_f32 v[114:115], v[50:51], v[38:39] neg_lo:[0,1] neg_hi:[0,1]
	v_pk_add_f32 v[38:39], v[50:51], v[38:39]
	v_cmp_eq_f32_e64 s[56:57], s62, v101
	v_mov_b32_e32 v30, v39
	v_pk_add_f32 v[50:51], v[30:31], v[48:49] neg_lo:[0,1] neg_hi:[0,1]
	v_mov_b32_e32 v38, v113
	v_mov_b32_e32 v51, v50
	v_pk_add_f32 v[116:117], v[112:113], v[50:51] neg_lo:[0,1] neg_hi:[0,1]
	v_mov_b32_e32 v112, v49
	v_mov_b32_e32 v113, v50
	;; [unrolled: 1-line block ×3, first 2 shown]
	v_pk_add_f32 v[38:39], v[38:39], v[112:113] neg_lo:[0,1] neg_hi:[0,1]
	v_mov_b32_e32 v50, v103
	v_mov_b32_e32 v51, v48
	v_pk_add_f32 v[38:39], v[50:51], v[38:39] neg_lo:[0,1] neg_hi:[0,1]
	v_mov_b32_e32 v116, v114
	v_pk_add_f32 v[48:49], v[116:117], v[38:39]
	s_mov_b32 s62, 0x33800000
	v_mov_b32_e32 v50, v49
	v_pk_add_f32 v[50:51], v[48:49], v[50:51]
	v_cmp_lt_f32_e64 s[62:63], |v101|, s62
	v_pk_add_f32 v[102:103], v[30:31], v[50:51]
	v_mov_b32_e32 v39, v50
	v_mov_b32_e32 v49, v102
	v_pk_add_f32 v[112:113], v[48:49], v[114:115] neg_lo:[0,1] neg_hi:[0,1]
	s_or_b64 s[56:57], s[56:57], s[62:63]
	v_sub_f32_e32 v30, v48, v112
	v_pk_add_f32 v[38:39], v[38:39], v[112:113] neg_lo:[0,1] neg_hi:[0,1]
	v_sub_f32_e32 v30, v114, v30
	v_add_f32_e32 v30, v38, v30
	v_add_f32_e32 v30, v30, v39
	;; [unrolled: 1-line block ×3, first 2 shown]
	v_cndmask_b32_e64 v30, v30, v101, s[56:57]
	v_add_f32_e32 v30, v31, v30
	v_cvt_f16_f32_e32 v30, v30
.LBB428_140:
	s_or_b64 exec, exec, s[60:61]
.LBB428_141:
	s_or_b64 exec, exec, s[58:59]
	v_add_u32_e32 v31, -1, v37
	v_and_b32_e32 v38, 64, v37
	v_cmp_lt_i32_e64 s[56:57], v31, v38
	v_and_b32_e32 v30, 0xffff, v30
	s_nop 0
	v_cndmask_b32_e64 v31, v31, v37, s[56:57]
	v_lshlrev_b32_e32 v31, 2, v31
	ds_bpermute_b32 v101, v31, v30
	v_cmp_eq_u32_e64 s[56:57], 0, v37
	s_and_saveexec_b64 s[60:61], vcc
	s_cbranch_execz .LBB428_212
; %bb.142:
	v_mov_b32_e32 v49, 0
	ds_read_u16 v102, v49 offset:6
	v_add_u32_e32 v30, 64, v36
	s_and_saveexec_b64 vcc, s[56:57]
	s_cbranch_execz .LBB428_144
; %bb.143:
	v_mov_b32_e32 v31, v49
	v_lshl_add_u64 v[38:39], v[30:31], 2, v[28:29]
	s_waitcnt lgkmcnt(0)
	v_or_b32_e32 v31, 0x10000, v102
	flat_store_dword v[38:39], v31 sc1
.LBB428_144:
	s_or_b64 exec, exec, vcc
	v_xad_u32 v36, v37, -1, v36
	v_add_u32_e32 v48, 64, v36
	v_lshl_add_u64 v[38:39], v[48:49], 2, v[28:29]
	flat_load_dword v135, v[38:39] sc1
	s_waitcnt vmcnt(0) lgkmcnt(0)
	v_lshrrev_b32_e32 v31, 16, v135
	v_cmp_eq_u16_sdwa s[58:59], v31, v49 src0_sel:BYTE_0 src1_sel:DWORD
	s_and_saveexec_b64 vcc, s[58:59]
	s_cbranch_execz .LBB428_148
; %bb.145:
	s_mov_b64 s[58:59], 0
	v_mov_b32_e32 v48, 0
.LBB428_146:                            ; =>This Inner Loop Header: Depth=1
	flat_load_dword v135, v[38:39] sc1
	s_waitcnt vmcnt(0) lgkmcnt(0)
	v_lshrrev_b32_e32 v31, 16, v135
	v_cmp_ne_u16_sdwa s[62:63], v31, v48 src0_sel:BYTE_0 src1_sel:DWORD
	s_or_b64 s[58:59], s[62:63], s[58:59]
	s_andn2_b64 exec, exec, s[58:59]
	s_cbranch_execnz .LBB428_146
; %bb.147:
	s_or_b64 exec, exec, s[58:59]
.LBB428_148:
	s_or_b64 exec, exec, vcc
	v_mov_b32_e32 v38, 2
	v_cmp_eq_u16_sdwa vcc, v31, v38 src0_sel:BYTE_0 src1_sel:DWORD
	v_lshlrev_b64 v[38:39], v37, -1
	v_and_b32_e32 v103, 63, v37
	v_and_b32_e32 v48, vcc_hi, v39
	v_and_b32_e32 v51, vcc_lo, v38
	v_cmp_ne_u32_e32 vcc, 63, v103
	v_and_b32_e32 v49, 0xffff, v135
	v_or_b32_e32 v48, 0x80000000, v48
	v_addc_co_u32_e32 v50, vcc, 0, v37, vcc
	v_lshlrev_b32_e32 v112, 2, v50
	ds_bpermute_b32 v50, v112, v49
	v_ffbl_b32_e32 v48, v48
	v_add_u32_e32 v48, 32, v48
	v_ffbl_b32_e32 v51, v51
	v_min_u32_e32 v48, v51, v48
	v_cmp_lt_u32_e32 vcc, v103, v48
	s_and_saveexec_b64 s[62:63], vcc
	s_cbranch_execz .LBB428_152
; %bb.149:
	s_waitcnt lgkmcnt(0)
	v_cvt_f32_f16_e32 v49, v50
	v_cvt_f32_f16_e32 v113, v135
	v_cmp_u_f16_e32 vcc, v50, v50
	v_cmp_u_f16_e64 s[58:59], v135, v135
	v_min_f32_e32 v51, v49, v113
	v_max_f32_e32 v114, v49, v113
	v_cndmask_b32_e32 v51, v51, v49, vcc
	v_cndmask_b32_e32 v49, v114, v49, vcc
	v_cndmask_b32_e64 v51, v51, v113, s[58:59]
	v_cndmask_b32_e64 v49, v49, v113, s[58:59]
	s_movk_i32 s58, 0x1f8
	v_cmp_neq_f32_e32 vcc, v51, v49
	v_cmp_class_f32_e64 s[58:59], v51, s58
	s_or_b64 vcc, vcc, s[58:59]
	s_and_saveexec_b64 s[58:59], vcc
	s_cbranch_execz .LBB428_151
; %bb.150:
	v_sub_f32_e32 v50, v51, v49
	s_mov_b32 s64, 0x3fb8aa3b
	v_mul_f32_e32 v51, 0x3fb8aa3b, v50
	v_fma_f32 v113, v50, s64, -v51
	v_rndne_f32_e32 v114, v51
	v_fmamk_f32 v113, v50, 0x32a5705f, v113
	v_sub_f32_e32 v51, v51, v114
	v_add_f32_e32 v51, v51, v113
	v_exp_f32_e32 v51, v51
	v_cvt_i32_f32_e32 v113, v114
	s_mov_b32 s64, 0xc2ce8ed0
	v_cmp_ngt_f32_e32 vcc, s64, v50
	s_mov_b32 s64, 0x42b17218
	v_ldexp_f32 v51, v51, v113
	v_cndmask_b32_e32 v51, 0, v51, vcc
	v_mov_b32_e32 v113, 0x7f800000
	v_cmp_nlt_f32_e32 vcc, s64, v50
	s_mov_b32 s64, 0x3f2aaaab
	s_mov_b32 s65, 0x7f800000
	v_cndmask_b32_e32 v144, v113, v51, vcc
	v_add_f32_e32 v113, 1.0, v144
	v_add_f32_e32 v50, -1.0, v113
	v_sub_f32_e32 v51, v50, v113
	v_add_f32_e32 v51, 1.0, v51
	v_sub_f32_e32 v50, v144, v50
	v_add_f32_e32 v114, v50, v51
	v_frexp_mant_f32_e32 v115, v113
	v_cvt_f64_f32_e32 v[50:51], v113
	v_frexp_exp_i32_f64_e32 v50, v[50:51]
	v_cmp_gt_f32_e32 vcc, s64, v115
	s_mov_b32 s64, 0x3f317218
	s_nop 0
	v_subbrev_co_u32_e32 v128, vcc, 0, v50, vcc
	v_sub_u32_e32 v50, 0, v128
	v_ldexp_f32 v51, v113, v50
	v_add_f32_e32 v113, -1.0, v51
	v_add_f32_e32 v115, 1.0, v51
	v_ldexp_f32 v50, v114, v50
	v_add_f32_e32 v114, 1.0, v113
	v_add_f32_e32 v116, -1.0, v115
	v_sub_f32_e32 v114, v51, v114
	v_sub_f32_e32 v51, v51, v116
	v_add_f32_e32 v114, v50, v114
	v_add_f32_e32 v50, v50, v51
	;; [unrolled: 1-line block ×3, first 2 shown]
	v_rcp_f32_e32 v131, v129
	v_sub_f32_e32 v51, v115, v129
	v_add_f32_e32 v130, v50, v51
	v_add_f32_e32 v51, v113, v114
	v_sub_f32_e32 v50, v113, v51
	v_mul_f32_e32 v132, v51, v131
	v_add_f32_e32 v113, v114, v50
	v_mul_f32_e32 v114, v129, v132
	v_fma_f32 v116, v132, v129, -v114
	v_fmac_f32_e32 v116, v132, v130
	v_add_f32_e32 v50, v114, v116
	v_sub_f32_e32 v115, v51, v50
	v_pk_add_f32 v[118:119], v[50:51], v[114:115] neg_lo:[0,1] neg_hi:[0,1]
	v_mov_b32_e32 v117, v50
	v_pk_add_f32 v[50:51], v[118:119], v[116:117] neg_lo:[0,1] neg_hi:[0,1]
	v_cmp_eq_f32_e32 vcc, s65, v144
	v_add_f32_e32 v51, v113, v51
	v_add_f32_e32 v50, v50, v51
	;; [unrolled: 1-line block ×3, first 2 shown]
	v_mul_f32_e32 v113, v131, v51
	v_mul_f32_e32 v114, v129, v113
	v_fma_f32 v116, v113, v129, -v114
	v_fmac_f32_e32 v116, v113, v130
	v_sub_f32_e32 v115, v115, v51
	v_add_f32_e32 v129, v50, v115
	v_add_f32_e32 v50, v114, v116
	v_sub_f32_e32 v115, v51, v50
	v_pk_add_f32 v[118:119], v[50:51], v[114:115] neg_lo:[0,1] neg_hi:[0,1]
	v_mov_b32_e32 v117, v50
	v_pk_add_f32 v[50:51], v[118:119], v[116:117] neg_lo:[0,1] neg_hi:[0,1]
	v_cvt_f32_i32_e32 v114, v128
	v_add_f32_e32 v51, v129, v51
	v_add_f32_e32 v50, v50, v51
	;; [unrolled: 1-line block ×4, first 2 shown]
	v_sub_f32_e32 v51, v115, v132
	v_mul_f32_e32 v50, v131, v50
	v_sub_f32_e32 v51, v113, v51
	v_add_f32_e32 v50, v51, v50
	v_add_f32_e32 v113, v115, v50
	v_mul_f32_e32 v116, v113, v113
	v_mov_b32_e32 v51, 0x3ecc95a3
	v_sub_f32_e32 v115, v113, v115
	v_fmac_f32_e32 v51, 0x3e9b6dac, v116
	v_sub_f32_e32 v50, v50, v115
	v_fmaak_f32 v51, v116, v51, 0x3f2aaada
	v_ldexp_f32 v118, v50, 1
	v_mul_f32_e32 v115, v113, v116
	v_mov_b32_e32 v50, 0x3f317218
	v_pk_mul_f32 v[50:51], v[114:115], v[50:51]
	v_ldexp_f32 v117, v113, 1
	v_fma_f32 v113, v114, s64, -v50
	v_fmamk_f32 v116, v114, 0xb102e308, v113
	v_pk_add_f32 v[114:115], v[50:51], v[116:117]
	s_mov_b32 s64, 0x33800000
	v_sub_f32_e32 v113, v115, v117
	v_sub_f32_e32 v113, v51, v113
	v_add_f32_e32 v119, v118, v113
	v_mov_b32_e32 v118, v50
	v_pk_add_f32 v[50:51], v[114:115], v[50:51] neg_lo:[0,1] neg_hi:[0,1]
	v_pk_add_f32 v[128:129], v[114:115], v[118:119]
	v_mov_b32_e32 v117, v114
	v_mov_b32_e32 v51, v129
	v_pk_add_f32 v[130:131], v[116:117], v[50:51] neg_lo:[0,1] neg_hi:[0,1]
	v_pk_add_f32 v[50:51], v[116:117], v[50:51]
	v_mov_b32_e32 v118, v119
	v_mov_b32_e32 v116, v51
	v_pk_add_f32 v[132:133], v[116:117], v[114:115] neg_lo:[0,1] neg_hi:[0,1]
	v_mov_b32_e32 v50, v129
	v_mov_b32_e32 v113, v132
	v_pk_add_f32 v[134:135], v[128:129], v[112:113] neg_lo:[0,1] neg_hi:[0,1]
	v_mov_b32_e32 v128, v115
	v_mov_b32_e32 v129, v132
	;; [unrolled: 1-line block ×3, first 2 shown]
	v_pk_add_f32 v[50:51], v[50:51], v[128:129] neg_lo:[0,1] neg_hi:[0,1]
	v_mov_b32_e32 v119, v114
	v_pk_add_f32 v[50:51], v[118:119], v[50:51] neg_lo:[0,1] neg_hi:[0,1]
	v_mov_b32_e32 v134, v130
	v_pk_add_f32 v[114:115], v[134:135], v[50:51]
	v_cmp_lt_f32_e64 s[64:65], |v144|, s64
	v_mov_b32_e32 v118, v115
	v_pk_add_f32 v[118:119], v[114:115], v[118:119]
	s_or_b64 vcc, vcc, s[64:65]
	v_pk_add_f32 v[116:117], v[116:117], v[118:119]
	v_mov_b32_e32 v51, v118
	v_mov_b32_e32 v115, v116
	v_pk_add_f32 v[128:129], v[114:115], v[130:131] neg_lo:[0,1] neg_hi:[0,1]
	s_nop 0
	v_sub_f32_e32 v113, v114, v128
	v_pk_add_f32 v[50:51], v[50:51], v[128:129] neg_lo:[0,1] neg_hi:[0,1]
	v_sub_f32_e32 v113, v130, v113
	v_add_f32_e32 v50, v50, v113
	v_add_f32_e32 v50, v50, v51
	;; [unrolled: 1-line block ×3, first 2 shown]
	v_cndmask_b32_e32 v50, v50, v144, vcc
	v_add_f32_e32 v49, v49, v50
	v_cvt_f16_f32_e32 v50, v49
.LBB428_151:
	s_or_b64 exec, exec, s[58:59]
	v_and_b32_e32 v49, 0xffff, v50
	v_mov_b32_e32 v135, v50
.LBB428_152:
	s_or_b64 exec, exec, s[62:63]
	v_cmp_gt_u32_e32 vcc, 62, v103
	v_add_u32_e32 v114, 2, v103
	s_waitcnt lgkmcnt(0)
	v_cndmask_b32_e64 v50, 0, 1, vcc
	v_lshlrev_b32_e32 v50, 1, v50
	v_add_lshl_u32 v113, v50, v37, 2
	ds_bpermute_b32 v50, v113, v49
	v_cmp_le_u32_e32 vcc, v114, v48
	s_and_saveexec_b64 s[62:63], vcc
	s_cbranch_execz .LBB428_156
; %bb.153:
	s_waitcnt lgkmcnt(0)
	v_cvt_f32_f16_e32 v49, v50
	v_cvt_f32_f16_e32 v115, v135
	v_cmp_u_f16_e32 vcc, v50, v50
	v_cmp_u_f16_e64 s[58:59], v135, v135
	v_min_f32_e32 v51, v49, v115
	v_max_f32_e32 v116, v49, v115
	v_cndmask_b32_e32 v51, v51, v49, vcc
	v_cndmask_b32_e32 v49, v116, v49, vcc
	v_cndmask_b32_e64 v51, v51, v115, s[58:59]
	v_cndmask_b32_e64 v49, v49, v115, s[58:59]
	s_movk_i32 s58, 0x1f8
	v_cmp_neq_f32_e32 vcc, v51, v49
	v_cmp_class_f32_e64 s[58:59], v51, s58
	s_or_b64 vcc, vcc, s[58:59]
	s_and_saveexec_b64 s[58:59], vcc
	s_cbranch_execz .LBB428_155
; %bb.154:
	v_sub_f32_e32 v50, v51, v49
	s_mov_b32 s64, 0x3fb8aa3b
	v_mul_f32_e32 v51, 0x3fb8aa3b, v50
	v_fma_f32 v115, v50, s64, -v51
	v_rndne_f32_e32 v116, v51
	v_fmamk_f32 v115, v50, 0x32a5705f, v115
	v_sub_f32_e32 v51, v51, v116
	v_add_f32_e32 v51, v51, v115
	v_exp_f32_e32 v51, v51
	v_cvt_i32_f32_e32 v115, v116
	s_mov_b32 s64, 0xc2ce8ed0
	v_cmp_ngt_f32_e32 vcc, s64, v50
	s_mov_b32 s64, 0x42b17218
	v_ldexp_f32 v51, v51, v115
	v_cndmask_b32_e32 v51, 0, v51, vcc
	v_mov_b32_e32 v115, 0x7f800000
	v_cmp_nlt_f32_e32 vcc, s64, v50
	s_mov_b32 s64, 0x3f2aaaab
	s_mov_b32 s65, 0x7f800000
	v_cndmask_b32_e32 v146, v115, v51, vcc
	v_add_f32_e32 v115, 1.0, v146
	v_add_f32_e32 v50, -1.0, v115
	v_sub_f32_e32 v51, v50, v115
	v_add_f32_e32 v51, 1.0, v51
	v_sub_f32_e32 v50, v146, v50
	v_add_f32_e32 v116, v50, v51
	v_frexp_mant_f32_e32 v117, v115
	v_cvt_f64_f32_e32 v[50:51], v115
	v_frexp_exp_i32_f64_e32 v50, v[50:51]
	v_cmp_gt_f32_e32 vcc, s64, v117
	s_mov_b32 s64, 0x3f317218
	s_nop 0
	v_subbrev_co_u32_e32 v130, vcc, 0, v50, vcc
	v_sub_u32_e32 v50, 0, v130
	v_ldexp_f32 v51, v115, v50
	v_add_f32_e32 v115, -1.0, v51
	v_add_f32_e32 v117, 1.0, v51
	v_ldexp_f32 v50, v116, v50
	v_add_f32_e32 v116, 1.0, v115
	v_add_f32_e32 v118, -1.0, v117
	v_sub_f32_e32 v116, v51, v116
	v_sub_f32_e32 v51, v51, v118
	v_add_f32_e32 v116, v50, v116
	v_add_f32_e32 v50, v50, v51
	;; [unrolled: 1-line block ×3, first 2 shown]
	v_rcp_f32_e32 v133, v131
	v_sub_f32_e32 v51, v117, v131
	v_add_f32_e32 v132, v50, v51
	v_add_f32_e32 v51, v115, v116
	v_sub_f32_e32 v50, v115, v51
	v_mul_f32_e32 v134, v51, v133
	v_add_f32_e32 v115, v116, v50
	v_mul_f32_e32 v116, v131, v134
	v_fma_f32 v118, v134, v131, -v116
	v_fmac_f32_e32 v118, v134, v132
	v_add_f32_e32 v50, v116, v118
	v_sub_f32_e32 v117, v51, v50
	v_pk_add_f32 v[128:129], v[50:51], v[116:117] neg_lo:[0,1] neg_hi:[0,1]
	v_mov_b32_e32 v119, v50
	v_pk_add_f32 v[50:51], v[128:129], v[118:119] neg_lo:[0,1] neg_hi:[0,1]
	v_cmp_eq_f32_e32 vcc, s65, v146
	v_add_f32_e32 v51, v115, v51
	v_add_f32_e32 v50, v50, v51
	;; [unrolled: 1-line block ×3, first 2 shown]
	v_mul_f32_e32 v115, v133, v51
	v_mul_f32_e32 v116, v131, v115
	v_fma_f32 v118, v115, v131, -v116
	v_fmac_f32_e32 v118, v115, v132
	v_sub_f32_e32 v117, v117, v51
	v_add_f32_e32 v131, v50, v117
	v_add_f32_e32 v50, v116, v118
	v_sub_f32_e32 v117, v51, v50
	v_pk_add_f32 v[128:129], v[50:51], v[116:117] neg_lo:[0,1] neg_hi:[0,1]
	v_mov_b32_e32 v119, v50
	v_pk_add_f32 v[50:51], v[128:129], v[118:119] neg_lo:[0,1] neg_hi:[0,1]
	v_cvt_f32_i32_e32 v116, v130
	v_add_f32_e32 v51, v131, v51
	v_add_f32_e32 v50, v50, v51
	;; [unrolled: 1-line block ×4, first 2 shown]
	v_sub_f32_e32 v51, v117, v134
	v_mul_f32_e32 v50, v133, v50
	v_sub_f32_e32 v51, v115, v51
	v_add_f32_e32 v50, v51, v50
	v_add_f32_e32 v115, v117, v50
	v_mul_f32_e32 v118, v115, v115
	v_mov_b32_e32 v51, 0x3ecc95a3
	v_sub_f32_e32 v117, v115, v117
	v_fmac_f32_e32 v51, 0x3e9b6dac, v118
	v_sub_f32_e32 v50, v50, v117
	v_fmaak_f32 v51, v118, v51, 0x3f2aaada
	v_ldexp_f32 v128, v50, 1
	v_mul_f32_e32 v117, v115, v118
	v_mov_b32_e32 v50, 0x3f317218
	v_pk_mul_f32 v[50:51], v[116:117], v[50:51]
	v_ldexp_f32 v119, v115, 1
	v_fma_f32 v115, v116, s64, -v50
	v_fmamk_f32 v118, v116, 0xb102e308, v115
	v_pk_add_f32 v[116:117], v[50:51], v[118:119]
	s_mov_b32 s64, 0x33800000
	v_sub_f32_e32 v115, v117, v119
	v_sub_f32_e32 v115, v51, v115
	v_add_f32_e32 v129, v128, v115
	v_mov_b32_e32 v128, v50
	v_pk_add_f32 v[50:51], v[116:117], v[50:51] neg_lo:[0,1] neg_hi:[0,1]
	v_pk_add_f32 v[130:131], v[116:117], v[128:129]
	v_mov_b32_e32 v119, v116
	v_mov_b32_e32 v51, v131
	v_pk_add_f32 v[132:133], v[118:119], v[50:51] neg_lo:[0,1] neg_hi:[0,1]
	v_pk_add_f32 v[50:51], v[118:119], v[50:51]
	v_mov_b32_e32 v128, v129
	v_mov_b32_e32 v118, v51
	v_pk_add_f32 v[134:135], v[118:119], v[116:117] neg_lo:[0,1] neg_hi:[0,1]
	v_mov_b32_e32 v50, v131
	v_mov_b32_e32 v115, v134
	v_pk_add_f32 v[144:145], v[130:131], v[114:115] neg_lo:[0,1] neg_hi:[0,1]
	v_mov_b32_e32 v130, v117
	v_mov_b32_e32 v131, v134
	;; [unrolled: 1-line block ×3, first 2 shown]
	v_pk_add_f32 v[50:51], v[50:51], v[130:131] neg_lo:[0,1] neg_hi:[0,1]
	v_mov_b32_e32 v129, v116
	v_pk_add_f32 v[50:51], v[128:129], v[50:51] neg_lo:[0,1] neg_hi:[0,1]
	v_mov_b32_e32 v144, v132
	v_pk_add_f32 v[116:117], v[144:145], v[50:51]
	v_cmp_lt_f32_e64 s[64:65], |v146|, s64
	v_mov_b32_e32 v128, v117
	v_pk_add_f32 v[128:129], v[116:117], v[128:129]
	s_or_b64 vcc, vcc, s[64:65]
	v_pk_add_f32 v[118:119], v[118:119], v[128:129]
	v_mov_b32_e32 v51, v128
	v_mov_b32_e32 v117, v118
	v_pk_add_f32 v[130:131], v[116:117], v[132:133] neg_lo:[0,1] neg_hi:[0,1]
	s_nop 0
	v_sub_f32_e32 v115, v116, v130
	v_pk_add_f32 v[50:51], v[50:51], v[130:131] neg_lo:[0,1] neg_hi:[0,1]
	v_sub_f32_e32 v115, v132, v115
	v_add_f32_e32 v50, v50, v115
	v_add_f32_e32 v50, v50, v51
	v_add_f32_e32 v50, v118, v50
	v_cndmask_b32_e32 v50, v50, v146, vcc
	v_add_f32_e32 v49, v49, v50
	v_cvt_f16_f32_e32 v50, v49
.LBB428_155:
	s_or_b64 exec, exec, s[58:59]
	v_and_b32_e32 v49, 0xffff, v50
	v_mov_b32_e32 v135, v50
.LBB428_156:
	s_or_b64 exec, exec, s[62:63]
	v_cmp_gt_u32_e32 vcc, 60, v103
	v_add_u32_e32 v116, 4, v103
	s_waitcnt lgkmcnt(0)
	v_cndmask_b32_e64 v50, 0, 1, vcc
	v_lshlrev_b32_e32 v50, 2, v50
	v_add_lshl_u32 v115, v50, v37, 2
	ds_bpermute_b32 v50, v115, v49
	v_cmp_le_u32_e32 vcc, v116, v48
	s_and_saveexec_b64 s[62:63], vcc
	s_cbranch_execz .LBB428_160
; %bb.157:
	s_waitcnt lgkmcnt(0)
	v_cvt_f32_f16_e32 v49, v50
	v_cvt_f32_f16_e32 v117, v135
	v_cmp_u_f16_e32 vcc, v50, v50
	v_cmp_u_f16_e64 s[58:59], v135, v135
	v_min_f32_e32 v51, v49, v117
	v_max_f32_e32 v118, v49, v117
	v_cndmask_b32_e32 v51, v51, v49, vcc
	v_cndmask_b32_e32 v49, v118, v49, vcc
	v_cndmask_b32_e64 v51, v51, v117, s[58:59]
	v_cndmask_b32_e64 v49, v49, v117, s[58:59]
	s_movk_i32 s58, 0x1f8
	v_cmp_neq_f32_e32 vcc, v51, v49
	v_cmp_class_f32_e64 s[58:59], v51, s58
	s_or_b64 vcc, vcc, s[58:59]
	s_and_saveexec_b64 s[58:59], vcc
	s_cbranch_execz .LBB428_159
; %bb.158:
	v_sub_f32_e32 v50, v51, v49
	s_mov_b32 s64, 0x3fb8aa3b
	v_mul_f32_e32 v51, 0x3fb8aa3b, v50
	v_fma_f32 v117, v50, s64, -v51
	v_rndne_f32_e32 v118, v51
	v_fmamk_f32 v117, v50, 0x32a5705f, v117
	v_sub_f32_e32 v51, v51, v118
	v_add_f32_e32 v51, v51, v117
	v_exp_f32_e32 v51, v51
	v_cvt_i32_f32_e32 v117, v118
	s_mov_b32 s64, 0xc2ce8ed0
	v_cmp_ngt_f32_e32 vcc, s64, v50
	s_mov_b32 s64, 0x42b17218
	v_ldexp_f32 v51, v51, v117
	v_cndmask_b32_e32 v51, 0, v51, vcc
	v_mov_b32_e32 v117, 0x7f800000
	v_cmp_nlt_f32_e32 vcc, s64, v50
	s_mov_b32 s64, 0x3f2aaaab
	s_mov_b32 s65, 0x7f800000
	v_cndmask_b32_e32 v148, v117, v51, vcc
	v_add_f32_e32 v117, 1.0, v148
	v_add_f32_e32 v50, -1.0, v117
	v_sub_f32_e32 v51, v50, v117
	v_add_f32_e32 v51, 1.0, v51
	v_sub_f32_e32 v50, v148, v50
	v_add_f32_e32 v118, v50, v51
	v_frexp_mant_f32_e32 v119, v117
	v_cvt_f64_f32_e32 v[50:51], v117
	v_frexp_exp_i32_f64_e32 v50, v[50:51]
	v_cmp_gt_f32_e32 vcc, s64, v119
	s_mov_b32 s64, 0x3f317218
	s_nop 0
	v_subbrev_co_u32_e32 v132, vcc, 0, v50, vcc
	v_sub_u32_e32 v50, 0, v132
	v_ldexp_f32 v51, v117, v50
	v_add_f32_e32 v117, -1.0, v51
	v_add_f32_e32 v119, 1.0, v51
	v_ldexp_f32 v50, v118, v50
	v_add_f32_e32 v118, 1.0, v117
	v_add_f32_e32 v128, -1.0, v119
	v_sub_f32_e32 v118, v51, v118
	v_sub_f32_e32 v51, v51, v128
	v_add_f32_e32 v118, v50, v118
	v_add_f32_e32 v50, v50, v51
	;; [unrolled: 1-line block ×3, first 2 shown]
	v_rcp_f32_e32 v135, v133
	v_sub_f32_e32 v51, v119, v133
	v_add_f32_e32 v134, v50, v51
	v_add_f32_e32 v51, v117, v118
	v_sub_f32_e32 v50, v117, v51
	v_mul_f32_e32 v144, v51, v135
	v_add_f32_e32 v117, v118, v50
	v_mul_f32_e32 v118, v133, v144
	v_fma_f32 v128, v144, v133, -v118
	v_fmac_f32_e32 v128, v144, v134
	v_add_f32_e32 v50, v118, v128
	v_sub_f32_e32 v119, v51, v50
	v_pk_add_f32 v[130:131], v[50:51], v[118:119] neg_lo:[0,1] neg_hi:[0,1]
	v_mov_b32_e32 v129, v50
	v_pk_add_f32 v[50:51], v[130:131], v[128:129] neg_lo:[0,1] neg_hi:[0,1]
	v_cmp_eq_f32_e32 vcc, s65, v148
	v_add_f32_e32 v51, v117, v51
	v_add_f32_e32 v50, v50, v51
	v_add_f32_e32 v51, v119, v50
	v_mul_f32_e32 v117, v135, v51
	v_mul_f32_e32 v118, v133, v117
	v_fma_f32 v128, v117, v133, -v118
	v_fmac_f32_e32 v128, v117, v134
	v_sub_f32_e32 v119, v119, v51
	v_add_f32_e32 v133, v50, v119
	v_add_f32_e32 v50, v118, v128
	v_sub_f32_e32 v119, v51, v50
	v_pk_add_f32 v[130:131], v[50:51], v[118:119] neg_lo:[0,1] neg_hi:[0,1]
	v_mov_b32_e32 v129, v50
	v_pk_add_f32 v[50:51], v[130:131], v[128:129] neg_lo:[0,1] neg_hi:[0,1]
	v_cvt_f32_i32_e32 v118, v132
	v_add_f32_e32 v51, v133, v51
	v_add_f32_e32 v50, v50, v51
	;; [unrolled: 1-line block ×4, first 2 shown]
	v_sub_f32_e32 v51, v119, v144
	v_mul_f32_e32 v50, v135, v50
	v_sub_f32_e32 v51, v117, v51
	v_add_f32_e32 v50, v51, v50
	v_add_f32_e32 v117, v119, v50
	v_mul_f32_e32 v128, v117, v117
	v_mov_b32_e32 v51, 0x3ecc95a3
	v_sub_f32_e32 v119, v117, v119
	v_fmac_f32_e32 v51, 0x3e9b6dac, v128
	v_sub_f32_e32 v50, v50, v119
	v_fmaak_f32 v51, v128, v51, 0x3f2aaada
	v_ldexp_f32 v130, v50, 1
	v_mul_f32_e32 v119, v117, v128
	v_mov_b32_e32 v50, 0x3f317218
	v_pk_mul_f32 v[50:51], v[118:119], v[50:51]
	v_ldexp_f32 v129, v117, 1
	v_fma_f32 v117, v118, s64, -v50
	v_fmamk_f32 v128, v118, 0xb102e308, v117
	v_pk_add_f32 v[118:119], v[50:51], v[128:129]
	s_mov_b32 s64, 0x33800000
	v_sub_f32_e32 v117, v119, v129
	v_sub_f32_e32 v117, v51, v117
	v_add_f32_e32 v131, v130, v117
	v_mov_b32_e32 v130, v50
	v_pk_add_f32 v[50:51], v[118:119], v[50:51] neg_lo:[0,1] neg_hi:[0,1]
	v_pk_add_f32 v[132:133], v[118:119], v[130:131]
	v_mov_b32_e32 v129, v118
	v_mov_b32_e32 v51, v133
	v_pk_add_f32 v[134:135], v[128:129], v[50:51] neg_lo:[0,1] neg_hi:[0,1]
	v_pk_add_f32 v[50:51], v[128:129], v[50:51]
	v_mov_b32_e32 v130, v131
	v_mov_b32_e32 v128, v51
	v_pk_add_f32 v[144:145], v[128:129], v[118:119] neg_lo:[0,1] neg_hi:[0,1]
	v_mov_b32_e32 v50, v133
	v_mov_b32_e32 v117, v144
	v_pk_add_f32 v[146:147], v[132:133], v[116:117] neg_lo:[0,1] neg_hi:[0,1]
	v_mov_b32_e32 v132, v119
	v_mov_b32_e32 v133, v144
	;; [unrolled: 1-line block ×3, first 2 shown]
	v_pk_add_f32 v[50:51], v[50:51], v[132:133] neg_lo:[0,1] neg_hi:[0,1]
	v_mov_b32_e32 v131, v118
	v_pk_add_f32 v[50:51], v[130:131], v[50:51] neg_lo:[0,1] neg_hi:[0,1]
	v_mov_b32_e32 v146, v134
	v_pk_add_f32 v[118:119], v[146:147], v[50:51]
	v_cmp_lt_f32_e64 s[64:65], |v148|, s64
	v_mov_b32_e32 v130, v119
	v_pk_add_f32 v[130:131], v[118:119], v[130:131]
	s_or_b64 vcc, vcc, s[64:65]
	v_pk_add_f32 v[128:129], v[128:129], v[130:131]
	v_mov_b32_e32 v51, v130
	v_mov_b32_e32 v119, v128
	v_pk_add_f32 v[132:133], v[118:119], v[134:135] neg_lo:[0,1] neg_hi:[0,1]
	s_nop 0
	v_sub_f32_e32 v117, v118, v132
	v_pk_add_f32 v[50:51], v[50:51], v[132:133] neg_lo:[0,1] neg_hi:[0,1]
	v_sub_f32_e32 v117, v134, v117
	v_add_f32_e32 v50, v50, v117
	v_add_f32_e32 v50, v50, v51
	;; [unrolled: 1-line block ×3, first 2 shown]
	v_cndmask_b32_e32 v50, v50, v148, vcc
	v_add_f32_e32 v49, v49, v50
	v_cvt_f16_f32_e32 v50, v49
.LBB428_159:
	s_or_b64 exec, exec, s[58:59]
	v_and_b32_e32 v49, 0xffff, v50
	v_mov_b32_e32 v135, v50
.LBB428_160:
	s_or_b64 exec, exec, s[62:63]
	v_cmp_gt_u32_e32 vcc, 56, v103
	v_add_u32_e32 v118, 8, v103
	s_waitcnt lgkmcnt(0)
	v_cndmask_b32_e64 v50, 0, 1, vcc
	v_lshlrev_b32_e32 v50, 3, v50
	v_add_lshl_u32 v117, v50, v37, 2
	ds_bpermute_b32 v50, v117, v49
	v_cmp_le_u32_e32 vcc, v118, v48
	s_and_saveexec_b64 s[62:63], vcc
	s_cbranch_execz .LBB428_164
; %bb.161:
	s_waitcnt lgkmcnt(0)
	v_cvt_f32_f16_e32 v49, v50
	v_cvt_f32_f16_e32 v119, v135
	v_cmp_u_f16_e32 vcc, v50, v50
	v_cmp_u_f16_e64 s[58:59], v135, v135
	v_min_f32_e32 v51, v49, v119
	v_max_f32_e32 v128, v49, v119
	v_cndmask_b32_e32 v51, v51, v49, vcc
	v_cndmask_b32_e32 v49, v128, v49, vcc
	v_cndmask_b32_e64 v51, v51, v119, s[58:59]
	v_cndmask_b32_e64 v49, v49, v119, s[58:59]
	s_movk_i32 s58, 0x1f8
	v_cmp_neq_f32_e32 vcc, v51, v49
	v_cmp_class_f32_e64 s[58:59], v51, s58
	s_or_b64 vcc, vcc, s[58:59]
	s_and_saveexec_b64 s[58:59], vcc
	s_cbranch_execz .LBB428_163
; %bb.162:
	v_sub_f32_e32 v50, v51, v49
	s_mov_b32 s64, 0x3fb8aa3b
	v_mul_f32_e32 v51, 0x3fb8aa3b, v50
	v_fma_f32 v119, v50, s64, -v51
	v_rndne_f32_e32 v128, v51
	v_fmamk_f32 v119, v50, 0x32a5705f, v119
	v_sub_f32_e32 v51, v51, v128
	v_add_f32_e32 v51, v51, v119
	v_exp_f32_e32 v51, v51
	v_cvt_i32_f32_e32 v119, v128
	s_mov_b32 s64, 0xc2ce8ed0
	v_cmp_ngt_f32_e32 vcc, s64, v50
	s_mov_b32 s64, 0x42b17218
	v_ldexp_f32 v51, v51, v119
	v_cndmask_b32_e32 v51, 0, v51, vcc
	v_mov_b32_e32 v119, 0x7f800000
	v_cmp_nlt_f32_e32 vcc, s64, v50
	s_mov_b32 s64, 0x3f2aaaab
	s_mov_b32 s65, 0x7f800000
	v_cndmask_b32_e32 v150, v119, v51, vcc
	v_add_f32_e32 v119, 1.0, v150
	v_add_f32_e32 v50, -1.0, v119
	v_sub_f32_e32 v51, v50, v119
	v_add_f32_e32 v51, 1.0, v51
	v_sub_f32_e32 v50, v150, v50
	v_add_f32_e32 v128, v50, v51
	v_frexp_mant_f32_e32 v129, v119
	v_cvt_f64_f32_e32 v[50:51], v119
	v_frexp_exp_i32_f64_e32 v50, v[50:51]
	v_cmp_gt_f32_e32 vcc, s64, v129
	s_mov_b32 s64, 0x3f317218
	s_nop 0
	v_subbrev_co_u32_e32 v134, vcc, 0, v50, vcc
	v_sub_u32_e32 v50, 0, v134
	v_ldexp_f32 v51, v119, v50
	v_add_f32_e32 v119, -1.0, v51
	v_add_f32_e32 v129, 1.0, v51
	v_ldexp_f32 v50, v128, v50
	v_add_f32_e32 v128, 1.0, v119
	v_add_f32_e32 v130, -1.0, v129
	v_sub_f32_e32 v128, v51, v128
	v_sub_f32_e32 v51, v51, v130
	v_add_f32_e32 v128, v50, v128
	v_add_f32_e32 v50, v50, v51
	;; [unrolled: 1-line block ×3, first 2 shown]
	v_rcp_f32_e32 v145, v135
	v_sub_f32_e32 v51, v129, v135
	v_add_f32_e32 v144, v50, v51
	v_add_f32_e32 v51, v119, v128
	v_sub_f32_e32 v50, v119, v51
	v_mul_f32_e32 v146, v51, v145
	v_add_f32_e32 v119, v128, v50
	v_mul_f32_e32 v128, v135, v146
	v_fma_f32 v130, v146, v135, -v128
	v_fmac_f32_e32 v130, v146, v144
	v_add_f32_e32 v50, v128, v130
	v_sub_f32_e32 v129, v51, v50
	v_pk_add_f32 v[132:133], v[50:51], v[128:129] neg_lo:[0,1] neg_hi:[0,1]
	v_mov_b32_e32 v131, v50
	v_pk_add_f32 v[50:51], v[132:133], v[130:131] neg_lo:[0,1] neg_hi:[0,1]
	v_cmp_eq_f32_e32 vcc, s65, v150
	v_add_f32_e32 v51, v119, v51
	v_add_f32_e32 v50, v50, v51
	;; [unrolled: 1-line block ×3, first 2 shown]
	v_mul_f32_e32 v119, v145, v51
	v_mul_f32_e32 v128, v135, v119
	v_fma_f32 v130, v119, v135, -v128
	v_fmac_f32_e32 v130, v119, v144
	v_sub_f32_e32 v129, v129, v51
	v_add_f32_e32 v135, v50, v129
	v_add_f32_e32 v50, v128, v130
	v_sub_f32_e32 v129, v51, v50
	v_pk_add_f32 v[132:133], v[50:51], v[128:129] neg_lo:[0,1] neg_hi:[0,1]
	v_mov_b32_e32 v131, v50
	v_pk_add_f32 v[50:51], v[132:133], v[130:131] neg_lo:[0,1] neg_hi:[0,1]
	v_cvt_f32_i32_e32 v128, v134
	v_add_f32_e32 v51, v135, v51
	v_add_f32_e32 v50, v50, v51
	;; [unrolled: 1-line block ×4, first 2 shown]
	v_sub_f32_e32 v51, v129, v146
	v_mul_f32_e32 v50, v145, v50
	v_sub_f32_e32 v51, v119, v51
	v_add_f32_e32 v50, v51, v50
	v_add_f32_e32 v119, v129, v50
	v_mul_f32_e32 v130, v119, v119
	v_mov_b32_e32 v51, 0x3ecc95a3
	v_sub_f32_e32 v129, v119, v129
	v_fmac_f32_e32 v51, 0x3e9b6dac, v130
	v_sub_f32_e32 v50, v50, v129
	v_fmaak_f32 v51, v130, v51, 0x3f2aaada
	v_ldexp_f32 v132, v50, 1
	v_mul_f32_e32 v129, v119, v130
	v_mov_b32_e32 v50, 0x3f317218
	v_pk_mul_f32 v[50:51], v[128:129], v[50:51]
	v_ldexp_f32 v131, v119, 1
	v_fma_f32 v119, v128, s64, -v50
	v_fmamk_f32 v130, v128, 0xb102e308, v119
	v_pk_add_f32 v[128:129], v[50:51], v[130:131]
	s_mov_b32 s64, 0x33800000
	v_sub_f32_e32 v119, v129, v131
	v_sub_f32_e32 v119, v51, v119
	v_add_f32_e32 v133, v132, v119
	v_mov_b32_e32 v132, v50
	v_pk_add_f32 v[50:51], v[128:129], v[50:51] neg_lo:[0,1] neg_hi:[0,1]
	v_pk_add_f32 v[134:135], v[128:129], v[132:133]
	v_mov_b32_e32 v131, v128
	v_mov_b32_e32 v51, v135
	v_pk_add_f32 v[144:145], v[130:131], v[50:51] neg_lo:[0,1] neg_hi:[0,1]
	v_pk_add_f32 v[50:51], v[130:131], v[50:51]
	v_mov_b32_e32 v132, v133
	v_mov_b32_e32 v130, v51
	v_pk_add_f32 v[146:147], v[130:131], v[128:129] neg_lo:[0,1] neg_hi:[0,1]
	v_mov_b32_e32 v50, v135
	v_mov_b32_e32 v119, v146
	v_pk_add_f32 v[148:149], v[134:135], v[118:119] neg_lo:[0,1] neg_hi:[0,1]
	v_mov_b32_e32 v134, v129
	v_mov_b32_e32 v135, v146
	;; [unrolled: 1-line block ×3, first 2 shown]
	v_pk_add_f32 v[50:51], v[50:51], v[134:135] neg_lo:[0,1] neg_hi:[0,1]
	v_mov_b32_e32 v133, v128
	v_pk_add_f32 v[50:51], v[132:133], v[50:51] neg_lo:[0,1] neg_hi:[0,1]
	v_mov_b32_e32 v148, v144
	v_pk_add_f32 v[128:129], v[148:149], v[50:51]
	v_cmp_lt_f32_e64 s[64:65], |v150|, s64
	v_mov_b32_e32 v132, v129
	v_pk_add_f32 v[132:133], v[128:129], v[132:133]
	s_or_b64 vcc, vcc, s[64:65]
	v_pk_add_f32 v[130:131], v[130:131], v[132:133]
	v_mov_b32_e32 v51, v132
	v_mov_b32_e32 v129, v130
	v_pk_add_f32 v[134:135], v[128:129], v[144:145] neg_lo:[0,1] neg_hi:[0,1]
	s_nop 0
	v_sub_f32_e32 v119, v128, v134
	v_pk_add_f32 v[50:51], v[50:51], v[134:135] neg_lo:[0,1] neg_hi:[0,1]
	v_sub_f32_e32 v119, v144, v119
	v_add_f32_e32 v50, v50, v119
	v_add_f32_e32 v50, v50, v51
	;; [unrolled: 1-line block ×3, first 2 shown]
	v_cndmask_b32_e32 v50, v50, v150, vcc
	v_add_f32_e32 v49, v49, v50
	v_cvt_f16_f32_e32 v50, v49
.LBB428_163:
	s_or_b64 exec, exec, s[58:59]
	v_and_b32_e32 v49, 0xffff, v50
	v_mov_b32_e32 v135, v50
.LBB428_164:
	s_or_b64 exec, exec, s[62:63]
	v_cmp_gt_u32_e32 vcc, 48, v103
	v_add_u32_e32 v128, 16, v103
	s_waitcnt lgkmcnt(0)
	v_cndmask_b32_e64 v50, 0, 1, vcc
	v_lshlrev_b32_e32 v50, 4, v50
	v_add_lshl_u32 v119, v50, v37, 2
	ds_bpermute_b32 v50, v119, v49
	v_cmp_le_u32_e32 vcc, v128, v48
	s_and_saveexec_b64 s[62:63], vcc
	s_cbranch_execz .LBB428_168
; %bb.165:
	s_waitcnt lgkmcnt(0)
	v_cvt_f32_f16_e32 v49, v50
	v_cvt_f32_f16_e32 v129, v135
	v_cmp_u_f16_e32 vcc, v50, v50
	v_cmp_u_f16_e64 s[58:59], v135, v135
	v_min_f32_e32 v51, v49, v129
	v_max_f32_e32 v130, v49, v129
	v_cndmask_b32_e32 v51, v51, v49, vcc
	v_cndmask_b32_e32 v49, v130, v49, vcc
	v_cndmask_b32_e64 v51, v51, v129, s[58:59]
	v_cndmask_b32_e64 v49, v49, v129, s[58:59]
	s_movk_i32 s58, 0x1f8
	v_cmp_neq_f32_e32 vcc, v51, v49
	v_cmp_class_f32_e64 s[58:59], v51, s58
	s_or_b64 vcc, vcc, s[58:59]
	s_and_saveexec_b64 s[58:59], vcc
	s_cbranch_execz .LBB428_167
; %bb.166:
	v_sub_f32_e32 v50, v51, v49
	s_mov_b32 s64, 0x3fb8aa3b
	v_mul_f32_e32 v51, 0x3fb8aa3b, v50
	v_fma_f32 v129, v50, s64, -v51
	v_rndne_f32_e32 v130, v51
	v_fmamk_f32 v129, v50, 0x32a5705f, v129
	v_sub_f32_e32 v51, v51, v130
	v_add_f32_e32 v51, v51, v129
	v_exp_f32_e32 v51, v51
	v_cvt_i32_f32_e32 v129, v130
	s_mov_b32 s64, 0xc2ce8ed0
	v_cmp_ngt_f32_e32 vcc, s64, v50
	s_mov_b32 s64, 0x42b17218
	v_ldexp_f32 v51, v51, v129
	v_cndmask_b32_e32 v51, 0, v51, vcc
	v_mov_b32_e32 v129, 0x7f800000
	v_cmp_nlt_f32_e32 vcc, s64, v50
	s_mov_b32 s64, 0x3f2aaaab
	s_mov_b32 s65, 0x7f800000
	v_cndmask_b32_e32 v160, v129, v51, vcc
	v_add_f32_e32 v129, 1.0, v160
	v_add_f32_e32 v50, -1.0, v129
	v_sub_f32_e32 v51, v50, v129
	v_add_f32_e32 v51, 1.0, v51
	v_sub_f32_e32 v50, v160, v50
	v_add_f32_e32 v130, v50, v51
	v_frexp_mant_f32_e32 v131, v129
	v_cvt_f64_f32_e32 v[50:51], v129
	v_frexp_exp_i32_f64_e32 v50, v[50:51]
	v_cmp_gt_f32_e32 vcc, s64, v131
	s_mov_b32 s64, 0x3f317218
	s_nop 0
	v_subbrev_co_u32_e32 v144, vcc, 0, v50, vcc
	v_sub_u32_e32 v50, 0, v144
	v_ldexp_f32 v51, v129, v50
	v_add_f32_e32 v129, -1.0, v51
	v_add_f32_e32 v131, 1.0, v51
	v_ldexp_f32 v50, v130, v50
	v_add_f32_e32 v130, 1.0, v129
	v_add_f32_e32 v132, -1.0, v131
	v_sub_f32_e32 v130, v51, v130
	v_sub_f32_e32 v51, v51, v132
	v_add_f32_e32 v130, v50, v130
	v_add_f32_e32 v50, v50, v51
	;; [unrolled: 1-line block ×3, first 2 shown]
	v_rcp_f32_e32 v147, v145
	v_sub_f32_e32 v51, v131, v145
	v_add_f32_e32 v146, v50, v51
	v_add_f32_e32 v51, v129, v130
	v_sub_f32_e32 v50, v129, v51
	v_mul_f32_e32 v148, v51, v147
	v_add_f32_e32 v129, v130, v50
	v_mul_f32_e32 v130, v145, v148
	v_fma_f32 v132, v148, v145, -v130
	v_fmac_f32_e32 v132, v148, v146
	v_add_f32_e32 v50, v130, v132
	v_sub_f32_e32 v131, v51, v50
	v_pk_add_f32 v[134:135], v[50:51], v[130:131] neg_lo:[0,1] neg_hi:[0,1]
	v_mov_b32_e32 v133, v50
	v_pk_add_f32 v[50:51], v[134:135], v[132:133] neg_lo:[0,1] neg_hi:[0,1]
	v_cmp_eq_f32_e32 vcc, s65, v160
	v_add_f32_e32 v51, v129, v51
	v_add_f32_e32 v50, v50, v51
	;; [unrolled: 1-line block ×3, first 2 shown]
	v_mul_f32_e32 v129, v147, v51
	v_mul_f32_e32 v130, v145, v129
	v_fma_f32 v132, v129, v145, -v130
	v_fmac_f32_e32 v132, v129, v146
	v_sub_f32_e32 v131, v131, v51
	v_add_f32_e32 v145, v50, v131
	v_add_f32_e32 v50, v130, v132
	v_sub_f32_e32 v131, v51, v50
	v_pk_add_f32 v[134:135], v[50:51], v[130:131] neg_lo:[0,1] neg_hi:[0,1]
	v_mov_b32_e32 v133, v50
	v_pk_add_f32 v[50:51], v[134:135], v[132:133] neg_lo:[0,1] neg_hi:[0,1]
	v_cvt_f32_i32_e32 v130, v144
	v_add_f32_e32 v51, v145, v51
	v_add_f32_e32 v50, v50, v51
	v_add_f32_e32 v50, v131, v50
	v_add_f32_e32 v131, v148, v129
	v_sub_f32_e32 v51, v131, v148
	v_mul_f32_e32 v50, v147, v50
	v_sub_f32_e32 v51, v129, v51
	v_add_f32_e32 v50, v51, v50
	v_add_f32_e32 v129, v131, v50
	v_mul_f32_e32 v132, v129, v129
	v_mov_b32_e32 v51, 0x3ecc95a3
	v_sub_f32_e32 v131, v129, v131
	v_fmac_f32_e32 v51, 0x3e9b6dac, v132
	v_sub_f32_e32 v50, v50, v131
	v_fmaak_f32 v51, v132, v51, 0x3f2aaada
	v_ldexp_f32 v134, v50, 1
	v_mul_f32_e32 v131, v129, v132
	v_mov_b32_e32 v50, 0x3f317218
	v_pk_mul_f32 v[50:51], v[130:131], v[50:51]
	v_ldexp_f32 v133, v129, 1
	v_fma_f32 v129, v130, s64, -v50
	v_fmamk_f32 v132, v130, 0xb102e308, v129
	v_pk_add_f32 v[130:131], v[50:51], v[132:133]
	s_mov_b32 s64, 0x33800000
	v_sub_f32_e32 v129, v131, v133
	v_sub_f32_e32 v129, v51, v129
	v_add_f32_e32 v135, v134, v129
	v_mov_b32_e32 v134, v50
	v_pk_add_f32 v[50:51], v[130:131], v[50:51] neg_lo:[0,1] neg_hi:[0,1]
	v_pk_add_f32 v[144:145], v[130:131], v[134:135]
	v_mov_b32_e32 v133, v130
	v_mov_b32_e32 v51, v145
	v_pk_add_f32 v[146:147], v[132:133], v[50:51] neg_lo:[0,1] neg_hi:[0,1]
	v_pk_add_f32 v[50:51], v[132:133], v[50:51]
	v_mov_b32_e32 v134, v135
	v_mov_b32_e32 v132, v51
	v_pk_add_f32 v[148:149], v[132:133], v[130:131] neg_lo:[0,1] neg_hi:[0,1]
	v_mov_b32_e32 v50, v145
	v_mov_b32_e32 v129, v148
	v_pk_add_f32 v[150:151], v[144:145], v[128:129] neg_lo:[0,1] neg_hi:[0,1]
	v_mov_b32_e32 v144, v131
	v_mov_b32_e32 v145, v148
	v_mov_b32_e32 v147, v51
	v_pk_add_f32 v[50:51], v[50:51], v[144:145] neg_lo:[0,1] neg_hi:[0,1]
	v_mov_b32_e32 v135, v130
	v_pk_add_f32 v[50:51], v[134:135], v[50:51] neg_lo:[0,1] neg_hi:[0,1]
	v_mov_b32_e32 v150, v146
	v_pk_add_f32 v[130:131], v[150:151], v[50:51]
	v_cmp_lt_f32_e64 s[64:65], |v160|, s64
	v_mov_b32_e32 v134, v131
	v_pk_add_f32 v[134:135], v[130:131], v[134:135]
	s_or_b64 vcc, vcc, s[64:65]
	v_pk_add_f32 v[132:133], v[132:133], v[134:135]
	v_mov_b32_e32 v51, v134
	v_mov_b32_e32 v131, v132
	v_pk_add_f32 v[144:145], v[130:131], v[146:147] neg_lo:[0,1] neg_hi:[0,1]
	s_nop 0
	v_sub_f32_e32 v129, v130, v144
	v_pk_add_f32 v[50:51], v[50:51], v[144:145] neg_lo:[0,1] neg_hi:[0,1]
	v_sub_f32_e32 v129, v146, v129
	v_add_f32_e32 v50, v50, v129
	v_add_f32_e32 v50, v50, v51
	;; [unrolled: 1-line block ×3, first 2 shown]
	v_cndmask_b32_e32 v50, v50, v160, vcc
	v_add_f32_e32 v49, v49, v50
	v_cvt_f16_f32_e32 v50, v49
.LBB428_167:
	s_or_b64 exec, exec, s[58:59]
	v_and_b32_e32 v49, 0xffff, v50
	v_mov_b32_e32 v135, v50
.LBB428_168:
	s_or_b64 exec, exec, s[62:63]
	v_cmp_gt_u32_e32 vcc, 32, v103
	v_add_u32_e32 v130, 32, v103
	s_waitcnt lgkmcnt(0)
	v_cndmask_b32_e64 v50, 0, 1, vcc
	v_lshlrev_b32_e32 v50, 5, v50
	v_add_lshl_u32 v129, v50, v37, 2
	ds_bpermute_b32 v49, v129, v49
	v_cmp_le_u32_e32 vcc, v130, v48
	s_and_saveexec_b64 s[62:63], vcc
	s_cbranch_execz .LBB428_172
; %bb.169:
	s_waitcnt lgkmcnt(0)
	v_cvt_f32_f16_e32 v37, v49
	v_cvt_f32_f16_e32 v50, v135
	v_cmp_u_f16_e32 vcc, v49, v49
	v_cmp_u_f16_e64 s[58:59], v135, v135
	v_min_f32_e32 v48, v37, v50
	v_max_f32_e32 v51, v37, v50
	v_cndmask_b32_e32 v48, v48, v37, vcc
	v_cndmask_b32_e32 v37, v51, v37, vcc
	v_cndmask_b32_e64 v48, v48, v50, s[58:59]
	v_cndmask_b32_e64 v37, v37, v50, s[58:59]
	s_movk_i32 s58, 0x1f8
	v_cmp_neq_f32_e32 vcc, v48, v37
	v_cmp_class_f32_e64 s[58:59], v48, s58
	s_or_b64 vcc, vcc, s[58:59]
	s_and_saveexec_b64 s[58:59], vcc
	s_cbranch_execz .LBB428_171
; %bb.170:
	v_sub_f32_e32 v48, v48, v37
	s_mov_b32 s64, 0x3fb8aa3b
	v_mul_f32_e32 v49, 0x3fb8aa3b, v48
	v_fma_f32 v50, v48, s64, -v49
	v_rndne_f32_e32 v51, v49
	v_fmamk_f32 v50, v48, 0x32a5705f, v50
	v_sub_f32_e32 v49, v49, v51
	v_add_f32_e32 v49, v49, v50
	v_exp_f32_e32 v49, v49
	v_cvt_i32_f32_e32 v50, v51
	s_mov_b32 s64, 0xc2ce8ed0
	v_cmp_ngt_f32_e32 vcc, s64, v48
	s_mov_b32 s64, 0x42b17218
	v_ldexp_f32 v49, v49, v50
	v_cndmask_b32_e32 v49, 0, v49, vcc
	v_mov_b32_e32 v50, 0x7f800000
	v_cmp_nlt_f32_e32 vcc, s64, v48
	s_mov_b32 s64, 0x3f2aaaab
	s_mov_b32 s65, 0x7f800000
	v_cndmask_b32_e32 v160, v50, v49, vcc
	v_add_f32_e32 v50, 1.0, v160
	v_add_f32_e32 v48, -1.0, v50
	v_sub_f32_e32 v49, v48, v50
	v_add_f32_e32 v49, 1.0, v49
	v_sub_f32_e32 v48, v160, v48
	v_add_f32_e32 v51, v48, v49
	v_frexp_mant_f32_e32 v131, v50
	v_cvt_f64_f32_e32 v[48:49], v50
	v_frexp_exp_i32_f64_e32 v48, v[48:49]
	v_cmp_gt_f32_e32 vcc, s64, v131
	s_mov_b32 s64, 0x3f317218
	s_nop 0
	v_subbrev_co_u32_e32 v131, vcc, 0, v48, vcc
	v_sub_u32_e32 v48, 0, v131
	v_ldexp_f32 v49, v50, v48
	v_add_f32_e32 v50, -1.0, v49
	v_add_f32_e32 v132, 1.0, v49
	v_ldexp_f32 v48, v51, v48
	v_add_f32_e32 v51, 1.0, v50
	v_add_f32_e32 v133, -1.0, v132
	v_sub_f32_e32 v51, v49, v51
	v_sub_f32_e32 v49, v49, v133
	v_add_f32_e32 v51, v48, v51
	v_add_f32_e32 v48, v48, v49
	;; [unrolled: 1-line block ×3, first 2 shown]
	v_rcp_f32_e32 v146, v144
	v_sub_f32_e32 v49, v132, v144
	v_add_f32_e32 v145, v48, v49
	v_add_f32_e32 v49, v50, v51
	v_mul_f32_e32 v148, v49, v146
	v_sub_f32_e32 v48, v50, v49
	v_mul_f32_e32 v50, v144, v148
	v_fma_f32 v132, v148, v144, -v50
	v_fmac_f32_e32 v132, v148, v145
	v_add_f32_e32 v147, v51, v48
	v_add_f32_e32 v48, v50, v132
	v_sub_f32_e32 v51, v49, v48
	v_pk_add_f32 v[134:135], v[48:49], v[50:51] neg_lo:[0,1] neg_hi:[0,1]
	v_mov_b32_e32 v133, v48
	v_pk_add_f32 v[48:49], v[134:135], v[132:133] neg_lo:[0,1] neg_hi:[0,1]
	v_cmp_eq_f32_e32 vcc, s65, v160
	v_add_f32_e32 v49, v147, v49
	v_add_f32_e32 v48, v48, v49
	;; [unrolled: 1-line block ×3, first 2 shown]
	v_mul_f32_e32 v147, v146, v49
	v_mul_f32_e32 v50, v144, v147
	v_fma_f32 v132, v147, v144, -v50
	v_fmac_f32_e32 v132, v147, v145
	v_sub_f32_e32 v51, v51, v49
	v_add_f32_e32 v144, v48, v51
	v_add_f32_e32 v48, v50, v132
	v_sub_f32_e32 v51, v49, v48
	v_pk_add_f32 v[134:135], v[48:49], v[50:51] neg_lo:[0,1] neg_hi:[0,1]
	v_mov_b32_e32 v133, v48
	v_pk_add_f32 v[48:49], v[134:135], v[132:133] neg_lo:[0,1] neg_hi:[0,1]
	v_cvt_f32_i32_e32 v50, v131
	v_add_f32_e32 v49, v144, v49
	v_add_f32_e32 v48, v48, v49
	;; [unrolled: 1-line block ×4, first 2 shown]
	v_sub_f32_e32 v49, v51, v148
	v_mul_f32_e32 v48, v146, v48
	v_sub_f32_e32 v49, v147, v49
	v_add_f32_e32 v48, v49, v48
	v_add_f32_e32 v132, v51, v48
	v_mul_f32_e32 v134, v132, v132
	v_mov_b32_e32 v49, 0x3ecc95a3
	v_sub_f32_e32 v51, v132, v51
	v_fmac_f32_e32 v49, 0x3e9b6dac, v134
	v_sub_f32_e32 v48, v48, v51
	v_fmaak_f32 v49, v134, v49, 0x3f2aaada
	v_ldexp_f32 v131, v48, 1
	v_mul_f32_e32 v51, v132, v134
	v_mov_b32_e32 v48, 0x3f317218
	v_pk_mul_f32 v[48:49], v[50:51], v[48:49]
	v_ldexp_f32 v133, v132, 1
	v_fma_f32 v51, v50, s64, -v48
	v_fmamk_f32 v132, v50, 0xb102e308, v51
	v_pk_add_f32 v[50:51], v[48:49], v[132:133]
	v_mov_b32_e32 v134, v48
	v_sub_f32_e32 v133, v51, v133
	v_sub_f32_e32 v133, v49, v133
	v_add_f32_e32 v135, v131, v133
	v_pk_add_f32 v[48:49], v[50:51], v[48:49] neg_lo:[0,1] neg_hi:[0,1]
	v_pk_add_f32 v[144:145], v[50:51], v[134:135]
	v_mov_b32_e32 v133, v50
	v_mov_b32_e32 v49, v145
	v_pk_add_f32 v[146:147], v[132:133], v[48:49] neg_lo:[0,1] neg_hi:[0,1]
	v_pk_add_f32 v[48:49], v[132:133], v[48:49]
	v_mov_b32_e32 v134, v135
	v_mov_b32_e32 v132, v49
	v_pk_add_f32 v[148:149], v[132:133], v[50:51] neg_lo:[0,1] neg_hi:[0,1]
	v_mov_b32_e32 v48, v145
	v_mov_b32_e32 v131, v148
	v_pk_add_f32 v[150:151], v[144:145], v[130:131] neg_lo:[0,1] neg_hi:[0,1]
	v_mov_b32_e32 v144, v51
	v_mov_b32_e32 v145, v148
	;; [unrolled: 1-line block ×3, first 2 shown]
	v_pk_add_f32 v[48:49], v[48:49], v[144:145] neg_lo:[0,1] neg_hi:[0,1]
	v_mov_b32_e32 v135, v50
	v_pk_add_f32 v[48:49], v[134:135], v[48:49] neg_lo:[0,1] neg_hi:[0,1]
	v_mov_b32_e32 v150, v146
	v_pk_add_f32 v[50:51], v[150:151], v[48:49]
	s_mov_b32 s64, 0x33800000
	v_mov_b32_e32 v134, v51
	v_pk_add_f32 v[134:135], v[50:51], v[134:135]
	v_cmp_lt_f32_e64 s[64:65], |v160|, s64
	v_pk_add_f32 v[132:133], v[132:133], v[134:135]
	v_mov_b32_e32 v49, v134
	v_mov_b32_e32 v51, v132
	v_pk_add_f32 v[144:145], v[50:51], v[146:147] neg_lo:[0,1] neg_hi:[0,1]
	s_or_b64 vcc, vcc, s[64:65]
	v_sub_f32_e32 v50, v50, v144
	v_pk_add_f32 v[48:49], v[48:49], v[144:145] neg_lo:[0,1] neg_hi:[0,1]
	v_sub_f32_e32 v50, v146, v50
	v_add_f32_e32 v48, v48, v50
	v_add_f32_e32 v48, v48, v49
	;; [unrolled: 1-line block ×3, first 2 shown]
	v_cndmask_b32_e32 v48, v48, v160, vcc
	v_add_f32_e32 v37, v37, v48
	v_cvt_f16_f32_e32 v49, v37
.LBB428_171:
	s_or_b64 exec, exec, s[58:59]
	v_mov_b32_e32 v135, v49
.LBB428_172:
	s_or_b64 exec, exec, s[62:63]
                                        ; implicit-def: $vgpr48
	v_mov_b32_e32 v37, 0
	s_movk_i32 s64, 0x1f8
	s_mov_b32 s65, 0x3fb8aa3b
	s_mov_b32 s66, 0xc2ce8ed0
	;; [unrolled: 1-line block ×5, first 2 shown]
	v_mov_b32_e32 v132, 0x3ecc95a3
	s_mov_b32 s70, 0x3f317218
	s_mov_b32 s71, 0x33800000
	v_mov_b32_e32 v133, 2
	v_mov_b32_e32 v134, 0x7f800000
	;; [unrolled: 1-line block ×3, first 2 shown]
	s_branch .LBB428_174
.LBB428_173:                            ;   in Loop: Header=BB428_174 Depth=1
	s_or_b64 exec, exec, s[58:59]
	v_subrev_u32_e32 v36, 64, v36
.LBB428_174:                            ; =>This Loop Header: Depth=1
                                        ;     Child Loop BB428_177 Depth 2
	v_cmp_ne_u16_sdwa vcc, v31, v133 src0_sel:BYTE_0 src1_sel:DWORD
	v_mov_b32_e32 v131, v135
	s_nop 0
	v_cndmask_b32_e64 v31, 0, 1, vcc
	;;#ASMSTART
	;;#ASMEND
	s_nop 0
	v_cmp_ne_u32_e32 vcc, 0, v31
	s_cmp_lg_u64 vcc, exec
	s_cbranch_scc1 .LBB428_205
; %bb.175:                              ;   in Loop: Header=BB428_174 Depth=1
	v_lshl_add_u64 v[50:51], v[36:37], 2, v[28:29]
	flat_load_dword v135, v[50:51] sc1
	s_waitcnt vmcnt(0) lgkmcnt(0)
	v_lshrrev_b32_e32 v31, 16, v135
	v_cmp_eq_u16_sdwa s[58:59], v31, v37 src0_sel:BYTE_0 src1_sel:DWORD
	s_and_saveexec_b64 vcc, s[58:59]
	s_cbranch_execz .LBB428_179
; %bb.176:                              ;   in Loop: Header=BB428_174 Depth=1
	s_mov_b64 s[58:59], 0
.LBB428_177:                            ;   Parent Loop BB428_174 Depth=1
                                        ; =>  This Inner Loop Header: Depth=2
	flat_load_dword v135, v[50:51] sc1
	s_waitcnt vmcnt(0) lgkmcnt(0)
	v_lshrrev_b32_e32 v31, 16, v135
	v_cmp_ne_u16_sdwa s[62:63], v31, v37 src0_sel:BYTE_0 src1_sel:DWORD
	s_or_b64 s[58:59], s[62:63], s[58:59]
	s_andn2_b64 exec, exec, s[58:59]
	s_cbranch_execnz .LBB428_177
; %bb.178:                              ;   in Loop: Header=BB428_174 Depth=1
	s_or_b64 exec, exec, s[58:59]
.LBB428_179:                            ;   in Loop: Header=BB428_174 Depth=1
	s_or_b64 exec, exec, vcc
	v_cmp_eq_u16_sdwa vcc, v31, v133 src0_sel:BYTE_0 src1_sel:DWORD
	s_nop 1
	v_and_b32_e32 v49, vcc_hi, v39
	v_or_b32_e32 v49, 0x80000000, v49
	v_ffbl_b32_e32 v51, v49
	v_and_b32_e32 v49, 0xffff, v135
	ds_bpermute_b32 v144, v112, v49
	v_and_b32_e32 v50, vcc_lo, v38
	v_add_u32_e32 v51, 32, v51
	v_ffbl_b32_e32 v50, v50
	v_min_u32_e32 v50, v50, v51
	v_cmp_lt_u32_e32 vcc, v103, v50
	s_and_saveexec_b64 s[62:63], vcc
	s_cbranch_execz .LBB428_183
; %bb.180:                              ;   in Loop: Header=BB428_174 Depth=1
	s_waitcnt lgkmcnt(0)
	v_cvt_f32_f16_e32 v51, v144
	v_cvt_f32_f16_e32 v145, v135
	v_cmp_u_f16_e32 vcc, v144, v144
	v_cmp_u_f16_e64 s[58:59], v135, v135
	v_min_f32_e32 v49, v51, v145
	v_max_f32_e32 v135, v51, v145
	v_cndmask_b32_e32 v49, v49, v51, vcc
	v_cndmask_b32_e32 v51, v135, v51, vcc
	v_cndmask_b32_e64 v49, v49, v145, s[58:59]
	v_cndmask_b32_e64 v51, v51, v145, s[58:59]
	v_cmp_neq_f32_e32 vcc, v49, v51
	v_cmp_class_f32_e64 s[58:59], v49, s64
	s_or_b64 vcc, vcc, s[58:59]
	s_and_saveexec_b64 s[58:59], vcc
	s_cbranch_execz .LBB428_182
; %bb.181:                              ;   in Loop: Header=BB428_174 Depth=1
	v_sub_f32_e32 v49, v49, v51
	v_mul_f32_e32 v135, 0x3fb8aa3b, v49
	v_fma_f32 v144, v49, s65, -v135
	v_rndne_f32_e32 v145, v135
	v_fmac_f32_e32 v144, 0x32a5705f, v49
	v_sub_f32_e32 v135, v135, v145
	v_add_f32_e32 v135, v135, v144
	v_cvt_i32_f32_e32 v144, v145
	v_exp_f32_e32 v135, v135
	v_cmp_ngt_f32_e32 vcc, s66, v49
	v_ldexp_f32 v135, v135, v144
	s_nop 0
	v_cndmask_b32_e32 v135, 0, v135, vcc
	v_cmp_nlt_f32_e32 vcc, s67, v49
	s_nop 1
	v_cndmask_b32_e32 v135, v134, v135, vcc
	v_add_f32_e32 v49, 1.0, v135
	v_add_f32_e32 v144, -1.0, v49
	v_sub_f32_e32 v145, v144, v49
	v_add_f32_e32 v145, 1.0, v145
	v_sub_f32_e32 v144, v135, v144
	v_add_f32_e32 v146, v144, v145
	v_frexp_mant_f32_e32 v147, v49
	v_cvt_f64_f32_e32 v[144:145], v49
	v_frexp_exp_i32_f64_e32 v144, v[144:145]
	v_cmp_gt_f32_e32 vcc, s69, v147
	v_cmp_lt_f32_e64 s[72:73], |v135|, s71
	s_nop 0
	v_subbrev_co_u32_e32 v160, vcc, 0, v144, vcc
	v_sub_u32_e32 v144, 0, v160
	v_ldexp_f32 v49, v49, v144
	v_ldexp_f32 v144, v146, v144
	v_add_f32_e32 v146, -1.0, v49
	v_add_f32_e32 v145, 1.0, v146
	v_sub_f32_e32 v145, v49, v145
	v_add_f32_e32 v147, v144, v145
	v_add_f32_e32 v145, 1.0, v49
	v_add_f32_e32 v148, -1.0, v145
	v_sub_f32_e32 v49, v49, v148
	v_add_f32_e32 v49, v144, v49
	v_add_f32_e32 v161, v145, v49
	v_rcp_f32_e32 v162, v161
	v_sub_f32_e32 v144, v145, v161
	v_add_f32_e32 v145, v146, v147
	v_add_f32_e32 v49, v49, v144
	v_mul_f32_e32 v164, v145, v162
	v_sub_f32_e32 v144, v146, v145
	v_mul_f32_e32 v146, v161, v164
	v_fma_f32 v148, v164, v161, -v146
	v_fmac_f32_e32 v148, v164, v49
	v_add_f32_e32 v163, v147, v144
	v_add_f32_e32 v144, v146, v148
	v_sub_f32_e32 v147, v145, v144
	v_pk_add_f32 v[150:151], v[144:145], v[146:147] neg_lo:[0,1] neg_hi:[0,1]
	v_mov_b32_e32 v149, v144
	v_pk_add_f32 v[144:145], v[150:151], v[148:149] neg_lo:[0,1] neg_hi:[0,1]
	v_cmp_eq_f32_e32 vcc, s68, v135
	v_add_f32_e32 v145, v163, v145
	v_add_f32_e32 v144, v144, v145
	;; [unrolled: 1-line block ×3, first 2 shown]
	v_mul_f32_e32 v163, v162, v145
	v_mul_f32_e32 v146, v161, v163
	v_fma_f32 v148, v163, v161, -v146
	v_fmac_f32_e32 v148, v163, v49
	v_sub_f32_e32 v49, v147, v145
	v_add_f32_e32 v49, v144, v49
	v_add_f32_e32 v144, v146, v148
	v_sub_f32_e32 v147, v145, v144
	v_pk_add_f32 v[150:151], v[144:145], v[146:147] neg_lo:[0,1] neg_hi:[0,1]
	v_mov_b32_e32 v149, v144
	v_pk_add_f32 v[144:145], v[150:151], v[148:149] neg_lo:[0,1] neg_hi:[0,1]
	s_or_b64 vcc, vcc, s[72:73]
	v_add_f32_e32 v49, v49, v145
	v_add_f32_e32 v49, v144, v49
	;; [unrolled: 1-line block ×4, first 2 shown]
	v_sub_f32_e32 v144, v145, v164
	v_mul_f32_e32 v49, v162, v49
	v_sub_f32_e32 v144, v163, v144
	v_add_f32_e32 v146, v144, v49
	v_add_f32_e32 v148, v145, v146
	v_cvt_f32_i32_e32 v144, v160
	v_mul_f32_e32 v149, v148, v148
	v_sub_f32_e32 v145, v148, v145
	v_fmamk_f32 v49, v149, 0x3e9b6dac, v132
	v_sub_f32_e32 v145, v146, v145
	v_fmaak_f32 v49, v149, v49, 0x3f2aaada
	v_ldexp_f32 v150, v145, 1
	v_mul_f32_e32 v145, v148, v149
	v_ldexp_f32 v147, v148, 1
	v_pk_mul_f32 v[148:149], v[144:145], v[48:49]
	s_nop 0
	v_fma_f32 v146, v144, s70, -v148
	v_fmac_f32_e32 v146, 0xb102e308, v144
	v_pk_add_f32 v[144:145], v[148:149], v[146:147]
	s_nop 0
	v_sub_f32_e32 v49, v145, v147
	v_sub_f32_e32 v49, v149, v49
	v_add_f32_e32 v151, v150, v49
	v_mov_b32_e32 v150, v148
	v_pk_add_f32 v[148:149], v[144:145], v[148:149] neg_lo:[0,1] neg_hi:[0,1]
	v_pk_add_f32 v[160:161], v[144:145], v[150:151]
	v_mov_b32_e32 v147, v144
	v_mov_b32_e32 v149, v161
	v_pk_add_f32 v[162:163], v[146:147], v[148:149] neg_lo:[0,1] neg_hi:[0,1]
	v_pk_add_f32 v[146:147], v[146:147], v[148:149]
	v_mov_b32_e32 v150, v151
	v_mov_b32_e32 v148, v147
	v_pk_add_f32 v[164:165], v[148:149], v[144:145] neg_lo:[0,1] neg_hi:[0,1]
	v_mov_b32_e32 v146, v161
	v_mov_b32_e32 v49, v164
	v_pk_add_f32 v[166:167], v[160:161], v[48:49] neg_lo:[0,1] neg_hi:[0,1]
	v_mov_b32_e32 v160, v145
	v_mov_b32_e32 v161, v164
	;; [unrolled: 1-line block ×3, first 2 shown]
	v_pk_add_f32 v[146:147], v[146:147], v[160:161] neg_lo:[0,1] neg_hi:[0,1]
	v_mov_b32_e32 v151, v144
	v_pk_add_f32 v[144:145], v[150:151], v[146:147] neg_lo:[0,1] neg_hi:[0,1]
	v_mov_b32_e32 v166, v162
	v_pk_add_f32 v[146:147], v[166:167], v[144:145]
	s_nop 0
	v_mov_b32_e32 v150, v147
	v_pk_add_f32 v[150:151], v[146:147], v[150:151]
	s_nop 0
	v_pk_add_f32 v[148:149], v[148:149], v[150:151]
	v_mov_b32_e32 v145, v150
	v_mov_b32_e32 v147, v148
	v_pk_add_f32 v[160:161], v[146:147], v[162:163] neg_lo:[0,1] neg_hi:[0,1]
	s_nop 0
	v_sub_f32_e32 v49, v146, v160
	v_pk_add_f32 v[144:145], v[144:145], v[160:161] neg_lo:[0,1] neg_hi:[0,1]
	v_sub_f32_e32 v49, v162, v49
	v_add_f32_e32 v49, v144, v49
	v_add_f32_e32 v49, v49, v145
	;; [unrolled: 1-line block ×3, first 2 shown]
	v_cndmask_b32_e32 v49, v49, v135, vcc
	v_add_f32_e32 v49, v51, v49
	v_cvt_f16_f32_e32 v144, v49
.LBB428_182:                            ;   in Loop: Header=BB428_174 Depth=1
	s_or_b64 exec, exec, s[58:59]
	v_and_b32_e32 v49, 0xffff, v144
	v_mov_b32_e32 v135, v144
.LBB428_183:                            ;   in Loop: Header=BB428_174 Depth=1
	s_or_b64 exec, exec, s[62:63]
	s_waitcnt lgkmcnt(0)
	ds_bpermute_b32 v144, v113, v49
	v_cmp_le_u32_e32 vcc, v114, v50
	s_and_saveexec_b64 s[62:63], vcc
	s_cbranch_execz .LBB428_187
; %bb.184:                              ;   in Loop: Header=BB428_174 Depth=1
	s_waitcnt lgkmcnt(0)
	v_cvt_f32_f16_e32 v51, v144
	v_cvt_f32_f16_e32 v145, v135
	v_cmp_u_f16_e32 vcc, v144, v144
	v_cmp_u_f16_e64 s[58:59], v135, v135
	v_min_f32_e32 v49, v51, v145
	v_max_f32_e32 v135, v51, v145
	v_cndmask_b32_e32 v49, v49, v51, vcc
	v_cndmask_b32_e32 v51, v135, v51, vcc
	v_cndmask_b32_e64 v49, v49, v145, s[58:59]
	v_cndmask_b32_e64 v51, v51, v145, s[58:59]
	v_cmp_neq_f32_e32 vcc, v49, v51
	v_cmp_class_f32_e64 s[58:59], v49, s64
	s_or_b64 vcc, vcc, s[58:59]
	s_and_saveexec_b64 s[58:59], vcc
	s_cbranch_execz .LBB428_186
; %bb.185:                              ;   in Loop: Header=BB428_174 Depth=1
	v_sub_f32_e32 v49, v49, v51
	v_mul_f32_e32 v135, 0x3fb8aa3b, v49
	v_fma_f32 v144, v49, s65, -v135
	v_rndne_f32_e32 v145, v135
	v_fmac_f32_e32 v144, 0x32a5705f, v49
	v_sub_f32_e32 v135, v135, v145
	v_add_f32_e32 v135, v135, v144
	v_cvt_i32_f32_e32 v144, v145
	v_exp_f32_e32 v135, v135
	v_cmp_ngt_f32_e32 vcc, s66, v49
	v_ldexp_f32 v135, v135, v144
	s_nop 0
	v_cndmask_b32_e32 v135, 0, v135, vcc
	v_cmp_nlt_f32_e32 vcc, s67, v49
	s_nop 1
	v_cndmask_b32_e32 v135, v134, v135, vcc
	v_add_f32_e32 v49, 1.0, v135
	v_add_f32_e32 v144, -1.0, v49
	v_sub_f32_e32 v145, v144, v49
	v_add_f32_e32 v145, 1.0, v145
	v_sub_f32_e32 v144, v135, v144
	v_add_f32_e32 v146, v144, v145
	v_frexp_mant_f32_e32 v147, v49
	v_cvt_f64_f32_e32 v[144:145], v49
	v_frexp_exp_i32_f64_e32 v144, v[144:145]
	v_cmp_gt_f32_e32 vcc, s69, v147
	v_cmp_lt_f32_e64 s[72:73], |v135|, s71
	s_nop 0
	v_subbrev_co_u32_e32 v160, vcc, 0, v144, vcc
	v_sub_u32_e32 v144, 0, v160
	v_ldexp_f32 v49, v49, v144
	v_ldexp_f32 v144, v146, v144
	v_add_f32_e32 v146, -1.0, v49
	v_add_f32_e32 v145, 1.0, v146
	v_sub_f32_e32 v145, v49, v145
	v_add_f32_e32 v147, v144, v145
	v_add_f32_e32 v145, 1.0, v49
	v_add_f32_e32 v148, -1.0, v145
	v_sub_f32_e32 v49, v49, v148
	v_add_f32_e32 v49, v144, v49
	v_add_f32_e32 v161, v145, v49
	v_rcp_f32_e32 v162, v161
	v_sub_f32_e32 v144, v145, v161
	v_add_f32_e32 v145, v146, v147
	v_add_f32_e32 v49, v49, v144
	v_mul_f32_e32 v164, v145, v162
	v_sub_f32_e32 v144, v146, v145
	v_mul_f32_e32 v146, v161, v164
	v_fma_f32 v148, v164, v161, -v146
	v_fmac_f32_e32 v148, v164, v49
	v_add_f32_e32 v163, v147, v144
	v_add_f32_e32 v144, v146, v148
	v_sub_f32_e32 v147, v145, v144
	v_pk_add_f32 v[150:151], v[144:145], v[146:147] neg_lo:[0,1] neg_hi:[0,1]
	v_mov_b32_e32 v149, v144
	v_pk_add_f32 v[144:145], v[150:151], v[148:149] neg_lo:[0,1] neg_hi:[0,1]
	v_cmp_eq_f32_e32 vcc, s68, v135
	v_add_f32_e32 v145, v163, v145
	v_add_f32_e32 v144, v144, v145
	;; [unrolled: 1-line block ×3, first 2 shown]
	v_mul_f32_e32 v163, v162, v145
	v_mul_f32_e32 v146, v161, v163
	v_fma_f32 v148, v163, v161, -v146
	v_fmac_f32_e32 v148, v163, v49
	v_sub_f32_e32 v49, v147, v145
	v_add_f32_e32 v49, v144, v49
	v_add_f32_e32 v144, v146, v148
	v_sub_f32_e32 v147, v145, v144
	v_pk_add_f32 v[150:151], v[144:145], v[146:147] neg_lo:[0,1] neg_hi:[0,1]
	v_mov_b32_e32 v149, v144
	v_pk_add_f32 v[144:145], v[150:151], v[148:149] neg_lo:[0,1] neg_hi:[0,1]
	s_or_b64 vcc, vcc, s[72:73]
	v_add_f32_e32 v49, v49, v145
	v_add_f32_e32 v49, v144, v49
	;; [unrolled: 1-line block ×4, first 2 shown]
	v_sub_f32_e32 v144, v145, v164
	v_mul_f32_e32 v49, v162, v49
	v_sub_f32_e32 v144, v163, v144
	v_add_f32_e32 v146, v144, v49
	v_add_f32_e32 v148, v145, v146
	v_cvt_f32_i32_e32 v144, v160
	v_mul_f32_e32 v149, v148, v148
	v_sub_f32_e32 v145, v148, v145
	v_fmamk_f32 v49, v149, 0x3e9b6dac, v132
	v_sub_f32_e32 v145, v146, v145
	v_fmaak_f32 v49, v149, v49, 0x3f2aaada
	v_ldexp_f32 v150, v145, 1
	v_mul_f32_e32 v145, v148, v149
	v_ldexp_f32 v147, v148, 1
	v_pk_mul_f32 v[148:149], v[144:145], v[48:49]
	s_nop 0
	v_fma_f32 v146, v144, s70, -v148
	v_fmac_f32_e32 v146, 0xb102e308, v144
	v_pk_add_f32 v[144:145], v[148:149], v[146:147]
	s_nop 0
	v_sub_f32_e32 v49, v145, v147
	v_sub_f32_e32 v49, v149, v49
	v_add_f32_e32 v151, v150, v49
	v_mov_b32_e32 v150, v148
	v_pk_add_f32 v[148:149], v[144:145], v[148:149] neg_lo:[0,1] neg_hi:[0,1]
	v_pk_add_f32 v[160:161], v[144:145], v[150:151]
	v_mov_b32_e32 v147, v144
	v_mov_b32_e32 v149, v161
	v_pk_add_f32 v[162:163], v[146:147], v[148:149] neg_lo:[0,1] neg_hi:[0,1]
	v_pk_add_f32 v[146:147], v[146:147], v[148:149]
	v_mov_b32_e32 v150, v151
	v_mov_b32_e32 v148, v147
	v_pk_add_f32 v[164:165], v[148:149], v[144:145] neg_lo:[0,1] neg_hi:[0,1]
	v_mov_b32_e32 v146, v161
	v_mov_b32_e32 v49, v164
	v_pk_add_f32 v[166:167], v[160:161], v[48:49] neg_lo:[0,1] neg_hi:[0,1]
	v_mov_b32_e32 v160, v145
	v_mov_b32_e32 v161, v164
	;; [unrolled: 1-line block ×3, first 2 shown]
	v_pk_add_f32 v[146:147], v[146:147], v[160:161] neg_lo:[0,1] neg_hi:[0,1]
	v_mov_b32_e32 v151, v144
	v_pk_add_f32 v[144:145], v[150:151], v[146:147] neg_lo:[0,1] neg_hi:[0,1]
	v_mov_b32_e32 v166, v162
	v_pk_add_f32 v[146:147], v[166:167], v[144:145]
	s_nop 0
	v_mov_b32_e32 v150, v147
	v_pk_add_f32 v[150:151], v[146:147], v[150:151]
	s_nop 0
	v_pk_add_f32 v[148:149], v[148:149], v[150:151]
	v_mov_b32_e32 v145, v150
	v_mov_b32_e32 v147, v148
	v_pk_add_f32 v[160:161], v[146:147], v[162:163] neg_lo:[0,1] neg_hi:[0,1]
	s_nop 0
	v_sub_f32_e32 v49, v146, v160
	v_pk_add_f32 v[144:145], v[144:145], v[160:161] neg_lo:[0,1] neg_hi:[0,1]
	v_sub_f32_e32 v49, v162, v49
	v_add_f32_e32 v49, v144, v49
	v_add_f32_e32 v49, v49, v145
	;; [unrolled: 1-line block ×3, first 2 shown]
	v_cndmask_b32_e32 v49, v49, v135, vcc
	v_add_f32_e32 v49, v51, v49
	v_cvt_f16_f32_e32 v144, v49
.LBB428_186:                            ;   in Loop: Header=BB428_174 Depth=1
	s_or_b64 exec, exec, s[58:59]
	v_and_b32_e32 v49, 0xffff, v144
	v_mov_b32_e32 v135, v144
.LBB428_187:                            ;   in Loop: Header=BB428_174 Depth=1
	s_or_b64 exec, exec, s[62:63]
	s_waitcnt lgkmcnt(0)
	ds_bpermute_b32 v144, v115, v49
	v_cmp_le_u32_e32 vcc, v116, v50
	s_and_saveexec_b64 s[62:63], vcc
	s_cbranch_execz .LBB428_191
; %bb.188:                              ;   in Loop: Header=BB428_174 Depth=1
	s_waitcnt lgkmcnt(0)
	v_cvt_f32_f16_e32 v51, v144
	v_cvt_f32_f16_e32 v145, v135
	v_cmp_u_f16_e32 vcc, v144, v144
	v_cmp_u_f16_e64 s[58:59], v135, v135
	v_min_f32_e32 v49, v51, v145
	v_max_f32_e32 v135, v51, v145
	v_cndmask_b32_e32 v49, v49, v51, vcc
	v_cndmask_b32_e32 v51, v135, v51, vcc
	v_cndmask_b32_e64 v49, v49, v145, s[58:59]
	v_cndmask_b32_e64 v51, v51, v145, s[58:59]
	v_cmp_neq_f32_e32 vcc, v49, v51
	v_cmp_class_f32_e64 s[58:59], v49, s64
	s_or_b64 vcc, vcc, s[58:59]
	s_and_saveexec_b64 s[58:59], vcc
	s_cbranch_execz .LBB428_190
; %bb.189:                              ;   in Loop: Header=BB428_174 Depth=1
	v_sub_f32_e32 v49, v49, v51
	v_mul_f32_e32 v135, 0x3fb8aa3b, v49
	v_fma_f32 v144, v49, s65, -v135
	v_rndne_f32_e32 v145, v135
	v_fmac_f32_e32 v144, 0x32a5705f, v49
	v_sub_f32_e32 v135, v135, v145
	v_add_f32_e32 v135, v135, v144
	v_cvt_i32_f32_e32 v144, v145
	v_exp_f32_e32 v135, v135
	v_cmp_ngt_f32_e32 vcc, s66, v49
	v_ldexp_f32 v135, v135, v144
	s_nop 0
	v_cndmask_b32_e32 v135, 0, v135, vcc
	v_cmp_nlt_f32_e32 vcc, s67, v49
	s_nop 1
	v_cndmask_b32_e32 v135, v134, v135, vcc
	v_add_f32_e32 v49, 1.0, v135
	v_add_f32_e32 v144, -1.0, v49
	v_sub_f32_e32 v145, v144, v49
	v_add_f32_e32 v145, 1.0, v145
	v_sub_f32_e32 v144, v135, v144
	v_add_f32_e32 v146, v144, v145
	v_frexp_mant_f32_e32 v147, v49
	v_cvt_f64_f32_e32 v[144:145], v49
	v_frexp_exp_i32_f64_e32 v144, v[144:145]
	v_cmp_gt_f32_e32 vcc, s69, v147
	v_cmp_lt_f32_e64 s[72:73], |v135|, s71
	s_nop 0
	v_subbrev_co_u32_e32 v160, vcc, 0, v144, vcc
	v_sub_u32_e32 v144, 0, v160
	v_ldexp_f32 v49, v49, v144
	v_ldexp_f32 v144, v146, v144
	v_add_f32_e32 v146, -1.0, v49
	v_add_f32_e32 v145, 1.0, v146
	v_sub_f32_e32 v145, v49, v145
	v_add_f32_e32 v147, v144, v145
	v_add_f32_e32 v145, 1.0, v49
	v_add_f32_e32 v148, -1.0, v145
	v_sub_f32_e32 v49, v49, v148
	v_add_f32_e32 v49, v144, v49
	v_add_f32_e32 v161, v145, v49
	v_rcp_f32_e32 v162, v161
	v_sub_f32_e32 v144, v145, v161
	v_add_f32_e32 v145, v146, v147
	v_add_f32_e32 v49, v49, v144
	v_mul_f32_e32 v164, v145, v162
	v_sub_f32_e32 v144, v146, v145
	v_mul_f32_e32 v146, v161, v164
	v_fma_f32 v148, v164, v161, -v146
	v_fmac_f32_e32 v148, v164, v49
	v_add_f32_e32 v163, v147, v144
	v_add_f32_e32 v144, v146, v148
	v_sub_f32_e32 v147, v145, v144
	v_pk_add_f32 v[150:151], v[144:145], v[146:147] neg_lo:[0,1] neg_hi:[0,1]
	v_mov_b32_e32 v149, v144
	v_pk_add_f32 v[144:145], v[150:151], v[148:149] neg_lo:[0,1] neg_hi:[0,1]
	v_cmp_eq_f32_e32 vcc, s68, v135
	v_add_f32_e32 v145, v163, v145
	v_add_f32_e32 v144, v144, v145
	;; [unrolled: 1-line block ×3, first 2 shown]
	v_mul_f32_e32 v163, v162, v145
	v_mul_f32_e32 v146, v161, v163
	v_fma_f32 v148, v163, v161, -v146
	v_fmac_f32_e32 v148, v163, v49
	v_sub_f32_e32 v49, v147, v145
	v_add_f32_e32 v49, v144, v49
	v_add_f32_e32 v144, v146, v148
	v_sub_f32_e32 v147, v145, v144
	v_pk_add_f32 v[150:151], v[144:145], v[146:147] neg_lo:[0,1] neg_hi:[0,1]
	v_mov_b32_e32 v149, v144
	v_pk_add_f32 v[144:145], v[150:151], v[148:149] neg_lo:[0,1] neg_hi:[0,1]
	s_or_b64 vcc, vcc, s[72:73]
	v_add_f32_e32 v49, v49, v145
	v_add_f32_e32 v49, v144, v49
	;; [unrolled: 1-line block ×4, first 2 shown]
	v_sub_f32_e32 v144, v145, v164
	v_mul_f32_e32 v49, v162, v49
	v_sub_f32_e32 v144, v163, v144
	v_add_f32_e32 v146, v144, v49
	v_add_f32_e32 v148, v145, v146
	v_cvt_f32_i32_e32 v144, v160
	v_mul_f32_e32 v149, v148, v148
	v_sub_f32_e32 v145, v148, v145
	v_fmamk_f32 v49, v149, 0x3e9b6dac, v132
	v_sub_f32_e32 v145, v146, v145
	v_fmaak_f32 v49, v149, v49, 0x3f2aaada
	v_ldexp_f32 v150, v145, 1
	v_mul_f32_e32 v145, v148, v149
	v_ldexp_f32 v147, v148, 1
	v_pk_mul_f32 v[148:149], v[144:145], v[48:49]
	s_nop 0
	v_fma_f32 v146, v144, s70, -v148
	v_fmac_f32_e32 v146, 0xb102e308, v144
	v_pk_add_f32 v[144:145], v[148:149], v[146:147]
	s_nop 0
	v_sub_f32_e32 v49, v145, v147
	v_sub_f32_e32 v49, v149, v49
	v_add_f32_e32 v151, v150, v49
	v_mov_b32_e32 v150, v148
	v_pk_add_f32 v[148:149], v[144:145], v[148:149] neg_lo:[0,1] neg_hi:[0,1]
	v_pk_add_f32 v[160:161], v[144:145], v[150:151]
	v_mov_b32_e32 v147, v144
	v_mov_b32_e32 v149, v161
	v_pk_add_f32 v[162:163], v[146:147], v[148:149] neg_lo:[0,1] neg_hi:[0,1]
	v_pk_add_f32 v[146:147], v[146:147], v[148:149]
	v_mov_b32_e32 v150, v151
	v_mov_b32_e32 v148, v147
	v_pk_add_f32 v[164:165], v[148:149], v[144:145] neg_lo:[0,1] neg_hi:[0,1]
	v_mov_b32_e32 v146, v161
	v_mov_b32_e32 v49, v164
	v_pk_add_f32 v[166:167], v[160:161], v[48:49] neg_lo:[0,1] neg_hi:[0,1]
	v_mov_b32_e32 v160, v145
	v_mov_b32_e32 v161, v164
	;; [unrolled: 1-line block ×3, first 2 shown]
	v_pk_add_f32 v[146:147], v[146:147], v[160:161] neg_lo:[0,1] neg_hi:[0,1]
	v_mov_b32_e32 v151, v144
	v_pk_add_f32 v[144:145], v[150:151], v[146:147] neg_lo:[0,1] neg_hi:[0,1]
	v_mov_b32_e32 v166, v162
	v_pk_add_f32 v[146:147], v[166:167], v[144:145]
	s_nop 0
	v_mov_b32_e32 v150, v147
	v_pk_add_f32 v[150:151], v[146:147], v[150:151]
	s_nop 0
	v_pk_add_f32 v[148:149], v[148:149], v[150:151]
	v_mov_b32_e32 v145, v150
	v_mov_b32_e32 v147, v148
	v_pk_add_f32 v[160:161], v[146:147], v[162:163] neg_lo:[0,1] neg_hi:[0,1]
	s_nop 0
	v_sub_f32_e32 v49, v146, v160
	v_pk_add_f32 v[144:145], v[144:145], v[160:161] neg_lo:[0,1] neg_hi:[0,1]
	v_sub_f32_e32 v49, v162, v49
	v_add_f32_e32 v49, v144, v49
	v_add_f32_e32 v49, v49, v145
	;; [unrolled: 1-line block ×3, first 2 shown]
	v_cndmask_b32_e32 v49, v49, v135, vcc
	v_add_f32_e32 v49, v51, v49
	v_cvt_f16_f32_e32 v144, v49
.LBB428_190:                            ;   in Loop: Header=BB428_174 Depth=1
	s_or_b64 exec, exec, s[58:59]
	v_and_b32_e32 v49, 0xffff, v144
	v_mov_b32_e32 v135, v144
.LBB428_191:                            ;   in Loop: Header=BB428_174 Depth=1
	s_or_b64 exec, exec, s[62:63]
	s_waitcnt lgkmcnt(0)
	ds_bpermute_b32 v144, v117, v49
	v_cmp_le_u32_e32 vcc, v118, v50
	s_and_saveexec_b64 s[62:63], vcc
	s_cbranch_execz .LBB428_195
; %bb.192:                              ;   in Loop: Header=BB428_174 Depth=1
	s_waitcnt lgkmcnt(0)
	v_cvt_f32_f16_e32 v51, v144
	v_cvt_f32_f16_e32 v145, v135
	v_cmp_u_f16_e32 vcc, v144, v144
	v_cmp_u_f16_e64 s[58:59], v135, v135
	v_min_f32_e32 v49, v51, v145
	v_max_f32_e32 v135, v51, v145
	v_cndmask_b32_e32 v49, v49, v51, vcc
	v_cndmask_b32_e32 v51, v135, v51, vcc
	v_cndmask_b32_e64 v49, v49, v145, s[58:59]
	v_cndmask_b32_e64 v51, v51, v145, s[58:59]
	v_cmp_neq_f32_e32 vcc, v49, v51
	v_cmp_class_f32_e64 s[58:59], v49, s64
	s_or_b64 vcc, vcc, s[58:59]
	s_and_saveexec_b64 s[58:59], vcc
	s_cbranch_execz .LBB428_194
; %bb.193:                              ;   in Loop: Header=BB428_174 Depth=1
	v_sub_f32_e32 v49, v49, v51
	v_mul_f32_e32 v135, 0x3fb8aa3b, v49
	v_fma_f32 v144, v49, s65, -v135
	v_rndne_f32_e32 v145, v135
	v_fmac_f32_e32 v144, 0x32a5705f, v49
	v_sub_f32_e32 v135, v135, v145
	v_add_f32_e32 v135, v135, v144
	v_cvt_i32_f32_e32 v144, v145
	v_exp_f32_e32 v135, v135
	v_cmp_ngt_f32_e32 vcc, s66, v49
	v_ldexp_f32 v135, v135, v144
	s_nop 0
	v_cndmask_b32_e32 v135, 0, v135, vcc
	v_cmp_nlt_f32_e32 vcc, s67, v49
	s_nop 1
	v_cndmask_b32_e32 v135, v134, v135, vcc
	v_add_f32_e32 v49, 1.0, v135
	v_add_f32_e32 v144, -1.0, v49
	v_sub_f32_e32 v145, v144, v49
	v_add_f32_e32 v145, 1.0, v145
	v_sub_f32_e32 v144, v135, v144
	v_add_f32_e32 v146, v144, v145
	v_frexp_mant_f32_e32 v147, v49
	v_cvt_f64_f32_e32 v[144:145], v49
	v_frexp_exp_i32_f64_e32 v144, v[144:145]
	v_cmp_gt_f32_e32 vcc, s69, v147
	v_cmp_lt_f32_e64 s[72:73], |v135|, s71
	s_nop 0
	v_subbrev_co_u32_e32 v160, vcc, 0, v144, vcc
	v_sub_u32_e32 v144, 0, v160
	v_ldexp_f32 v49, v49, v144
	v_ldexp_f32 v144, v146, v144
	v_add_f32_e32 v146, -1.0, v49
	v_add_f32_e32 v145, 1.0, v146
	v_sub_f32_e32 v145, v49, v145
	v_add_f32_e32 v147, v144, v145
	v_add_f32_e32 v145, 1.0, v49
	v_add_f32_e32 v148, -1.0, v145
	v_sub_f32_e32 v49, v49, v148
	v_add_f32_e32 v49, v144, v49
	v_add_f32_e32 v161, v145, v49
	v_rcp_f32_e32 v162, v161
	v_sub_f32_e32 v144, v145, v161
	v_add_f32_e32 v145, v146, v147
	v_add_f32_e32 v49, v49, v144
	v_mul_f32_e32 v164, v145, v162
	v_sub_f32_e32 v144, v146, v145
	v_mul_f32_e32 v146, v161, v164
	v_fma_f32 v148, v164, v161, -v146
	v_fmac_f32_e32 v148, v164, v49
	v_add_f32_e32 v163, v147, v144
	v_add_f32_e32 v144, v146, v148
	v_sub_f32_e32 v147, v145, v144
	v_pk_add_f32 v[150:151], v[144:145], v[146:147] neg_lo:[0,1] neg_hi:[0,1]
	v_mov_b32_e32 v149, v144
	v_pk_add_f32 v[144:145], v[150:151], v[148:149] neg_lo:[0,1] neg_hi:[0,1]
	v_cmp_eq_f32_e32 vcc, s68, v135
	v_add_f32_e32 v145, v163, v145
	v_add_f32_e32 v144, v144, v145
	;; [unrolled: 1-line block ×3, first 2 shown]
	v_mul_f32_e32 v163, v162, v145
	v_mul_f32_e32 v146, v161, v163
	v_fma_f32 v148, v163, v161, -v146
	v_fmac_f32_e32 v148, v163, v49
	v_sub_f32_e32 v49, v147, v145
	v_add_f32_e32 v49, v144, v49
	v_add_f32_e32 v144, v146, v148
	v_sub_f32_e32 v147, v145, v144
	v_pk_add_f32 v[150:151], v[144:145], v[146:147] neg_lo:[0,1] neg_hi:[0,1]
	v_mov_b32_e32 v149, v144
	v_pk_add_f32 v[144:145], v[150:151], v[148:149] neg_lo:[0,1] neg_hi:[0,1]
	s_or_b64 vcc, vcc, s[72:73]
	v_add_f32_e32 v49, v49, v145
	v_add_f32_e32 v49, v144, v49
	;; [unrolled: 1-line block ×4, first 2 shown]
	v_sub_f32_e32 v144, v145, v164
	v_mul_f32_e32 v49, v162, v49
	v_sub_f32_e32 v144, v163, v144
	v_add_f32_e32 v146, v144, v49
	v_add_f32_e32 v148, v145, v146
	v_cvt_f32_i32_e32 v144, v160
	v_mul_f32_e32 v149, v148, v148
	v_sub_f32_e32 v145, v148, v145
	v_fmamk_f32 v49, v149, 0x3e9b6dac, v132
	v_sub_f32_e32 v145, v146, v145
	v_fmaak_f32 v49, v149, v49, 0x3f2aaada
	v_ldexp_f32 v150, v145, 1
	v_mul_f32_e32 v145, v148, v149
	v_ldexp_f32 v147, v148, 1
	v_pk_mul_f32 v[148:149], v[144:145], v[48:49]
	s_nop 0
	v_fma_f32 v146, v144, s70, -v148
	v_fmac_f32_e32 v146, 0xb102e308, v144
	v_pk_add_f32 v[144:145], v[148:149], v[146:147]
	s_nop 0
	v_sub_f32_e32 v49, v145, v147
	v_sub_f32_e32 v49, v149, v49
	v_add_f32_e32 v151, v150, v49
	v_mov_b32_e32 v150, v148
	v_pk_add_f32 v[148:149], v[144:145], v[148:149] neg_lo:[0,1] neg_hi:[0,1]
	v_pk_add_f32 v[160:161], v[144:145], v[150:151]
	v_mov_b32_e32 v147, v144
	v_mov_b32_e32 v149, v161
	v_pk_add_f32 v[162:163], v[146:147], v[148:149] neg_lo:[0,1] neg_hi:[0,1]
	v_pk_add_f32 v[146:147], v[146:147], v[148:149]
	v_mov_b32_e32 v150, v151
	v_mov_b32_e32 v148, v147
	v_pk_add_f32 v[164:165], v[148:149], v[144:145] neg_lo:[0,1] neg_hi:[0,1]
	v_mov_b32_e32 v146, v161
	v_mov_b32_e32 v49, v164
	v_pk_add_f32 v[166:167], v[160:161], v[48:49] neg_lo:[0,1] neg_hi:[0,1]
	v_mov_b32_e32 v160, v145
	v_mov_b32_e32 v161, v164
	;; [unrolled: 1-line block ×3, first 2 shown]
	v_pk_add_f32 v[146:147], v[146:147], v[160:161] neg_lo:[0,1] neg_hi:[0,1]
	v_mov_b32_e32 v151, v144
	v_pk_add_f32 v[144:145], v[150:151], v[146:147] neg_lo:[0,1] neg_hi:[0,1]
	v_mov_b32_e32 v166, v162
	v_pk_add_f32 v[146:147], v[166:167], v[144:145]
	s_nop 0
	v_mov_b32_e32 v150, v147
	v_pk_add_f32 v[150:151], v[146:147], v[150:151]
	s_nop 0
	v_pk_add_f32 v[148:149], v[148:149], v[150:151]
	v_mov_b32_e32 v145, v150
	v_mov_b32_e32 v147, v148
	v_pk_add_f32 v[160:161], v[146:147], v[162:163] neg_lo:[0,1] neg_hi:[0,1]
	s_nop 0
	v_sub_f32_e32 v49, v146, v160
	v_pk_add_f32 v[144:145], v[144:145], v[160:161] neg_lo:[0,1] neg_hi:[0,1]
	v_sub_f32_e32 v49, v162, v49
	v_add_f32_e32 v49, v144, v49
	v_add_f32_e32 v49, v49, v145
	;; [unrolled: 1-line block ×3, first 2 shown]
	v_cndmask_b32_e32 v49, v49, v135, vcc
	v_add_f32_e32 v49, v51, v49
	v_cvt_f16_f32_e32 v144, v49
.LBB428_194:                            ;   in Loop: Header=BB428_174 Depth=1
	s_or_b64 exec, exec, s[58:59]
	v_and_b32_e32 v49, 0xffff, v144
	v_mov_b32_e32 v135, v144
.LBB428_195:                            ;   in Loop: Header=BB428_174 Depth=1
	s_or_b64 exec, exec, s[62:63]
	s_waitcnt lgkmcnt(0)
	ds_bpermute_b32 v144, v119, v49
	v_cmp_le_u32_e32 vcc, v128, v50
	s_and_saveexec_b64 s[62:63], vcc
	s_cbranch_execz .LBB428_199
; %bb.196:                              ;   in Loop: Header=BB428_174 Depth=1
	s_waitcnt lgkmcnt(0)
	v_cvt_f32_f16_e32 v51, v144
	v_cvt_f32_f16_e32 v145, v135
	v_cmp_u_f16_e32 vcc, v144, v144
	v_cmp_u_f16_e64 s[58:59], v135, v135
	v_min_f32_e32 v49, v51, v145
	v_max_f32_e32 v135, v51, v145
	v_cndmask_b32_e32 v49, v49, v51, vcc
	v_cndmask_b32_e32 v51, v135, v51, vcc
	v_cndmask_b32_e64 v49, v49, v145, s[58:59]
	v_cndmask_b32_e64 v51, v51, v145, s[58:59]
	v_cmp_neq_f32_e32 vcc, v49, v51
	v_cmp_class_f32_e64 s[58:59], v49, s64
	s_or_b64 vcc, vcc, s[58:59]
	s_and_saveexec_b64 s[58:59], vcc
	s_cbranch_execz .LBB428_198
; %bb.197:                              ;   in Loop: Header=BB428_174 Depth=1
	v_sub_f32_e32 v49, v49, v51
	v_mul_f32_e32 v135, 0x3fb8aa3b, v49
	v_fma_f32 v144, v49, s65, -v135
	v_rndne_f32_e32 v145, v135
	v_fmac_f32_e32 v144, 0x32a5705f, v49
	v_sub_f32_e32 v135, v135, v145
	v_add_f32_e32 v135, v135, v144
	v_cvt_i32_f32_e32 v144, v145
	v_exp_f32_e32 v135, v135
	v_cmp_ngt_f32_e32 vcc, s66, v49
	v_ldexp_f32 v135, v135, v144
	s_nop 0
	v_cndmask_b32_e32 v135, 0, v135, vcc
	v_cmp_nlt_f32_e32 vcc, s67, v49
	s_nop 1
	v_cndmask_b32_e32 v135, v134, v135, vcc
	v_add_f32_e32 v49, 1.0, v135
	v_add_f32_e32 v144, -1.0, v49
	v_sub_f32_e32 v145, v144, v49
	v_add_f32_e32 v145, 1.0, v145
	v_sub_f32_e32 v144, v135, v144
	v_add_f32_e32 v146, v144, v145
	v_frexp_mant_f32_e32 v147, v49
	v_cvt_f64_f32_e32 v[144:145], v49
	v_frexp_exp_i32_f64_e32 v144, v[144:145]
	v_cmp_gt_f32_e32 vcc, s69, v147
	v_cmp_lt_f32_e64 s[72:73], |v135|, s71
	s_nop 0
	v_subbrev_co_u32_e32 v160, vcc, 0, v144, vcc
	v_sub_u32_e32 v144, 0, v160
	v_ldexp_f32 v49, v49, v144
	v_ldexp_f32 v144, v146, v144
	v_add_f32_e32 v146, -1.0, v49
	v_add_f32_e32 v145, 1.0, v146
	v_sub_f32_e32 v145, v49, v145
	v_add_f32_e32 v147, v144, v145
	v_add_f32_e32 v145, 1.0, v49
	v_add_f32_e32 v148, -1.0, v145
	v_sub_f32_e32 v49, v49, v148
	v_add_f32_e32 v49, v144, v49
	v_add_f32_e32 v161, v145, v49
	v_rcp_f32_e32 v162, v161
	v_sub_f32_e32 v144, v145, v161
	v_add_f32_e32 v145, v146, v147
	v_add_f32_e32 v49, v49, v144
	v_mul_f32_e32 v164, v145, v162
	v_sub_f32_e32 v144, v146, v145
	v_mul_f32_e32 v146, v161, v164
	v_fma_f32 v148, v164, v161, -v146
	v_fmac_f32_e32 v148, v164, v49
	v_add_f32_e32 v163, v147, v144
	v_add_f32_e32 v144, v146, v148
	v_sub_f32_e32 v147, v145, v144
	v_pk_add_f32 v[150:151], v[144:145], v[146:147] neg_lo:[0,1] neg_hi:[0,1]
	v_mov_b32_e32 v149, v144
	v_pk_add_f32 v[144:145], v[150:151], v[148:149] neg_lo:[0,1] neg_hi:[0,1]
	v_cmp_eq_f32_e32 vcc, s68, v135
	v_add_f32_e32 v145, v163, v145
	v_add_f32_e32 v144, v144, v145
	;; [unrolled: 1-line block ×3, first 2 shown]
	v_mul_f32_e32 v163, v162, v145
	v_mul_f32_e32 v146, v161, v163
	v_fma_f32 v148, v163, v161, -v146
	v_fmac_f32_e32 v148, v163, v49
	v_sub_f32_e32 v49, v147, v145
	v_add_f32_e32 v49, v144, v49
	v_add_f32_e32 v144, v146, v148
	v_sub_f32_e32 v147, v145, v144
	v_pk_add_f32 v[150:151], v[144:145], v[146:147] neg_lo:[0,1] neg_hi:[0,1]
	v_mov_b32_e32 v149, v144
	v_pk_add_f32 v[144:145], v[150:151], v[148:149] neg_lo:[0,1] neg_hi:[0,1]
	s_or_b64 vcc, vcc, s[72:73]
	v_add_f32_e32 v49, v49, v145
	v_add_f32_e32 v49, v144, v49
	;; [unrolled: 1-line block ×4, first 2 shown]
	v_sub_f32_e32 v144, v145, v164
	v_mul_f32_e32 v49, v162, v49
	v_sub_f32_e32 v144, v163, v144
	v_add_f32_e32 v146, v144, v49
	v_add_f32_e32 v148, v145, v146
	v_cvt_f32_i32_e32 v144, v160
	v_mul_f32_e32 v149, v148, v148
	v_sub_f32_e32 v145, v148, v145
	v_fmamk_f32 v49, v149, 0x3e9b6dac, v132
	v_sub_f32_e32 v145, v146, v145
	v_fmaak_f32 v49, v149, v49, 0x3f2aaada
	v_ldexp_f32 v150, v145, 1
	v_mul_f32_e32 v145, v148, v149
	v_ldexp_f32 v147, v148, 1
	v_pk_mul_f32 v[148:149], v[144:145], v[48:49]
	s_nop 0
	v_fma_f32 v146, v144, s70, -v148
	v_fmac_f32_e32 v146, 0xb102e308, v144
	v_pk_add_f32 v[144:145], v[148:149], v[146:147]
	s_nop 0
	v_sub_f32_e32 v49, v145, v147
	v_sub_f32_e32 v49, v149, v49
	v_add_f32_e32 v151, v150, v49
	v_mov_b32_e32 v150, v148
	v_pk_add_f32 v[148:149], v[144:145], v[148:149] neg_lo:[0,1] neg_hi:[0,1]
	v_pk_add_f32 v[160:161], v[144:145], v[150:151]
	v_mov_b32_e32 v147, v144
	v_mov_b32_e32 v149, v161
	v_pk_add_f32 v[162:163], v[146:147], v[148:149] neg_lo:[0,1] neg_hi:[0,1]
	v_pk_add_f32 v[146:147], v[146:147], v[148:149]
	v_mov_b32_e32 v150, v151
	v_mov_b32_e32 v148, v147
	v_pk_add_f32 v[164:165], v[148:149], v[144:145] neg_lo:[0,1] neg_hi:[0,1]
	v_mov_b32_e32 v146, v161
	v_mov_b32_e32 v49, v164
	v_pk_add_f32 v[166:167], v[160:161], v[48:49] neg_lo:[0,1] neg_hi:[0,1]
	v_mov_b32_e32 v160, v145
	v_mov_b32_e32 v161, v164
	v_mov_b32_e32 v163, v147
	v_pk_add_f32 v[146:147], v[146:147], v[160:161] neg_lo:[0,1] neg_hi:[0,1]
	v_mov_b32_e32 v151, v144
	v_pk_add_f32 v[144:145], v[150:151], v[146:147] neg_lo:[0,1] neg_hi:[0,1]
	v_mov_b32_e32 v166, v162
	v_pk_add_f32 v[146:147], v[166:167], v[144:145]
	s_nop 0
	v_mov_b32_e32 v150, v147
	v_pk_add_f32 v[150:151], v[146:147], v[150:151]
	s_nop 0
	v_pk_add_f32 v[148:149], v[148:149], v[150:151]
	v_mov_b32_e32 v145, v150
	v_mov_b32_e32 v147, v148
	v_pk_add_f32 v[160:161], v[146:147], v[162:163] neg_lo:[0,1] neg_hi:[0,1]
	s_nop 0
	v_sub_f32_e32 v49, v146, v160
	v_pk_add_f32 v[144:145], v[144:145], v[160:161] neg_lo:[0,1] neg_hi:[0,1]
	v_sub_f32_e32 v49, v162, v49
	v_add_f32_e32 v49, v144, v49
	v_add_f32_e32 v49, v49, v145
	;; [unrolled: 1-line block ×3, first 2 shown]
	v_cndmask_b32_e32 v49, v49, v135, vcc
	v_add_f32_e32 v49, v51, v49
	v_cvt_f16_f32_e32 v144, v49
.LBB428_198:                            ;   in Loop: Header=BB428_174 Depth=1
	s_or_b64 exec, exec, s[58:59]
	v_and_b32_e32 v49, 0xffff, v144
	v_mov_b32_e32 v135, v144
.LBB428_199:                            ;   in Loop: Header=BB428_174 Depth=1
	s_or_b64 exec, exec, s[62:63]
	ds_bpermute_b32 v49, v129, v49
	v_cmp_le_u32_e32 vcc, v130, v50
	s_and_saveexec_b64 s[62:63], vcc
	s_cbranch_execz .LBB428_203
; %bb.200:                              ;   in Loop: Header=BB428_174 Depth=1
	s_waitcnt lgkmcnt(0)
	v_cvt_f32_f16_e32 v50, v49
	v_cvt_f32_f16_e32 v144, v135
	v_cmp_u_f16_e32 vcc, v49, v49
	v_cmp_u_f16_e64 s[58:59], v135, v135
	v_min_f32_e32 v51, v50, v144
	v_max_f32_e32 v135, v50, v144
	v_cndmask_b32_e32 v51, v51, v50, vcc
	v_cndmask_b32_e32 v50, v135, v50, vcc
	v_cndmask_b32_e64 v51, v51, v144, s[58:59]
	v_cndmask_b32_e64 v50, v50, v144, s[58:59]
	v_cmp_neq_f32_e32 vcc, v51, v50
	v_cmp_class_f32_e64 s[58:59], v51, s64
	s_or_b64 vcc, vcc, s[58:59]
	s_and_saveexec_b64 s[58:59], vcc
	s_cbranch_execz .LBB428_202
; %bb.201:                              ;   in Loop: Header=BB428_174 Depth=1
	v_sub_f32_e32 v49, v51, v50
	v_mul_f32_e32 v51, 0x3fb8aa3b, v49
	v_fma_f32 v135, v49, s65, -v51
	v_rndne_f32_e32 v144, v51
	v_fmac_f32_e32 v135, 0x32a5705f, v49
	v_sub_f32_e32 v51, v51, v144
	v_add_f32_e32 v51, v51, v135
	v_cvt_i32_f32_e32 v135, v144
	v_exp_f32_e32 v51, v51
	v_cmp_ngt_f32_e32 vcc, s66, v49
	v_ldexp_f32 v51, v51, v135
	s_nop 0
	v_cndmask_b32_e32 v51, 0, v51, vcc
	v_cmp_nlt_f32_e32 vcc, s67, v49
	s_nop 1
	v_cndmask_b32_e32 v51, v134, v51, vcc
	v_add_f32_e32 v49, 1.0, v51
	v_add_f32_e32 v135, -1.0, v49
	v_sub_f32_e32 v144, v135, v49
	v_add_f32_e32 v144, 1.0, v144
	v_sub_f32_e32 v135, v51, v135
	v_add_f32_e32 v135, v135, v144
	v_frexp_mant_f32_e32 v146, v49
	v_cvt_f64_f32_e32 v[144:145], v49
	v_frexp_exp_i32_f64_e32 v144, v[144:145]
	v_cmp_gt_f32_e32 vcc, s69, v146
	v_cmp_lt_f32_e64 s[72:73], |v51|, s71
	s_nop 0
	v_subbrev_co_u32_e32 v160, vcc, 0, v144, vcc
	v_sub_u32_e32 v144, 0, v160
	v_ldexp_f32 v49, v49, v144
	v_ldexp_f32 v135, v135, v144
	v_add_f32_e32 v144, -1.0, v49
	v_add_f32_e32 v145, 1.0, v144
	v_sub_f32_e32 v145, v49, v145
	v_add_f32_e32 v146, v135, v145
	v_add_f32_e32 v145, 1.0, v49
	v_add_f32_e32 v147, -1.0, v145
	v_sub_f32_e32 v49, v49, v147
	v_add_f32_e32 v49, v135, v49
	v_add_f32_e32 v135, v145, v49
	v_rcp_f32_e32 v161, v135
	v_sub_f32_e32 v145, v145, v135
	v_add_f32_e32 v49, v49, v145
	v_add_f32_e32 v145, v144, v146
	v_sub_f32_e32 v144, v144, v145
	v_mul_f32_e32 v163, v145, v161
	v_add_f32_e32 v162, v146, v144
	v_mul_f32_e32 v146, v135, v163
	v_fma_f32 v148, v163, v135, -v146
	v_fmac_f32_e32 v148, v163, v49
	v_add_f32_e32 v144, v146, v148
	v_sub_f32_e32 v147, v145, v144
	v_pk_add_f32 v[150:151], v[144:145], v[146:147] neg_lo:[0,1] neg_hi:[0,1]
	v_mov_b32_e32 v149, v144
	v_pk_add_f32 v[144:145], v[150:151], v[148:149] neg_lo:[0,1] neg_hi:[0,1]
	v_cmp_eq_f32_e32 vcc, s68, v51
	v_add_f32_e32 v145, v162, v145
	v_add_f32_e32 v144, v144, v145
	;; [unrolled: 1-line block ×3, first 2 shown]
	v_mul_f32_e32 v162, v161, v145
	v_mul_f32_e32 v146, v135, v162
	v_fma_f32 v148, v162, v135, -v146
	v_fmac_f32_e32 v148, v162, v49
	v_sub_f32_e32 v49, v147, v145
	v_add_f32_e32 v49, v144, v49
	v_add_f32_e32 v144, v146, v148
	v_sub_f32_e32 v147, v145, v144
	v_pk_add_f32 v[150:151], v[144:145], v[146:147] neg_lo:[0,1] neg_hi:[0,1]
	v_mov_b32_e32 v149, v144
	v_pk_add_f32 v[144:145], v[150:151], v[148:149] neg_lo:[0,1] neg_hi:[0,1]
	v_add_f32_e32 v135, v163, v162
	v_add_f32_e32 v49, v49, v145
	;; [unrolled: 1-line block ×4, first 2 shown]
	v_sub_f32_e32 v144, v135, v163
	v_mul_f32_e32 v49, v161, v49
	v_sub_f32_e32 v144, v162, v144
	v_add_f32_e32 v145, v144, v49
	v_add_f32_e32 v146, v135, v145
	v_cvt_f32_i32_e32 v144, v160
	v_mul_f32_e32 v148, v146, v146
	v_fmamk_f32 v49, v148, 0x3e9b6dac, v132
	v_sub_f32_e32 v135, v146, v135
	v_fmaak_f32 v49, v148, v49, 0x3f2aaada
	v_sub_f32_e32 v135, v145, v135
	v_mul_f32_e32 v145, v146, v148
	v_pk_mul_f32 v[148:149], v[144:145], v[48:49]
	v_ldexp_f32 v147, v146, 1
	v_fma_f32 v146, v144, s70, -v148
	v_fmac_f32_e32 v146, 0xb102e308, v144
	v_pk_add_f32 v[144:145], v[148:149], v[146:147]
	v_ldexp_f32 v135, v135, 1
	v_sub_f32_e32 v49, v145, v147
	v_sub_f32_e32 v49, v149, v49
	v_add_f32_e32 v151, v135, v49
	v_mov_b32_e32 v150, v148
	v_pk_add_f32 v[148:149], v[144:145], v[148:149] neg_lo:[0,1] neg_hi:[0,1]
	v_pk_add_f32 v[160:161], v[144:145], v[150:151]
	v_mov_b32_e32 v147, v144
	v_mov_b32_e32 v149, v161
	v_pk_add_f32 v[162:163], v[146:147], v[148:149] neg_lo:[0,1] neg_hi:[0,1]
	v_pk_add_f32 v[146:147], v[146:147], v[148:149]
	v_mov_b32_e32 v150, v151
	v_mov_b32_e32 v148, v147
	v_pk_add_f32 v[164:165], v[148:149], v[144:145] neg_lo:[0,1] neg_hi:[0,1]
	v_mov_b32_e32 v146, v161
	v_mov_b32_e32 v49, v164
	v_pk_add_f32 v[166:167], v[160:161], v[48:49] neg_lo:[0,1] neg_hi:[0,1]
	v_mov_b32_e32 v160, v145
	v_mov_b32_e32 v161, v164
	;; [unrolled: 1-line block ×3, first 2 shown]
	v_pk_add_f32 v[146:147], v[146:147], v[160:161] neg_lo:[0,1] neg_hi:[0,1]
	v_mov_b32_e32 v151, v144
	v_pk_add_f32 v[144:145], v[150:151], v[146:147] neg_lo:[0,1] neg_hi:[0,1]
	v_mov_b32_e32 v166, v162
	v_pk_add_f32 v[146:147], v[166:167], v[144:145]
	s_or_b64 vcc, vcc, s[72:73]
	v_mov_b32_e32 v150, v147
	v_pk_add_f32 v[150:151], v[146:147], v[150:151]
	s_nop 0
	v_pk_add_f32 v[148:149], v[148:149], v[150:151]
	v_mov_b32_e32 v145, v150
	v_mov_b32_e32 v147, v148
	v_pk_add_f32 v[160:161], v[146:147], v[162:163] neg_lo:[0,1] neg_hi:[0,1]
	s_nop 0
	v_sub_f32_e32 v49, v146, v160
	v_pk_add_f32 v[144:145], v[144:145], v[160:161] neg_lo:[0,1] neg_hi:[0,1]
	v_sub_f32_e32 v49, v162, v49
	v_add_f32_e32 v49, v144, v49
	v_add_f32_e32 v49, v49, v145
	;; [unrolled: 1-line block ×3, first 2 shown]
	v_cndmask_b32_e32 v49, v49, v51, vcc
	v_add_f32_e32 v49, v50, v49
	v_cvt_f16_f32_e32 v49, v49
.LBB428_202:                            ;   in Loop: Header=BB428_174 Depth=1
	s_or_b64 exec, exec, s[58:59]
	v_mov_b32_e32 v135, v49
.LBB428_203:                            ;   in Loop: Header=BB428_174 Depth=1
	s_or_b64 exec, exec, s[62:63]
	v_cvt_f32_f16_e32 v50, v135
	v_cvt_f32_f16_e32 v51, v131
	v_cmp_u_f16_e32 vcc, v135, v135
	v_cmp_u_f16_e64 s[58:59], v131, v131
	s_waitcnt lgkmcnt(0)
	v_min_f32_e32 v49, v50, v51
	v_max_f32_e32 v144, v50, v51
	v_cndmask_b32_e32 v49, v49, v50, vcc
	v_cndmask_b32_e32 v50, v144, v50, vcc
	v_cndmask_b32_e64 v49, v49, v51, s[58:59]
	v_cndmask_b32_e64 v50, v50, v51, s[58:59]
	v_cmp_neq_f32_e32 vcc, v49, v50
	v_cmp_class_f32_e64 s[58:59], v49, s64
	s_or_b64 vcc, vcc, s[58:59]
	s_and_saveexec_b64 s[58:59], vcc
	s_xor_b64 s[58:59], exec, s[58:59]
	s_cbranch_execz .LBB428_173
; %bb.204:                              ;   in Loop: Header=BB428_174 Depth=1
	v_sub_f32_e32 v49, v49, v50
	v_mul_f32_e32 v51, 0x3fb8aa3b, v49
	v_fma_f32 v135, v49, s65, -v51
	v_rndne_f32_e32 v144, v51
	v_fmac_f32_e32 v135, 0x32a5705f, v49
	v_sub_f32_e32 v51, v51, v144
	v_add_f32_e32 v51, v51, v135
	v_cvt_i32_f32_e32 v135, v144
	v_exp_f32_e32 v51, v51
	v_cmp_ngt_f32_e32 vcc, s66, v49
	v_ldexp_f32 v51, v51, v135
	s_nop 0
	v_cndmask_b32_e32 v51, 0, v51, vcc
	v_cmp_nlt_f32_e32 vcc, s67, v49
	s_nop 1
	v_cndmask_b32_e32 v51, v134, v51, vcc
	v_add_f32_e32 v49, 1.0, v51
	v_add_f32_e32 v135, -1.0, v49
	v_sub_f32_e32 v144, v135, v49
	v_add_f32_e32 v144, 1.0, v144
	v_sub_f32_e32 v135, v51, v135
	v_add_f32_e32 v135, v135, v144
	v_frexp_mant_f32_e32 v146, v49
	v_cvt_f64_f32_e32 v[144:145], v49
	v_frexp_exp_i32_f64_e32 v144, v[144:145]
	v_cmp_gt_f32_e32 vcc, s69, v146
	v_cmp_lt_f32_e64 s[62:63], |v51|, s71
	s_nop 0
	v_subbrev_co_u32_e32 v144, vcc, 0, v144, vcc
	v_sub_u32_e32 v145, 0, v144
	v_ldexp_f32 v49, v49, v145
	v_ldexp_f32 v135, v135, v145
	v_add_f32_e32 v145, -1.0, v49
	v_add_f32_e32 v148, 1.0, v49
	v_add_f32_e32 v146, 1.0, v145
	v_add_f32_e32 v149, -1.0, v148
	v_sub_f32_e32 v146, v49, v146
	v_sub_f32_e32 v49, v49, v149
	v_add_f32_e32 v49, v135, v49
	v_add_f32_e32 v146, v135, v146
	;; [unrolled: 1-line block ×3, first 2 shown]
	v_rcp_f32_e32 v149, v135
	v_add_f32_e32 v147, v145, v146
	v_sub_f32_e32 v145, v145, v147
	v_add_f32_e32 v145, v146, v145
	v_sub_f32_e32 v146, v148, v135
	v_add_f32_e32 v49, v49, v146
	v_mul_f32_e32 v146, v147, v149
	v_mul_f32_e32 v148, v135, v146
	v_fma_f32 v150, v146, v135, -v148
	v_fmac_f32_e32 v150, v146, v49
	v_add_f32_e32 v151, v148, v150
	v_sub_f32_e32 v160, v147, v151
	v_sub_f32_e32 v147, v147, v160
	;; [unrolled: 1-line block ×4, first 2 shown]
	v_add_f32_e32 v145, v145, v147
	v_sub_f32_e32 v147, v148, v150
	v_add_f32_e32 v145, v147, v145
	v_add_f32_e32 v147, v160, v145
	v_mul_f32_e32 v148, v149, v147
	v_mul_f32_e32 v150, v135, v148
	v_fma_f32 v135, v148, v135, -v150
	v_fmac_f32_e32 v135, v148, v49
	v_sub_f32_e32 v49, v160, v147
	v_add_f32_e32 v49, v145, v49
	v_add_f32_e32 v145, v150, v135
	v_sub_f32_e32 v151, v147, v145
	v_sub_f32_e32 v147, v147, v151
	;; [unrolled: 1-line block ×4, first 2 shown]
	v_add_f32_e32 v49, v49, v145
	v_sub_f32_e32 v135, v150, v135
	v_add_f32_e32 v49, v135, v49
	v_add_f32_e32 v135, v146, v148
	;; [unrolled: 1-line block ×3, first 2 shown]
	v_sub_f32_e32 v145, v135, v146
	v_mul_f32_e32 v49, v149, v49
	v_sub_f32_e32 v145, v148, v145
	v_add_f32_e32 v145, v145, v49
	v_add_f32_e32 v146, v135, v145
	v_cvt_f32_i32_e32 v144, v144
	v_mul_f32_e32 v148, v146, v146
	v_fmamk_f32 v49, v148, 0x3e9b6dac, v132
	v_sub_f32_e32 v135, v146, v135
	v_fmaak_f32 v49, v148, v49, 0x3f2aaada
	v_sub_f32_e32 v135, v145, v135
	v_mul_f32_e32 v145, v146, v148
	v_pk_mul_f32 v[148:149], v[144:145], v[48:49]
	v_ldexp_f32 v147, v146, 1
	v_fma_f32 v146, v144, s70, -v148
	v_fmac_f32_e32 v146, 0xb102e308, v144
	v_pk_add_f32 v[144:145], v[148:149], v[146:147]
	v_ldexp_f32 v135, v135, 1
	v_sub_f32_e32 v49, v145, v147
	v_sub_f32_e32 v49, v149, v49
	v_add_f32_e32 v151, v135, v49
	v_mov_b32_e32 v150, v148
	v_pk_add_f32 v[148:149], v[144:145], v[148:149] neg_lo:[0,1] neg_hi:[0,1]
	v_pk_add_f32 v[160:161], v[144:145], v[150:151]
	v_mov_b32_e32 v147, v144
	v_mov_b32_e32 v149, v161
	v_pk_add_f32 v[162:163], v[146:147], v[148:149] neg_lo:[0,1] neg_hi:[0,1]
	v_pk_add_f32 v[146:147], v[146:147], v[148:149]
	v_mov_b32_e32 v150, v151
	v_mov_b32_e32 v148, v147
	v_pk_add_f32 v[164:165], v[148:149], v[144:145] neg_lo:[0,1] neg_hi:[0,1]
	v_mov_b32_e32 v146, v161
	v_mov_b32_e32 v49, v164
	v_pk_add_f32 v[166:167], v[160:161], v[48:49] neg_lo:[0,1] neg_hi:[0,1]
	v_mov_b32_e32 v160, v145
	v_mov_b32_e32 v161, v164
	;; [unrolled: 1-line block ×3, first 2 shown]
	v_pk_add_f32 v[146:147], v[146:147], v[160:161] neg_lo:[0,1] neg_hi:[0,1]
	v_mov_b32_e32 v151, v144
	v_pk_add_f32 v[144:145], v[150:151], v[146:147] neg_lo:[0,1] neg_hi:[0,1]
	v_mov_b32_e32 v166, v162
	v_pk_add_f32 v[146:147], v[166:167], v[144:145]
	v_cmp_eq_f32_e32 vcc, s68, v51
	v_mov_b32_e32 v150, v147
	v_pk_add_f32 v[150:151], v[146:147], v[150:151]
	s_or_b64 vcc, vcc, s[62:63]
	v_pk_add_f32 v[148:149], v[148:149], v[150:151]
	v_mov_b32_e32 v145, v150
	v_mov_b32_e32 v147, v148
	v_pk_add_f32 v[160:161], v[146:147], v[162:163] neg_lo:[0,1] neg_hi:[0,1]
	s_nop 0
	v_sub_f32_e32 v49, v146, v160
	v_pk_add_f32 v[144:145], v[144:145], v[160:161] neg_lo:[0,1] neg_hi:[0,1]
	v_sub_f32_e32 v49, v162, v49
	v_add_f32_e32 v49, v144, v49
	v_add_f32_e32 v49, v49, v145
	v_add_f32_e32 v49, v148, v49
	v_cndmask_b32_e32 v49, v49, v51, vcc
	v_add_f32_e32 v49, v50, v49
	v_cvt_f16_f32_e32 v135, v49
	s_branch .LBB428_173
.LBB428_205:                            ;   in Loop: Header=BB428_174 Depth=1
                                        ; implicit-def: $vgpr135
                                        ; implicit-def: $vgpr31
	s_cbranch_execz .LBB428_174
; %bb.206:
	s_and_saveexec_b64 s[62:63], s[56:57]
	s_cbranch_execz .LBB428_210
; %bb.207:
	v_cvt_f32_f16_e32 v31, v131
	v_cvt_f32_f16_e32 v36, v102
	v_cmp_u_f16_e32 vcc, v131, v131
	v_cmp_u_f16_e64 s[58:59], v102, v102
	v_min_f32_e32 v37, v31, v36
	v_max_f32_e32 v38, v31, v36
	v_cndmask_b32_e32 v37, v37, v31, vcc
	v_cndmask_b32_e32 v31, v38, v31, vcc
	v_cndmask_b32_e64 v37, v37, v36, s[58:59]
	v_cndmask_b32_e64 v31, v31, v36, s[58:59]
	s_movk_i32 s58, 0x1f8
	v_cmp_neq_f32_e32 vcc, v37, v31
	v_cmp_class_f32_e64 s[58:59], v37, s58
	s_or_b64 vcc, vcc, s[58:59]
	v_mov_b32_e32 v36, v131
	s_and_saveexec_b64 s[58:59], vcc
	s_cbranch_execz .LBB428_209
; %bb.208:
	v_sub_f32_e32 v36, v37, v31
	s_mov_b32 s64, 0x3fb8aa3b
	v_mul_f32_e32 v37, 0x3fb8aa3b, v36
	v_fma_f32 v38, v36, s64, -v37
	v_rndne_f32_e32 v39, v37
	v_fmamk_f32 v38, v36, 0x32a5705f, v38
	v_sub_f32_e32 v37, v37, v39
	v_add_f32_e32 v37, v37, v38
	v_exp_f32_e32 v37, v37
	v_cvt_i32_f32_e32 v38, v39
	s_mov_b32 s64, 0xc2ce8ed0
	v_cmp_ngt_f32_e32 vcc, s64, v36
	s_mov_b32 s64, 0x42b17218
	v_ldexp_f32 v37, v37, v38
	v_cndmask_b32_e32 v37, 0, v37, vcc
	v_mov_b32_e32 v38, 0x7f800000
	v_cmp_nlt_f32_e32 vcc, s64, v36
	s_mov_b32 s64, 0x3f2aaaab
	s_mov_b32 s65, 0x7f800000
	v_cndmask_b32_e32 v118, v38, v37, vcc
	v_add_f32_e32 v38, 1.0, v118
	v_add_f32_e32 v36, -1.0, v38
	v_sub_f32_e32 v37, v36, v38
	v_add_f32_e32 v37, 1.0, v37
	v_sub_f32_e32 v36, v118, v36
	v_add_f32_e32 v39, v36, v37
	v_frexp_mant_f32_e32 v48, v38
	v_cvt_f64_f32_e32 v[36:37], v38
	v_frexp_exp_i32_f64_e32 v36, v[36:37]
	v_cmp_gt_f32_e32 vcc, s64, v48
	s_mov_b32 s64, 0x3f317218
	s_nop 0
	v_subbrev_co_u32_e32 v102, vcc, 0, v36, vcc
	v_sub_u32_e32 v36, 0, v102
	v_ldexp_f32 v37, v38, v36
	v_add_f32_e32 v38, -1.0, v37
	v_add_f32_e32 v48, 1.0, v37
	v_ldexp_f32 v36, v39, v36
	v_add_f32_e32 v39, 1.0, v38
	s_waitcnt lgkmcnt(0)
	v_add_f32_e32 v49, -1.0, v48
	v_sub_f32_e32 v39, v37, v39
	v_sub_f32_e32 v37, v37, v49
	v_add_f32_e32 v39, v36, v39
	v_add_f32_e32 v36, v36, v37
	;; [unrolled: 1-line block ×3, first 2 shown]
	v_rcp_f32_e32 v113, v103
	v_sub_f32_e32 v37, v48, v103
	v_add_f32_e32 v112, v36, v37
	v_add_f32_e32 v37, v38, v39
	v_mul_f32_e32 v115, v37, v113
	v_sub_f32_e32 v36, v38, v37
	v_mul_f32_e32 v38, v103, v115
	v_fma_f32 v48, v115, v103, -v38
	v_fmac_f32_e32 v48, v115, v112
	v_add_f32_e32 v114, v39, v36
	v_add_f32_e32 v36, v38, v48
	v_sub_f32_e32 v39, v37, v36
	v_pk_add_f32 v[50:51], v[36:37], v[38:39] neg_lo:[0,1] neg_hi:[0,1]
	v_mov_b32_e32 v49, v36
	v_pk_add_f32 v[36:37], v[50:51], v[48:49] neg_lo:[0,1] neg_hi:[0,1]
	v_cmp_eq_f32_e32 vcc, s65, v118
	v_add_f32_e32 v37, v114, v37
	v_add_f32_e32 v36, v36, v37
	;; [unrolled: 1-line block ×3, first 2 shown]
	v_mul_f32_e32 v114, v113, v37
	v_mul_f32_e32 v38, v103, v114
	v_fma_f32 v48, v114, v103, -v38
	v_fmac_f32_e32 v48, v114, v112
	v_sub_f32_e32 v39, v39, v37
	v_add_f32_e32 v103, v36, v39
	v_add_f32_e32 v36, v38, v48
	v_sub_f32_e32 v39, v37, v36
	v_pk_add_f32 v[50:51], v[36:37], v[38:39] neg_lo:[0,1] neg_hi:[0,1]
	v_mov_b32_e32 v49, v36
	v_pk_add_f32 v[36:37], v[50:51], v[48:49] neg_lo:[0,1] neg_hi:[0,1]
	v_cvt_f32_i32_e32 v38, v102
	v_add_f32_e32 v37, v103, v37
	v_add_f32_e32 v36, v36, v37
	;; [unrolled: 1-line block ×4, first 2 shown]
	v_sub_f32_e32 v37, v39, v115
	v_mul_f32_e32 v36, v113, v36
	v_sub_f32_e32 v37, v114, v37
	v_add_f32_e32 v36, v37, v36
	v_add_f32_e32 v48, v39, v36
	v_mul_f32_e32 v50, v48, v48
	v_mov_b32_e32 v37, 0x3ecc95a3
	v_sub_f32_e32 v39, v48, v39
	v_fmac_f32_e32 v37, 0x3e9b6dac, v50
	v_sub_f32_e32 v36, v36, v39
	v_fmaak_f32 v37, v50, v37, 0x3f2aaada
	v_ldexp_f32 v51, v36, 1
	v_mul_f32_e32 v39, v48, v50
	v_mov_b32_e32 v36, 0x3f317218
	v_pk_mul_f32 v[36:37], v[38:39], v[36:37]
	v_ldexp_f32 v49, v48, 1
	v_fma_f32 v39, v38, s64, -v36
	v_fmamk_f32 v48, v38, 0xb102e308, v39
	v_pk_add_f32 v[38:39], v[36:37], v[48:49]
	v_mov_b32_e32 v50, v36
	v_sub_f32_e32 v49, v39, v49
	v_sub_f32_e32 v49, v37, v49
	v_add_f32_e32 v51, v51, v49
	v_pk_add_f32 v[36:37], v[38:39], v[36:37] neg_lo:[0,1] neg_hi:[0,1]
	v_pk_add_f32 v[102:103], v[38:39], v[50:51]
	v_mov_b32_e32 v49, v38
	v_mov_b32_e32 v37, v103
	v_pk_add_f32 v[112:113], v[48:49], v[36:37] neg_lo:[0,1] neg_hi:[0,1]
	v_pk_add_f32 v[36:37], v[48:49], v[36:37]
	v_mov_b32_e32 v50, v51
	v_mov_b32_e32 v48, v37
	v_pk_add_f32 v[114:115], v[48:49], v[38:39] neg_lo:[0,1] neg_hi:[0,1]
	v_mov_b32_e32 v36, v103
	v_mov_b32_e32 v49, v114
	v_pk_add_f32 v[116:117], v[102:103], v[48:49] neg_lo:[0,1] neg_hi:[0,1]
	v_mov_b32_e32 v102, v39
	v_mov_b32_e32 v103, v114
	;; [unrolled: 1-line block ×3, first 2 shown]
	v_pk_add_f32 v[36:37], v[36:37], v[102:103] neg_lo:[0,1] neg_hi:[0,1]
	v_mov_b32_e32 v51, v38
	v_pk_add_f32 v[36:37], v[50:51], v[36:37] neg_lo:[0,1] neg_hi:[0,1]
	v_mov_b32_e32 v116, v112
	v_pk_add_f32 v[38:39], v[116:117], v[36:37]
	s_mov_b32 s64, 0x33800000
	v_mov_b32_e32 v50, v39
	v_pk_add_f32 v[50:51], v[38:39], v[50:51]
	v_cmp_lt_f32_e64 s[64:65], |v118|, s64
	v_pk_add_f32 v[48:49], v[48:49], v[50:51]
	v_mov_b32_e32 v37, v50
	v_mov_b32_e32 v39, v48
	v_pk_add_f32 v[102:103], v[38:39], v[112:113] neg_lo:[0,1] neg_hi:[0,1]
	s_or_b64 vcc, vcc, s[64:65]
	v_sub_f32_e32 v38, v38, v102
	v_pk_add_f32 v[36:37], v[36:37], v[102:103] neg_lo:[0,1] neg_hi:[0,1]
	v_sub_f32_e32 v38, v112, v38
	v_add_f32_e32 v36, v36, v38
	v_add_f32_e32 v36, v36, v37
	;; [unrolled: 1-line block ×3, first 2 shown]
	v_cndmask_b32_e32 v36, v36, v118, vcc
	v_add_f32_e32 v31, v31, v36
	v_cvt_f16_f32_e32 v36, v31
.LBB428_209:
	s_or_b64 exec, exec, s[58:59]
	v_mov_b32_e32 v31, 0
	s_mov_b32 vcc_lo, 0x20000
	v_lshl_add_u64 v[30:31], v[30:31], 2, v[28:29]
	v_or_b32_sdwa v36, v36, vcc_lo dst_sel:DWORD dst_unused:UNUSED_PAD src0_sel:WORD_0 src1_sel:DWORD
	flat_store_dword v[30:31], v36 sc1
.LBB428_210:
	s_or_b64 exec, exec, s[62:63]
	s_and_b64 exec, exec, s[4:5]
	s_cbranch_execz .LBB428_212
; %bb.211:
	v_mov_b32_e32 v30, 0
	ds_write_b16 v30, v131 offset:6
.LBB428_212:
	s_or_b64 exec, exec, s[60:61]
	v_mov_b32_e32 v30, 0
	s_waitcnt lgkmcnt(0)
	s_barrier
	ds_read_u16 v30, v30 offset:6
	v_mov_b32_e32 v36, v24
	s_and_saveexec_b64 s[58:59], s[2:3]
	s_cbranch_execz .LBB428_216
; %bb.213:
	v_cndmask_b32_e64 v36, v101, v100, s[56:57]
	v_cvt_f32_f16_e32 v37, v36
	v_max_f32_e32 v31, v99, v99
	v_cmp_u_f16_e32 vcc, v36, v36
	v_min_f32_e32 v38, v37, v31
	v_max_f32_e32 v31, v37, v31
	v_cndmask_b32_e32 v38, v38, v37, vcc
	v_cndmask_b32_e32 v31, v31, v37, vcc
	v_cndmask_b32_e64 v38, v38, v99, s[54:55]
	v_cndmask_b32_e64 v31, v31, v99, s[54:55]
	s_movk_i32 s54, 0x1f8
	v_cmp_neq_f32_e32 vcc, v38, v31
	v_cmp_class_f32_e64 s[54:55], v38, s54
	s_or_b64 vcc, vcc, s[54:55]
	s_and_saveexec_b64 s[54:55], vcc
	s_cbranch_execz .LBB428_215
; %bb.214:
	v_sub_f32_e32 v36, v38, v31
	s_mov_b32 s56, 0x3fb8aa3b
	v_mul_f32_e32 v37, 0x3fb8aa3b, v36
	v_fma_f32 v38, v36, s56, -v37
	v_rndne_f32_e32 v39, v37
	v_fmamk_f32 v38, v36, 0x32a5705f, v38
	v_sub_f32_e32 v37, v37, v39
	v_add_f32_e32 v37, v37, v38
	v_exp_f32_e32 v37, v37
	v_cvt_i32_f32_e32 v38, v39
	s_mov_b32 s56, 0xc2ce8ed0
	v_cmp_ngt_f32_e32 vcc, s56, v36
	s_mov_b32 s56, 0x42b17218
	v_ldexp_f32 v37, v37, v38
	v_cndmask_b32_e32 v37, 0, v37, vcc
	v_mov_b32_e32 v38, 0x7f800000
	v_cmp_nlt_f32_e32 vcc, s56, v36
	s_mov_b32 s56, 0x3f2aaaab
	s_mov_b32 s57, 0x7f800000
	v_cndmask_b32_e32 v99, v38, v37, vcc
	v_add_f32_e32 v38, 1.0, v99
	v_add_f32_e32 v36, -1.0, v38
	v_sub_f32_e32 v37, v36, v38
	v_add_f32_e32 v37, 1.0, v37
	v_sub_f32_e32 v36, v99, v36
	v_add_f32_e32 v39, v36, v37
	v_frexp_mant_f32_e32 v48, v38
	v_cvt_f64_f32_e32 v[36:37], v38
	v_frexp_exp_i32_f64_e32 v36, v[36:37]
	v_cmp_gt_f32_e32 vcc, s56, v48
	s_mov_b32 s56, 0x3f317218
	s_nop 0
	v_subbrev_co_u32_e32 v100, vcc, 0, v36, vcc
	v_sub_u32_e32 v36, 0, v100
	v_ldexp_f32 v37, v38, v36
	v_add_f32_e32 v38, -1.0, v37
	v_add_f32_e32 v48, 1.0, v37
	v_ldexp_f32 v36, v39, v36
	v_add_f32_e32 v39, 1.0, v38
	v_add_f32_e32 v49, -1.0, v48
	v_sub_f32_e32 v39, v37, v39
	v_sub_f32_e32 v37, v37, v49
	v_add_f32_e32 v39, v36, v39
	v_add_f32_e32 v36, v36, v37
	;; [unrolled: 1-line block ×3, first 2 shown]
	v_rcp_f32_e32 v103, v101
	v_sub_f32_e32 v37, v48, v101
	v_add_f32_e32 v102, v36, v37
	v_add_f32_e32 v37, v38, v39
	v_mul_f32_e32 v113, v37, v103
	v_sub_f32_e32 v36, v38, v37
	v_mul_f32_e32 v38, v101, v113
	v_fma_f32 v48, v113, v101, -v38
	v_fmac_f32_e32 v48, v113, v102
	v_add_f32_e32 v112, v39, v36
	v_add_f32_e32 v36, v38, v48
	v_sub_f32_e32 v39, v37, v36
	v_pk_add_f32 v[50:51], v[36:37], v[38:39] neg_lo:[0,1] neg_hi:[0,1]
	v_mov_b32_e32 v49, v36
	v_pk_add_f32 v[36:37], v[50:51], v[48:49] neg_lo:[0,1] neg_hi:[0,1]
	v_cmp_eq_f32_e32 vcc, s57, v99
	v_add_f32_e32 v37, v112, v37
	v_add_f32_e32 v36, v36, v37
	;; [unrolled: 1-line block ×3, first 2 shown]
	v_mul_f32_e32 v112, v103, v37
	v_mul_f32_e32 v38, v101, v112
	v_fma_f32 v48, v112, v101, -v38
	v_fmac_f32_e32 v48, v112, v102
	v_sub_f32_e32 v39, v39, v37
	v_add_f32_e32 v101, v36, v39
	v_add_f32_e32 v36, v38, v48
	v_sub_f32_e32 v39, v37, v36
	v_pk_add_f32 v[50:51], v[36:37], v[38:39] neg_lo:[0,1] neg_hi:[0,1]
	v_mov_b32_e32 v49, v36
	v_pk_add_f32 v[36:37], v[50:51], v[48:49] neg_lo:[0,1] neg_hi:[0,1]
	v_cvt_f32_i32_e32 v38, v100
	v_add_f32_e32 v37, v101, v37
	v_add_f32_e32 v36, v36, v37
	;; [unrolled: 1-line block ×4, first 2 shown]
	v_sub_f32_e32 v37, v39, v113
	v_mul_f32_e32 v36, v103, v36
	v_sub_f32_e32 v37, v112, v37
	v_add_f32_e32 v36, v37, v36
	v_add_f32_e32 v48, v39, v36
	v_mul_f32_e32 v50, v48, v48
	v_mov_b32_e32 v37, 0x3ecc95a3
	v_sub_f32_e32 v39, v48, v39
	v_fmac_f32_e32 v37, 0x3e9b6dac, v50
	v_sub_f32_e32 v36, v36, v39
	v_fmaak_f32 v37, v50, v37, 0x3f2aaada
	v_ldexp_f32 v51, v36, 1
	v_mul_f32_e32 v39, v48, v50
	v_mov_b32_e32 v36, 0x3f317218
	v_pk_mul_f32 v[36:37], v[38:39], v[36:37]
	v_ldexp_f32 v49, v48, 1
	v_fma_f32 v39, v38, s56, -v36
	v_fmamk_f32 v48, v38, 0xb102e308, v39
	v_pk_add_f32 v[38:39], v[36:37], v[48:49]
	v_mov_b32_e32 v50, v36
	v_sub_f32_e32 v49, v39, v49
	v_sub_f32_e32 v49, v37, v49
	v_add_f32_e32 v51, v51, v49
	v_pk_add_f32 v[36:37], v[38:39], v[36:37] neg_lo:[0,1] neg_hi:[0,1]
	v_pk_add_f32 v[100:101], v[38:39], v[50:51]
	v_mov_b32_e32 v49, v38
	v_mov_b32_e32 v37, v101
	v_pk_add_f32 v[102:103], v[48:49], v[36:37] neg_lo:[0,1] neg_hi:[0,1]
	v_pk_add_f32 v[36:37], v[48:49], v[36:37]
	v_mov_b32_e32 v50, v51
	v_mov_b32_e32 v48, v37
	v_pk_add_f32 v[112:113], v[48:49], v[38:39] neg_lo:[0,1] neg_hi:[0,1]
	v_mov_b32_e32 v36, v101
	v_mov_b32_e32 v49, v112
	v_pk_add_f32 v[114:115], v[100:101], v[48:49] neg_lo:[0,1] neg_hi:[0,1]
	v_mov_b32_e32 v100, v39
	v_mov_b32_e32 v101, v112
	;; [unrolled: 1-line block ×3, first 2 shown]
	v_pk_add_f32 v[36:37], v[36:37], v[100:101] neg_lo:[0,1] neg_hi:[0,1]
	v_mov_b32_e32 v51, v38
	v_pk_add_f32 v[36:37], v[50:51], v[36:37] neg_lo:[0,1] neg_hi:[0,1]
	v_mov_b32_e32 v114, v102
	v_pk_add_f32 v[38:39], v[114:115], v[36:37]
	s_mov_b32 s56, 0x33800000
	v_mov_b32_e32 v50, v39
	v_pk_add_f32 v[50:51], v[38:39], v[50:51]
	v_cmp_lt_f32_e64 s[56:57], |v99|, s56
	v_pk_add_f32 v[48:49], v[48:49], v[50:51]
	v_mov_b32_e32 v37, v50
	v_mov_b32_e32 v39, v48
	v_pk_add_f32 v[100:101], v[38:39], v[102:103] neg_lo:[0,1] neg_hi:[0,1]
	s_or_b64 vcc, vcc, s[56:57]
	v_sub_f32_e32 v38, v38, v100
	v_pk_add_f32 v[36:37], v[36:37], v[100:101] neg_lo:[0,1] neg_hi:[0,1]
	v_sub_f32_e32 v38, v102, v38
	v_add_f32_e32 v36, v36, v38
	v_add_f32_e32 v36, v36, v37
	;; [unrolled: 1-line block ×3, first 2 shown]
	v_cndmask_b32_e32 v36, v36, v99, vcc
	v_add_f32_e32 v31, v31, v36
	v_cvt_f16_f32_e32 v36, v31
	v_cvt_f32_f16_e32 v37, v36
.LBB428_215:
	s_or_b64 exec, exec, s[54:55]
	v_mov_b32_e32 v99, v37
.LBB428_216:
	s_or_b64 exec, exec, s[58:59]
	s_waitcnt lgkmcnt(0)
	v_cvt_f32_f16_e32 v100, v30
	v_max_f32_e32 v31, v99, v99
	v_cmp_u_f16_e32 vcc, v30, v30
	v_cmp_u_f16_e64 s[54:55], v36, v36
	v_min_f32_e32 v37, v100, v31
	v_max_f32_e32 v31, v100, v31
	v_cndmask_b32_e32 v37, v37, v100, vcc
	v_cndmask_b32_e32 v31, v31, v100, vcc
	v_cndmask_b32_e64 v36, v37, v99, s[54:55]
	v_cndmask_b32_e64 v31, v31, v99, s[54:55]
	s_movk_i32 s56, 0x1f8
	v_cmp_neq_f32_e32 vcc, v36, v31
	v_cmp_class_f32_e64 s[54:55], v36, s56
	s_or_b64 vcc, vcc, s[54:55]
	s_and_saveexec_b64 s[54:55], vcc
	s_cbranch_execz .LBB428_218
; %bb.217:
	v_sub_f32_e32 v30, v36, v31
	s_mov_b32 s57, 0x3fb8aa3b
	v_mul_f32_e32 v36, 0x3fb8aa3b, v30
	v_fma_f32 v37, v30, s57, -v36
	v_rndne_f32_e32 v38, v36
	v_fmamk_f32 v37, v30, 0x32a5705f, v37
	v_sub_f32_e32 v36, v36, v38
	v_add_f32_e32 v36, v36, v37
	v_exp_f32_e32 v36, v36
	v_cvt_i32_f32_e32 v37, v38
	s_mov_b32 s57, 0xc2ce8ed0
	v_cmp_ngt_f32_e32 vcc, s57, v30
	s_mov_b32 s57, 0x42b17218
	v_ldexp_f32 v36, v36, v37
	v_cndmask_b32_e32 v36, 0, v36, vcc
	v_mov_b32_e32 v37, 0x7f800000
	v_cmp_nlt_f32_e32 vcc, s57, v30
	s_mov_b32 s57, 0x3f2aaaab
	s_mov_b32 s58, 0x7f800000
	v_cndmask_b32_e32 v99, v37, v36, vcc
	v_add_f32_e32 v30, 1.0, v99
	v_add_f32_e32 v36, -1.0, v30
	v_sub_f32_e32 v37, v36, v30
	v_add_f32_e32 v37, 1.0, v37
	v_sub_f32_e32 v36, v99, v36
	v_add_f32_e32 v38, v36, v37
	v_frexp_mant_f32_e32 v39, v30
	v_cvt_f64_f32_e32 v[36:37], v30
	v_frexp_exp_i32_f64_e32 v36, v[36:37]
	v_cmp_gt_f32_e32 vcc, s57, v39
	s_mov_b32 s57, 0x3f317218
	s_nop 0
	v_subbrev_co_u32_e32 v100, vcc, 0, v36, vcc
	v_sub_u32_e32 v36, 0, v100
	v_ldexp_f32 v30, v30, v36
	v_ldexp_f32 v36, v38, v36
	v_add_f32_e32 v38, -1.0, v30
	v_add_f32_e32 v37, 1.0, v38
	v_sub_f32_e32 v37, v30, v37
	v_add_f32_e32 v39, v36, v37
	v_add_f32_e32 v37, 1.0, v30
	v_add_f32_e32 v48, -1.0, v37
	v_sub_f32_e32 v30, v30, v48
	v_add_f32_e32 v30, v36, v30
	v_add_f32_e32 v101, v37, v30
	v_rcp_f32_e32 v102, v101
	v_sub_f32_e32 v36, v37, v101
	v_add_f32_e32 v37, v38, v39
	v_add_f32_e32 v30, v30, v36
	v_mul_f32_e32 v112, v37, v102
	v_sub_f32_e32 v36, v38, v37
	v_mul_f32_e32 v38, v101, v112
	v_fma_f32 v48, v112, v101, -v38
	v_fmac_f32_e32 v48, v112, v30
	v_add_f32_e32 v103, v39, v36
	v_add_f32_e32 v36, v38, v48
	v_sub_f32_e32 v39, v37, v36
	v_pk_add_f32 v[50:51], v[36:37], v[38:39] neg_lo:[0,1] neg_hi:[0,1]
	v_mov_b32_e32 v49, v36
	v_pk_add_f32 v[36:37], v[50:51], v[48:49] neg_lo:[0,1] neg_hi:[0,1]
	v_cmp_eq_f32_e32 vcc, s58, v99
	v_add_f32_e32 v37, v103, v37
	v_add_f32_e32 v36, v36, v37
	;; [unrolled: 1-line block ×3, first 2 shown]
	v_mul_f32_e32 v103, v102, v37
	v_mul_f32_e32 v38, v101, v103
	v_fma_f32 v48, v103, v101, -v38
	v_fmac_f32_e32 v48, v103, v30
	v_sub_f32_e32 v30, v39, v37
	v_add_f32_e32 v30, v36, v30
	v_add_f32_e32 v36, v38, v48
	v_sub_f32_e32 v39, v37, v36
	v_pk_add_f32 v[50:51], v[36:37], v[38:39] neg_lo:[0,1] neg_hi:[0,1]
	v_mov_b32_e32 v49, v36
	v_pk_add_f32 v[36:37], v[50:51], v[48:49] neg_lo:[0,1] neg_hi:[0,1]
	v_cvt_f32_i32_e32 v38, v100
	v_add_f32_e32 v30, v30, v37
	v_add_f32_e32 v30, v36, v30
	v_add_f32_e32 v36, v112, v103
	v_add_f32_e32 v30, v39, v30
	v_sub_f32_e32 v37, v36, v112
	v_mul_f32_e32 v30, v102, v30
	v_sub_f32_e32 v37, v103, v37
	v_add_f32_e32 v30, v37, v30
	v_add_f32_e32 v39, v36, v30
	v_mul_f32_e32 v48, v39, v39
	v_mov_b32_e32 v37, 0x3ecc95a3
	v_fmac_f32_e32 v37, 0x3e9b6dac, v48
	v_sub_f32_e32 v36, v39, v36
	v_fmaak_f32 v37, v48, v37, 0x3f2aaada
	v_sub_f32_e32 v30, v30, v36
	v_ldexp_f32 v49, v39, 1
	v_mul_f32_e32 v39, v39, v48
	v_mov_b32_e32 v36, 0x3f317218
	v_pk_mul_f32 v[36:37], v[38:39], v[36:37]
	v_ldexp_f32 v30, v30, 1
	v_fma_f32 v39, v38, s57, -v36
	v_fmamk_f32 v48, v38, 0xb102e308, v39
	v_pk_add_f32 v[38:39], v[36:37], v[48:49]
	v_mov_b32_e32 v50, v36
	v_sub_f32_e32 v49, v39, v49
	v_sub_f32_e32 v49, v37, v49
	v_add_f32_e32 v51, v30, v49
	v_pk_add_f32 v[36:37], v[38:39], v[36:37] neg_lo:[0,1] neg_hi:[0,1]
	v_pk_add_f32 v[100:101], v[38:39], v[50:51]
	v_mov_b32_e32 v49, v38
	v_mov_b32_e32 v37, v101
	v_pk_add_f32 v[102:103], v[48:49], v[36:37] neg_lo:[0,1] neg_hi:[0,1]
	v_pk_add_f32 v[36:37], v[48:49], v[36:37]
	s_mov_b32 s57, 0x33800000
	v_mov_b32_e32 v30, v37
	v_pk_add_f32 v[48:49], v[30:31], v[38:39] neg_lo:[0,1] neg_hi:[0,1]
	v_mov_b32_e32 v36, v101
	v_mov_b32_e32 v49, v48
	v_pk_add_f32 v[112:113], v[100:101], v[48:49] neg_lo:[0,1] neg_hi:[0,1]
	v_mov_b32_e32 v100, v39
	v_mov_b32_e32 v101, v48
	;; [unrolled: 1-line block ×3, first 2 shown]
	v_pk_add_f32 v[36:37], v[36:37], v[100:101] neg_lo:[0,1] neg_hi:[0,1]
	v_mov_b32_e32 v48, v51
	v_mov_b32_e32 v49, v38
	v_pk_add_f32 v[36:37], v[48:49], v[36:37] neg_lo:[0,1] neg_hi:[0,1]
	v_mov_b32_e32 v112, v102
	v_pk_add_f32 v[38:39], v[112:113], v[36:37]
	v_cmp_lt_f32_e64 s[58:59], |v99|, s57
	v_mov_b32_e32 v48, v39
	v_pk_add_f32 v[48:49], v[38:39], v[48:49]
	s_or_b64 vcc, vcc, s[58:59]
	v_pk_add_f32 v[50:51], v[30:31], v[48:49]
	v_mov_b32_e32 v37, v48
	v_mov_b32_e32 v39, v50
	v_pk_add_f32 v[100:101], v[38:39], v[102:103] neg_lo:[0,1] neg_hi:[0,1]
	s_nop 0
	v_sub_f32_e32 v30, v38, v100
	v_pk_add_f32 v[36:37], v[36:37], v[100:101] neg_lo:[0,1] neg_hi:[0,1]
	v_sub_f32_e32 v30, v102, v30
	v_add_f32_e32 v30, v36, v30
	v_add_f32_e32 v30, v30, v37
	;; [unrolled: 1-line block ×3, first 2 shown]
	v_cndmask_b32_e32 v30, v30, v99, vcc
	v_add_f32_e32 v30, v31, v30
	v_cvt_f16_f32_e32 v30, v30
	v_cvt_f32_f16_e32 v100, v30
.LBB428_218:
	s_or_b64 exec, exec, s[54:55]
	v_max_f32_e32 v31, v33, v33
	v_max_f32_e32 v36, v100, v100
	v_min_f32_e32 v37, v36, v31
	v_cmp_u_f16_e32 vcc, v30, v30
	v_max_f32_e32 v31, v36, v31
	v_mov_b32_e32 v99, v30
	v_cndmask_b32_e32 v37, v37, v100, vcc
	v_cndmask_b32_e32 v31, v31, v100, vcc
	v_cndmask_b32_e64 v37, v37, v33, s[6:7]
	v_cndmask_b32_e64 v36, v31, v33, s[6:7]
	v_cmp_neq_f32_e32 vcc, v37, v36
	v_cmp_class_f32_e64 s[6:7], v37, s56
	s_or_b64 vcc, vcc, s[6:7]
	v_mov_b32_e32 v31, v30
	s_and_saveexec_b64 s[6:7], vcc
	s_cbranch_execz .LBB428_220
; %bb.219:
	v_sub_f32_e32 v31, v37, v36
	s_mov_b32 s54, 0x3fb8aa3b
	v_mul_f32_e32 v37, 0x3fb8aa3b, v31
	v_fma_f32 v38, v31, s54, -v37
	v_rndne_f32_e32 v39, v37
	v_fmamk_f32 v38, v31, 0x32a5705f, v38
	v_sub_f32_e32 v37, v37, v39
	v_add_f32_e32 v37, v37, v38
	v_exp_f32_e32 v37, v37
	v_cvt_i32_f32_e32 v38, v39
	s_mov_b32 s54, 0xc2ce8ed0
	v_cmp_ngt_f32_e32 vcc, s54, v31
	s_mov_b32 s54, 0x42b17218
	v_ldexp_f32 v37, v37, v38
	v_cndmask_b32_e32 v37, 0, v37, vcc
	v_mov_b32_e32 v38, 0x7f800000
	v_cmp_nlt_f32_e32 vcc, s54, v31
	s_mov_b32 s54, 0x3f2aaaab
	s_mov_b32 s55, 0x7f800000
	v_cndmask_b32_e32 v37, v38, v37, vcc
	v_add_f32_e32 v31, 1.0, v37
	v_add_f32_e32 v38, -1.0, v31
	v_sub_f32_e32 v39, v38, v31
	v_add_f32_e32 v39, 1.0, v39
	v_sub_f32_e32 v38, v37, v38
	v_add_f32_e32 v48, v38, v39
	v_frexp_mant_f32_e32 v49, v31
	v_cvt_f64_f32_e32 v[38:39], v31
	v_frexp_exp_i32_f64_e32 v38, v[38:39]
	v_cmp_gt_f32_e32 vcc, s54, v49
	s_mov_b32 s54, 0x3f317218
	s_nop 0
	v_subbrev_co_u32_e32 v99, vcc, 0, v38, vcc
	v_sub_u32_e32 v38, 0, v99
	v_ldexp_f32 v31, v31, v38
	v_ldexp_f32 v38, v48, v38
	v_add_f32_e32 v48, -1.0, v31
	v_add_f32_e32 v39, 1.0, v48
	v_sub_f32_e32 v39, v31, v39
	v_add_f32_e32 v49, v38, v39
	v_add_f32_e32 v39, 1.0, v31
	v_add_f32_e32 v50, -1.0, v39
	v_sub_f32_e32 v31, v31, v50
	v_add_f32_e32 v31, v38, v31
	v_add_f32_e32 v102, v39, v31
	v_rcp_f32_e32 v103, v102
	v_sub_f32_e32 v38, v39, v102
	v_add_f32_e32 v39, v48, v49
	v_add_f32_e32 v31, v31, v38
	v_mul_f32_e32 v113, v39, v103
	v_sub_f32_e32 v38, v48, v39
	v_mul_f32_e32 v48, v102, v113
	v_fma_f32 v50, v113, v102, -v48
	v_fmac_f32_e32 v50, v113, v31
	v_add_f32_e32 v112, v49, v38
	v_add_f32_e32 v38, v48, v50
	v_sub_f32_e32 v49, v39, v38
	v_pk_add_f32 v[100:101], v[38:39], v[48:49] neg_lo:[0,1] neg_hi:[0,1]
	v_mov_b32_e32 v51, v38
	v_pk_add_f32 v[38:39], v[100:101], v[50:51] neg_lo:[0,1] neg_hi:[0,1]
	v_cmp_eq_f32_e32 vcc, s55, v37
	v_add_f32_e32 v39, v112, v39
	v_add_f32_e32 v38, v38, v39
	;; [unrolled: 1-line block ×3, first 2 shown]
	v_mul_f32_e32 v112, v103, v39
	v_mul_f32_e32 v48, v102, v112
	v_fma_f32 v50, v112, v102, -v48
	v_fmac_f32_e32 v50, v112, v31
	v_sub_f32_e32 v31, v49, v39
	v_add_f32_e32 v31, v38, v31
	v_add_f32_e32 v38, v48, v50
	v_sub_f32_e32 v49, v39, v38
	v_pk_add_f32 v[100:101], v[38:39], v[48:49] neg_lo:[0,1] neg_hi:[0,1]
	v_mov_b32_e32 v51, v38
	v_pk_add_f32 v[38:39], v[100:101], v[50:51] neg_lo:[0,1] neg_hi:[0,1]
	v_cvt_f32_i32_e32 v48, v99
	v_add_f32_e32 v31, v31, v39
	v_add_f32_e32 v31, v38, v31
	;; [unrolled: 1-line block ×4, first 2 shown]
	v_sub_f32_e32 v39, v38, v113
	v_mul_f32_e32 v31, v103, v31
	v_sub_f32_e32 v39, v112, v39
	v_add_f32_e32 v31, v39, v31
	v_add_f32_e32 v49, v38, v31
	v_mul_f32_e32 v50, v49, v49
	v_mov_b32_e32 v39, 0x3ecc95a3
	v_fmac_f32_e32 v39, 0x3e9b6dac, v50
	v_sub_f32_e32 v38, v49, v38
	v_fmaak_f32 v39, v50, v39, 0x3f2aaada
	v_sub_f32_e32 v31, v31, v38
	v_ldexp_f32 v51, v49, 1
	v_mul_f32_e32 v49, v49, v50
	v_mov_b32_e32 v38, 0x3f317218
	v_pk_mul_f32 v[38:39], v[48:49], v[38:39]
	v_ldexp_f32 v31, v31, 1
	v_fma_f32 v49, v48, s54, -v38
	v_fmamk_f32 v50, v48, 0xb102e308, v49
	v_pk_add_f32 v[48:49], v[38:39], v[50:51]
	v_mov_b32_e32 v100, v38
	v_sub_f32_e32 v51, v49, v51
	v_sub_f32_e32 v51, v39, v51
	v_add_f32_e32 v101, v31, v51
	v_pk_add_f32 v[38:39], v[48:49], v[38:39] neg_lo:[0,1] neg_hi:[0,1]
	v_pk_add_f32 v[102:103], v[48:49], v[100:101]
	v_mov_b32_e32 v51, v48
	v_mov_b32_e32 v39, v103
	v_pk_add_f32 v[112:113], v[50:51], v[38:39] neg_lo:[0,1] neg_hi:[0,1]
	v_pk_add_f32 v[38:39], v[50:51], v[38:39]
	v_mov_b32_e32 v100, v101
	v_mov_b32_e32 v50, v39
	v_pk_add_f32 v[114:115], v[50:51], v[48:49] neg_lo:[0,1] neg_hi:[0,1]
	v_mov_b32_e32 v38, v103
	v_mov_b32_e32 v31, v114
	v_pk_add_f32 v[116:117], v[102:103], v[30:31] neg_lo:[0,1] neg_hi:[0,1]
	v_mov_b32_e32 v102, v49
	v_mov_b32_e32 v103, v114
	;; [unrolled: 1-line block ×3, first 2 shown]
	v_pk_add_f32 v[38:39], v[38:39], v[102:103] neg_lo:[0,1] neg_hi:[0,1]
	v_mov_b32_e32 v101, v48
	v_pk_add_f32 v[38:39], v[100:101], v[38:39] neg_lo:[0,1] neg_hi:[0,1]
	v_mov_b32_e32 v116, v112
	v_pk_add_f32 v[48:49], v[116:117], v[38:39]
	s_mov_b32 s54, 0x33800000
	v_mov_b32_e32 v100, v49
	v_pk_add_f32 v[100:101], v[48:49], v[100:101]
	v_cmp_lt_f32_e64 s[54:55], |v37|, s54
	v_pk_add_f32 v[50:51], v[50:51], v[100:101]
	v_mov_b32_e32 v39, v100
	v_mov_b32_e32 v49, v50
	v_pk_add_f32 v[102:103], v[48:49], v[112:113] neg_lo:[0,1] neg_hi:[0,1]
	s_or_b64 vcc, vcc, s[54:55]
	v_sub_f32_e32 v31, v48, v102
	v_pk_add_f32 v[38:39], v[38:39], v[102:103] neg_lo:[0,1] neg_hi:[0,1]
	v_sub_f32_e32 v31, v112, v31
	v_add_f32_e32 v31, v38, v31
	v_add_f32_e32 v31, v31, v39
	v_add_f32_e32 v31, v50, v31
	v_cndmask_b32_e32 v31, v31, v37, vcc
	v_add_f32_e32 v31, v36, v31
	v_cvt_f16_f32_e32 v99, v31
	v_cvt_f32_f16_e32 v100, v99
	v_mov_b32_e32 v31, v99
.LBB428_220:
	s_or_b64 exec, exec, s[6:7]
	v_max_f32_e32 v36, v53, v53
	v_max_f32_e32 v37, v100, v100
	v_min_f32_e32 v38, v37, v36
	v_cmp_u_f16_e32 vcc, v99, v99
	v_max_f32_e32 v36, v37, v36
	s_nop 0
	v_cndmask_b32_e32 v38, v38, v100, vcc
	v_cndmask_b32_e32 v36, v36, v100, vcc
	v_cndmask_b32_e64 v38, v38, v53, s[8:9]
	v_cndmask_b32_e64 v37, v36, v53, s[8:9]
	s_movk_i32 s8, 0x1f8
	v_cmp_neq_f32_e32 vcc, v38, v37
	v_cmp_class_f32_e64 s[6:7], v38, s8
	s_or_b64 vcc, vcc, s[6:7]
	v_mov_b32_e32 v36, v31
	s_and_saveexec_b64 s[6:7], vcc
	s_cbranch_execz .LBB428_222
; %bb.221:
	v_sub_f32_e32 v36, v38, v37
	s_mov_b32 s9, 0x3fb8aa3b
	v_mul_f32_e32 v38, 0x3fb8aa3b, v36
	v_fma_f32 v39, v36, s9, -v38
	v_rndne_f32_e32 v48, v38
	v_fmamk_f32 v39, v36, 0x32a5705f, v39
	v_sub_f32_e32 v38, v38, v48
	v_add_f32_e32 v38, v38, v39
	v_exp_f32_e32 v38, v38
	v_cvt_i32_f32_e32 v39, v48
	s_mov_b32 s9, 0xc2ce8ed0
	v_cmp_ngt_f32_e32 vcc, s9, v36
	s_mov_b32 s9, 0x42b17218
	v_ldexp_f32 v38, v38, v39
	v_cndmask_b32_e32 v38, 0, v38, vcc
	v_mov_b32_e32 v39, 0x7f800000
	v_cmp_nlt_f32_e32 vcc, s9, v36
	s_mov_b32 s9, 0x3f2aaaab
	s_mov_b32 s54, 0x7f800000
	v_cndmask_b32_e32 v53, v39, v38, vcc
	v_add_f32_e32 v36, 1.0, v53
	v_add_f32_e32 v38, -1.0, v36
	v_sub_f32_e32 v39, v38, v36
	v_add_f32_e32 v39, 1.0, v39
	v_sub_f32_e32 v38, v53, v38
	v_add_f32_e32 v48, v38, v39
	v_frexp_mant_f32_e32 v49, v36
	v_cvt_f64_f32_e32 v[38:39], v36
	v_frexp_exp_i32_f64_e32 v38, v[38:39]
	v_cmp_gt_f32_e32 vcc, s9, v49
	s_mov_b32 s9, 0x3f317218
	s_nop 0
	v_subbrev_co_u32_e32 v99, vcc, 0, v38, vcc
	v_sub_u32_e32 v38, 0, v99
	v_ldexp_f32 v36, v36, v38
	v_ldexp_f32 v38, v48, v38
	v_add_f32_e32 v48, -1.0, v36
	v_add_f32_e32 v39, 1.0, v48
	v_sub_f32_e32 v39, v36, v39
	v_add_f32_e32 v49, v38, v39
	v_add_f32_e32 v39, 1.0, v36
	v_add_f32_e32 v50, -1.0, v39
	v_sub_f32_e32 v36, v36, v50
	v_add_f32_e32 v36, v38, v36
	v_add_f32_e32 v102, v39, v36
	v_rcp_f32_e32 v103, v102
	v_sub_f32_e32 v38, v39, v102
	v_add_f32_e32 v39, v48, v49
	v_add_f32_e32 v36, v36, v38
	v_mul_f32_e32 v113, v39, v103
	v_sub_f32_e32 v38, v48, v39
	v_mul_f32_e32 v48, v102, v113
	v_fma_f32 v50, v113, v102, -v48
	v_fmac_f32_e32 v50, v113, v36
	v_add_f32_e32 v112, v49, v38
	v_add_f32_e32 v38, v48, v50
	v_sub_f32_e32 v49, v39, v38
	v_pk_add_f32 v[100:101], v[38:39], v[48:49] neg_lo:[0,1] neg_hi:[0,1]
	v_mov_b32_e32 v51, v38
	v_pk_add_f32 v[38:39], v[100:101], v[50:51] neg_lo:[0,1] neg_hi:[0,1]
	v_cmp_eq_f32_e32 vcc, s54, v53
	v_add_f32_e32 v39, v112, v39
	v_add_f32_e32 v38, v38, v39
	;; [unrolled: 1-line block ×3, first 2 shown]
	v_mul_f32_e32 v112, v103, v39
	v_mul_f32_e32 v48, v102, v112
	v_fma_f32 v50, v112, v102, -v48
	v_fmac_f32_e32 v50, v112, v36
	v_sub_f32_e32 v36, v49, v39
	v_add_f32_e32 v36, v38, v36
	v_add_f32_e32 v38, v48, v50
	v_sub_f32_e32 v49, v39, v38
	v_pk_add_f32 v[100:101], v[38:39], v[48:49] neg_lo:[0,1] neg_hi:[0,1]
	v_mov_b32_e32 v51, v38
	v_pk_add_f32 v[38:39], v[100:101], v[50:51] neg_lo:[0,1] neg_hi:[0,1]
	v_cvt_f32_i32_e32 v48, v99
	v_add_f32_e32 v36, v36, v39
	v_add_f32_e32 v36, v38, v36
	;; [unrolled: 1-line block ×4, first 2 shown]
	v_sub_f32_e32 v39, v38, v113
	v_mul_f32_e32 v36, v103, v36
	v_sub_f32_e32 v39, v112, v39
	v_add_f32_e32 v36, v39, v36
	v_add_f32_e32 v49, v38, v36
	v_mul_f32_e32 v50, v49, v49
	v_mov_b32_e32 v39, 0x3ecc95a3
	v_fmac_f32_e32 v39, 0x3e9b6dac, v50
	v_sub_f32_e32 v38, v49, v38
	v_fmaak_f32 v39, v50, v39, 0x3f2aaada
	v_sub_f32_e32 v36, v36, v38
	v_ldexp_f32 v51, v49, 1
	v_mul_f32_e32 v49, v49, v50
	v_mov_b32_e32 v38, 0x3f317218
	v_pk_mul_f32 v[38:39], v[48:49], v[38:39]
	v_ldexp_f32 v36, v36, 1
	v_fma_f32 v49, v48, s9, -v38
	v_fmamk_f32 v50, v48, 0xb102e308, v49
	v_pk_add_f32 v[48:49], v[38:39], v[50:51]
	v_mov_b32_e32 v100, v38
	v_sub_f32_e32 v51, v49, v51
	v_sub_f32_e32 v51, v39, v51
	v_add_f32_e32 v101, v36, v51
	v_pk_add_f32 v[38:39], v[48:49], v[38:39] neg_lo:[0,1] neg_hi:[0,1]
	v_pk_add_f32 v[102:103], v[48:49], v[100:101]
	v_mov_b32_e32 v51, v48
	v_mov_b32_e32 v39, v103
	v_pk_add_f32 v[112:113], v[50:51], v[38:39] neg_lo:[0,1] neg_hi:[0,1]
	v_pk_add_f32 v[38:39], v[50:51], v[38:39]
	s_mov_b32 s9, 0x33800000
	v_mov_b32_e32 v36, v39
	v_pk_add_f32 v[50:51], v[36:37], v[48:49] neg_lo:[0,1] neg_hi:[0,1]
	v_mov_b32_e32 v38, v103
	v_mov_b32_e32 v51, v50
	v_pk_add_f32 v[114:115], v[102:103], v[50:51] neg_lo:[0,1] neg_hi:[0,1]
	v_mov_b32_e32 v102, v49
	v_mov_b32_e32 v103, v50
	v_mov_b32_e32 v113, v39
	v_pk_add_f32 v[38:39], v[38:39], v[102:103] neg_lo:[0,1] neg_hi:[0,1]
	v_mov_b32_e32 v50, v101
	v_mov_b32_e32 v51, v48
	v_pk_add_f32 v[38:39], v[50:51], v[38:39] neg_lo:[0,1] neg_hi:[0,1]
	v_mov_b32_e32 v114, v112
	v_pk_add_f32 v[48:49], v[114:115], v[38:39]
	v_cmp_lt_f32_e64 s[54:55], |v53|, s9
	v_mov_b32_e32 v50, v49
	v_pk_add_f32 v[50:51], v[48:49], v[50:51]
	s_or_b64 vcc, vcc, s[54:55]
	v_pk_add_f32 v[100:101], v[36:37], v[50:51]
	v_mov_b32_e32 v39, v50
	v_mov_b32_e32 v49, v100
	v_pk_add_f32 v[102:103], v[48:49], v[112:113] neg_lo:[0,1] neg_hi:[0,1]
	s_nop 0
	v_sub_f32_e32 v36, v48, v102
	v_pk_add_f32 v[38:39], v[38:39], v[102:103] neg_lo:[0,1] neg_hi:[0,1]
	v_sub_f32_e32 v36, v112, v36
	v_add_f32_e32 v36, v38, v36
	v_add_f32_e32 v36, v36, v39
	;; [unrolled: 1-line block ×3, first 2 shown]
	v_cndmask_b32_e32 v36, v36, v53, vcc
	v_add_f32_e32 v36, v37, v36
	v_cvt_f16_f32_e32 v99, v36
	v_cvt_f32_f16_e32 v100, v99
	v_mov_b32_e32 v36, v99
.LBB428_222:
	s_or_b64 exec, exec, s[6:7]
	v_max_f32_e32 v37, v54, v54
	v_max_f32_e32 v38, v100, v100
	v_min_f32_e32 v39, v38, v37
	v_cmp_u_f16_e32 vcc, v99, v99
	v_max_f32_e32 v37, v38, v37
	s_nop 0
	v_cndmask_b32_e32 v39, v39, v100, vcc
	v_cndmask_b32_e32 v37, v37, v100, vcc
	v_cndmask_b32_e64 v39, v39, v54, s[10:11]
	v_cndmask_b32_e64 v38, v37, v54, s[10:11]
	v_cmp_neq_f32_e32 vcc, v39, v38
	v_cmp_class_f32_e64 s[6:7], v39, s8
	s_or_b64 s[8:9], vcc, s[6:7]
	v_mov_b32_e32 v37, v36
	s_and_saveexec_b64 s[6:7], s[8:9]
	s_cbranch_execz .LBB428_224
; %bb.223:
	v_sub_f32_e32 v37, v39, v38
	s_mov_b32 s8, 0x3fb8aa3b
	v_mul_f32_e32 v39, 0x3fb8aa3b, v37
	v_fma_f32 v48, v37, s8, -v39
	v_rndne_f32_e32 v49, v39
	v_fmamk_f32 v48, v37, 0x32a5705f, v48
	v_sub_f32_e32 v39, v39, v49
	v_add_f32_e32 v39, v39, v48
	v_exp_f32_e32 v39, v39
	v_cvt_i32_f32_e32 v48, v49
	s_mov_b32 s8, 0xc2ce8ed0
	v_cmp_ngt_f32_e32 vcc, s8, v37
	s_mov_b32 s8, 0x42b17218
	v_ldexp_f32 v39, v39, v48
	v_cndmask_b32_e32 v39, 0, v39, vcc
	v_mov_b32_e32 v48, 0x7f800000
	v_cmp_nlt_f32_e32 vcc, s8, v37
	s_mov_b32 s8, 0x3f2aaaab
	s_mov_b32 s9, 0x7f800000
	v_cndmask_b32_e32 v39, v48, v39, vcc
	v_add_f32_e32 v37, 1.0, v39
	v_add_f32_e32 v48, -1.0, v37
	v_sub_f32_e32 v49, v48, v37
	v_add_f32_e32 v49, 1.0, v49
	v_sub_f32_e32 v48, v39, v48
	v_add_f32_e32 v50, v48, v49
	v_frexp_mant_f32_e32 v51, v37
	v_cvt_f64_f32_e32 v[48:49], v37
	v_frexp_exp_i32_f64_e32 v48, v[48:49]
	v_cmp_gt_f32_e32 vcc, s8, v51
	s_mov_b32 s8, 0x3f317218
	s_nop 0
	v_subbrev_co_u32_e32 v53, vcc, 0, v48, vcc
	v_sub_u32_e32 v48, 0, v53
	v_ldexp_f32 v37, v37, v48
	v_ldexp_f32 v48, v50, v48
	v_add_f32_e32 v50, -1.0, v37
	v_add_f32_e32 v49, 1.0, v50
	v_sub_f32_e32 v49, v37, v49
	v_add_f32_e32 v51, v48, v49
	v_add_f32_e32 v49, 1.0, v37
	v_add_f32_e32 v54, -1.0, v49
	v_sub_f32_e32 v37, v37, v54
	v_add_f32_e32 v37, v48, v37
	v_add_f32_e32 v54, v49, v37
	v_rcp_f32_e32 v99, v54
	v_sub_f32_e32 v48, v49, v54
	v_add_f32_e32 v49, v50, v51
	v_add_f32_e32 v37, v37, v48
	v_mul_f32_e32 v113, v49, v99
	v_sub_f32_e32 v48, v50, v49
	v_mul_f32_e32 v50, v54, v113
	v_fma_f32 v100, v113, v54, -v50
	v_fmac_f32_e32 v100, v113, v37
	v_add_f32_e32 v112, v51, v48
	v_add_f32_e32 v48, v50, v100
	v_sub_f32_e32 v51, v49, v48
	v_pk_add_f32 v[102:103], v[48:49], v[50:51] neg_lo:[0,1] neg_hi:[0,1]
	v_mov_b32_e32 v101, v48
	v_pk_add_f32 v[48:49], v[102:103], v[100:101] neg_lo:[0,1] neg_hi:[0,1]
	v_cmp_eq_f32_e32 vcc, s9, v39
	v_add_f32_e32 v49, v112, v49
	v_add_f32_e32 v48, v48, v49
	;; [unrolled: 1-line block ×3, first 2 shown]
	v_mul_f32_e32 v112, v99, v49
	v_mul_f32_e32 v50, v54, v112
	v_fma_f32 v100, v112, v54, -v50
	v_fmac_f32_e32 v100, v112, v37
	v_sub_f32_e32 v37, v51, v49
	v_add_f32_e32 v37, v48, v37
	v_add_f32_e32 v48, v50, v100
	v_sub_f32_e32 v51, v49, v48
	v_pk_add_f32 v[102:103], v[48:49], v[50:51] neg_lo:[0,1] neg_hi:[0,1]
	v_mov_b32_e32 v101, v48
	v_pk_add_f32 v[48:49], v[102:103], v[100:101] neg_lo:[0,1] neg_hi:[0,1]
	v_cvt_f32_i32_e32 v50, v53
	v_add_f32_e32 v37, v37, v49
	v_add_f32_e32 v37, v48, v37
	;; [unrolled: 1-line block ×4, first 2 shown]
	v_sub_f32_e32 v49, v48, v113
	v_mul_f32_e32 v37, v99, v37
	v_sub_f32_e32 v49, v112, v49
	v_add_f32_e32 v37, v49, v37
	v_add_f32_e32 v51, v48, v37
	v_mul_f32_e32 v54, v51, v51
	v_mov_b32_e32 v49, 0x3ecc95a3
	v_fmac_f32_e32 v49, 0x3e9b6dac, v54
	v_sub_f32_e32 v48, v51, v48
	v_fmaak_f32 v49, v54, v49, 0x3f2aaada
	v_sub_f32_e32 v37, v37, v48
	v_ldexp_f32 v101, v51, 1
	v_mul_f32_e32 v51, v51, v54
	v_mov_b32_e32 v48, 0x3f317218
	v_pk_mul_f32 v[48:49], v[50:51], v[48:49]
	v_ldexp_f32 v37, v37, 1
	v_fma_f32 v51, v50, s8, -v48
	v_fmamk_f32 v100, v50, 0xb102e308, v51
	v_pk_add_f32 v[50:51], v[48:49], v[100:101]
	v_mov_b32_e32 v102, v48
	v_sub_f32_e32 v53, v51, v101
	v_sub_f32_e32 v53, v49, v53
	v_add_f32_e32 v103, v37, v53
	v_pk_add_f32 v[48:49], v[50:51], v[48:49] neg_lo:[0,1] neg_hi:[0,1]
	v_pk_add_f32 v[112:113], v[50:51], v[102:103]
	v_mov_b32_e32 v101, v50
	v_mov_b32_e32 v49, v113
	v_pk_add_f32 v[114:115], v[100:101], v[48:49] neg_lo:[0,1] neg_hi:[0,1]
	v_pk_add_f32 v[48:49], v[100:101], v[48:49]
	s_mov_b32 s8, 0x33800000
	v_mov_b32_e32 v54, v49
	v_pk_add_f32 v[100:101], v[54:55], v[50:51] neg_lo:[0,1] neg_hi:[0,1]
	v_mov_b32_e32 v48, v113
	v_mov_b32_e32 v37, v100
	v_pk_add_f32 v[116:117], v[112:113], v[36:37] neg_lo:[0,1] neg_hi:[0,1]
	v_mov_b32_e32 v112, v51
	v_mov_b32_e32 v113, v100
	;; [unrolled: 1-line block ×3, first 2 shown]
	v_pk_add_f32 v[48:49], v[48:49], v[112:113] neg_lo:[0,1] neg_hi:[0,1]
	v_mov_b32_e32 v100, v103
	v_mov_b32_e32 v101, v50
	v_pk_add_f32 v[48:49], v[100:101], v[48:49] neg_lo:[0,1] neg_hi:[0,1]
	v_mov_b32_e32 v116, v114
	v_pk_add_f32 v[50:51], v[116:117], v[48:49]
	v_cmp_lt_f32_e64 s[8:9], |v39|, s8
	v_mov_b32_e32 v100, v51
	v_pk_add_f32 v[100:101], v[50:51], v[100:101]
	s_or_b64 vcc, vcc, s[8:9]
	v_pk_add_f32 v[102:103], v[54:55], v[100:101]
	v_mov_b32_e32 v49, v100
	v_mov_b32_e32 v51, v102
	v_pk_add_f32 v[112:113], v[50:51], v[114:115] neg_lo:[0,1] neg_hi:[0,1]
	s_nop 0
	v_sub_f32_e32 v37, v50, v112
	v_pk_add_f32 v[48:49], v[48:49], v[112:113] neg_lo:[0,1] neg_hi:[0,1]
	v_sub_f32_e32 v37, v114, v37
	v_add_f32_e32 v37, v48, v37
	v_add_f32_e32 v37, v37, v49
	;; [unrolled: 1-line block ×3, first 2 shown]
	v_cndmask_b32_e32 v37, v37, v39, vcc
	v_add_f32_e32 v37, v38, v37
	v_cvt_f16_f32_e32 v99, v37
	v_cvt_f32_f16_e32 v100, v99
	v_mov_b32_e32 v37, v99
.LBB428_224:
	s_or_b64 exec, exec, s[6:7]
	v_max_f32_e32 v38, v55, v55
	v_max_f32_e32 v39, v100, v100
	v_min_f32_e32 v48, v39, v38
	v_cmp_u_f16_e32 vcc, v99, v99
	v_max_f32_e32 v38, v39, v38
	s_movk_i32 s8, 0x1f8
	v_cndmask_b32_e32 v48, v48, v100, vcc
	v_cndmask_b32_e32 v38, v38, v100, vcc
	v_cndmask_b32_e64 v48, v48, v55, s[12:13]
	v_cndmask_b32_e64 v39, v38, v55, s[12:13]
	v_cmp_neq_f32_e32 vcc, v48, v39
	v_cmp_class_f32_e64 s[6:7], v48, s8
	s_or_b64 s[10:11], vcc, s[6:7]
	v_mov_b32_e32 v38, v37
	s_and_saveexec_b64 s[6:7], s[10:11]
	s_cbranch_execz .LBB428_226
; %bb.225:
	v_sub_f32_e32 v38, v48, v39
	s_mov_b32 s9, 0x3fb8aa3b
	v_mul_f32_e32 v48, 0x3fb8aa3b, v38
	v_fma_f32 v49, v38, s9, -v48
	v_rndne_f32_e32 v50, v48
	v_fmamk_f32 v49, v38, 0x32a5705f, v49
	v_sub_f32_e32 v48, v48, v50
	v_add_f32_e32 v48, v48, v49
	v_exp_f32_e32 v48, v48
	v_cvt_i32_f32_e32 v49, v50
	s_mov_b32 s9, 0xc2ce8ed0
	v_cmp_ngt_f32_e32 vcc, s9, v38
	s_mov_b32 s9, 0x42b17218
	v_ldexp_f32 v48, v48, v49
	v_cndmask_b32_e32 v48, 0, v48, vcc
	v_mov_b32_e32 v49, 0x7f800000
	v_cmp_nlt_f32_e32 vcc, s9, v38
	s_mov_b32 s9, 0x3f2aaaab
	s_mov_b32 s10, 0x7f800000
	v_cndmask_b32_e32 v99, v49, v48, vcc
	v_add_f32_e32 v38, 1.0, v99
	v_add_f32_e32 v48, -1.0, v38
	v_sub_f32_e32 v49, v48, v38
	v_add_f32_e32 v49, 1.0, v49
	v_sub_f32_e32 v48, v99, v48
	v_add_f32_e32 v50, v48, v49
	v_frexp_mant_f32_e32 v51, v38
	v_cvt_f64_f32_e32 v[48:49], v38
	v_frexp_exp_i32_f64_e32 v48, v[48:49]
	v_cmp_gt_f32_e32 vcc, s9, v51
	s_mov_b32 s9, 0x3f317218
	s_nop 0
	v_subbrev_co_u32_e32 v53, vcc, 0, v48, vcc
	v_sub_u32_e32 v48, 0, v53
	v_ldexp_f32 v38, v38, v48
	v_ldexp_f32 v48, v50, v48
	v_add_f32_e32 v50, -1.0, v38
	v_add_f32_e32 v49, 1.0, v50
	v_sub_f32_e32 v49, v38, v49
	v_add_f32_e32 v51, v48, v49
	v_add_f32_e32 v49, 1.0, v38
	v_add_f32_e32 v54, -1.0, v49
	v_sub_f32_e32 v38, v38, v54
	v_add_f32_e32 v38, v48, v38
	v_add_f32_e32 v102, v49, v38
	v_rcp_f32_e32 v103, v102
	v_sub_f32_e32 v48, v49, v102
	v_add_f32_e32 v49, v50, v51
	v_add_f32_e32 v38, v38, v48
	v_mul_f32_e32 v113, v49, v103
	v_sub_f32_e32 v48, v50, v49
	v_mul_f32_e32 v50, v102, v113
	v_fma_f32 v54, v113, v102, -v50
	v_fmac_f32_e32 v54, v113, v38
	v_add_f32_e32 v112, v51, v48
	v_add_f32_e32 v48, v50, v54
	v_sub_f32_e32 v51, v49, v48
	v_pk_add_f32 v[100:101], v[48:49], v[50:51] neg_lo:[0,1] neg_hi:[0,1]
	v_mov_b32_e32 v55, v48
	v_pk_add_f32 v[48:49], v[100:101], v[54:55] neg_lo:[0,1] neg_hi:[0,1]
	v_cmp_eq_f32_e32 vcc, s10, v99
	v_add_f32_e32 v49, v112, v49
	v_add_f32_e32 v48, v48, v49
	;; [unrolled: 1-line block ×3, first 2 shown]
	v_mul_f32_e32 v112, v103, v49
	v_mul_f32_e32 v50, v102, v112
	v_fma_f32 v54, v112, v102, -v50
	v_fmac_f32_e32 v54, v112, v38
	v_sub_f32_e32 v38, v51, v49
	v_add_f32_e32 v38, v48, v38
	v_add_f32_e32 v48, v50, v54
	v_sub_f32_e32 v51, v49, v48
	v_pk_add_f32 v[100:101], v[48:49], v[50:51] neg_lo:[0,1] neg_hi:[0,1]
	v_mov_b32_e32 v55, v48
	v_pk_add_f32 v[48:49], v[100:101], v[54:55] neg_lo:[0,1] neg_hi:[0,1]
	v_cvt_f32_i32_e32 v50, v53
	v_add_f32_e32 v38, v38, v49
	v_add_f32_e32 v38, v48, v38
	;; [unrolled: 1-line block ×4, first 2 shown]
	v_sub_f32_e32 v49, v48, v113
	v_mul_f32_e32 v38, v103, v38
	v_sub_f32_e32 v49, v112, v49
	v_add_f32_e32 v38, v49, v38
	v_add_f32_e32 v51, v48, v38
	v_mul_f32_e32 v54, v51, v51
	v_mov_b32_e32 v49, 0x3ecc95a3
	v_fmac_f32_e32 v49, 0x3e9b6dac, v54
	v_sub_f32_e32 v48, v51, v48
	v_fmaak_f32 v49, v54, v49, 0x3f2aaada
	v_sub_f32_e32 v38, v38, v48
	v_ldexp_f32 v55, v51, 1
	v_mul_f32_e32 v51, v51, v54
	v_mov_b32_e32 v48, 0x3f317218
	v_pk_mul_f32 v[48:49], v[50:51], v[48:49]
	v_ldexp_f32 v38, v38, 1
	v_fma_f32 v51, v50, s9, -v48
	v_fmamk_f32 v54, v50, 0xb102e308, v51
	v_pk_add_f32 v[50:51], v[48:49], v[54:55]
	v_mov_b32_e32 v100, v48
	v_sub_f32_e32 v53, v51, v55
	v_sub_f32_e32 v53, v49, v53
	v_add_f32_e32 v101, v38, v53
	v_pk_add_f32 v[48:49], v[50:51], v[48:49] neg_lo:[0,1] neg_hi:[0,1]
	v_pk_add_f32 v[102:103], v[50:51], v[100:101]
	v_mov_b32_e32 v55, v50
	v_mov_b32_e32 v49, v103
	v_pk_add_f32 v[112:113], v[54:55], v[48:49] neg_lo:[0,1] neg_hi:[0,1]
	v_pk_add_f32 v[48:49], v[54:55], v[48:49]
	s_mov_b32 s9, 0x33800000
	v_mov_b32_e32 v38, v49
	v_pk_add_f32 v[54:55], v[38:39], v[50:51] neg_lo:[0,1] neg_hi:[0,1]
	v_mov_b32_e32 v48, v103
	v_mov_b32_e32 v53, v54
	v_pk_add_f32 v[114:115], v[102:103], v[52:53] neg_lo:[0,1] neg_hi:[0,1]
	v_mov_b32_e32 v102, v51
	v_mov_b32_e32 v103, v54
	;; [unrolled: 1-line block ×3, first 2 shown]
	v_pk_add_f32 v[48:49], v[48:49], v[102:103] neg_lo:[0,1] neg_hi:[0,1]
	v_mov_b32_e32 v54, v101
	v_mov_b32_e32 v55, v50
	v_pk_add_f32 v[48:49], v[54:55], v[48:49] neg_lo:[0,1] neg_hi:[0,1]
	v_mov_b32_e32 v114, v112
	v_pk_add_f32 v[50:51], v[114:115], v[48:49]
	v_cmp_lt_f32_e64 s[10:11], |v99|, s9
	v_mov_b32_e32 v54, v51
	v_pk_add_f32 v[54:55], v[50:51], v[54:55]
	s_or_b64 vcc, vcc, s[10:11]
	v_pk_add_f32 v[100:101], v[38:39], v[54:55]
	v_mov_b32_e32 v49, v54
	v_mov_b32_e32 v51, v100
	v_pk_add_f32 v[102:103], v[50:51], v[112:113] neg_lo:[0,1] neg_hi:[0,1]
	s_nop 0
	v_sub_f32_e32 v38, v50, v102
	v_pk_add_f32 v[48:49], v[48:49], v[102:103] neg_lo:[0,1] neg_hi:[0,1]
	v_sub_f32_e32 v38, v112, v38
	v_add_f32_e32 v38, v48, v38
	v_add_f32_e32 v38, v38, v49
	;; [unrolled: 1-line block ×3, first 2 shown]
	v_cndmask_b32_e32 v38, v38, v99, vcc
	v_add_f32_e32 v38, v39, v38
	v_cvt_f16_f32_e32 v99, v38
	v_cvt_f32_f16_e32 v100, v99
	v_mov_b32_e32 v38, v99
.LBB428_226:
	s_or_b64 exec, exec, s[6:7]
	v_max_f32_e32 v39, v64, v64
	v_max_f32_e32 v48, v100, v100
	v_min_f32_e32 v49, v48, v39
	v_cmp_u_f16_e32 vcc, v99, v99
	v_max_f32_e32 v39, v48, v39
	s_nop 0
	v_cndmask_b32_e32 v49, v49, v100, vcc
	v_cndmask_b32_e32 v39, v39, v100, vcc
	v_cndmask_b32_e64 v49, v49, v64, s[14:15]
	v_cndmask_b32_e64 v48, v39, v64, s[14:15]
	v_cmp_neq_f32_e32 vcc, v49, v48
	v_cmp_class_f32_e64 s[6:7], v49, s8
	s_or_b64 s[8:9], vcc, s[6:7]
	v_mov_b32_e32 v39, v38
	s_and_saveexec_b64 s[6:7], s[8:9]
	s_cbranch_execz .LBB428_228
; %bb.227:
	v_sub_f32_e32 v39, v49, v48
	s_mov_b32 s8, 0x3fb8aa3b
	v_mul_f32_e32 v49, 0x3fb8aa3b, v39
	v_fma_f32 v50, v39, s8, -v49
	v_rndne_f32_e32 v51, v49
	v_fmamk_f32 v50, v39, 0x32a5705f, v50
	v_sub_f32_e32 v49, v49, v51
	v_add_f32_e32 v49, v49, v50
	v_exp_f32_e32 v49, v49
	v_cvt_i32_f32_e32 v50, v51
	s_mov_b32 s8, 0xc2ce8ed0
	v_cmp_ngt_f32_e32 vcc, s8, v39
	s_mov_b32 s8, 0x42b17218
	v_ldexp_f32 v49, v49, v50
	v_cndmask_b32_e32 v49, 0, v49, vcc
	v_mov_b32_e32 v50, 0x7f800000
	v_cmp_nlt_f32_e32 vcc, s8, v39
	s_mov_b32 s8, 0x3f2aaaab
	s_mov_b32 s9, 0x7f800000
	v_cndmask_b32_e32 v49, v50, v49, vcc
	v_add_f32_e32 v39, 1.0, v49
	v_add_f32_e32 v50, -1.0, v39
	v_sub_f32_e32 v51, v50, v39
	v_add_f32_e32 v51, 1.0, v51
	v_sub_f32_e32 v50, v49, v50
	v_add_f32_e32 v53, v50, v51
	v_frexp_mant_f32_e32 v54, v39
	v_cvt_f64_f32_e32 v[50:51], v39
	v_frexp_exp_i32_f64_e32 v50, v[50:51]
	v_cmp_gt_f32_e32 vcc, s8, v54
	s_mov_b32 s8, 0x3f317218
	s_nop 0
	v_subbrev_co_u32_e32 v64, vcc, 0, v50, vcc
	v_sub_u32_e32 v50, 0, v64
	v_ldexp_f32 v39, v39, v50
	v_ldexp_f32 v50, v53, v50
	v_add_f32_e32 v53, -1.0, v39
	v_add_f32_e32 v51, 1.0, v53
	v_sub_f32_e32 v51, v39, v51
	v_add_f32_e32 v54, v50, v51
	v_add_f32_e32 v51, 1.0, v39
	v_add_f32_e32 v55, -1.0, v51
	v_sub_f32_e32 v39, v39, v55
	v_add_f32_e32 v39, v50, v39
	v_add_f32_e32 v99, v51, v39
	v_rcp_f32_e32 v112, v99
	v_sub_f32_e32 v50, v51, v99
	v_add_f32_e32 v51, v53, v54
	v_add_f32_e32 v39, v39, v50
	v_sub_f32_e32 v50, v53, v51
	v_mul_f32_e32 v113, v51, v112
	v_add_f32_e32 v53, v54, v50
	v_mul_f32_e32 v54, v99, v113
	v_fma_f32 v100, v113, v99, -v54
	v_fmac_f32_e32 v100, v113, v39
	v_add_f32_e32 v50, v54, v100
	v_sub_f32_e32 v55, v51, v50
	v_pk_add_f32 v[102:103], v[50:51], v[54:55] neg_lo:[0,1] neg_hi:[0,1]
	v_mov_b32_e32 v101, v50
	v_pk_add_f32 v[50:51], v[102:103], v[100:101] neg_lo:[0,1] neg_hi:[0,1]
	v_cmp_eq_f32_e32 vcc, s9, v49
	v_add_f32_e32 v51, v53, v51
	v_add_f32_e32 v50, v50, v51
	;; [unrolled: 1-line block ×3, first 2 shown]
	v_mul_f32_e32 v53, v112, v51
	v_mul_f32_e32 v54, v99, v53
	v_fma_f32 v100, v53, v99, -v54
	v_fmac_f32_e32 v100, v53, v39
	v_sub_f32_e32 v39, v55, v51
	v_add_f32_e32 v39, v50, v39
	v_add_f32_e32 v50, v54, v100
	v_sub_f32_e32 v55, v51, v50
	v_pk_add_f32 v[102:103], v[50:51], v[54:55] neg_lo:[0,1] neg_hi:[0,1]
	v_mov_b32_e32 v101, v50
	v_pk_add_f32 v[50:51], v[102:103], v[100:101] neg_lo:[0,1] neg_hi:[0,1]
	v_cvt_f32_i32_e32 v54, v64
	v_add_f32_e32 v39, v39, v51
	v_add_f32_e32 v39, v50, v39
	;; [unrolled: 1-line block ×4, first 2 shown]
	v_sub_f32_e32 v51, v50, v113
	v_mul_f32_e32 v39, v112, v39
	v_sub_f32_e32 v51, v53, v51
	v_add_f32_e32 v39, v51, v39
	v_add_f32_e32 v53, v50, v39
	v_mul_f32_e32 v55, v53, v53
	v_mov_b32_e32 v51, 0x3ecc95a3
	v_fmac_f32_e32 v51, 0x3e9b6dac, v55
	v_sub_f32_e32 v50, v53, v50
	v_fmaak_f32 v51, v55, v51, 0x3f2aaada
	v_sub_f32_e32 v39, v39, v50
	v_mul_f32_e32 v55, v53, v55
	v_mov_b32_e32 v50, 0x3f317218
	v_pk_mul_f32 v[50:51], v[54:55], v[50:51]
	v_ldexp_f32 v101, v53, 1
	v_fma_f32 v53, v54, s8, -v50
	v_fmamk_f32 v100, v54, 0xb102e308, v53
	v_pk_add_f32 v[54:55], v[50:51], v[100:101]
	v_ldexp_f32 v39, v39, 1
	v_sub_f32_e32 v53, v55, v101
	v_sub_f32_e32 v53, v51, v53
	v_add_f32_e32 v103, v39, v53
	v_mov_b32_e32 v102, v50
	v_pk_add_f32 v[50:51], v[54:55], v[50:51] neg_lo:[0,1] neg_hi:[0,1]
	v_pk_add_f32 v[112:113], v[54:55], v[102:103]
	v_mov_b32_e32 v101, v54
	v_mov_b32_e32 v51, v113
	v_pk_add_f32 v[114:115], v[100:101], v[50:51] neg_lo:[0,1] neg_hi:[0,1]
	v_pk_add_f32 v[50:51], v[100:101], v[50:51]
	s_mov_b32 s8, 0x33800000
	v_mov_b32_e32 v64, v51
	v_pk_add_f32 v[100:101], v[64:65], v[54:55] neg_lo:[0,1] neg_hi:[0,1]
	v_mov_b32_e32 v50, v113
	v_mov_b32_e32 v39, v100
	v_pk_add_f32 v[116:117], v[112:113], v[38:39] neg_lo:[0,1] neg_hi:[0,1]
	v_mov_b32_e32 v112, v55
	v_mov_b32_e32 v113, v100
	;; [unrolled: 1-line block ×3, first 2 shown]
	v_pk_add_f32 v[50:51], v[50:51], v[112:113] neg_lo:[0,1] neg_hi:[0,1]
	v_mov_b32_e32 v100, v103
	v_mov_b32_e32 v101, v54
	v_pk_add_f32 v[50:51], v[100:101], v[50:51] neg_lo:[0,1] neg_hi:[0,1]
	v_mov_b32_e32 v116, v114
	v_pk_add_f32 v[54:55], v[116:117], v[50:51]
	v_cmp_lt_f32_e64 s[8:9], |v49|, s8
	v_mov_b32_e32 v100, v55
	v_pk_add_f32 v[100:101], v[54:55], v[100:101]
	s_or_b64 vcc, vcc, s[8:9]
	v_pk_add_f32 v[102:103], v[64:65], v[100:101]
	v_mov_b32_e32 v51, v100
	v_mov_b32_e32 v55, v102
	v_pk_add_f32 v[112:113], v[54:55], v[114:115] neg_lo:[0,1] neg_hi:[0,1]
	s_nop 0
	v_sub_f32_e32 v39, v54, v112
	v_pk_add_f32 v[50:51], v[50:51], v[112:113] neg_lo:[0,1] neg_hi:[0,1]
	v_sub_f32_e32 v39, v114, v39
	v_add_f32_e32 v39, v50, v39
	v_add_f32_e32 v39, v39, v51
	;; [unrolled: 1-line block ×3, first 2 shown]
	v_cndmask_b32_e32 v39, v39, v49, vcc
	v_add_f32_e32 v39, v48, v39
	v_cvt_f16_f32_e32 v99, v39
	v_cvt_f32_f16_e32 v100, v99
	v_mov_b32_e32 v39, v99
.LBB428_228:
	s_or_b64 exec, exec, s[6:7]
	v_max_f32_e32 v48, v65, v65
	v_max_f32_e32 v49, v100, v100
	v_min_f32_e32 v50, v49, v48
	v_cmp_u_f16_e32 vcc, v99, v99
	v_max_f32_e32 v48, v49, v48
	s_movk_i32 s8, 0x1f8
	v_cndmask_b32_e32 v50, v50, v100, vcc
	v_cndmask_b32_e32 v48, v48, v100, vcc
	v_cndmask_b32_e64 v50, v50, v65, s[16:17]
	v_cndmask_b32_e64 v49, v48, v65, s[16:17]
	v_cmp_neq_f32_e32 vcc, v50, v49
	v_cmp_class_f32_e64 s[6:7], v50, s8
	s_or_b64 s[10:11], vcc, s[6:7]
	v_mov_b32_e32 v48, v39
	s_and_saveexec_b64 s[6:7], s[10:11]
	s_cbranch_execz .LBB428_230
; %bb.229:
	v_sub_f32_e32 v48, v50, v49
	s_mov_b32 s9, 0x3fb8aa3b
	v_mul_f32_e32 v50, 0x3fb8aa3b, v48
	v_fma_f32 v51, v48, s9, -v50
	v_rndne_f32_e32 v53, v50
	v_fmamk_f32 v51, v48, 0x32a5705f, v51
	v_sub_f32_e32 v50, v50, v53
	v_add_f32_e32 v50, v50, v51
	v_exp_f32_e32 v50, v50
	v_cvt_i32_f32_e32 v51, v53
	s_mov_b32 s9, 0xc2ce8ed0
	v_cmp_ngt_f32_e32 vcc, s9, v48
	s_mov_b32 s9, 0x42b17218
	v_ldexp_f32 v50, v50, v51
	v_cndmask_b32_e32 v50, 0, v50, vcc
	v_mov_b32_e32 v51, 0x7f800000
	v_cmp_nlt_f32_e32 vcc, s9, v48
	s_mov_b32 s9, 0x3f2aaaab
	s_mov_b32 s10, 0x7f800000
	v_cndmask_b32_e32 v99, v51, v50, vcc
	v_add_f32_e32 v48, 1.0, v99
	v_add_f32_e32 v50, -1.0, v48
	v_sub_f32_e32 v51, v50, v48
	v_add_f32_e32 v51, 1.0, v51
	v_sub_f32_e32 v50, v99, v50
	v_add_f32_e32 v53, v50, v51
	v_frexp_mant_f32_e32 v54, v48
	v_cvt_f64_f32_e32 v[50:51], v48
	v_frexp_exp_i32_f64_e32 v50, v[50:51]
	v_cmp_gt_f32_e32 vcc, s9, v54
	s_mov_b32 s9, 0x3f317218
	s_nop 0
	v_subbrev_co_u32_e32 v102, vcc, 0, v50, vcc
	v_sub_u32_e32 v50, 0, v102
	v_ldexp_f32 v48, v48, v50
	v_ldexp_f32 v50, v53, v50
	v_add_f32_e32 v53, -1.0, v48
	v_add_f32_e32 v51, 1.0, v53
	v_sub_f32_e32 v51, v48, v51
	v_add_f32_e32 v54, v50, v51
	v_add_f32_e32 v51, 1.0, v48
	v_add_f32_e32 v55, -1.0, v51
	v_sub_f32_e32 v48, v48, v55
	v_add_f32_e32 v48, v50, v48
	v_add_f32_e32 v103, v51, v48
	v_rcp_f32_e32 v112, v103
	v_sub_f32_e32 v50, v51, v103
	v_add_f32_e32 v51, v53, v54
	v_add_f32_e32 v48, v48, v50
	v_sub_f32_e32 v50, v53, v51
	v_mul_f32_e32 v113, v51, v112
	v_add_f32_e32 v53, v54, v50
	v_mul_f32_e32 v54, v103, v113
	v_fma_f32 v64, v113, v103, -v54
	v_fmac_f32_e32 v64, v113, v48
	v_add_f32_e32 v50, v54, v64
	v_sub_f32_e32 v55, v51, v50
	v_pk_add_f32 v[100:101], v[50:51], v[54:55] neg_lo:[0,1] neg_hi:[0,1]
	v_mov_b32_e32 v65, v50
	v_pk_add_f32 v[50:51], v[100:101], v[64:65] neg_lo:[0,1] neg_hi:[0,1]
	v_cmp_eq_f32_e32 vcc, s10, v99
	v_add_f32_e32 v51, v53, v51
	v_add_f32_e32 v50, v50, v51
	;; [unrolled: 1-line block ×3, first 2 shown]
	v_mul_f32_e32 v53, v112, v51
	v_mul_f32_e32 v54, v103, v53
	v_fma_f32 v64, v53, v103, -v54
	v_fmac_f32_e32 v64, v53, v48
	v_sub_f32_e32 v48, v55, v51
	v_add_f32_e32 v48, v50, v48
	v_add_f32_e32 v50, v54, v64
	v_sub_f32_e32 v55, v51, v50
	v_pk_add_f32 v[100:101], v[50:51], v[54:55] neg_lo:[0,1] neg_hi:[0,1]
	v_mov_b32_e32 v65, v50
	v_pk_add_f32 v[50:51], v[100:101], v[64:65] neg_lo:[0,1] neg_hi:[0,1]
	v_cvt_f32_i32_e32 v54, v102
	v_add_f32_e32 v48, v48, v51
	v_add_f32_e32 v48, v50, v48
	;; [unrolled: 1-line block ×4, first 2 shown]
	v_sub_f32_e32 v51, v50, v113
	v_mul_f32_e32 v48, v112, v48
	v_sub_f32_e32 v51, v53, v51
	v_add_f32_e32 v48, v51, v48
	v_add_f32_e32 v53, v50, v48
	v_mul_f32_e32 v55, v53, v53
	v_mov_b32_e32 v51, 0x3ecc95a3
	v_fmac_f32_e32 v51, 0x3e9b6dac, v55
	v_sub_f32_e32 v50, v53, v50
	v_fmaak_f32 v51, v55, v51, 0x3f2aaada
	v_sub_f32_e32 v48, v48, v50
	v_mul_f32_e32 v55, v53, v55
	v_mov_b32_e32 v50, 0x3f317218
	v_pk_mul_f32 v[50:51], v[54:55], v[50:51]
	v_ldexp_f32 v65, v53, 1
	v_fma_f32 v53, v54, s9, -v50
	v_fmamk_f32 v64, v54, 0xb102e308, v53
	v_pk_add_f32 v[54:55], v[50:51], v[64:65]
	v_ldexp_f32 v48, v48, 1
	v_sub_f32_e32 v53, v55, v65
	v_sub_f32_e32 v53, v51, v53
	v_add_f32_e32 v101, v48, v53
	v_mov_b32_e32 v100, v50
	v_pk_add_f32 v[50:51], v[54:55], v[50:51] neg_lo:[0,1] neg_hi:[0,1]
	v_pk_add_f32 v[102:103], v[54:55], v[100:101]
	v_mov_b32_e32 v65, v54
	v_mov_b32_e32 v51, v103
	v_pk_add_f32 v[112:113], v[64:65], v[50:51] neg_lo:[0,1] neg_hi:[0,1]
	v_pk_add_f32 v[50:51], v[64:65], v[50:51]
	s_mov_b32 s9, 0x33800000
	v_mov_b32_e32 v48, v51
	v_pk_add_f32 v[64:65], v[48:49], v[54:55] neg_lo:[0,1] neg_hi:[0,1]
	v_mov_b32_e32 v50, v103
	v_mov_b32_e32 v53, v64
	v_pk_add_f32 v[114:115], v[102:103], v[52:53] neg_lo:[0,1] neg_hi:[0,1]
	v_mov_b32_e32 v102, v55
	v_mov_b32_e32 v103, v64
	;; [unrolled: 1-line block ×3, first 2 shown]
	v_pk_add_f32 v[50:51], v[50:51], v[102:103] neg_lo:[0,1] neg_hi:[0,1]
	v_mov_b32_e32 v64, v101
	v_mov_b32_e32 v65, v54
	v_pk_add_f32 v[50:51], v[64:65], v[50:51] neg_lo:[0,1] neg_hi:[0,1]
	v_mov_b32_e32 v114, v112
	v_pk_add_f32 v[54:55], v[114:115], v[50:51]
	v_cmp_lt_f32_e64 s[10:11], |v99|, s9
	v_mov_b32_e32 v64, v55
	v_pk_add_f32 v[64:65], v[54:55], v[64:65]
	s_or_b64 vcc, vcc, s[10:11]
	v_pk_add_f32 v[100:101], v[48:49], v[64:65]
	v_mov_b32_e32 v51, v64
	v_mov_b32_e32 v55, v100
	v_pk_add_f32 v[102:103], v[54:55], v[112:113] neg_lo:[0,1] neg_hi:[0,1]
	s_nop 0
	v_sub_f32_e32 v48, v54, v102
	v_pk_add_f32 v[50:51], v[50:51], v[102:103] neg_lo:[0,1] neg_hi:[0,1]
	v_sub_f32_e32 v48, v112, v48
	v_add_f32_e32 v48, v50, v48
	v_add_f32_e32 v48, v48, v51
	;; [unrolled: 1-line block ×3, first 2 shown]
	v_cndmask_b32_e32 v48, v48, v99, vcc
	v_add_f32_e32 v48, v49, v48
	v_cvt_f16_f32_e32 v99, v48
	v_cvt_f32_f16_e32 v100, v99
	v_mov_b32_e32 v48, v99
.LBB428_230:
	s_or_b64 exec, exec, s[6:7]
	v_max_f32_e32 v49, v66, v66
	v_max_f32_e32 v51, v100, v100
	v_min_f32_e32 v50, v51, v49
	v_cmp_u_f16_e32 vcc, v99, v99
	v_max_f32_e32 v49, v51, v49
	s_nop 0
	v_cndmask_b32_e32 v50, v50, v100, vcc
	v_cndmask_b32_e32 v49, v49, v100, vcc
	v_cndmask_b32_e64 v50, v50, v66, s[18:19]
	v_cndmask_b32_e64 v49, v49, v66, s[18:19]
	v_cmp_neq_f32_e32 vcc, v50, v49
	v_cmp_class_f32_e64 s[6:7], v50, s8
	s_or_b64 s[8:9], vcc, s[6:7]
	v_mov_b32_e32 v66, v48
	s_and_saveexec_b64 s[6:7], s[8:9]
	s_cbranch_execz .LBB428_232
; %bb.231:
	v_sub_f32_e32 v50, v50, v49
	s_mov_b32 s8, 0x3fb8aa3b
	v_mul_f32_e32 v51, 0x3fb8aa3b, v50
	v_fma_f32 v53, v50, s8, -v51
	v_rndne_f32_e32 v54, v51
	v_fmamk_f32 v53, v50, 0x32a5705f, v53
	v_sub_f32_e32 v51, v51, v54
	v_add_f32_e32 v51, v51, v53
	v_exp_f32_e32 v51, v51
	v_cvt_i32_f32_e32 v53, v54
	s_mov_b32 s8, 0xc2ce8ed0
	v_cmp_ngt_f32_e32 vcc, s8, v50
	s_mov_b32 s8, 0x42b17218
	v_ldexp_f32 v51, v51, v53
	v_cndmask_b32_e32 v51, 0, v51, vcc
	v_mov_b32_e32 v53, 0x7f800000
	v_cmp_nlt_f32_e32 vcc, s8, v50
	s_mov_b32 s8, 0x3f2aaaab
	s_mov_b32 s9, 0x7f800000
	v_cndmask_b32_e32 v99, v53, v51, vcc
	v_add_f32_e32 v53, 1.0, v99
	v_add_f32_e32 v50, -1.0, v53
	v_sub_f32_e32 v51, v50, v53
	v_add_f32_e32 v51, 1.0, v51
	v_sub_f32_e32 v50, v99, v50
	v_add_f32_e32 v54, v50, v51
	v_frexp_mant_f32_e32 v55, v53
	v_cvt_f64_f32_e32 v[50:51], v53
	v_frexp_exp_i32_f64_e32 v50, v[50:51]
	v_cmp_gt_f32_e32 vcc, s8, v55
	s_mov_b32 s8, 0x3f317218
	s_nop 0
	v_subbrev_co_u32_e32 v66, vcc, 0, v50, vcc
	v_sub_u32_e32 v50, 0, v66
	v_ldexp_f32 v51, v53, v50
	v_add_f32_e32 v53, -1.0, v51
	v_add_f32_e32 v55, 1.0, v51
	v_ldexp_f32 v50, v54, v50
	v_add_f32_e32 v54, 1.0, v53
	v_add_f32_e32 v64, -1.0, v55
	v_sub_f32_e32 v54, v51, v54
	v_sub_f32_e32 v51, v51, v64
	v_add_f32_e32 v54, v50, v54
	v_add_f32_e32 v50, v50, v51
	;; [unrolled: 1-line block ×3, first 2 shown]
	v_rcp_f32_e32 v112, v102
	v_sub_f32_e32 v51, v55, v102
	v_add_f32_e32 v103, v50, v51
	v_add_f32_e32 v51, v53, v54
	v_sub_f32_e32 v50, v53, v51
	v_mul_f32_e32 v113, v51, v112
	v_add_f32_e32 v53, v54, v50
	v_mul_f32_e32 v54, v102, v113
	v_fma_f32 v64, v113, v102, -v54
	v_fmac_f32_e32 v64, v113, v103
	v_add_f32_e32 v50, v54, v64
	v_sub_f32_e32 v55, v51, v50
	v_pk_add_f32 v[100:101], v[50:51], v[54:55] neg_lo:[0,1] neg_hi:[0,1]
	v_mov_b32_e32 v65, v50
	v_pk_add_f32 v[50:51], v[100:101], v[64:65] neg_lo:[0,1] neg_hi:[0,1]
	v_cmp_eq_f32_e32 vcc, s9, v99
	v_add_f32_e32 v51, v53, v51
	v_add_f32_e32 v50, v50, v51
	v_add_f32_e32 v51, v55, v50
	v_mul_f32_e32 v53, v112, v51
	v_mul_f32_e32 v54, v102, v53
	v_fma_f32 v64, v53, v102, -v54
	v_fmac_f32_e32 v64, v53, v103
	v_sub_f32_e32 v55, v55, v51
	v_add_f32_e32 v102, v50, v55
	v_add_f32_e32 v50, v54, v64
	v_sub_f32_e32 v55, v51, v50
	v_pk_add_f32 v[100:101], v[50:51], v[54:55] neg_lo:[0,1] neg_hi:[0,1]
	v_mov_b32_e32 v65, v50
	v_pk_add_f32 v[50:51], v[100:101], v[64:65] neg_lo:[0,1] neg_hi:[0,1]
	v_cvt_f32_i32_e32 v54, v66
	v_add_f32_e32 v51, v102, v51
	v_add_f32_e32 v50, v50, v51
	;; [unrolled: 1-line block ×4, first 2 shown]
	v_sub_f32_e32 v51, v55, v113
	v_mul_f32_e32 v50, v112, v50
	v_sub_f32_e32 v51, v53, v51
	v_add_f32_e32 v50, v51, v50
	v_add_f32_e32 v53, v55, v50
	v_mul_f32_e32 v64, v53, v53
	v_mov_b32_e32 v51, 0x3ecc95a3
	v_sub_f32_e32 v55, v53, v55
	v_fmac_f32_e32 v51, 0x3e9b6dac, v64
	v_sub_f32_e32 v50, v50, v55
	v_fmaak_f32 v51, v64, v51, 0x3f2aaada
	v_ldexp_f32 v66, v50, 1
	v_mul_f32_e32 v55, v53, v64
	v_mov_b32_e32 v50, 0x3f317218
	v_pk_mul_f32 v[50:51], v[54:55], v[50:51]
	v_ldexp_f32 v65, v53, 1
	v_fma_f32 v53, v54, s8, -v50
	v_fmamk_f32 v64, v54, 0xb102e308, v53
	v_pk_add_f32 v[54:55], v[50:51], v[64:65]
	v_mov_b32_e32 v100, v50
	v_sub_f32_e32 v53, v55, v65
	v_sub_f32_e32 v53, v51, v53
	v_add_f32_e32 v101, v66, v53
	v_pk_add_f32 v[50:51], v[54:55], v[50:51] neg_lo:[0,1] neg_hi:[0,1]
	v_pk_add_f32 v[102:103], v[54:55], v[100:101]
	v_mov_b32_e32 v65, v54
	v_mov_b32_e32 v51, v103
	v_pk_add_f32 v[112:113], v[64:65], v[50:51] neg_lo:[0,1] neg_hi:[0,1]
	v_pk_add_f32 v[50:51], v[64:65], v[50:51]
	v_mov_b32_e32 v100, v101
	v_mov_b32_e32 v64, v51
	v_pk_add_f32 v[114:115], v[64:65], v[54:55] neg_lo:[0,1] neg_hi:[0,1]
	v_mov_b32_e32 v50, v103
	v_mov_b32_e32 v53, v114
	v_pk_add_f32 v[116:117], v[102:103], v[52:53] neg_lo:[0,1] neg_hi:[0,1]
	v_mov_b32_e32 v102, v55
	v_mov_b32_e32 v103, v114
	;; [unrolled: 1-line block ×3, first 2 shown]
	v_pk_add_f32 v[50:51], v[50:51], v[102:103] neg_lo:[0,1] neg_hi:[0,1]
	v_mov_b32_e32 v101, v54
	v_pk_add_f32 v[50:51], v[100:101], v[50:51] neg_lo:[0,1] neg_hi:[0,1]
	v_mov_b32_e32 v116, v112
	v_pk_add_f32 v[54:55], v[116:117], v[50:51]
	s_mov_b32 s8, 0x33800000
	v_mov_b32_e32 v66, v55
	v_pk_add_f32 v[100:101], v[54:55], v[66:67]
	v_cmp_lt_f32_e64 s[8:9], |v99|, s8
	v_pk_add_f32 v[64:65], v[64:65], v[100:101]
	v_mov_b32_e32 v51, v100
	v_mov_b32_e32 v55, v64
	v_pk_add_f32 v[102:103], v[54:55], v[112:113] neg_lo:[0,1] neg_hi:[0,1]
	s_or_b64 vcc, vcc, s[8:9]
	v_sub_f32_e32 v53, v54, v102
	v_pk_add_f32 v[50:51], v[50:51], v[102:103] neg_lo:[0,1] neg_hi:[0,1]
	v_sub_f32_e32 v53, v112, v53
	v_add_f32_e32 v50, v50, v53
	v_add_f32_e32 v50, v50, v51
	;; [unrolled: 1-line block ×3, first 2 shown]
	v_cndmask_b32_e32 v50, v50, v99, vcc
	v_add_f32_e32 v49, v49, v50
	v_cvt_f16_f32_e32 v99, v49
	v_cvt_f32_f16_e32 v100, v99
	v_mov_b32_e32 v66, v99
.LBB428_232:
	s_or_b64 exec, exec, s[6:7]
	v_max_f32_e32 v49, v67, v67
	v_max_f32_e32 v51, v100, v100
	v_min_f32_e32 v50, v51, v49
	v_cmp_u_f16_e32 vcc, v99, v99
	v_max_f32_e32 v49, v51, v49
	s_movk_i32 s8, 0x1f8
	v_cndmask_b32_e32 v50, v50, v100, vcc
	v_cndmask_b32_e32 v49, v49, v100, vcc
	v_cndmask_b32_e64 v50, v50, v67, s[20:21]
	v_cndmask_b32_e64 v49, v49, v67, s[20:21]
	v_cmp_neq_f32_e32 vcc, v50, v49
	v_cmp_class_f32_e64 s[6:7], v50, s8
	s_or_b64 s[10:11], vcc, s[6:7]
	v_mov_b32_e32 v67, v66
	s_and_saveexec_b64 s[6:7], s[10:11]
	s_cbranch_execz .LBB428_234
; %bb.233:
	v_sub_f32_e32 v50, v50, v49
	s_mov_b32 s9, 0x3fb8aa3b
	v_mul_f32_e32 v51, 0x3fb8aa3b, v50
	v_fma_f32 v53, v50, s9, -v51
	v_rndne_f32_e32 v54, v51
	v_fmamk_f32 v53, v50, 0x32a5705f, v53
	v_sub_f32_e32 v51, v51, v54
	v_add_f32_e32 v51, v51, v53
	v_exp_f32_e32 v51, v51
	v_cvt_i32_f32_e32 v53, v54
	s_mov_b32 s9, 0xc2ce8ed0
	v_cmp_ngt_f32_e32 vcc, s9, v50
	s_mov_b32 s9, 0x42b17218
	v_ldexp_f32 v51, v51, v53
	v_cndmask_b32_e32 v51, 0, v51, vcc
	v_mov_b32_e32 v53, 0x7f800000
	v_cmp_nlt_f32_e32 vcc, s9, v50
	s_mov_b32 s9, 0x3f2aaaab
	s_mov_b32 s10, 0x7f800000
	v_cndmask_b32_e32 v67, v53, v51, vcc
	v_add_f32_e32 v53, 1.0, v67
	v_add_f32_e32 v50, -1.0, v53
	v_sub_f32_e32 v51, v50, v53
	v_add_f32_e32 v51, 1.0, v51
	v_sub_f32_e32 v50, v67, v50
	v_add_f32_e32 v54, v50, v51
	v_frexp_mant_f32_e32 v55, v53
	v_cvt_f64_f32_e32 v[50:51], v53
	v_frexp_exp_i32_f64_e32 v50, v[50:51]
	v_cmp_gt_f32_e32 vcc, s9, v55
	s_mov_b32 s9, 0x3f317218
	s_nop 0
	v_subbrev_co_u32_e32 v99, vcc, 0, v50, vcc
	v_sub_u32_e32 v50, 0, v99
	v_ldexp_f32 v51, v53, v50
	v_add_f32_e32 v53, -1.0, v51
	v_add_f32_e32 v55, 1.0, v51
	v_ldexp_f32 v50, v54, v50
	v_add_f32_e32 v54, 1.0, v53
	v_add_f32_e32 v64, -1.0, v55
	v_sub_f32_e32 v54, v51, v54
	v_sub_f32_e32 v51, v51, v64
	v_add_f32_e32 v54, v50, v54
	v_add_f32_e32 v50, v50, v51
	;; [unrolled: 1-line block ×3, first 2 shown]
	v_rcp_f32_e32 v112, v102
	v_sub_f32_e32 v51, v55, v102
	v_add_f32_e32 v103, v50, v51
	v_add_f32_e32 v51, v53, v54
	v_sub_f32_e32 v50, v53, v51
	v_mul_f32_e32 v113, v51, v112
	v_add_f32_e32 v53, v54, v50
	v_mul_f32_e32 v54, v102, v113
	v_fma_f32 v64, v113, v102, -v54
	v_fmac_f32_e32 v64, v113, v103
	v_add_f32_e32 v50, v54, v64
	v_sub_f32_e32 v55, v51, v50
	v_pk_add_f32 v[100:101], v[50:51], v[54:55] neg_lo:[0,1] neg_hi:[0,1]
	v_mov_b32_e32 v65, v50
	v_pk_add_f32 v[50:51], v[100:101], v[64:65] neg_lo:[0,1] neg_hi:[0,1]
	v_cmp_eq_f32_e32 vcc, s10, v67
	v_add_f32_e32 v51, v53, v51
	v_add_f32_e32 v50, v50, v51
	;; [unrolled: 1-line block ×3, first 2 shown]
	v_mul_f32_e32 v53, v112, v51
	v_mul_f32_e32 v54, v102, v53
	v_fma_f32 v64, v53, v102, -v54
	v_fmac_f32_e32 v64, v53, v103
	v_sub_f32_e32 v55, v55, v51
	v_add_f32_e32 v102, v50, v55
	v_add_f32_e32 v50, v54, v64
	v_sub_f32_e32 v55, v51, v50
	v_pk_add_f32 v[100:101], v[50:51], v[54:55] neg_lo:[0,1] neg_hi:[0,1]
	v_mov_b32_e32 v65, v50
	v_pk_add_f32 v[50:51], v[100:101], v[64:65] neg_lo:[0,1] neg_hi:[0,1]
	v_cvt_f32_i32_e32 v54, v99
	v_add_f32_e32 v51, v102, v51
	v_add_f32_e32 v50, v50, v51
	;; [unrolled: 1-line block ×4, first 2 shown]
	v_sub_f32_e32 v51, v55, v113
	v_mul_f32_e32 v50, v112, v50
	v_sub_f32_e32 v51, v53, v51
	v_add_f32_e32 v50, v51, v50
	v_add_f32_e32 v53, v55, v50
	v_mul_f32_e32 v64, v53, v53
	v_mov_b32_e32 v51, 0x3ecc95a3
	v_sub_f32_e32 v55, v53, v55
	v_fmac_f32_e32 v51, 0x3e9b6dac, v64
	v_sub_f32_e32 v50, v50, v55
	v_fmaak_f32 v51, v64, v51, 0x3f2aaada
	v_ldexp_f32 v99, v50, 1
	v_mul_f32_e32 v55, v53, v64
	v_mov_b32_e32 v50, 0x3f317218
	v_pk_mul_f32 v[50:51], v[54:55], v[50:51]
	v_ldexp_f32 v65, v53, 1
	v_fma_f32 v53, v54, s9, -v50
	v_fmamk_f32 v64, v54, 0xb102e308, v53
	v_pk_add_f32 v[54:55], v[50:51], v[64:65]
	v_mov_b32_e32 v100, v50
	v_sub_f32_e32 v53, v55, v65
	v_sub_f32_e32 v53, v51, v53
	v_add_f32_e32 v101, v99, v53
	v_pk_add_f32 v[50:51], v[54:55], v[50:51] neg_lo:[0,1] neg_hi:[0,1]
	v_pk_add_f32 v[102:103], v[54:55], v[100:101]
	v_mov_b32_e32 v65, v54
	v_mov_b32_e32 v51, v103
	v_pk_add_f32 v[112:113], v[64:65], v[50:51] neg_lo:[0,1] neg_hi:[0,1]
	v_pk_add_f32 v[50:51], v[64:65], v[50:51]
	v_mov_b32_e32 v100, v101
	v_mov_b32_e32 v64, v51
	v_pk_add_f32 v[114:115], v[64:65], v[54:55] neg_lo:[0,1] neg_hi:[0,1]
	v_mov_b32_e32 v50, v103
	v_mov_b32_e32 v53, v114
	v_pk_add_f32 v[116:117], v[102:103], v[52:53] neg_lo:[0,1] neg_hi:[0,1]
	v_mov_b32_e32 v102, v55
	v_mov_b32_e32 v103, v114
	;; [unrolled: 1-line block ×3, first 2 shown]
	v_pk_add_f32 v[50:51], v[50:51], v[102:103] neg_lo:[0,1] neg_hi:[0,1]
	v_mov_b32_e32 v101, v54
	v_pk_add_f32 v[50:51], v[100:101], v[50:51] neg_lo:[0,1] neg_hi:[0,1]
	v_mov_b32_e32 v116, v112
	v_pk_add_f32 v[54:55], v[116:117], v[50:51]
	s_mov_b32 s9, 0x33800000
	v_mov_b32_e32 v100, v55
	v_pk_add_f32 v[100:101], v[54:55], v[100:101]
	v_cmp_lt_f32_e64 s[10:11], |v67|, s9
	v_pk_add_f32 v[64:65], v[64:65], v[100:101]
	v_mov_b32_e32 v51, v100
	v_mov_b32_e32 v55, v64
	v_pk_add_f32 v[102:103], v[54:55], v[112:113] neg_lo:[0,1] neg_hi:[0,1]
	s_or_b64 vcc, vcc, s[10:11]
	v_sub_f32_e32 v53, v54, v102
	v_pk_add_f32 v[50:51], v[50:51], v[102:103] neg_lo:[0,1] neg_hi:[0,1]
	v_sub_f32_e32 v53, v112, v53
	v_add_f32_e32 v50, v50, v53
	v_add_f32_e32 v50, v50, v51
	v_add_f32_e32 v50, v64, v50
	v_cndmask_b32_e32 v50, v50, v67, vcc
	v_add_f32_e32 v49, v49, v50
	v_cvt_f16_f32_e32 v99, v49
	v_cvt_f32_f16_e32 v100, v99
	v_mov_b32_e32 v67, v99
.LBB428_234:
	s_or_b64 exec, exec, s[6:7]
	v_max_f32_e32 v49, v68, v68
	v_max_f32_e32 v50, v100, v100
	v_min_f32_e32 v51, v50, v49
	v_cmp_u_f16_e32 vcc, v99, v99
	v_max_f32_e32 v49, v50, v49
	s_nop 0
	v_cndmask_b32_e32 v51, v51, v100, vcc
	v_cndmask_b32_e32 v49, v49, v100, vcc
	v_cndmask_b32_e64 v51, v51, v68, s[22:23]
	v_cndmask_b32_e64 v50, v49, v68, s[22:23]
	v_cmp_neq_f32_e32 vcc, v51, v50
	v_cmp_class_f32_e64 s[6:7], v51, s8
	s_or_b64 s[8:9], vcc, s[6:7]
	v_mov_b32_e32 v49, v67
	s_and_saveexec_b64 s[6:7], s[8:9]
	s_cbranch_execz .LBB428_236
; %bb.235:
	v_sub_f32_e32 v49, v51, v50
	s_mov_b32 s8, 0x3fb8aa3b
	v_mul_f32_e32 v51, 0x3fb8aa3b, v49
	v_fma_f32 v53, v49, s8, -v51
	v_rndne_f32_e32 v54, v51
	v_fmamk_f32 v53, v49, 0x32a5705f, v53
	v_sub_f32_e32 v51, v51, v54
	v_add_f32_e32 v51, v51, v53
	v_exp_f32_e32 v51, v51
	v_cvt_i32_f32_e32 v53, v54
	s_mov_b32 s8, 0xc2ce8ed0
	v_cmp_ngt_f32_e32 vcc, s8, v49
	s_mov_b32 s8, 0x42b17218
	v_ldexp_f32 v51, v51, v53
	v_cndmask_b32_e32 v51, 0, v51, vcc
	v_mov_b32_e32 v53, 0x7f800000
	v_cmp_nlt_f32_e32 vcc, s8, v49
	s_mov_b32 s8, 0x3f2aaaab
	s_mov_b32 s9, 0x7f800000
	v_cndmask_b32_e32 v51, v53, v51, vcc
	v_add_f32_e32 v49, 1.0, v51
	v_add_f32_e32 v53, -1.0, v49
	v_sub_f32_e32 v54, v53, v49
	v_add_f32_e32 v54, 1.0, v54
	v_sub_f32_e32 v53, v51, v53
	v_add_f32_e32 v53, v53, v54
	v_frexp_mant_f32_e32 v64, v49
	v_cvt_f64_f32_e32 v[54:55], v49
	v_frexp_exp_i32_f64_e32 v54, v[54:55]
	v_cmp_gt_f32_e32 vcc, s8, v64
	s_mov_b32 s8, 0x3f317218
	s_nop 0
	v_subbrev_co_u32_e32 v68, vcc, 0, v54, vcc
	v_sub_u32_e32 v54, 0, v68
	v_ldexp_f32 v49, v49, v54
	v_ldexp_f32 v53, v53, v54
	v_add_f32_e32 v54, -1.0, v49
	v_add_f32_e32 v55, 1.0, v54
	v_sub_f32_e32 v55, v49, v55
	v_add_f32_e32 v64, v53, v55
	v_add_f32_e32 v55, 1.0, v49
	v_add_f32_e32 v65, -1.0, v55
	v_sub_f32_e32 v49, v49, v65
	v_add_f32_e32 v49, v53, v49
	v_add_f32_e32 v53, v55, v49
	v_rcp_f32_e32 v99, v53
	v_sub_f32_e32 v55, v55, v53
	v_add_f32_e32 v49, v49, v55
	v_add_f32_e32 v55, v54, v64
	v_sub_f32_e32 v54, v54, v55
	v_mul_f32_e32 v113, v55, v99
	v_add_f32_e32 v112, v64, v54
	v_mul_f32_e32 v64, v53, v113
	v_fma_f32 v100, v113, v53, -v64
	v_fmac_f32_e32 v100, v113, v49
	v_add_f32_e32 v54, v64, v100
	v_sub_f32_e32 v65, v55, v54
	v_pk_add_f32 v[102:103], v[54:55], v[64:65] neg_lo:[0,1] neg_hi:[0,1]
	v_mov_b32_e32 v101, v54
	v_pk_add_f32 v[54:55], v[102:103], v[100:101] neg_lo:[0,1] neg_hi:[0,1]
	v_cmp_eq_f32_e32 vcc, s9, v51
	v_add_f32_e32 v55, v112, v55
	v_add_f32_e32 v54, v54, v55
	;; [unrolled: 1-line block ×3, first 2 shown]
	v_mul_f32_e32 v112, v99, v55
	v_mul_f32_e32 v64, v53, v112
	v_fma_f32 v100, v112, v53, -v64
	v_fmac_f32_e32 v100, v112, v49
	v_sub_f32_e32 v49, v65, v55
	v_add_f32_e32 v49, v54, v49
	v_add_f32_e32 v54, v64, v100
	v_sub_f32_e32 v65, v55, v54
	v_pk_add_f32 v[102:103], v[54:55], v[64:65] neg_lo:[0,1] neg_hi:[0,1]
	v_mov_b32_e32 v101, v54
	v_pk_add_f32 v[54:55], v[102:103], v[100:101] neg_lo:[0,1] neg_hi:[0,1]
	v_add_f32_e32 v53, v113, v112
	v_add_f32_e32 v49, v49, v55
	v_add_f32_e32 v49, v54, v49
	v_add_f32_e32 v49, v65, v49
	v_sub_f32_e32 v54, v53, v113
	v_mul_f32_e32 v49, v99, v49
	v_sub_f32_e32 v54, v112, v54
	v_add_f32_e32 v49, v54, v49
	v_add_f32_e32 v54, v53, v49
	v_cvt_f32_i32_e32 v64, v68
	v_mul_f32_e32 v65, v54, v54
	v_mov_b32_e32 v55, 0x3ecc95a3
	v_fmac_f32_e32 v55, 0x3e9b6dac, v65
	v_fmaak_f32 v55, v65, v55, 0x3f2aaada
	v_sub_f32_e32 v53, v54, v53
	v_ldexp_f32 v101, v54, 1
	v_mul_f32_e32 v65, v54, v65
	v_mov_b32_e32 v54, 0x3f317218
	v_pk_mul_f32 v[54:55], v[64:65], v[54:55]
	v_sub_f32_e32 v49, v49, v53
	v_fma_f32 v53, v64, s8, -v54
	v_fmamk_f32 v100, v64, 0xb102e308, v53
	v_pk_add_f32 v[64:65], v[54:55], v[100:101]
	v_ldexp_f32 v49, v49, 1
	v_sub_f32_e32 v53, v65, v101
	v_sub_f32_e32 v53, v55, v53
	v_add_f32_e32 v103, v49, v53
	v_mov_b32_e32 v102, v54
	v_pk_add_f32 v[54:55], v[64:65], v[54:55] neg_lo:[0,1] neg_hi:[0,1]
	v_pk_add_f32 v[112:113], v[64:65], v[102:103]
	v_mov_b32_e32 v101, v64
	v_mov_b32_e32 v55, v113
	v_pk_add_f32 v[114:115], v[100:101], v[54:55] neg_lo:[0,1] neg_hi:[0,1]
	v_pk_add_f32 v[54:55], v[100:101], v[54:55]
	s_mov_b32 s8, 0x33800000
	v_mov_b32_e32 v68, v55
	v_pk_add_f32 v[100:101], v[68:69], v[64:65] neg_lo:[0,1] neg_hi:[0,1]
	v_mov_b32_e32 v54, v113
	v_mov_b32_e32 v49, v100
	v_pk_add_f32 v[116:117], v[112:113], v[48:49] neg_lo:[0,1] neg_hi:[0,1]
	v_mov_b32_e32 v112, v65
	v_mov_b32_e32 v113, v100
	;; [unrolled: 1-line block ×3, first 2 shown]
	v_pk_add_f32 v[54:55], v[54:55], v[112:113] neg_lo:[0,1] neg_hi:[0,1]
	v_mov_b32_e32 v100, v103
	v_mov_b32_e32 v101, v64
	v_pk_add_f32 v[54:55], v[100:101], v[54:55] neg_lo:[0,1] neg_hi:[0,1]
	v_mov_b32_e32 v116, v114
	v_pk_add_f32 v[64:65], v[116:117], v[54:55]
	v_cmp_lt_f32_e64 s[8:9], |v51|, s8
	v_mov_b32_e32 v100, v65
	v_pk_add_f32 v[100:101], v[64:65], v[100:101]
	s_or_b64 vcc, vcc, s[8:9]
	v_pk_add_f32 v[102:103], v[68:69], v[100:101]
	v_mov_b32_e32 v55, v100
	v_mov_b32_e32 v65, v102
	v_pk_add_f32 v[112:113], v[64:65], v[114:115] neg_lo:[0,1] neg_hi:[0,1]
	s_nop 0
	v_sub_f32_e32 v49, v64, v112
	v_pk_add_f32 v[54:55], v[54:55], v[112:113] neg_lo:[0,1] neg_hi:[0,1]
	v_sub_f32_e32 v49, v114, v49
	v_add_f32_e32 v49, v54, v49
	v_add_f32_e32 v49, v49, v55
	;; [unrolled: 1-line block ×3, first 2 shown]
	v_cndmask_b32_e32 v49, v49, v51, vcc
	v_add_f32_e32 v49, v50, v49
	v_cvt_f16_f32_e32 v99, v49
	v_cvt_f32_f16_e32 v100, v99
	v_mov_b32_e32 v49, v99
.LBB428_236:
	s_or_b64 exec, exec, s[6:7]
	v_max_f32_e32 v50, v69, v69
	v_max_f32_e32 v53, v100, v100
	v_min_f32_e32 v51, v53, v50
	v_cmp_u_f16_e32 vcc, v99, v99
	v_max_f32_e32 v50, v53, v50
	s_movk_i32 s8, 0x1f8
	v_cndmask_b32_e32 v51, v51, v100, vcc
	v_cndmask_b32_e32 v50, v50, v100, vcc
	v_cndmask_b32_e64 v51, v51, v69, s[24:25]
	v_cndmask_b32_e64 v50, v50, v69, s[24:25]
	v_cmp_neq_f32_e32 vcc, v51, v50
	v_cmp_class_f32_e64 s[6:7], v51, s8
	s_or_b64 s[10:11], vcc, s[6:7]
	v_mov_b32_e32 v68, v49
	s_and_saveexec_b64 s[6:7], s[10:11]
	s_cbranch_execz .LBB428_238
; %bb.237:
	v_sub_f32_e32 v51, v51, v50
	s_mov_b32 s9, 0x3fb8aa3b
	v_mul_f32_e32 v53, 0x3fb8aa3b, v51
	v_fma_f32 v54, v51, s9, -v53
	v_rndne_f32_e32 v55, v53
	v_fmamk_f32 v54, v51, 0x32a5705f, v54
	v_sub_f32_e32 v53, v53, v55
	v_add_f32_e32 v53, v53, v54
	v_exp_f32_e32 v53, v53
	v_cvt_i32_f32_e32 v54, v55
	s_mov_b32 s9, 0xc2ce8ed0
	v_cmp_ngt_f32_e32 vcc, s9, v51
	s_mov_b32 s9, 0x42b17218
	v_ldexp_f32 v53, v53, v54
	v_cndmask_b32_e32 v53, 0, v53, vcc
	v_mov_b32_e32 v54, 0x7f800000
	v_cmp_nlt_f32_e32 vcc, s9, v51
	s_mov_b32 s9, 0x3f2aaaab
	s_mov_b32 s10, 0x7f800000
	v_cndmask_b32_e32 v53, v54, v53, vcc
	v_add_f32_e32 v51, 1.0, v53
	v_add_f32_e32 v54, -1.0, v51
	v_sub_f32_e32 v55, v54, v51
	v_add_f32_e32 v55, 1.0, v55
	v_sub_f32_e32 v54, v53, v54
	v_add_f32_e32 v64, v54, v55
	v_frexp_mant_f32_e32 v65, v51
	v_cvt_f64_f32_e32 v[54:55], v51
	v_frexp_exp_i32_f64_e32 v54, v[54:55]
	v_cmp_gt_f32_e32 vcc, s9, v65
	s_mov_b32 s9, 0x3f317218
	s_nop 0
	v_subbrev_co_u32_e32 v99, vcc, 0, v54, vcc
	v_sub_u32_e32 v54, 0, v99
	v_ldexp_f32 v51, v51, v54
	v_ldexp_f32 v54, v64, v54
	v_add_f32_e32 v64, -1.0, v51
	v_add_f32_e32 v55, 1.0, v64
	v_sub_f32_e32 v55, v51, v55
	v_add_f32_e32 v65, v54, v55
	v_add_f32_e32 v55, 1.0, v51
	v_add_f32_e32 v68, -1.0, v55
	v_sub_f32_e32 v51, v51, v68
	v_add_f32_e32 v51, v54, v51
	v_add_f32_e32 v102, v55, v51
	v_rcp_f32_e32 v103, v102
	v_sub_f32_e32 v54, v55, v102
	v_add_f32_e32 v55, v64, v65
	v_add_f32_e32 v51, v51, v54
	v_mul_f32_e32 v113, v55, v103
	v_sub_f32_e32 v54, v64, v55
	v_mul_f32_e32 v64, v102, v113
	v_fma_f32 v68, v113, v102, -v64
	v_fmac_f32_e32 v68, v113, v51
	v_add_f32_e32 v112, v65, v54
	v_add_f32_e32 v54, v64, v68
	v_sub_f32_e32 v65, v55, v54
	v_pk_add_f32 v[100:101], v[54:55], v[64:65] neg_lo:[0,1] neg_hi:[0,1]
	v_mov_b32_e32 v69, v54
	v_pk_add_f32 v[54:55], v[100:101], v[68:69] neg_lo:[0,1] neg_hi:[0,1]
	v_cmp_eq_f32_e32 vcc, s10, v53
	v_add_f32_e32 v55, v112, v55
	v_add_f32_e32 v54, v54, v55
	;; [unrolled: 1-line block ×3, first 2 shown]
	v_mul_f32_e32 v112, v103, v55
	v_mul_f32_e32 v64, v102, v112
	v_fma_f32 v68, v112, v102, -v64
	v_fmac_f32_e32 v68, v112, v51
	v_sub_f32_e32 v51, v65, v55
	v_add_f32_e32 v51, v54, v51
	v_add_f32_e32 v54, v64, v68
	v_sub_f32_e32 v65, v55, v54
	v_pk_add_f32 v[100:101], v[54:55], v[64:65] neg_lo:[0,1] neg_hi:[0,1]
	v_mov_b32_e32 v69, v54
	v_pk_add_f32 v[54:55], v[100:101], v[68:69] neg_lo:[0,1] neg_hi:[0,1]
	v_cvt_f32_i32_e32 v64, v99
	v_add_f32_e32 v51, v51, v55
	v_add_f32_e32 v51, v54, v51
	;; [unrolled: 1-line block ×4, first 2 shown]
	v_sub_f32_e32 v55, v54, v113
	v_mul_f32_e32 v51, v103, v51
	v_sub_f32_e32 v55, v112, v55
	v_add_f32_e32 v51, v55, v51
	v_add_f32_e32 v65, v54, v51
	v_mul_f32_e32 v68, v65, v65
	v_mov_b32_e32 v55, 0x3ecc95a3
	v_fmac_f32_e32 v55, 0x3e9b6dac, v68
	v_sub_f32_e32 v54, v65, v54
	v_fmaak_f32 v55, v68, v55, 0x3f2aaada
	v_sub_f32_e32 v51, v51, v54
	v_ldexp_f32 v69, v65, 1
	v_mul_f32_e32 v65, v65, v68
	v_mov_b32_e32 v54, 0x3f317218
	v_pk_mul_f32 v[54:55], v[64:65], v[54:55]
	v_ldexp_f32 v51, v51, 1
	v_fma_f32 v65, v64, s9, -v54
	v_fmamk_f32 v68, v64, 0xb102e308, v65
	v_pk_add_f32 v[64:65], v[54:55], v[68:69]
	v_mov_b32_e32 v100, v54
	v_sub_f32_e32 v69, v65, v69
	v_sub_f32_e32 v69, v55, v69
	v_add_f32_e32 v101, v51, v69
	v_pk_add_f32 v[54:55], v[64:65], v[54:55] neg_lo:[0,1] neg_hi:[0,1]
	v_pk_add_f32 v[102:103], v[64:65], v[100:101]
	v_mov_b32_e32 v69, v64
	v_mov_b32_e32 v55, v103
	v_pk_add_f32 v[112:113], v[68:69], v[54:55] neg_lo:[0,1] neg_hi:[0,1]
	v_pk_add_f32 v[54:55], v[68:69], v[54:55]
	v_mov_b32_e32 v100, v101
	v_mov_b32_e32 v68, v55
	v_pk_add_f32 v[114:115], v[68:69], v[64:65] neg_lo:[0,1] neg_hi:[0,1]
	v_mov_b32_e32 v54, v103
	v_mov_b32_e32 v51, v114
	v_pk_add_f32 v[116:117], v[102:103], v[50:51] neg_lo:[0,1] neg_hi:[0,1]
	v_mov_b32_e32 v102, v65
	v_mov_b32_e32 v103, v114
	;; [unrolled: 1-line block ×3, first 2 shown]
	v_pk_add_f32 v[54:55], v[54:55], v[102:103] neg_lo:[0,1] neg_hi:[0,1]
	v_mov_b32_e32 v101, v64
	v_pk_add_f32 v[54:55], v[100:101], v[54:55] neg_lo:[0,1] neg_hi:[0,1]
	v_mov_b32_e32 v116, v112
	v_pk_add_f32 v[64:65], v[116:117], v[54:55]
	s_mov_b32 s9, 0x33800000
	v_mov_b32_e32 v100, v65
	v_pk_add_f32 v[100:101], v[64:65], v[100:101]
	v_cmp_lt_f32_e64 s[10:11], |v53|, s9
	v_pk_add_f32 v[68:69], v[68:69], v[100:101]
	v_mov_b32_e32 v55, v100
	v_mov_b32_e32 v65, v68
	v_pk_add_f32 v[102:103], v[64:65], v[112:113] neg_lo:[0,1] neg_hi:[0,1]
	s_or_b64 vcc, vcc, s[10:11]
	v_sub_f32_e32 v51, v64, v102
	v_pk_add_f32 v[54:55], v[54:55], v[102:103] neg_lo:[0,1] neg_hi:[0,1]
	v_sub_f32_e32 v51, v112, v51
	v_add_f32_e32 v51, v54, v51
	v_add_f32_e32 v51, v51, v55
	v_add_f32_e32 v51, v68, v51
	v_cndmask_b32_e32 v51, v51, v53, vcc
	v_add_f32_e32 v50, v50, v51
	v_cvt_f16_f32_e32 v99, v50
	v_cvt_f32_f16_e32 v100, v99
	v_mov_b32_e32 v68, v99
.LBB428_238:
	s_or_b64 exec, exec, s[6:7]
	v_max_f32_e32 v50, v70, v70
	v_max_f32_e32 v51, v100, v100
	v_min_f32_e32 v53, v51, v50
	v_cmp_u_f16_e32 vcc, v99, v99
	v_max_f32_e32 v50, v51, v50
	s_nop 0
	v_cndmask_b32_e32 v53, v53, v100, vcc
	v_cndmask_b32_e32 v50, v50, v100, vcc
	v_cndmask_b32_e64 v53, v53, v70, s[26:27]
	v_cndmask_b32_e64 v51, v50, v70, s[26:27]
	v_cmp_neq_f32_e32 vcc, v53, v51
	v_cmp_class_f32_e64 s[6:7], v53, s8
	s_or_b64 s[8:9], vcc, s[6:7]
	v_mov_b32_e32 v50, v68
	s_and_saveexec_b64 s[6:7], s[8:9]
	s_cbranch_execz .LBB428_240
; %bb.239:
	v_sub_f32_e32 v50, v53, v51
	s_mov_b32 s8, 0x3fb8aa3b
	v_mul_f32_e32 v53, 0x3fb8aa3b, v50
	v_fma_f32 v54, v50, s8, -v53
	v_rndne_f32_e32 v55, v53
	v_fmamk_f32 v54, v50, 0x32a5705f, v54
	v_sub_f32_e32 v53, v53, v55
	v_add_f32_e32 v53, v53, v54
	v_exp_f32_e32 v53, v53
	v_cvt_i32_f32_e32 v54, v55
	s_mov_b32 s8, 0xc2ce8ed0
	v_cmp_ngt_f32_e32 vcc, s8, v50
	s_mov_b32 s8, 0x42b17218
	v_ldexp_f32 v53, v53, v54
	v_cndmask_b32_e32 v53, 0, v53, vcc
	v_mov_b32_e32 v54, 0x7f800000
	v_cmp_nlt_f32_e32 vcc, s8, v50
	s_mov_b32 s8, 0x3f2aaaab
	s_mov_b32 s9, 0x7f800000
	v_cndmask_b32_e32 v69, v54, v53, vcc
	v_add_f32_e32 v50, 1.0, v69
	v_add_f32_e32 v53, -1.0, v50
	v_sub_f32_e32 v54, v53, v50
	v_add_f32_e32 v54, 1.0, v54
	v_sub_f32_e32 v53, v69, v53
	v_add_f32_e32 v53, v53, v54
	v_frexp_mant_f32_e32 v64, v50
	v_cvt_f64_f32_e32 v[54:55], v50
	v_frexp_exp_i32_f64_e32 v54, v[54:55]
	v_cmp_gt_f32_e32 vcc, s8, v64
	s_mov_b32 s8, 0x3f317218
	s_nop 0
	v_subbrev_co_u32_e32 v70, vcc, 0, v54, vcc
	v_sub_u32_e32 v54, 0, v70
	v_ldexp_f32 v50, v50, v54
	v_ldexp_f32 v53, v53, v54
	v_add_f32_e32 v54, -1.0, v50
	v_add_f32_e32 v55, 1.0, v54
	v_sub_f32_e32 v55, v50, v55
	v_add_f32_e32 v64, v53, v55
	v_add_f32_e32 v55, 1.0, v50
	v_add_f32_e32 v65, -1.0, v55
	v_sub_f32_e32 v50, v50, v65
	v_add_f32_e32 v50, v53, v50
	v_add_f32_e32 v53, v55, v50
	v_rcp_f32_e32 v99, v53
	v_sub_f32_e32 v55, v55, v53
	v_add_f32_e32 v50, v50, v55
	v_add_f32_e32 v55, v54, v64
	v_sub_f32_e32 v54, v54, v55
	v_mul_f32_e32 v113, v55, v99
	v_add_f32_e32 v112, v64, v54
	v_mul_f32_e32 v64, v53, v113
	v_fma_f32 v100, v113, v53, -v64
	v_fmac_f32_e32 v100, v113, v50
	v_add_f32_e32 v54, v64, v100
	v_sub_f32_e32 v65, v55, v54
	v_pk_add_f32 v[102:103], v[54:55], v[64:65] neg_lo:[0,1] neg_hi:[0,1]
	v_mov_b32_e32 v101, v54
	v_pk_add_f32 v[54:55], v[102:103], v[100:101] neg_lo:[0,1] neg_hi:[0,1]
	v_cmp_eq_f32_e32 vcc, s9, v69
	v_add_f32_e32 v55, v112, v55
	v_add_f32_e32 v54, v54, v55
	;; [unrolled: 1-line block ×3, first 2 shown]
	v_mul_f32_e32 v112, v99, v55
	v_mul_f32_e32 v64, v53, v112
	v_fma_f32 v100, v112, v53, -v64
	v_fmac_f32_e32 v100, v112, v50
	v_sub_f32_e32 v50, v65, v55
	v_add_f32_e32 v50, v54, v50
	v_add_f32_e32 v54, v64, v100
	v_sub_f32_e32 v65, v55, v54
	v_pk_add_f32 v[102:103], v[54:55], v[64:65] neg_lo:[0,1] neg_hi:[0,1]
	v_mov_b32_e32 v101, v54
	v_pk_add_f32 v[54:55], v[102:103], v[100:101] neg_lo:[0,1] neg_hi:[0,1]
	v_add_f32_e32 v53, v113, v112
	v_add_f32_e32 v50, v50, v55
	;; [unrolled: 1-line block ×4, first 2 shown]
	v_sub_f32_e32 v54, v53, v113
	v_mul_f32_e32 v50, v99, v50
	v_sub_f32_e32 v54, v112, v54
	v_add_f32_e32 v50, v54, v50
	v_add_f32_e32 v54, v53, v50
	v_cvt_f32_i32_e32 v64, v70
	v_mul_f32_e32 v65, v54, v54
	v_mov_b32_e32 v55, 0x3ecc95a3
	v_fmac_f32_e32 v55, 0x3e9b6dac, v65
	v_fmaak_f32 v55, v65, v55, 0x3f2aaada
	v_sub_f32_e32 v53, v54, v53
	v_ldexp_f32 v101, v54, 1
	v_mul_f32_e32 v65, v54, v65
	v_mov_b32_e32 v54, 0x3f317218
	v_pk_mul_f32 v[54:55], v[64:65], v[54:55]
	v_sub_f32_e32 v50, v50, v53
	v_fma_f32 v53, v64, s8, -v54
	v_fmamk_f32 v100, v64, 0xb102e308, v53
	v_pk_add_f32 v[64:65], v[54:55], v[100:101]
	v_ldexp_f32 v50, v50, 1
	v_sub_f32_e32 v53, v65, v101
	v_sub_f32_e32 v53, v55, v53
	v_add_f32_e32 v103, v50, v53
	v_mov_b32_e32 v102, v54
	v_pk_add_f32 v[54:55], v[64:65], v[54:55] neg_lo:[0,1] neg_hi:[0,1]
	v_pk_add_f32 v[112:113], v[64:65], v[102:103]
	v_mov_b32_e32 v101, v64
	v_mov_b32_e32 v55, v113
	v_pk_add_f32 v[114:115], v[100:101], v[54:55] neg_lo:[0,1] neg_hi:[0,1]
	v_pk_add_f32 v[54:55], v[100:101], v[54:55]
	s_mov_b32 s8, 0x33800000
	v_mov_b32_e32 v50, v55
	v_pk_add_f32 v[100:101], v[50:51], v[64:65] neg_lo:[0,1] neg_hi:[0,1]
	v_mov_b32_e32 v54, v113
	v_mov_b32_e32 v53, v100
	v_pk_add_f32 v[116:117], v[112:113], v[52:53] neg_lo:[0,1] neg_hi:[0,1]
	v_mov_b32_e32 v112, v65
	v_mov_b32_e32 v113, v100
	;; [unrolled: 1-line block ×3, first 2 shown]
	v_pk_add_f32 v[54:55], v[54:55], v[112:113] neg_lo:[0,1] neg_hi:[0,1]
	v_mov_b32_e32 v100, v103
	v_mov_b32_e32 v101, v64
	v_pk_add_f32 v[54:55], v[100:101], v[54:55] neg_lo:[0,1] neg_hi:[0,1]
	v_mov_b32_e32 v116, v114
	v_pk_add_f32 v[64:65], v[116:117], v[54:55]
	v_cmp_lt_f32_e64 s[8:9], |v69|, s8
	v_mov_b32_e32 v70, v65
	v_pk_add_f32 v[100:101], v[64:65], v[70:71]
	s_or_b64 vcc, vcc, s[8:9]
	v_pk_add_f32 v[102:103], v[50:51], v[100:101]
	v_mov_b32_e32 v55, v100
	v_mov_b32_e32 v65, v102
	v_pk_add_f32 v[112:113], v[64:65], v[114:115] neg_lo:[0,1] neg_hi:[0,1]
	s_nop 0
	v_sub_f32_e32 v50, v64, v112
	v_pk_add_f32 v[54:55], v[54:55], v[112:113] neg_lo:[0,1] neg_hi:[0,1]
	v_sub_f32_e32 v50, v114, v50
	v_add_f32_e32 v50, v54, v50
	v_add_f32_e32 v50, v50, v55
	;; [unrolled: 1-line block ×3, first 2 shown]
	v_cndmask_b32_e32 v50, v50, v69, vcc
	v_add_f32_e32 v50, v51, v50
	v_cvt_f16_f32_e32 v99, v50
	v_cvt_f32_f16_e32 v100, v99
	v_mov_b32_e32 v50, v99
.LBB428_240:
	s_or_b64 exec, exec, s[6:7]
	v_max_f32_e32 v51, v71, v71
	v_max_f32_e32 v54, v100, v100
	v_min_f32_e32 v53, v54, v51
	v_cmp_u_f16_e32 vcc, v99, v99
	v_max_f32_e32 v51, v54, v51
	s_movk_i32 s8, 0x1f8
	v_cndmask_b32_e32 v53, v53, v100, vcc
	v_cndmask_b32_e32 v51, v51, v100, vcc
	v_cndmask_b32_e64 v53, v53, v71, s[28:29]
	v_cndmask_b32_e64 v51, v51, v71, s[28:29]
	v_cmp_neq_f32_e32 vcc, v53, v51
	v_cmp_class_f32_e64 s[6:7], v53, s8
	s_or_b64 s[10:11], vcc, s[6:7]
	v_mov_b32_e32 v69, v50
	s_and_saveexec_b64 s[6:7], s[10:11]
	s_cbranch_execz .LBB428_242
; %bb.241:
	v_sub_f32_e32 v53, v53, v51
	s_mov_b32 s9, 0x3fb8aa3b
	v_mul_f32_e32 v54, 0x3fb8aa3b, v53
	v_fma_f32 v55, v53, s9, -v54
	v_rndne_f32_e32 v64, v54
	v_fmamk_f32 v55, v53, 0x32a5705f, v55
	v_sub_f32_e32 v54, v54, v64
	v_add_f32_e32 v54, v54, v55
	v_exp_f32_e32 v54, v54
	v_cvt_i32_f32_e32 v55, v64
	s_mov_b32 s9, 0xc2ce8ed0
	v_cmp_ngt_f32_e32 vcc, s9, v53
	s_mov_b32 s9, 0x42b17218
	v_ldexp_f32 v54, v54, v55
	v_cndmask_b32_e32 v54, 0, v54, vcc
	v_mov_b32_e32 v55, 0x7f800000
	v_cmp_nlt_f32_e32 vcc, s9, v53
	s_mov_b32 s9, 0x3f2aaaab
	s_mov_b32 s10, 0x7f800000
	v_cndmask_b32_e32 v69, v55, v54, vcc
	v_add_f32_e32 v53, 1.0, v69
	v_add_f32_e32 v54, -1.0, v53
	v_sub_f32_e32 v55, v54, v53
	v_add_f32_e32 v55, 1.0, v55
	v_sub_f32_e32 v54, v69, v54
	v_add_f32_e32 v64, v54, v55
	v_frexp_mant_f32_e32 v65, v53
	v_cvt_f64_f32_e32 v[54:55], v53
	v_frexp_exp_i32_f64_e32 v54, v[54:55]
	v_cmp_gt_f32_e32 vcc, s9, v65
	s_mov_b32 s9, 0x3f317218
	s_nop 0
	v_subbrev_co_u32_e32 v99, vcc, 0, v54, vcc
	v_sub_u32_e32 v54, 0, v99
	v_ldexp_f32 v53, v53, v54
	v_ldexp_f32 v54, v64, v54
	v_add_f32_e32 v64, -1.0, v53
	v_add_f32_e32 v55, 1.0, v64
	v_sub_f32_e32 v55, v53, v55
	v_add_f32_e32 v65, v54, v55
	v_add_f32_e32 v55, 1.0, v53
	v_add_f32_e32 v70, -1.0, v55
	v_sub_f32_e32 v53, v53, v70
	v_add_f32_e32 v53, v54, v53
	v_add_f32_e32 v102, v55, v53
	v_rcp_f32_e32 v103, v102
	v_sub_f32_e32 v54, v55, v102
	v_add_f32_e32 v55, v64, v65
	v_add_f32_e32 v53, v53, v54
	v_mul_f32_e32 v113, v55, v103
	v_sub_f32_e32 v54, v64, v55
	v_mul_f32_e32 v64, v102, v113
	v_fma_f32 v70, v113, v102, -v64
	v_fmac_f32_e32 v70, v113, v53
	v_add_f32_e32 v112, v65, v54
	v_add_f32_e32 v54, v64, v70
	v_sub_f32_e32 v65, v55, v54
	v_pk_add_f32 v[100:101], v[54:55], v[64:65] neg_lo:[0,1] neg_hi:[0,1]
	v_mov_b32_e32 v71, v54
	v_pk_add_f32 v[54:55], v[100:101], v[70:71] neg_lo:[0,1] neg_hi:[0,1]
	v_cmp_eq_f32_e32 vcc, s10, v69
	v_add_f32_e32 v55, v112, v55
	v_add_f32_e32 v54, v54, v55
	;; [unrolled: 1-line block ×3, first 2 shown]
	v_mul_f32_e32 v112, v103, v55
	v_mul_f32_e32 v64, v102, v112
	v_fma_f32 v70, v112, v102, -v64
	v_fmac_f32_e32 v70, v112, v53
	v_sub_f32_e32 v53, v65, v55
	v_add_f32_e32 v53, v54, v53
	v_add_f32_e32 v54, v64, v70
	v_sub_f32_e32 v65, v55, v54
	v_pk_add_f32 v[100:101], v[54:55], v[64:65] neg_lo:[0,1] neg_hi:[0,1]
	v_mov_b32_e32 v71, v54
	v_pk_add_f32 v[54:55], v[100:101], v[70:71] neg_lo:[0,1] neg_hi:[0,1]
	v_cvt_f32_i32_e32 v64, v99
	v_add_f32_e32 v53, v53, v55
	v_add_f32_e32 v53, v54, v53
	;; [unrolled: 1-line block ×4, first 2 shown]
	v_sub_f32_e32 v55, v54, v113
	v_mul_f32_e32 v53, v103, v53
	v_sub_f32_e32 v55, v112, v55
	v_add_f32_e32 v53, v55, v53
	v_add_f32_e32 v65, v54, v53
	v_mul_f32_e32 v70, v65, v65
	v_mov_b32_e32 v55, 0x3ecc95a3
	v_fmac_f32_e32 v55, 0x3e9b6dac, v70
	v_sub_f32_e32 v54, v65, v54
	v_fmaak_f32 v55, v70, v55, 0x3f2aaada
	v_sub_f32_e32 v53, v53, v54
	v_ldexp_f32 v71, v65, 1
	v_mul_f32_e32 v65, v65, v70
	v_mov_b32_e32 v54, 0x3f317218
	v_pk_mul_f32 v[54:55], v[64:65], v[54:55]
	v_ldexp_f32 v53, v53, 1
	v_fma_f32 v65, v64, s9, -v54
	v_fmamk_f32 v70, v64, 0xb102e308, v65
	v_pk_add_f32 v[64:65], v[54:55], v[70:71]
	v_mov_b32_e32 v100, v54
	v_sub_f32_e32 v71, v65, v71
	v_sub_f32_e32 v71, v55, v71
	v_add_f32_e32 v101, v53, v71
	v_pk_add_f32 v[54:55], v[64:65], v[54:55] neg_lo:[0,1] neg_hi:[0,1]
	v_pk_add_f32 v[102:103], v[64:65], v[100:101]
	v_mov_b32_e32 v71, v64
	v_mov_b32_e32 v55, v103
	v_pk_add_f32 v[112:113], v[70:71], v[54:55] neg_lo:[0,1] neg_hi:[0,1]
	v_pk_add_f32 v[54:55], v[70:71], v[54:55]
	v_mov_b32_e32 v100, v101
	v_mov_b32_e32 v70, v55
	v_pk_add_f32 v[114:115], v[70:71], v[64:65] neg_lo:[0,1] neg_hi:[0,1]
	v_mov_b32_e32 v54, v103
	v_mov_b32_e32 v53, v114
	v_pk_add_f32 v[116:117], v[102:103], v[52:53] neg_lo:[0,1] neg_hi:[0,1]
	v_mov_b32_e32 v102, v65
	v_mov_b32_e32 v103, v114
	;; [unrolled: 1-line block ×3, first 2 shown]
	v_pk_add_f32 v[54:55], v[54:55], v[102:103] neg_lo:[0,1] neg_hi:[0,1]
	v_mov_b32_e32 v101, v64
	v_pk_add_f32 v[54:55], v[100:101], v[54:55] neg_lo:[0,1] neg_hi:[0,1]
	v_mov_b32_e32 v116, v112
	v_pk_add_f32 v[64:65], v[116:117], v[54:55]
	s_mov_b32 s9, 0x33800000
	v_mov_b32_e32 v100, v65
	v_pk_add_f32 v[100:101], v[64:65], v[100:101]
	v_cmp_lt_f32_e64 s[10:11], |v69|, s9
	v_pk_add_f32 v[70:71], v[70:71], v[100:101]
	v_mov_b32_e32 v55, v100
	v_mov_b32_e32 v65, v70
	v_pk_add_f32 v[102:103], v[64:65], v[112:113] neg_lo:[0,1] neg_hi:[0,1]
	s_or_b64 vcc, vcc, s[10:11]
	v_sub_f32_e32 v53, v64, v102
	v_pk_add_f32 v[54:55], v[54:55], v[102:103] neg_lo:[0,1] neg_hi:[0,1]
	v_sub_f32_e32 v53, v112, v53
	v_add_f32_e32 v53, v54, v53
	v_add_f32_e32 v53, v53, v55
	;; [unrolled: 1-line block ×3, first 2 shown]
	v_cndmask_b32_e32 v53, v53, v69, vcc
	v_add_f32_e32 v51, v51, v53
	v_cvt_f16_f32_e32 v99, v51
	v_cvt_f32_f16_e32 v100, v99
	v_mov_b32_e32 v69, v99
.LBB428_242:
	s_or_b64 exec, exec, s[6:7]
	v_max_f32_e32 v51, v80, v80
	v_max_f32_e32 v53, v100, v100
	v_min_f32_e32 v54, v53, v51
	v_cmp_u_f16_e32 vcc, v99, v99
	v_max_f32_e32 v51, v53, v51
	s_nop 0
	v_cndmask_b32_e32 v54, v54, v100, vcc
	v_cndmask_b32_e32 v51, v51, v100, vcc
	v_cndmask_b32_e64 v54, v54, v80, s[30:31]
	v_cndmask_b32_e64 v53, v51, v80, s[30:31]
	v_cmp_neq_f32_e32 vcc, v54, v53
	v_cmp_class_f32_e64 s[6:7], v54, s8
	s_or_b64 s[8:9], vcc, s[6:7]
	v_mov_b32_e32 v51, v69
	s_and_saveexec_b64 s[6:7], s[8:9]
	s_cbranch_execz .LBB428_244
; %bb.243:
	v_sub_f32_e32 v51, v54, v53
	s_mov_b32 s8, 0x3fb8aa3b
	v_mul_f32_e32 v54, 0x3fb8aa3b, v51
	v_fma_f32 v55, v51, s8, -v54
	v_rndne_f32_e32 v64, v54
	v_fmamk_f32 v55, v51, 0x32a5705f, v55
	v_sub_f32_e32 v54, v54, v64
	v_add_f32_e32 v54, v54, v55
	v_exp_f32_e32 v54, v54
	v_cvt_i32_f32_e32 v55, v64
	s_mov_b32 s8, 0xc2ce8ed0
	v_cmp_ngt_f32_e32 vcc, s8, v51
	s_mov_b32 s8, 0x42b17218
	v_ldexp_f32 v54, v54, v55
	v_cndmask_b32_e32 v54, 0, v54, vcc
	v_mov_b32_e32 v55, 0x7f800000
	v_cmp_nlt_f32_e32 vcc, s8, v51
	s_mov_b32 s8, 0x3f2aaaab
	s_mov_b32 s9, 0x7f800000
	v_cndmask_b32_e32 v99, v55, v54, vcc
	v_add_f32_e32 v51, 1.0, v99
	v_add_f32_e32 v54, -1.0, v51
	v_sub_f32_e32 v55, v54, v51
	v_add_f32_e32 v55, 1.0, v55
	v_sub_f32_e32 v54, v99, v54
	v_add_f32_e32 v64, v54, v55
	v_frexp_mant_f32_e32 v65, v51
	v_cvt_f64_f32_e32 v[54:55], v51
	v_frexp_exp_i32_f64_e32 v54, v[54:55]
	v_cmp_gt_f32_e32 vcc, s8, v65
	s_mov_b32 s8, 0x3f317218
	s_nop 0
	v_subbrev_co_u32_e32 v80, vcc, 0, v54, vcc
	v_sub_u32_e32 v54, 0, v80
	v_ldexp_f32 v51, v51, v54
	v_ldexp_f32 v54, v64, v54
	v_add_f32_e32 v64, -1.0, v51
	v_add_f32_e32 v55, 1.0, v64
	v_sub_f32_e32 v55, v51, v55
	v_add_f32_e32 v65, v54, v55
	v_add_f32_e32 v55, 1.0, v51
	v_add_f32_e32 v70, -1.0, v55
	v_sub_f32_e32 v51, v51, v70
	v_add_f32_e32 v51, v54, v51
	v_add_f32_e32 v102, v55, v51
	v_rcp_f32_e32 v103, v102
	v_sub_f32_e32 v54, v55, v102
	v_add_f32_e32 v55, v64, v65
	v_add_f32_e32 v51, v51, v54
	v_mul_f32_e32 v113, v55, v103
	v_sub_f32_e32 v54, v64, v55
	v_mul_f32_e32 v64, v102, v113
	v_fma_f32 v70, v113, v102, -v64
	v_fmac_f32_e32 v70, v113, v51
	v_add_f32_e32 v112, v65, v54
	v_add_f32_e32 v54, v64, v70
	v_sub_f32_e32 v65, v55, v54
	v_pk_add_f32 v[100:101], v[54:55], v[64:65] neg_lo:[0,1] neg_hi:[0,1]
	v_mov_b32_e32 v71, v54
	v_pk_add_f32 v[54:55], v[100:101], v[70:71] neg_lo:[0,1] neg_hi:[0,1]
	v_cmp_eq_f32_e32 vcc, s9, v99
	v_add_f32_e32 v55, v112, v55
	v_add_f32_e32 v54, v54, v55
	;; [unrolled: 1-line block ×3, first 2 shown]
	v_mul_f32_e32 v112, v103, v55
	v_mul_f32_e32 v64, v102, v112
	v_fma_f32 v70, v112, v102, -v64
	v_fmac_f32_e32 v70, v112, v51
	v_sub_f32_e32 v51, v65, v55
	v_add_f32_e32 v51, v54, v51
	v_add_f32_e32 v54, v64, v70
	v_sub_f32_e32 v65, v55, v54
	v_pk_add_f32 v[100:101], v[54:55], v[64:65] neg_lo:[0,1] neg_hi:[0,1]
	v_mov_b32_e32 v71, v54
	v_pk_add_f32 v[54:55], v[100:101], v[70:71] neg_lo:[0,1] neg_hi:[0,1]
	v_cvt_f32_i32_e32 v64, v80
	v_add_f32_e32 v51, v51, v55
	v_add_f32_e32 v51, v54, v51
	v_add_f32_e32 v54, v113, v112
	v_add_f32_e32 v51, v65, v51
	v_sub_f32_e32 v55, v54, v113
	v_mul_f32_e32 v51, v103, v51
	v_sub_f32_e32 v55, v112, v55
	v_add_f32_e32 v51, v55, v51
	v_add_f32_e32 v65, v54, v51
	v_mul_f32_e32 v70, v65, v65
	v_mov_b32_e32 v55, 0x3ecc95a3
	v_fmac_f32_e32 v55, 0x3e9b6dac, v70
	v_sub_f32_e32 v54, v65, v54
	v_fmaak_f32 v55, v70, v55, 0x3f2aaada
	v_sub_f32_e32 v51, v51, v54
	v_ldexp_f32 v71, v65, 1
	v_mul_f32_e32 v65, v65, v70
	v_mov_b32_e32 v54, 0x3f317218
	v_pk_mul_f32 v[54:55], v[64:65], v[54:55]
	v_ldexp_f32 v51, v51, 1
	v_fma_f32 v65, v64, s8, -v54
	v_fmamk_f32 v70, v64, 0xb102e308, v65
	v_pk_add_f32 v[64:65], v[54:55], v[70:71]
	v_mov_b32_e32 v100, v54
	v_sub_f32_e32 v71, v65, v71
	v_sub_f32_e32 v71, v55, v71
	v_add_f32_e32 v101, v51, v71
	v_pk_add_f32 v[54:55], v[64:65], v[54:55] neg_lo:[0,1] neg_hi:[0,1]
	v_pk_add_f32 v[102:103], v[64:65], v[100:101]
	v_mov_b32_e32 v71, v64
	v_mov_b32_e32 v55, v103
	v_pk_add_f32 v[112:113], v[70:71], v[54:55] neg_lo:[0,1] neg_hi:[0,1]
	v_pk_add_f32 v[54:55], v[70:71], v[54:55]
	v_mov_b32_e32 v100, v101
	v_mov_b32_e32 v70, v55
	v_pk_add_f32 v[114:115], v[70:71], v[64:65] neg_lo:[0,1] neg_hi:[0,1]
	v_mov_b32_e32 v54, v103
	v_mov_b32_e32 v51, v114
	v_pk_add_f32 v[116:117], v[102:103], v[50:51] neg_lo:[0,1] neg_hi:[0,1]
	v_mov_b32_e32 v102, v65
	v_mov_b32_e32 v103, v114
	;; [unrolled: 1-line block ×3, first 2 shown]
	v_pk_add_f32 v[54:55], v[54:55], v[102:103] neg_lo:[0,1] neg_hi:[0,1]
	v_mov_b32_e32 v101, v64
	v_pk_add_f32 v[54:55], v[100:101], v[54:55] neg_lo:[0,1] neg_hi:[0,1]
	v_mov_b32_e32 v116, v112
	v_pk_add_f32 v[64:65], v[116:117], v[54:55]
	s_mov_b32 s8, 0x33800000
	v_mov_b32_e32 v80, v65
	v_pk_add_f32 v[100:101], v[64:65], v[80:81]
	v_cmp_lt_f32_e64 s[8:9], |v99|, s8
	v_pk_add_f32 v[70:71], v[70:71], v[100:101]
	v_mov_b32_e32 v55, v100
	v_mov_b32_e32 v65, v70
	v_pk_add_f32 v[102:103], v[64:65], v[112:113] neg_lo:[0,1] neg_hi:[0,1]
	s_or_b64 vcc, vcc, s[8:9]
	v_sub_f32_e32 v51, v64, v102
	v_pk_add_f32 v[54:55], v[54:55], v[102:103] neg_lo:[0,1] neg_hi:[0,1]
	v_sub_f32_e32 v51, v112, v51
	v_add_f32_e32 v51, v54, v51
	v_add_f32_e32 v51, v51, v55
	;; [unrolled: 1-line block ×3, first 2 shown]
	v_cndmask_b32_e32 v51, v51, v99, vcc
	v_add_f32_e32 v51, v53, v51
	v_cvt_f16_f32_e32 v99, v51
	v_cvt_f32_f16_e32 v100, v99
	v_mov_b32_e32 v51, v99
.LBB428_244:
	s_or_b64 exec, exec, s[6:7]
	v_max_f32_e32 v53, v81, v81
	v_max_f32_e32 v55, v100, v100
	v_min_f32_e32 v54, v55, v53
	v_cmp_u_f16_e32 vcc, v99, v99
	v_max_f32_e32 v53, v55, v53
	s_movk_i32 s8, 0x1f8
	v_cndmask_b32_e32 v54, v54, v100, vcc
	v_cndmask_b32_e32 v53, v53, v100, vcc
	v_cndmask_b32_e64 v54, v54, v81, s[34:35]
	v_cndmask_b32_e64 v53, v53, v81, s[34:35]
	v_cmp_neq_f32_e32 vcc, v54, v53
	v_cmp_class_f32_e64 s[6:7], v54, s8
	s_or_b64 s[10:11], vcc, s[6:7]
	v_mov_b32_e32 v70, v51
	s_and_saveexec_b64 s[6:7], s[10:11]
	s_cbranch_execz .LBB428_246
; %bb.245:
	v_sub_f32_e32 v54, v54, v53
	s_mov_b32 s9, 0x3fb8aa3b
	v_mul_f32_e32 v55, 0x3fb8aa3b, v54
	v_fma_f32 v64, v54, s9, -v55
	v_rndne_f32_e32 v65, v55
	v_fmamk_f32 v64, v54, 0x32a5705f, v64
	v_sub_f32_e32 v55, v55, v65
	v_add_f32_e32 v55, v55, v64
	v_exp_f32_e32 v55, v55
	v_cvt_i32_f32_e32 v64, v65
	s_mov_b32 s9, 0xc2ce8ed0
	v_cmp_ngt_f32_e32 vcc, s9, v54
	s_mov_b32 s9, 0x42b17218
	v_ldexp_f32 v55, v55, v64
	v_cndmask_b32_e32 v55, 0, v55, vcc
	v_mov_b32_e32 v64, 0x7f800000
	v_cmp_nlt_f32_e32 vcc, s9, v54
	s_mov_b32 s9, 0x3f2aaaab
	s_mov_b32 s10, 0x7f800000
	v_cndmask_b32_e32 v99, v64, v55, vcc
	v_add_f32_e32 v64, 1.0, v99
	v_add_f32_e32 v54, -1.0, v64
	v_sub_f32_e32 v55, v54, v64
	v_add_f32_e32 v55, 1.0, v55
	v_sub_f32_e32 v54, v99, v54
	v_add_f32_e32 v65, v54, v55
	v_frexp_mant_f32_e32 v70, v64
	v_cvt_f64_f32_e32 v[54:55], v64
	v_frexp_exp_i32_f64_e32 v54, v[54:55]
	v_cmp_gt_f32_e32 vcc, s9, v70
	s_mov_b32 s9, 0x3f317218
	s_nop 0
	v_subbrev_co_u32_e32 v100, vcc, 0, v54, vcc
	v_sub_u32_e32 v54, 0, v100
	v_ldexp_f32 v55, v64, v54
	v_add_f32_e32 v64, -1.0, v55
	v_add_f32_e32 v70, 1.0, v55
	v_ldexp_f32 v54, v65, v54
	v_add_f32_e32 v65, 1.0, v64
	v_add_f32_e32 v71, -1.0, v70
	v_sub_f32_e32 v65, v55, v65
	v_sub_f32_e32 v55, v55, v71
	v_add_f32_e32 v65, v54, v65
	v_add_f32_e32 v54, v54, v55
	;; [unrolled: 1-line block ×3, first 2 shown]
	v_rcp_f32_e32 v103, v101
	v_sub_f32_e32 v55, v70, v101
	v_add_f32_e32 v102, v54, v55
	v_add_f32_e32 v55, v64, v65
	v_mul_f32_e32 v113, v55, v103
	v_sub_f32_e32 v54, v64, v55
	v_mul_f32_e32 v64, v101, v113
	v_fma_f32 v70, v113, v101, -v64
	v_fmac_f32_e32 v70, v113, v102
	v_add_f32_e32 v112, v65, v54
	v_add_f32_e32 v54, v64, v70
	v_sub_f32_e32 v65, v55, v54
	v_pk_add_f32 v[80:81], v[54:55], v[64:65] neg_lo:[0,1] neg_hi:[0,1]
	v_mov_b32_e32 v71, v54
	v_pk_add_f32 v[54:55], v[80:81], v[70:71] neg_lo:[0,1] neg_hi:[0,1]
	v_cmp_eq_f32_e32 vcc, s10, v99
	v_add_f32_e32 v55, v112, v55
	v_add_f32_e32 v54, v54, v55
	;; [unrolled: 1-line block ×3, first 2 shown]
	v_mul_f32_e32 v112, v103, v55
	v_mul_f32_e32 v64, v101, v112
	v_fma_f32 v70, v112, v101, -v64
	v_fmac_f32_e32 v70, v112, v102
	v_sub_f32_e32 v65, v65, v55
	v_add_f32_e32 v101, v54, v65
	v_add_f32_e32 v54, v64, v70
	v_sub_f32_e32 v65, v55, v54
	v_pk_add_f32 v[80:81], v[54:55], v[64:65] neg_lo:[0,1] neg_hi:[0,1]
	v_mov_b32_e32 v71, v54
	v_pk_add_f32 v[54:55], v[80:81], v[70:71] neg_lo:[0,1] neg_hi:[0,1]
	v_cvt_f32_i32_e32 v64, v100
	v_add_f32_e32 v55, v101, v55
	v_add_f32_e32 v54, v54, v55
	;; [unrolled: 1-line block ×4, first 2 shown]
	v_sub_f32_e32 v55, v65, v113
	v_mul_f32_e32 v54, v103, v54
	v_sub_f32_e32 v55, v112, v55
	v_add_f32_e32 v54, v55, v54
	v_add_f32_e32 v70, v65, v54
	v_mul_f32_e32 v80, v70, v70
	v_mov_b32_e32 v55, 0x3ecc95a3
	v_sub_f32_e32 v65, v70, v65
	v_fmac_f32_e32 v55, 0x3e9b6dac, v80
	v_sub_f32_e32 v54, v54, v65
	v_fmaak_f32 v55, v80, v55, 0x3f2aaada
	v_ldexp_f32 v81, v54, 1
	v_mul_f32_e32 v65, v70, v80
	v_mov_b32_e32 v54, 0x3f317218
	v_pk_mul_f32 v[54:55], v[64:65], v[54:55]
	v_ldexp_f32 v71, v70, 1
	v_fma_f32 v65, v64, s9, -v54
	v_fmamk_f32 v70, v64, 0xb102e308, v65
	v_pk_add_f32 v[64:65], v[54:55], v[70:71]
	v_mov_b32_e32 v80, v54
	v_sub_f32_e32 v71, v65, v71
	v_sub_f32_e32 v71, v55, v71
	v_add_f32_e32 v81, v81, v71
	v_pk_add_f32 v[54:55], v[64:65], v[54:55] neg_lo:[0,1] neg_hi:[0,1]
	v_pk_add_f32 v[100:101], v[64:65], v[80:81]
	v_mov_b32_e32 v71, v64
	v_mov_b32_e32 v55, v101
	v_pk_add_f32 v[102:103], v[70:71], v[54:55] neg_lo:[0,1] neg_hi:[0,1]
	v_pk_add_f32 v[54:55], v[70:71], v[54:55]
	v_mov_b32_e32 v80, v81
	v_mov_b32_e32 v70, v55
	v_pk_add_f32 v[112:113], v[70:71], v[64:65] neg_lo:[0,1] neg_hi:[0,1]
	v_mov_b32_e32 v54, v101
	v_mov_b32_e32 v71, v112
	v_pk_add_f32 v[114:115], v[100:101], v[70:71] neg_lo:[0,1] neg_hi:[0,1]
	v_mov_b32_e32 v100, v65
	v_mov_b32_e32 v101, v112
	;; [unrolled: 1-line block ×3, first 2 shown]
	v_pk_add_f32 v[54:55], v[54:55], v[100:101] neg_lo:[0,1] neg_hi:[0,1]
	v_mov_b32_e32 v81, v64
	v_pk_add_f32 v[54:55], v[80:81], v[54:55] neg_lo:[0,1] neg_hi:[0,1]
	v_mov_b32_e32 v114, v102
	v_pk_add_f32 v[64:65], v[114:115], v[54:55]
	s_mov_b32 s9, 0x33800000
	v_mov_b32_e32 v80, v65
	v_pk_add_f32 v[80:81], v[64:65], v[80:81]
	v_cmp_lt_f32_e64 s[10:11], |v99|, s9
	v_pk_add_f32 v[70:71], v[70:71], v[80:81]
	v_mov_b32_e32 v55, v80
	v_mov_b32_e32 v65, v70
	v_pk_add_f32 v[100:101], v[64:65], v[102:103] neg_lo:[0,1] neg_hi:[0,1]
	s_or_b64 vcc, vcc, s[10:11]
	v_sub_f32_e32 v64, v64, v100
	v_pk_add_f32 v[54:55], v[54:55], v[100:101] neg_lo:[0,1] neg_hi:[0,1]
	v_sub_f32_e32 v64, v102, v64
	v_add_f32_e32 v54, v54, v64
	v_add_f32_e32 v54, v54, v55
	;; [unrolled: 1-line block ×3, first 2 shown]
	v_cndmask_b32_e32 v54, v54, v99, vcc
	v_add_f32_e32 v53, v53, v54
	v_cvt_f16_f32_e32 v99, v53
	v_cvt_f32_f16_e32 v100, v99
	v_mov_b32_e32 v70, v99
.LBB428_246:
	s_or_b64 exec, exec, s[6:7]
	v_max_f32_e32 v53, v82, v82
	v_max_f32_e32 v54, v100, v100
	v_min_f32_e32 v55, v54, v53
	v_cmp_u_f16_e32 vcc, v99, v99
	v_max_f32_e32 v53, v54, v53
	s_nop 0
	v_cndmask_b32_e32 v55, v55, v100, vcc
	v_cndmask_b32_e32 v53, v53, v100, vcc
	v_cndmask_b32_e64 v55, v55, v82, s[36:37]
	v_cndmask_b32_e64 v54, v53, v82, s[36:37]
	v_cmp_neq_f32_e32 vcc, v55, v54
	v_cmp_class_f32_e64 s[6:7], v55, s8
	s_or_b64 s[8:9], vcc, s[6:7]
	v_mov_b32_e32 v53, v70
	s_and_saveexec_b64 s[6:7], s[8:9]
	s_cbranch_execz .LBB428_248
; %bb.247:
	v_sub_f32_e32 v53, v55, v54
	s_mov_b32 s8, 0x3fb8aa3b
	v_mul_f32_e32 v55, 0x3fb8aa3b, v53
	v_fma_f32 v64, v53, s8, -v55
	v_rndne_f32_e32 v65, v55
	v_fmamk_f32 v64, v53, 0x32a5705f, v64
	v_sub_f32_e32 v55, v55, v65
	v_add_f32_e32 v55, v55, v64
	v_exp_f32_e32 v55, v55
	v_cvt_i32_f32_e32 v64, v65
	s_mov_b32 s8, 0xc2ce8ed0
	v_cmp_ngt_f32_e32 vcc, s8, v53
	s_mov_b32 s8, 0x42b17218
	v_ldexp_f32 v55, v55, v64
	v_cndmask_b32_e32 v55, 0, v55, vcc
	v_mov_b32_e32 v64, 0x7f800000
	v_cmp_nlt_f32_e32 vcc, s8, v53
	s_mov_b32 s8, 0x3f2aaaab
	s_mov_b32 s9, 0x7f800000
	v_cndmask_b32_e32 v55, v64, v55, vcc
	v_add_f32_e32 v53, 1.0, v55
	v_add_f32_e32 v64, -1.0, v53
	v_sub_f32_e32 v65, v64, v53
	v_add_f32_e32 v65, 1.0, v65
	v_sub_f32_e32 v64, v55, v64
	v_add_f32_e32 v71, v64, v65
	v_frexp_mant_f32_e32 v80, v53
	v_cvt_f64_f32_e32 v[64:65], v53
	v_frexp_exp_i32_f64_e32 v64, v[64:65]
	v_cmp_gt_f32_e32 vcc, s8, v80
	s_mov_b32 s8, 0x3f317218
	s_nop 0
	v_subbrev_co_u32_e32 v82, vcc, 0, v64, vcc
	v_sub_u32_e32 v64, 0, v82
	v_ldexp_f32 v53, v53, v64
	v_ldexp_f32 v64, v71, v64
	v_add_f32_e32 v71, -1.0, v53
	v_add_f32_e32 v65, 1.0, v71
	v_sub_f32_e32 v65, v53, v65
	v_add_f32_e32 v80, v64, v65
	v_add_f32_e32 v65, 1.0, v53
	v_add_f32_e32 v81, -1.0, v65
	v_sub_f32_e32 v53, v53, v81
	v_add_f32_e32 v53, v64, v53
	v_add_f32_e32 v99, v65, v53
	v_rcp_f32_e32 v112, v99
	v_sub_f32_e32 v64, v65, v99
	v_add_f32_e32 v65, v71, v80
	v_add_f32_e32 v53, v53, v64
	v_sub_f32_e32 v64, v71, v65
	v_mul_f32_e32 v113, v65, v112
	v_add_f32_e32 v71, v80, v64
	v_mul_f32_e32 v80, v99, v113
	v_fma_f32 v100, v113, v99, -v80
	v_fmac_f32_e32 v100, v113, v53
	v_add_f32_e32 v64, v80, v100
	v_sub_f32_e32 v81, v65, v64
	v_pk_add_f32 v[102:103], v[64:65], v[80:81] neg_lo:[0,1] neg_hi:[0,1]
	v_mov_b32_e32 v101, v64
	v_pk_add_f32 v[64:65], v[102:103], v[100:101] neg_lo:[0,1] neg_hi:[0,1]
	v_cmp_eq_f32_e32 vcc, s9, v55
	v_add_f32_e32 v65, v71, v65
	v_add_f32_e32 v64, v64, v65
	;; [unrolled: 1-line block ×3, first 2 shown]
	v_mul_f32_e32 v71, v112, v65
	v_mul_f32_e32 v80, v99, v71
	v_fma_f32 v100, v71, v99, -v80
	v_fmac_f32_e32 v100, v71, v53
	v_sub_f32_e32 v53, v81, v65
	v_add_f32_e32 v53, v64, v53
	v_add_f32_e32 v64, v80, v100
	v_sub_f32_e32 v81, v65, v64
	v_pk_add_f32 v[102:103], v[64:65], v[80:81] neg_lo:[0,1] neg_hi:[0,1]
	v_mov_b32_e32 v101, v64
	v_pk_add_f32 v[64:65], v[102:103], v[100:101] neg_lo:[0,1] neg_hi:[0,1]
	v_cvt_f32_i32_e32 v80, v82
	v_add_f32_e32 v53, v53, v65
	v_add_f32_e32 v53, v64, v53
	;; [unrolled: 1-line block ×4, first 2 shown]
	v_sub_f32_e32 v65, v64, v113
	v_mul_f32_e32 v53, v112, v53
	v_sub_f32_e32 v65, v71, v65
	v_add_f32_e32 v53, v65, v53
	v_add_f32_e32 v71, v64, v53
	v_mul_f32_e32 v81, v71, v71
	v_mov_b32_e32 v65, 0x3ecc95a3
	v_fmac_f32_e32 v65, 0x3e9b6dac, v81
	v_sub_f32_e32 v64, v71, v64
	v_fmaak_f32 v65, v81, v65, 0x3f2aaada
	v_sub_f32_e32 v53, v53, v64
	v_mul_f32_e32 v81, v71, v81
	v_mov_b32_e32 v64, 0x3f317218
	v_pk_mul_f32 v[64:65], v[80:81], v[64:65]
	v_ldexp_f32 v101, v71, 1
	v_fma_f32 v71, v80, s8, -v64
	v_fmamk_f32 v100, v80, 0xb102e308, v71
	v_pk_add_f32 v[80:81], v[64:65], v[100:101]
	v_ldexp_f32 v53, v53, 1
	v_sub_f32_e32 v71, v81, v101
	v_sub_f32_e32 v71, v65, v71
	v_add_f32_e32 v103, v53, v71
	v_mov_b32_e32 v102, v64
	v_pk_add_f32 v[64:65], v[80:81], v[64:65] neg_lo:[0,1] neg_hi:[0,1]
	v_pk_add_f32 v[112:113], v[80:81], v[102:103]
	v_mov_b32_e32 v101, v80
	v_mov_b32_e32 v65, v113
	v_pk_add_f32 v[114:115], v[100:101], v[64:65] neg_lo:[0,1] neg_hi:[0,1]
	v_pk_add_f32 v[64:65], v[100:101], v[64:65]
	s_mov_b32 s8, 0x33800000
	v_mov_b32_e32 v82, v65
	v_pk_add_f32 v[100:101], v[82:83], v[80:81] neg_lo:[0,1] neg_hi:[0,1]
	v_mov_b32_e32 v64, v113
	v_mov_b32_e32 v53, v100
	v_pk_add_f32 v[116:117], v[112:113], v[52:53] neg_lo:[0,1] neg_hi:[0,1]
	v_mov_b32_e32 v112, v81
	v_mov_b32_e32 v113, v100
	;; [unrolled: 1-line block ×3, first 2 shown]
	v_pk_add_f32 v[64:65], v[64:65], v[112:113] neg_lo:[0,1] neg_hi:[0,1]
	v_mov_b32_e32 v100, v103
	v_mov_b32_e32 v101, v80
	v_pk_add_f32 v[64:65], v[100:101], v[64:65] neg_lo:[0,1] neg_hi:[0,1]
	v_mov_b32_e32 v116, v114
	v_pk_add_f32 v[80:81], v[116:117], v[64:65]
	v_cmp_lt_f32_e64 s[8:9], |v55|, s8
	v_mov_b32_e32 v100, v81
	v_pk_add_f32 v[100:101], v[80:81], v[100:101]
	s_or_b64 vcc, vcc, s[8:9]
	v_pk_add_f32 v[102:103], v[82:83], v[100:101]
	v_mov_b32_e32 v65, v100
	v_mov_b32_e32 v81, v102
	v_pk_add_f32 v[112:113], v[80:81], v[114:115] neg_lo:[0,1] neg_hi:[0,1]
	s_nop 0
	v_sub_f32_e32 v53, v80, v112
	v_pk_add_f32 v[64:65], v[64:65], v[112:113] neg_lo:[0,1] neg_hi:[0,1]
	v_sub_f32_e32 v53, v114, v53
	v_add_f32_e32 v53, v64, v53
	v_add_f32_e32 v53, v53, v65
	;; [unrolled: 1-line block ×3, first 2 shown]
	v_cndmask_b32_e32 v53, v53, v55, vcc
	v_add_f32_e32 v53, v54, v53
	v_cvt_f16_f32_e32 v99, v53
	v_cvt_f32_f16_e32 v100, v99
	v_mov_b32_e32 v53, v99
.LBB428_248:
	s_or_b64 exec, exec, s[6:7]
	v_max_f32_e32 v54, v83, v83
	v_max_f32_e32 v64, v100, v100
	v_min_f32_e32 v55, v64, v54
	v_cmp_u_f16_e32 vcc, v99, v99
	v_max_f32_e32 v54, v64, v54
	s_movk_i32 s8, 0x1f8
	v_cndmask_b32_e32 v55, v55, v100, vcc
	v_cndmask_b32_e32 v54, v54, v100, vcc
	v_cndmask_b32_e64 v55, v55, v83, s[38:39]
	v_cndmask_b32_e64 v54, v54, v83, s[38:39]
	v_cmp_neq_f32_e32 vcc, v55, v54
	v_cmp_class_f32_e64 s[6:7], v55, s8
	s_or_b64 s[10:11], vcc, s[6:7]
	v_mov_b32_e32 v71, v53
	s_and_saveexec_b64 s[6:7], s[10:11]
	s_cbranch_execz .LBB428_250
; %bb.249:
	v_sub_f32_e32 v55, v55, v54
	s_mov_b32 s9, 0x3fb8aa3b
	v_mul_f32_e32 v64, 0x3fb8aa3b, v55
	v_fma_f32 v65, v55, s9, -v64
	v_rndne_f32_e32 v71, v64
	v_fmamk_f32 v65, v55, 0x32a5705f, v65
	v_sub_f32_e32 v64, v64, v71
	v_add_f32_e32 v64, v64, v65
	v_exp_f32_e32 v64, v64
	v_cvt_i32_f32_e32 v65, v71
	s_mov_b32 s9, 0xc2ce8ed0
	v_cmp_ngt_f32_e32 vcc, s9, v55
	s_mov_b32 s9, 0x42b17218
	v_ldexp_f32 v64, v64, v65
	v_cndmask_b32_e32 v64, 0, v64, vcc
	v_mov_b32_e32 v65, 0x7f800000
	v_cmp_nlt_f32_e32 vcc, s9, v55
	s_mov_b32 s9, 0x3f2aaaab
	s_mov_b32 s10, 0x7f800000
	v_cndmask_b32_e32 v71, v65, v64, vcc
	v_add_f32_e32 v55, 1.0, v71
	v_add_f32_e32 v64, -1.0, v55
	v_sub_f32_e32 v65, v64, v55
	v_add_f32_e32 v65, 1.0, v65
	v_sub_f32_e32 v64, v71, v64
	v_add_f32_e32 v80, v64, v65
	v_frexp_mant_f32_e32 v81, v55
	v_cvt_f64_f32_e32 v[64:65], v55
	v_frexp_exp_i32_f64_e32 v64, v[64:65]
	v_cmp_gt_f32_e32 vcc, s9, v81
	s_mov_b32 s9, 0x3f317218
	s_nop 0
	v_subbrev_co_u32_e32 v99, vcc, 0, v64, vcc
	v_sub_u32_e32 v64, 0, v99
	v_ldexp_f32 v55, v55, v64
	v_ldexp_f32 v64, v80, v64
	v_add_f32_e32 v80, -1.0, v55
	v_add_f32_e32 v65, 1.0, v80
	v_sub_f32_e32 v65, v55, v65
	v_add_f32_e32 v81, v64, v65
	v_add_f32_e32 v65, 1.0, v55
	v_add_f32_e32 v82, -1.0, v65
	v_sub_f32_e32 v55, v55, v82
	v_add_f32_e32 v55, v64, v55
	v_add_f32_e32 v102, v65, v55
	v_rcp_f32_e32 v103, v102
	v_sub_f32_e32 v64, v65, v102
	v_add_f32_e32 v65, v80, v81
	v_add_f32_e32 v55, v55, v64
	v_mul_f32_e32 v113, v65, v103
	v_sub_f32_e32 v64, v80, v65
	v_mul_f32_e32 v80, v102, v113
	v_fma_f32 v82, v113, v102, -v80
	v_fmac_f32_e32 v82, v113, v55
	v_add_f32_e32 v112, v81, v64
	v_add_f32_e32 v64, v80, v82
	v_sub_f32_e32 v81, v65, v64
	v_pk_add_f32 v[100:101], v[64:65], v[80:81] neg_lo:[0,1] neg_hi:[0,1]
	v_mov_b32_e32 v83, v64
	v_pk_add_f32 v[64:65], v[100:101], v[82:83] neg_lo:[0,1] neg_hi:[0,1]
	v_cmp_eq_f32_e32 vcc, s10, v71
	v_add_f32_e32 v65, v112, v65
	v_add_f32_e32 v64, v64, v65
	;; [unrolled: 1-line block ×3, first 2 shown]
	v_mul_f32_e32 v112, v103, v65
	v_mul_f32_e32 v80, v102, v112
	v_fma_f32 v82, v112, v102, -v80
	v_fmac_f32_e32 v82, v112, v55
	v_sub_f32_e32 v55, v81, v65
	v_add_f32_e32 v55, v64, v55
	v_add_f32_e32 v64, v80, v82
	v_sub_f32_e32 v81, v65, v64
	v_pk_add_f32 v[100:101], v[64:65], v[80:81] neg_lo:[0,1] neg_hi:[0,1]
	v_mov_b32_e32 v83, v64
	v_pk_add_f32 v[64:65], v[100:101], v[82:83] neg_lo:[0,1] neg_hi:[0,1]
	v_cvt_f32_i32_e32 v80, v99
	v_add_f32_e32 v55, v55, v65
	v_add_f32_e32 v55, v64, v55
	;; [unrolled: 1-line block ×4, first 2 shown]
	v_sub_f32_e32 v65, v64, v113
	v_mul_f32_e32 v55, v103, v55
	v_sub_f32_e32 v65, v112, v65
	v_add_f32_e32 v55, v65, v55
	v_add_f32_e32 v81, v64, v55
	v_mul_f32_e32 v82, v81, v81
	v_mov_b32_e32 v65, 0x3ecc95a3
	v_fmac_f32_e32 v65, 0x3e9b6dac, v82
	v_sub_f32_e32 v64, v81, v64
	v_fmaak_f32 v65, v82, v65, 0x3f2aaada
	v_sub_f32_e32 v55, v55, v64
	v_ldexp_f32 v83, v81, 1
	v_mul_f32_e32 v81, v81, v82
	v_mov_b32_e32 v64, 0x3f317218
	v_pk_mul_f32 v[64:65], v[80:81], v[64:65]
	v_ldexp_f32 v55, v55, 1
	v_fma_f32 v81, v80, s9, -v64
	v_fmamk_f32 v82, v80, 0xb102e308, v81
	v_pk_add_f32 v[80:81], v[64:65], v[82:83]
	v_mov_b32_e32 v100, v64
	v_sub_f32_e32 v83, v81, v83
	v_sub_f32_e32 v83, v65, v83
	v_add_f32_e32 v101, v55, v83
	v_pk_add_f32 v[64:65], v[80:81], v[64:65] neg_lo:[0,1] neg_hi:[0,1]
	v_pk_add_f32 v[102:103], v[80:81], v[100:101]
	v_mov_b32_e32 v83, v80
	v_mov_b32_e32 v65, v103
	v_pk_add_f32 v[112:113], v[82:83], v[64:65] neg_lo:[0,1] neg_hi:[0,1]
	v_pk_add_f32 v[64:65], v[82:83], v[64:65]
	v_mov_b32_e32 v100, v101
	v_mov_b32_e32 v82, v65
	v_pk_add_f32 v[114:115], v[82:83], v[80:81] neg_lo:[0,1] neg_hi:[0,1]
	v_mov_b32_e32 v64, v103
	v_mov_b32_e32 v55, v114
	v_pk_add_f32 v[116:117], v[102:103], v[54:55] neg_lo:[0,1] neg_hi:[0,1]
	v_mov_b32_e32 v102, v81
	v_mov_b32_e32 v103, v114
	;; [unrolled: 1-line block ×3, first 2 shown]
	v_pk_add_f32 v[64:65], v[64:65], v[102:103] neg_lo:[0,1] neg_hi:[0,1]
	v_mov_b32_e32 v101, v80
	v_pk_add_f32 v[64:65], v[100:101], v[64:65] neg_lo:[0,1] neg_hi:[0,1]
	v_mov_b32_e32 v116, v112
	v_pk_add_f32 v[80:81], v[116:117], v[64:65]
	s_mov_b32 s9, 0x33800000
	v_mov_b32_e32 v100, v81
	v_pk_add_f32 v[100:101], v[80:81], v[100:101]
	v_cmp_lt_f32_e64 s[10:11], |v71|, s9
	v_pk_add_f32 v[82:83], v[82:83], v[100:101]
	v_mov_b32_e32 v65, v100
	v_mov_b32_e32 v81, v82
	v_pk_add_f32 v[102:103], v[80:81], v[112:113] neg_lo:[0,1] neg_hi:[0,1]
	s_or_b64 vcc, vcc, s[10:11]
	v_sub_f32_e32 v55, v80, v102
	v_pk_add_f32 v[64:65], v[64:65], v[102:103] neg_lo:[0,1] neg_hi:[0,1]
	v_sub_f32_e32 v55, v112, v55
	v_add_f32_e32 v55, v64, v55
	v_add_f32_e32 v55, v55, v65
	;; [unrolled: 1-line block ×3, first 2 shown]
	v_cndmask_b32_e32 v55, v55, v71, vcc
	v_add_f32_e32 v54, v54, v55
	v_cvt_f16_f32_e32 v99, v54
	v_cvt_f32_f16_e32 v100, v99
	v_mov_b32_e32 v71, v99
.LBB428_250:
	s_or_b64 exec, exec, s[6:7]
	v_max_f32_e32 v54, v84, v84
	v_max_f32_e32 v55, v100, v100
	v_min_f32_e32 v64, v55, v54
	v_cmp_u_f16_e32 vcc, v99, v99
	v_max_f32_e32 v54, v55, v54
	s_nop 0
	v_cndmask_b32_e32 v64, v64, v100, vcc
	v_cndmask_b32_e32 v54, v54, v100, vcc
	v_cndmask_b32_e64 v64, v64, v84, s[40:41]
	v_cndmask_b32_e64 v55, v54, v84, s[40:41]
	v_cmp_neq_f32_e32 vcc, v64, v55
	v_cmp_class_f32_e64 s[6:7], v64, s8
	s_or_b64 s[8:9], vcc, s[6:7]
	v_mov_b32_e32 v54, v71
	s_and_saveexec_b64 s[6:7], s[8:9]
	s_cbranch_execz .LBB428_252
; %bb.251:
	v_sub_f32_e32 v54, v64, v55
	s_mov_b32 s8, 0x3fb8aa3b
	v_mul_f32_e32 v64, 0x3fb8aa3b, v54
	v_fma_f32 v65, v54, s8, -v64
	v_rndne_f32_e32 v80, v64
	v_fmamk_f32 v65, v54, 0x32a5705f, v65
	v_sub_f32_e32 v64, v64, v80
	v_add_f32_e32 v64, v64, v65
	v_exp_f32_e32 v64, v64
	v_cvt_i32_f32_e32 v65, v80
	s_mov_b32 s8, 0xc2ce8ed0
	v_cmp_ngt_f32_e32 vcc, s8, v54
	s_mov_b32 s8, 0x42b17218
	v_ldexp_f32 v64, v64, v65
	v_cndmask_b32_e32 v64, 0, v64, vcc
	v_mov_b32_e32 v65, 0x7f800000
	v_cmp_nlt_f32_e32 vcc, s8, v54
	s_mov_b32 s8, 0x3f2aaaab
	s_mov_b32 s9, 0x7f800000
	v_cndmask_b32_e32 v84, v65, v64, vcc
	v_add_f32_e32 v54, 1.0, v84
	v_add_f32_e32 v64, -1.0, v54
	v_sub_f32_e32 v65, v64, v54
	v_add_f32_e32 v65, 1.0, v65
	v_sub_f32_e32 v64, v84, v64
	v_add_f32_e32 v80, v64, v65
	v_frexp_mant_f32_e32 v81, v54
	v_cvt_f64_f32_e32 v[64:65], v54
	v_frexp_exp_i32_f64_e32 v64, v[64:65]
	v_cmp_gt_f32_e32 vcc, s8, v81
	s_mov_b32 s8, 0x3f317218
	s_nop 0
	v_subbrev_co_u32_e32 v99, vcc, 0, v64, vcc
	v_sub_u32_e32 v64, 0, v99
	v_ldexp_f32 v54, v54, v64
	v_ldexp_f32 v64, v80, v64
	v_add_f32_e32 v80, -1.0, v54
	v_add_f32_e32 v65, 1.0, v80
	v_sub_f32_e32 v65, v54, v65
	v_add_f32_e32 v81, v64, v65
	v_add_f32_e32 v65, 1.0, v54
	v_add_f32_e32 v82, -1.0, v65
	v_sub_f32_e32 v54, v54, v82
	v_add_f32_e32 v54, v64, v54
	v_add_f32_e32 v102, v65, v54
	v_rcp_f32_e32 v103, v102
	v_sub_f32_e32 v64, v65, v102
	v_add_f32_e32 v65, v80, v81
	v_add_f32_e32 v54, v54, v64
	v_mul_f32_e32 v113, v65, v103
	v_sub_f32_e32 v64, v80, v65
	v_mul_f32_e32 v80, v102, v113
	v_fma_f32 v82, v113, v102, -v80
	v_fmac_f32_e32 v82, v113, v54
	v_add_f32_e32 v112, v81, v64
	v_add_f32_e32 v64, v80, v82
	v_sub_f32_e32 v81, v65, v64
	v_pk_add_f32 v[100:101], v[64:65], v[80:81] neg_lo:[0,1] neg_hi:[0,1]
	v_mov_b32_e32 v83, v64
	v_pk_add_f32 v[64:65], v[100:101], v[82:83] neg_lo:[0,1] neg_hi:[0,1]
	v_cmp_eq_f32_e32 vcc, s9, v84
	v_add_f32_e32 v65, v112, v65
	v_add_f32_e32 v64, v64, v65
	;; [unrolled: 1-line block ×3, first 2 shown]
	v_mul_f32_e32 v112, v103, v65
	v_mul_f32_e32 v80, v102, v112
	v_fma_f32 v82, v112, v102, -v80
	v_fmac_f32_e32 v82, v112, v54
	v_sub_f32_e32 v54, v81, v65
	v_add_f32_e32 v54, v64, v54
	v_add_f32_e32 v64, v80, v82
	v_sub_f32_e32 v81, v65, v64
	v_pk_add_f32 v[100:101], v[64:65], v[80:81] neg_lo:[0,1] neg_hi:[0,1]
	v_mov_b32_e32 v83, v64
	v_pk_add_f32 v[64:65], v[100:101], v[82:83] neg_lo:[0,1] neg_hi:[0,1]
	v_cvt_f32_i32_e32 v80, v99
	v_add_f32_e32 v54, v54, v65
	v_add_f32_e32 v54, v64, v54
	;; [unrolled: 1-line block ×4, first 2 shown]
	v_sub_f32_e32 v65, v64, v113
	v_mul_f32_e32 v54, v103, v54
	v_sub_f32_e32 v65, v112, v65
	v_add_f32_e32 v54, v65, v54
	v_add_f32_e32 v81, v64, v54
	v_mul_f32_e32 v82, v81, v81
	v_mov_b32_e32 v65, 0x3ecc95a3
	v_fmac_f32_e32 v65, 0x3e9b6dac, v82
	v_sub_f32_e32 v64, v81, v64
	v_fmaak_f32 v65, v82, v65, 0x3f2aaada
	v_sub_f32_e32 v54, v54, v64
	v_ldexp_f32 v83, v81, 1
	v_mul_f32_e32 v81, v81, v82
	v_mov_b32_e32 v64, 0x3f317218
	v_pk_mul_f32 v[64:65], v[80:81], v[64:65]
	v_ldexp_f32 v54, v54, 1
	v_fma_f32 v81, v80, s8, -v64
	v_fmamk_f32 v82, v80, 0xb102e308, v81
	v_pk_add_f32 v[80:81], v[64:65], v[82:83]
	v_mov_b32_e32 v100, v64
	v_sub_f32_e32 v83, v81, v83
	v_sub_f32_e32 v83, v65, v83
	v_add_f32_e32 v101, v54, v83
	v_pk_add_f32 v[64:65], v[80:81], v[64:65] neg_lo:[0,1] neg_hi:[0,1]
	v_pk_add_f32 v[102:103], v[80:81], v[100:101]
	v_mov_b32_e32 v83, v80
	v_mov_b32_e32 v65, v103
	v_pk_add_f32 v[112:113], v[82:83], v[64:65] neg_lo:[0,1] neg_hi:[0,1]
	v_pk_add_f32 v[64:65], v[82:83], v[64:65]
	s_mov_b32 s8, 0x33800000
	v_mov_b32_e32 v54, v65
	v_pk_add_f32 v[82:83], v[54:55], v[80:81] neg_lo:[0,1] neg_hi:[0,1]
	v_mov_b32_e32 v64, v103
	v_mov_b32_e32 v83, v82
	v_pk_add_f32 v[114:115], v[102:103], v[82:83] neg_lo:[0,1] neg_hi:[0,1]
	v_mov_b32_e32 v102, v81
	v_mov_b32_e32 v103, v82
	;; [unrolled: 1-line block ×3, first 2 shown]
	v_pk_add_f32 v[64:65], v[64:65], v[102:103] neg_lo:[0,1] neg_hi:[0,1]
	v_mov_b32_e32 v82, v101
	v_mov_b32_e32 v83, v80
	v_pk_add_f32 v[64:65], v[82:83], v[64:65] neg_lo:[0,1] neg_hi:[0,1]
	v_mov_b32_e32 v114, v112
	v_pk_add_f32 v[80:81], v[114:115], v[64:65]
	v_cmp_lt_f32_e64 s[8:9], |v84|, s8
	v_mov_b32_e32 v82, v81
	v_pk_add_f32 v[82:83], v[80:81], v[82:83]
	s_or_b64 vcc, vcc, s[8:9]
	v_pk_add_f32 v[100:101], v[54:55], v[82:83]
	v_mov_b32_e32 v65, v82
	v_mov_b32_e32 v81, v100
	v_pk_add_f32 v[102:103], v[80:81], v[112:113] neg_lo:[0,1] neg_hi:[0,1]
	s_nop 0
	v_sub_f32_e32 v54, v80, v102
	v_pk_add_f32 v[64:65], v[64:65], v[102:103] neg_lo:[0,1] neg_hi:[0,1]
	v_sub_f32_e32 v54, v112, v54
	v_add_f32_e32 v54, v64, v54
	v_add_f32_e32 v54, v54, v65
	;; [unrolled: 1-line block ×3, first 2 shown]
	v_cndmask_b32_e32 v54, v54, v84, vcc
	v_add_f32_e32 v54, v55, v54
	v_cvt_f16_f32_e32 v99, v54
	v_cvt_f32_f16_e32 v100, v99
	v_mov_b32_e32 v54, v99
.LBB428_252:
	s_or_b64 exec, exec, s[6:7]
	v_max_f32_e32 v55, v85, v85
	v_max_f32_e32 v65, v100, v100
	v_min_f32_e32 v64, v65, v55
	v_cmp_u_f16_e32 vcc, v99, v99
	v_max_f32_e32 v55, v65, v55
	s_movk_i32 s8, 0x1f8
	v_cndmask_b32_e32 v64, v64, v100, vcc
	v_cndmask_b32_e32 v55, v55, v100, vcc
	v_cndmask_b32_e64 v64, v64, v85, s[42:43]
	v_cndmask_b32_e64 v55, v55, v85, s[42:43]
	v_cmp_neq_f32_e32 vcc, v64, v55
	v_cmp_class_f32_e64 s[6:7], v64, s8
	s_or_b64 s[10:11], vcc, s[6:7]
	v_mov_b32_e32 v80, v54
	s_and_saveexec_b64 s[6:7], s[10:11]
	s_cbranch_execz .LBB428_254
; %bb.253:
	v_sub_f32_e32 v64, v64, v55
	s_mov_b32 s9, 0x3fb8aa3b
	v_mul_f32_e32 v65, 0x3fb8aa3b, v64
	v_fma_f32 v80, v64, s9, -v65
	v_rndne_f32_e32 v81, v65
	v_fmamk_f32 v80, v64, 0x32a5705f, v80
	v_sub_f32_e32 v65, v65, v81
	v_add_f32_e32 v65, v65, v80
	v_exp_f32_e32 v65, v65
	v_cvt_i32_f32_e32 v80, v81
	s_mov_b32 s9, 0xc2ce8ed0
	v_cmp_ngt_f32_e32 vcc, s9, v64
	s_mov_b32 s9, 0x42b17218
	v_ldexp_f32 v65, v65, v80
	v_cndmask_b32_e32 v65, 0, v65, vcc
	v_mov_b32_e32 v80, 0x7f800000
	v_cmp_nlt_f32_e32 vcc, s9, v64
	s_mov_b32 s9, 0x3f2aaaab
	s_mov_b32 s10, 0x7f800000
	v_cndmask_b32_e32 v99, v80, v65, vcc
	v_add_f32_e32 v80, 1.0, v99
	v_add_f32_e32 v64, -1.0, v80
	v_sub_f32_e32 v65, v64, v80
	v_add_f32_e32 v65, 1.0, v65
	v_sub_f32_e32 v64, v99, v64
	v_add_f32_e32 v81, v64, v65
	v_frexp_mant_f32_e32 v82, v80
	v_cvt_f64_f32_e32 v[64:65], v80
	v_frexp_exp_i32_f64_e32 v64, v[64:65]
	v_cmp_gt_f32_e32 vcc, s9, v82
	s_mov_b32 s9, 0x3f317218
	s_nop 0
	v_subbrev_co_u32_e32 v100, vcc, 0, v64, vcc
	v_sub_u32_e32 v64, 0, v100
	v_ldexp_f32 v65, v80, v64
	v_add_f32_e32 v80, -1.0, v65
	v_add_f32_e32 v82, 1.0, v65
	v_ldexp_f32 v64, v81, v64
	v_add_f32_e32 v81, 1.0, v80
	v_add_f32_e32 v83, -1.0, v82
	v_sub_f32_e32 v81, v65, v81
	v_sub_f32_e32 v65, v65, v83
	v_add_f32_e32 v81, v64, v81
	v_add_f32_e32 v64, v64, v65
	;; [unrolled: 1-line block ×3, first 2 shown]
	v_rcp_f32_e32 v103, v101
	v_sub_f32_e32 v65, v82, v101
	v_add_f32_e32 v102, v64, v65
	v_add_f32_e32 v65, v80, v81
	v_mul_f32_e32 v113, v65, v103
	v_sub_f32_e32 v64, v80, v65
	v_mul_f32_e32 v80, v101, v113
	v_fma_f32 v82, v113, v101, -v80
	v_fmac_f32_e32 v82, v113, v102
	v_add_f32_e32 v112, v81, v64
	v_add_f32_e32 v64, v80, v82
	v_sub_f32_e32 v81, v65, v64
	v_pk_add_f32 v[84:85], v[64:65], v[80:81] neg_lo:[0,1] neg_hi:[0,1]
	v_mov_b32_e32 v83, v64
	v_pk_add_f32 v[64:65], v[84:85], v[82:83] neg_lo:[0,1] neg_hi:[0,1]
	v_cmp_eq_f32_e32 vcc, s10, v99
	v_add_f32_e32 v65, v112, v65
	v_add_f32_e32 v64, v64, v65
	;; [unrolled: 1-line block ×3, first 2 shown]
	v_mul_f32_e32 v112, v103, v65
	v_mul_f32_e32 v80, v101, v112
	v_fma_f32 v82, v112, v101, -v80
	v_fmac_f32_e32 v82, v112, v102
	v_sub_f32_e32 v81, v81, v65
	v_add_f32_e32 v101, v64, v81
	v_add_f32_e32 v64, v80, v82
	v_sub_f32_e32 v81, v65, v64
	v_pk_add_f32 v[84:85], v[64:65], v[80:81] neg_lo:[0,1] neg_hi:[0,1]
	v_mov_b32_e32 v83, v64
	v_pk_add_f32 v[64:65], v[84:85], v[82:83] neg_lo:[0,1] neg_hi:[0,1]
	v_cvt_f32_i32_e32 v80, v100
	v_add_f32_e32 v65, v101, v65
	v_add_f32_e32 v64, v64, v65
	;; [unrolled: 1-line block ×4, first 2 shown]
	v_sub_f32_e32 v65, v81, v113
	v_mul_f32_e32 v64, v103, v64
	v_sub_f32_e32 v65, v112, v65
	v_add_f32_e32 v64, v65, v64
	v_add_f32_e32 v82, v81, v64
	v_mul_f32_e32 v84, v82, v82
	v_mov_b32_e32 v65, 0x3ecc95a3
	v_sub_f32_e32 v81, v82, v81
	v_fmac_f32_e32 v65, 0x3e9b6dac, v84
	v_sub_f32_e32 v64, v64, v81
	v_fmaak_f32 v65, v84, v65, 0x3f2aaada
	v_ldexp_f32 v85, v64, 1
	v_mul_f32_e32 v81, v82, v84
	v_mov_b32_e32 v64, 0x3f317218
	v_pk_mul_f32 v[64:65], v[80:81], v[64:65]
	v_ldexp_f32 v83, v82, 1
	v_fma_f32 v81, v80, s9, -v64
	v_fmamk_f32 v82, v80, 0xb102e308, v81
	v_pk_add_f32 v[80:81], v[64:65], v[82:83]
	v_mov_b32_e32 v84, v64
	v_sub_f32_e32 v83, v81, v83
	v_sub_f32_e32 v83, v65, v83
	v_add_f32_e32 v85, v85, v83
	v_pk_add_f32 v[64:65], v[80:81], v[64:65] neg_lo:[0,1] neg_hi:[0,1]
	v_pk_add_f32 v[100:101], v[80:81], v[84:85]
	v_mov_b32_e32 v83, v80
	v_mov_b32_e32 v65, v101
	v_pk_add_f32 v[102:103], v[82:83], v[64:65] neg_lo:[0,1] neg_hi:[0,1]
	v_pk_add_f32 v[64:65], v[82:83], v[64:65]
	v_mov_b32_e32 v84, v85
	v_mov_b32_e32 v82, v65
	v_pk_add_f32 v[112:113], v[82:83], v[80:81] neg_lo:[0,1] neg_hi:[0,1]
	v_mov_b32_e32 v64, v101
	v_mov_b32_e32 v83, v112
	v_pk_add_f32 v[114:115], v[100:101], v[82:83] neg_lo:[0,1] neg_hi:[0,1]
	v_mov_b32_e32 v100, v81
	v_mov_b32_e32 v101, v112
	;; [unrolled: 1-line block ×3, first 2 shown]
	v_pk_add_f32 v[64:65], v[64:65], v[100:101] neg_lo:[0,1] neg_hi:[0,1]
	v_mov_b32_e32 v85, v80
	v_pk_add_f32 v[64:65], v[84:85], v[64:65] neg_lo:[0,1] neg_hi:[0,1]
	v_mov_b32_e32 v114, v102
	v_pk_add_f32 v[80:81], v[114:115], v[64:65]
	s_mov_b32 s9, 0x33800000
	v_mov_b32_e32 v84, v81
	v_pk_add_f32 v[84:85], v[80:81], v[84:85]
	v_cmp_lt_f32_e64 s[10:11], |v99|, s9
	v_pk_add_f32 v[82:83], v[82:83], v[84:85]
	v_mov_b32_e32 v65, v84
	v_mov_b32_e32 v81, v82
	v_pk_add_f32 v[100:101], v[80:81], v[102:103] neg_lo:[0,1] neg_hi:[0,1]
	s_or_b64 vcc, vcc, s[10:11]
	v_sub_f32_e32 v80, v80, v100
	v_pk_add_f32 v[64:65], v[64:65], v[100:101] neg_lo:[0,1] neg_hi:[0,1]
	v_sub_f32_e32 v80, v102, v80
	v_add_f32_e32 v64, v64, v80
	v_add_f32_e32 v64, v64, v65
	;; [unrolled: 1-line block ×3, first 2 shown]
	v_cndmask_b32_e32 v64, v64, v99, vcc
	v_add_f32_e32 v55, v55, v64
	v_cvt_f16_f32_e32 v99, v55
	v_cvt_f32_f16_e32 v100, v99
	v_mov_b32_e32 v80, v99
.LBB428_254:
	s_or_b64 exec, exec, s[6:7]
	v_max_f32_e32 v55, v86, v86
	v_max_f32_e32 v64, v100, v100
	v_min_f32_e32 v65, v64, v55
	v_cmp_u_f16_e32 vcc, v99, v99
	v_max_f32_e32 v55, v64, v55
	s_nop 0
	v_cndmask_b32_e32 v65, v65, v100, vcc
	v_cndmask_b32_e32 v55, v55, v100, vcc
	v_cndmask_b32_e64 v65, v65, v86, s[44:45]
	v_cndmask_b32_e64 v64, v55, v86, s[44:45]
	v_cmp_neq_f32_e32 vcc, v65, v64
	v_cmp_class_f32_e64 s[6:7], v65, s8
	s_or_b64 s[8:9], vcc, s[6:7]
	v_mov_b32_e32 v55, v80
	s_and_saveexec_b64 s[6:7], s[8:9]
	s_cbranch_execz .LBB428_256
; %bb.255:
	v_sub_f32_e32 v55, v65, v64
	s_mov_b32 s8, 0x3fb8aa3b
	v_mul_f32_e32 v65, 0x3fb8aa3b, v55
	v_fma_f32 v81, v55, s8, -v65
	v_rndne_f32_e32 v82, v65
	v_fmamk_f32 v81, v55, 0x32a5705f, v81
	v_sub_f32_e32 v65, v65, v82
	v_add_f32_e32 v65, v65, v81
	v_exp_f32_e32 v65, v65
	v_cvt_i32_f32_e32 v81, v82
	s_mov_b32 s8, 0xc2ce8ed0
	v_cmp_ngt_f32_e32 vcc, s8, v55
	s_mov_b32 s8, 0x42b17218
	v_ldexp_f32 v65, v65, v81
	v_cndmask_b32_e32 v65, 0, v65, vcc
	v_mov_b32_e32 v81, 0x7f800000
	v_cmp_nlt_f32_e32 vcc, s8, v55
	s_mov_b32 s8, 0x3f2aaaab
	s_mov_b32 s9, 0x7f800000
	v_cndmask_b32_e32 v65, v81, v65, vcc
	v_add_f32_e32 v55, 1.0, v65
	v_add_f32_e32 v81, -1.0, v55
	v_sub_f32_e32 v82, v81, v55
	v_add_f32_e32 v82, 1.0, v82
	v_sub_f32_e32 v81, v65, v81
	v_add_f32_e32 v81, v81, v82
	v_frexp_mant_f32_e32 v84, v55
	v_cvt_f64_f32_e32 v[82:83], v55
	v_frexp_exp_i32_f64_e32 v82, v[82:83]
	v_cmp_gt_f32_e32 vcc, s8, v84
	s_mov_b32 s8, 0x3f317218
	s_nop 0
	v_subbrev_co_u32_e32 v86, vcc, 0, v82, vcc
	v_sub_u32_e32 v82, 0, v86
	v_ldexp_f32 v55, v55, v82
	v_ldexp_f32 v81, v81, v82
	v_add_f32_e32 v82, -1.0, v55
	v_add_f32_e32 v83, 1.0, v82
	v_sub_f32_e32 v83, v55, v83
	v_add_f32_e32 v84, v81, v83
	v_add_f32_e32 v83, 1.0, v55
	v_add_f32_e32 v85, -1.0, v83
	v_sub_f32_e32 v55, v55, v85
	v_add_f32_e32 v55, v81, v55
	v_add_f32_e32 v81, v83, v55
	v_rcp_f32_e32 v99, v81
	v_sub_f32_e32 v83, v83, v81
	v_add_f32_e32 v55, v55, v83
	v_add_f32_e32 v83, v82, v84
	v_sub_f32_e32 v82, v82, v83
	v_mul_f32_e32 v113, v83, v99
	v_add_f32_e32 v112, v84, v82
	v_mul_f32_e32 v84, v81, v113
	v_fma_f32 v100, v113, v81, -v84
	v_fmac_f32_e32 v100, v113, v55
	v_add_f32_e32 v82, v84, v100
	v_sub_f32_e32 v85, v83, v82
	v_pk_add_f32 v[102:103], v[82:83], v[84:85] neg_lo:[0,1] neg_hi:[0,1]
	v_mov_b32_e32 v101, v82
	v_pk_add_f32 v[82:83], v[102:103], v[100:101] neg_lo:[0,1] neg_hi:[0,1]
	v_cmp_eq_f32_e32 vcc, s9, v65
	v_add_f32_e32 v83, v112, v83
	v_add_f32_e32 v82, v82, v83
	;; [unrolled: 1-line block ×3, first 2 shown]
	v_mul_f32_e32 v112, v99, v83
	v_mul_f32_e32 v84, v81, v112
	v_fma_f32 v100, v112, v81, -v84
	v_fmac_f32_e32 v100, v112, v55
	v_sub_f32_e32 v55, v85, v83
	v_add_f32_e32 v55, v82, v55
	v_add_f32_e32 v82, v84, v100
	v_sub_f32_e32 v85, v83, v82
	v_pk_add_f32 v[102:103], v[82:83], v[84:85] neg_lo:[0,1] neg_hi:[0,1]
	v_mov_b32_e32 v101, v82
	v_pk_add_f32 v[82:83], v[102:103], v[100:101] neg_lo:[0,1] neg_hi:[0,1]
	v_add_f32_e32 v81, v113, v112
	v_add_f32_e32 v55, v55, v83
	;; [unrolled: 1-line block ×4, first 2 shown]
	v_sub_f32_e32 v82, v81, v113
	v_mul_f32_e32 v55, v99, v55
	v_sub_f32_e32 v82, v112, v82
	v_add_f32_e32 v55, v82, v55
	v_add_f32_e32 v82, v81, v55
	v_cvt_f32_i32_e32 v84, v86
	v_mul_f32_e32 v85, v82, v82
	v_mov_b32_e32 v83, 0x3ecc95a3
	v_fmac_f32_e32 v83, 0x3e9b6dac, v85
	v_fmaak_f32 v83, v85, v83, 0x3f2aaada
	v_sub_f32_e32 v81, v82, v81
	v_ldexp_f32 v101, v82, 1
	v_mul_f32_e32 v85, v82, v85
	v_mov_b32_e32 v82, 0x3f317218
	v_pk_mul_f32 v[82:83], v[84:85], v[82:83]
	v_sub_f32_e32 v55, v55, v81
	v_fma_f32 v81, v84, s8, -v82
	v_fmamk_f32 v100, v84, 0xb102e308, v81
	v_pk_add_f32 v[84:85], v[82:83], v[100:101]
	v_ldexp_f32 v55, v55, 1
	v_sub_f32_e32 v81, v85, v101
	v_sub_f32_e32 v81, v83, v81
	v_add_f32_e32 v103, v55, v81
	v_mov_b32_e32 v102, v82
	v_pk_add_f32 v[82:83], v[84:85], v[82:83] neg_lo:[0,1] neg_hi:[0,1]
	v_pk_add_f32 v[112:113], v[84:85], v[102:103]
	v_mov_b32_e32 v101, v84
	v_mov_b32_e32 v83, v113
	v_pk_add_f32 v[114:115], v[100:101], v[82:83] neg_lo:[0,1] neg_hi:[0,1]
	v_pk_add_f32 v[82:83], v[100:101], v[82:83]
	s_mov_b32 s8, 0x33800000
	v_mov_b32_e32 v86, v83
	v_pk_add_f32 v[100:101], v[86:87], v[84:85] neg_lo:[0,1] neg_hi:[0,1]
	v_mov_b32_e32 v82, v113
	v_mov_b32_e32 v55, v100
	v_pk_add_f32 v[116:117], v[112:113], v[54:55] neg_lo:[0,1] neg_hi:[0,1]
	v_mov_b32_e32 v112, v85
	v_mov_b32_e32 v113, v100
	v_mov_b32_e32 v115, v83
	v_pk_add_f32 v[82:83], v[82:83], v[112:113] neg_lo:[0,1] neg_hi:[0,1]
	v_mov_b32_e32 v100, v103
	v_mov_b32_e32 v101, v84
	v_pk_add_f32 v[82:83], v[100:101], v[82:83] neg_lo:[0,1] neg_hi:[0,1]
	v_mov_b32_e32 v116, v114
	v_pk_add_f32 v[84:85], v[116:117], v[82:83]
	v_cmp_lt_f32_e64 s[8:9], |v65|, s8
	v_mov_b32_e32 v100, v85
	v_pk_add_f32 v[100:101], v[84:85], v[100:101]
	s_or_b64 vcc, vcc, s[8:9]
	v_pk_add_f32 v[102:103], v[86:87], v[100:101]
	v_mov_b32_e32 v83, v100
	v_mov_b32_e32 v85, v102
	v_pk_add_f32 v[112:113], v[84:85], v[114:115] neg_lo:[0,1] neg_hi:[0,1]
	s_nop 0
	v_sub_f32_e32 v55, v84, v112
	v_pk_add_f32 v[82:83], v[82:83], v[112:113] neg_lo:[0,1] neg_hi:[0,1]
	v_sub_f32_e32 v55, v114, v55
	v_add_f32_e32 v55, v82, v55
	v_add_f32_e32 v55, v55, v83
	;; [unrolled: 1-line block ×3, first 2 shown]
	v_cndmask_b32_e32 v55, v55, v65, vcc
	v_add_f32_e32 v55, v64, v55
	v_cvt_f16_f32_e32 v99, v55
	v_cvt_f32_f16_e32 v100, v99
	v_mov_b32_e32 v55, v99
.LBB428_256:
	s_or_b64 exec, exec, s[6:7]
	v_max_f32_e32 v64, v87, v87
	v_max_f32_e32 v81, v100, v100
	v_min_f32_e32 v65, v81, v64
	v_cmp_u_f16_e32 vcc, v99, v99
	v_max_f32_e32 v64, v81, v64
	s_movk_i32 s8, 0x1f8
	v_cndmask_b32_e32 v65, v65, v100, vcc
	v_cndmask_b32_e32 v64, v64, v100, vcc
	v_cndmask_b32_e64 v65, v65, v87, s[46:47]
	v_cndmask_b32_e64 v64, v64, v87, s[46:47]
	v_cmp_neq_f32_e32 vcc, v65, v64
	v_cmp_class_f32_e64 s[6:7], v65, s8
	s_or_b64 s[10:11], vcc, s[6:7]
	v_mov_b32_e32 v81, v55
	s_and_saveexec_b64 s[6:7], s[10:11]
	s_cbranch_execz .LBB428_258
; %bb.257:
	v_sub_f32_e32 v65, v65, v64
	s_mov_b32 s9, 0x3fb8aa3b
	v_mul_f32_e32 v81, 0x3fb8aa3b, v65
	v_fma_f32 v82, v65, s9, -v81
	v_rndne_f32_e32 v83, v81
	v_fmamk_f32 v82, v65, 0x32a5705f, v82
	v_sub_f32_e32 v81, v81, v83
	v_add_f32_e32 v81, v81, v82
	v_exp_f32_e32 v81, v81
	v_cvt_i32_f32_e32 v82, v83
	s_mov_b32 s9, 0xc2ce8ed0
	v_cmp_ngt_f32_e32 vcc, s9, v65
	s_mov_b32 s9, 0x42b17218
	v_ldexp_f32 v81, v81, v82
	v_cndmask_b32_e32 v81, 0, v81, vcc
	v_mov_b32_e32 v82, 0x7f800000
	v_cmp_nlt_f32_e32 vcc, s9, v65
	s_mov_b32 s9, 0x3f2aaaab
	s_mov_b32 s10, 0x7f800000
	v_cndmask_b32_e32 v81, v82, v81, vcc
	v_add_f32_e32 v65, 1.0, v81
	v_add_f32_e32 v82, -1.0, v65
	v_sub_f32_e32 v83, v82, v65
	v_add_f32_e32 v83, 1.0, v83
	v_sub_f32_e32 v82, v81, v82
	v_add_f32_e32 v84, v82, v83
	v_frexp_mant_f32_e32 v85, v65
	v_cvt_f64_f32_e32 v[82:83], v65
	v_frexp_exp_i32_f64_e32 v82, v[82:83]
	v_cmp_gt_f32_e32 vcc, s9, v85
	s_mov_b32 s9, 0x3f317218
	s_nop 0
	v_subbrev_co_u32_e32 v99, vcc, 0, v82, vcc
	v_sub_u32_e32 v82, 0, v99
	v_ldexp_f32 v65, v65, v82
	v_ldexp_f32 v82, v84, v82
	v_add_f32_e32 v84, -1.0, v65
	v_add_f32_e32 v83, 1.0, v84
	v_sub_f32_e32 v83, v65, v83
	v_add_f32_e32 v85, v82, v83
	v_add_f32_e32 v83, 1.0, v65
	v_add_f32_e32 v86, -1.0, v83
	v_sub_f32_e32 v65, v65, v86
	v_add_f32_e32 v65, v82, v65
	v_add_f32_e32 v102, v83, v65
	v_rcp_f32_e32 v103, v102
	v_sub_f32_e32 v82, v83, v102
	v_add_f32_e32 v83, v84, v85
	v_add_f32_e32 v65, v65, v82
	v_mul_f32_e32 v113, v83, v103
	v_sub_f32_e32 v82, v84, v83
	v_mul_f32_e32 v84, v102, v113
	v_fma_f32 v86, v113, v102, -v84
	v_fmac_f32_e32 v86, v113, v65
	v_add_f32_e32 v112, v85, v82
	v_add_f32_e32 v82, v84, v86
	v_sub_f32_e32 v85, v83, v82
	v_pk_add_f32 v[100:101], v[82:83], v[84:85] neg_lo:[0,1] neg_hi:[0,1]
	v_mov_b32_e32 v87, v82
	v_pk_add_f32 v[82:83], v[100:101], v[86:87] neg_lo:[0,1] neg_hi:[0,1]
	v_cmp_eq_f32_e32 vcc, s10, v81
	v_add_f32_e32 v83, v112, v83
	v_add_f32_e32 v82, v82, v83
	;; [unrolled: 1-line block ×3, first 2 shown]
	v_mul_f32_e32 v112, v103, v83
	v_mul_f32_e32 v84, v102, v112
	v_fma_f32 v86, v112, v102, -v84
	v_fmac_f32_e32 v86, v112, v65
	v_sub_f32_e32 v65, v85, v83
	v_add_f32_e32 v65, v82, v65
	v_add_f32_e32 v82, v84, v86
	v_sub_f32_e32 v85, v83, v82
	v_pk_add_f32 v[100:101], v[82:83], v[84:85] neg_lo:[0,1] neg_hi:[0,1]
	v_mov_b32_e32 v87, v82
	v_pk_add_f32 v[82:83], v[100:101], v[86:87] neg_lo:[0,1] neg_hi:[0,1]
	v_cvt_f32_i32_e32 v84, v99
	v_add_f32_e32 v65, v65, v83
	v_add_f32_e32 v65, v82, v65
	v_add_f32_e32 v82, v113, v112
	v_add_f32_e32 v65, v85, v65
	v_sub_f32_e32 v83, v82, v113
	v_mul_f32_e32 v65, v103, v65
	v_sub_f32_e32 v83, v112, v83
	v_add_f32_e32 v65, v83, v65
	v_add_f32_e32 v85, v82, v65
	v_mul_f32_e32 v86, v85, v85
	v_mov_b32_e32 v83, 0x3ecc95a3
	v_fmac_f32_e32 v83, 0x3e9b6dac, v86
	v_sub_f32_e32 v82, v85, v82
	v_fmaak_f32 v83, v86, v83, 0x3f2aaada
	v_sub_f32_e32 v65, v65, v82
	v_ldexp_f32 v87, v85, 1
	v_mul_f32_e32 v85, v85, v86
	v_mov_b32_e32 v82, 0x3f317218
	v_pk_mul_f32 v[82:83], v[84:85], v[82:83]
	v_ldexp_f32 v65, v65, 1
	v_fma_f32 v85, v84, s9, -v82
	v_fmamk_f32 v86, v84, 0xb102e308, v85
	v_pk_add_f32 v[84:85], v[82:83], v[86:87]
	v_mov_b32_e32 v100, v82
	v_sub_f32_e32 v87, v85, v87
	v_sub_f32_e32 v87, v83, v87
	v_add_f32_e32 v101, v65, v87
	v_pk_add_f32 v[82:83], v[84:85], v[82:83] neg_lo:[0,1] neg_hi:[0,1]
	v_pk_add_f32 v[102:103], v[84:85], v[100:101]
	v_mov_b32_e32 v87, v84
	v_mov_b32_e32 v83, v103
	v_pk_add_f32 v[112:113], v[86:87], v[82:83] neg_lo:[0,1] neg_hi:[0,1]
	v_pk_add_f32 v[82:83], v[86:87], v[82:83]
	v_mov_b32_e32 v100, v101
	v_mov_b32_e32 v86, v83
	v_pk_add_f32 v[114:115], v[86:87], v[84:85] neg_lo:[0,1] neg_hi:[0,1]
	v_mov_b32_e32 v82, v103
	v_mov_b32_e32 v65, v114
	v_pk_add_f32 v[116:117], v[102:103], v[64:65] neg_lo:[0,1] neg_hi:[0,1]
	v_mov_b32_e32 v102, v85
	v_mov_b32_e32 v103, v114
	;; [unrolled: 1-line block ×3, first 2 shown]
	v_pk_add_f32 v[82:83], v[82:83], v[102:103] neg_lo:[0,1] neg_hi:[0,1]
	v_mov_b32_e32 v101, v84
	v_pk_add_f32 v[82:83], v[100:101], v[82:83] neg_lo:[0,1] neg_hi:[0,1]
	v_mov_b32_e32 v116, v112
	v_pk_add_f32 v[84:85], v[116:117], v[82:83]
	s_mov_b32 s9, 0x33800000
	v_mov_b32_e32 v100, v85
	v_pk_add_f32 v[100:101], v[84:85], v[100:101]
	v_cmp_lt_f32_e64 s[10:11], |v81|, s9
	v_pk_add_f32 v[86:87], v[86:87], v[100:101]
	v_mov_b32_e32 v83, v100
	v_mov_b32_e32 v85, v86
	v_pk_add_f32 v[102:103], v[84:85], v[112:113] neg_lo:[0,1] neg_hi:[0,1]
	s_or_b64 vcc, vcc, s[10:11]
	v_sub_f32_e32 v65, v84, v102
	v_pk_add_f32 v[82:83], v[82:83], v[102:103] neg_lo:[0,1] neg_hi:[0,1]
	v_sub_f32_e32 v65, v112, v65
	v_add_f32_e32 v65, v82, v65
	v_add_f32_e32 v65, v65, v83
	;; [unrolled: 1-line block ×3, first 2 shown]
	v_cndmask_b32_e32 v65, v65, v81, vcc
	v_add_f32_e32 v64, v64, v65
	v_cvt_f16_f32_e32 v99, v64
	v_cvt_f32_f16_e32 v100, v99
	v_mov_b32_e32 v81, v99
.LBB428_258:
	s_or_b64 exec, exec, s[6:7]
	v_max_f32_e32 v64, v96, v96
	v_max_f32_e32 v65, v100, v100
	v_min_f32_e32 v82, v65, v64
	v_cmp_u_f16_e32 vcc, v99, v99
	v_max_f32_e32 v64, v65, v64
	s_nop 0
	v_cndmask_b32_e32 v82, v82, v100, vcc
	v_cndmask_b32_e32 v64, v64, v100, vcc
	v_cndmask_b32_e64 v82, v82, v96, s[48:49]
	v_cndmask_b32_e64 v65, v64, v96, s[48:49]
	v_cmp_neq_f32_e32 vcc, v82, v65
	v_cmp_class_f32_e64 s[6:7], v82, s8
	s_or_b64 s[8:9], vcc, s[6:7]
	v_mov_b32_e32 v64, v81
	s_and_saveexec_b64 s[6:7], s[8:9]
	s_cbranch_execz .LBB428_260
; %bb.259:
	v_sub_f32_e32 v64, v82, v65
	s_mov_b32 s8, 0x3fb8aa3b
	v_mul_f32_e32 v82, 0x3fb8aa3b, v64
	v_fma_f32 v83, v64, s8, -v82
	v_rndne_f32_e32 v84, v82
	v_fmamk_f32 v83, v64, 0x32a5705f, v83
	v_sub_f32_e32 v82, v82, v84
	v_add_f32_e32 v82, v82, v83
	v_exp_f32_e32 v82, v82
	v_cvt_i32_f32_e32 v83, v84
	s_mov_b32 s8, 0xc2ce8ed0
	v_cmp_ngt_f32_e32 vcc, s8, v64
	s_mov_b32 s8, 0x42b17218
	v_ldexp_f32 v82, v82, v83
	v_cndmask_b32_e32 v82, 0, v82, vcc
	v_mov_b32_e32 v83, 0x7f800000
	v_cmp_nlt_f32_e32 vcc, s8, v64
	s_mov_b32 s8, 0x3f2aaaab
	s_mov_b32 s9, 0x7f800000
	v_cndmask_b32_e32 v96, v83, v82, vcc
	v_add_f32_e32 v64, 1.0, v96
	v_add_f32_e32 v82, -1.0, v64
	v_sub_f32_e32 v83, v82, v64
	v_add_f32_e32 v83, 1.0, v83
	v_sub_f32_e32 v82, v96, v82
	v_add_f32_e32 v84, v82, v83
	v_frexp_mant_f32_e32 v85, v64
	v_cvt_f64_f32_e32 v[82:83], v64
	v_frexp_exp_i32_f64_e32 v82, v[82:83]
	v_cmp_gt_f32_e32 vcc, s8, v85
	s_mov_b32 s8, 0x3f317218
	s_nop 0
	v_subbrev_co_u32_e32 v99, vcc, 0, v82, vcc
	v_sub_u32_e32 v82, 0, v99
	v_ldexp_f32 v64, v64, v82
	v_ldexp_f32 v82, v84, v82
	v_add_f32_e32 v84, -1.0, v64
	v_add_f32_e32 v83, 1.0, v84
	v_sub_f32_e32 v83, v64, v83
	v_add_f32_e32 v85, v82, v83
	v_add_f32_e32 v83, 1.0, v64
	v_add_f32_e32 v86, -1.0, v83
	v_sub_f32_e32 v64, v64, v86
	v_add_f32_e32 v64, v82, v64
	v_add_f32_e32 v102, v83, v64
	v_rcp_f32_e32 v103, v102
	v_sub_f32_e32 v82, v83, v102
	v_add_f32_e32 v83, v84, v85
	v_add_f32_e32 v64, v64, v82
	v_mul_f32_e32 v113, v83, v103
	v_sub_f32_e32 v82, v84, v83
	v_mul_f32_e32 v84, v102, v113
	v_fma_f32 v86, v113, v102, -v84
	v_fmac_f32_e32 v86, v113, v64
	v_add_f32_e32 v112, v85, v82
	v_add_f32_e32 v82, v84, v86
	v_sub_f32_e32 v85, v83, v82
	v_pk_add_f32 v[100:101], v[82:83], v[84:85] neg_lo:[0,1] neg_hi:[0,1]
	v_mov_b32_e32 v87, v82
	v_pk_add_f32 v[82:83], v[100:101], v[86:87] neg_lo:[0,1] neg_hi:[0,1]
	v_cmp_eq_f32_e32 vcc, s9, v96
	v_add_f32_e32 v83, v112, v83
	v_add_f32_e32 v82, v82, v83
	;; [unrolled: 1-line block ×3, first 2 shown]
	v_mul_f32_e32 v112, v103, v83
	v_mul_f32_e32 v84, v102, v112
	v_fma_f32 v86, v112, v102, -v84
	v_fmac_f32_e32 v86, v112, v64
	v_sub_f32_e32 v64, v85, v83
	v_add_f32_e32 v64, v82, v64
	v_add_f32_e32 v82, v84, v86
	v_sub_f32_e32 v85, v83, v82
	v_pk_add_f32 v[100:101], v[82:83], v[84:85] neg_lo:[0,1] neg_hi:[0,1]
	v_mov_b32_e32 v87, v82
	v_pk_add_f32 v[82:83], v[100:101], v[86:87] neg_lo:[0,1] neg_hi:[0,1]
	v_cvt_f32_i32_e32 v84, v99
	v_add_f32_e32 v64, v64, v83
	v_add_f32_e32 v64, v82, v64
	;; [unrolled: 1-line block ×4, first 2 shown]
	v_sub_f32_e32 v83, v82, v113
	v_mul_f32_e32 v64, v103, v64
	v_sub_f32_e32 v83, v112, v83
	v_add_f32_e32 v64, v83, v64
	v_add_f32_e32 v85, v82, v64
	v_mul_f32_e32 v86, v85, v85
	v_mov_b32_e32 v83, 0x3ecc95a3
	v_fmac_f32_e32 v83, 0x3e9b6dac, v86
	v_sub_f32_e32 v82, v85, v82
	v_fmaak_f32 v83, v86, v83, 0x3f2aaada
	v_sub_f32_e32 v64, v64, v82
	v_ldexp_f32 v87, v85, 1
	v_mul_f32_e32 v85, v85, v86
	v_mov_b32_e32 v82, 0x3f317218
	v_pk_mul_f32 v[82:83], v[84:85], v[82:83]
	v_ldexp_f32 v64, v64, 1
	v_fma_f32 v85, v84, s8, -v82
	v_fmamk_f32 v86, v84, 0xb102e308, v85
	v_pk_add_f32 v[84:85], v[82:83], v[86:87]
	v_mov_b32_e32 v100, v82
	v_sub_f32_e32 v87, v85, v87
	v_sub_f32_e32 v87, v83, v87
	v_add_f32_e32 v101, v64, v87
	v_pk_add_f32 v[82:83], v[84:85], v[82:83] neg_lo:[0,1] neg_hi:[0,1]
	v_pk_add_f32 v[102:103], v[84:85], v[100:101]
	v_mov_b32_e32 v87, v84
	v_mov_b32_e32 v83, v103
	v_pk_add_f32 v[112:113], v[86:87], v[82:83] neg_lo:[0,1] neg_hi:[0,1]
	v_pk_add_f32 v[82:83], v[86:87], v[82:83]
	s_mov_b32 s8, 0x33800000
	v_mov_b32_e32 v64, v83
	v_pk_add_f32 v[86:87], v[64:65], v[84:85] neg_lo:[0,1] neg_hi:[0,1]
	v_mov_b32_e32 v82, v103
	v_mov_b32_e32 v87, v86
	v_pk_add_f32 v[114:115], v[102:103], v[86:87] neg_lo:[0,1] neg_hi:[0,1]
	v_mov_b32_e32 v102, v85
	v_mov_b32_e32 v103, v86
	;; [unrolled: 1-line block ×3, first 2 shown]
	v_pk_add_f32 v[82:83], v[82:83], v[102:103] neg_lo:[0,1] neg_hi:[0,1]
	v_mov_b32_e32 v86, v101
	v_mov_b32_e32 v87, v84
	v_pk_add_f32 v[82:83], v[86:87], v[82:83] neg_lo:[0,1] neg_hi:[0,1]
	v_mov_b32_e32 v114, v112
	v_pk_add_f32 v[84:85], v[114:115], v[82:83]
	v_cmp_lt_f32_e64 s[8:9], |v96|, s8
	v_mov_b32_e32 v86, v85
	v_pk_add_f32 v[86:87], v[84:85], v[86:87]
	s_or_b64 vcc, vcc, s[8:9]
	v_pk_add_f32 v[100:101], v[64:65], v[86:87]
	v_mov_b32_e32 v83, v86
	v_mov_b32_e32 v85, v100
	v_pk_add_f32 v[102:103], v[84:85], v[112:113] neg_lo:[0,1] neg_hi:[0,1]
	s_nop 0
	v_sub_f32_e32 v64, v84, v102
	v_pk_add_f32 v[82:83], v[82:83], v[102:103] neg_lo:[0,1] neg_hi:[0,1]
	v_sub_f32_e32 v64, v112, v64
	v_add_f32_e32 v64, v82, v64
	v_add_f32_e32 v64, v64, v83
	;; [unrolled: 1-line block ×3, first 2 shown]
	v_cndmask_b32_e32 v64, v64, v96, vcc
	v_add_f32_e32 v64, v65, v64
	v_cvt_f16_f32_e32 v99, v64
	v_cvt_f32_f16_e32 v100, v99
	v_mov_b32_e32 v64, v99
.LBB428_260:
	s_or_b64 exec, exec, s[6:7]
	v_max_f32_e32 v65, v97, v97
	v_max_f32_e32 v83, v100, v100
	v_min_f32_e32 v82, v83, v65
	v_cmp_u_f16_e32 vcc, v99, v99
	v_max_f32_e32 v65, v83, v65
	s_movk_i32 s8, 0x1f8
	v_cndmask_b32_e32 v82, v82, v100, vcc
	v_cndmask_b32_e32 v65, v65, v100, vcc
	v_cndmask_b32_e64 v82, v82, v97, s[50:51]
	v_cndmask_b32_e64 v65, v65, v97, s[50:51]
	v_cmp_neq_f32_e32 vcc, v82, v65
	v_cmp_class_f32_e64 s[6:7], v82, s8
	s_or_b64 s[10:11], vcc, s[6:7]
	v_mov_b32_e32 v83, v64
	s_and_saveexec_b64 s[6:7], s[10:11]
	s_cbranch_execz .LBB428_262
; %bb.261:
	v_sub_f32_e32 v82, v82, v65
	s_mov_b32 s9, 0x3fb8aa3b
	v_mul_f32_e32 v83, 0x3fb8aa3b, v82
	v_fma_f32 v84, v82, s9, -v83
	v_rndne_f32_e32 v85, v83
	v_fmamk_f32 v84, v82, 0x32a5705f, v84
	v_sub_f32_e32 v83, v83, v85
	v_add_f32_e32 v83, v83, v84
	v_exp_f32_e32 v83, v83
	v_cvt_i32_f32_e32 v84, v85
	s_mov_b32 s9, 0xc2ce8ed0
	v_cmp_ngt_f32_e32 vcc, s9, v82
	s_mov_b32 s9, 0x42b17218
	v_ldexp_f32 v83, v83, v84
	v_cndmask_b32_e32 v83, 0, v83, vcc
	v_mov_b32_e32 v84, 0x7f800000
	v_cmp_nlt_f32_e32 vcc, s9, v82
	s_mov_b32 s9, 0x3f2aaaab
	s_mov_b32 s10, 0x7f800000
	v_cndmask_b32_e32 v99, v84, v83, vcc
	v_add_f32_e32 v84, 1.0, v99
	v_add_f32_e32 v82, -1.0, v84
	v_sub_f32_e32 v83, v82, v84
	v_add_f32_e32 v83, 1.0, v83
	v_sub_f32_e32 v82, v99, v82
	v_add_f32_e32 v85, v82, v83
	v_frexp_mant_f32_e32 v86, v84
	v_cvt_f64_f32_e32 v[82:83], v84
	v_frexp_exp_i32_f64_e32 v82, v[82:83]
	v_cmp_gt_f32_e32 vcc, s9, v86
	s_mov_b32 s9, 0x3f317218
	s_nop 0
	v_subbrev_co_u32_e32 v100, vcc, 0, v82, vcc
	v_sub_u32_e32 v82, 0, v100
	v_ldexp_f32 v83, v84, v82
	v_add_f32_e32 v84, -1.0, v83
	v_add_f32_e32 v86, 1.0, v83
	v_ldexp_f32 v82, v85, v82
	v_add_f32_e32 v85, 1.0, v84
	v_add_f32_e32 v87, -1.0, v86
	v_sub_f32_e32 v85, v83, v85
	v_sub_f32_e32 v83, v83, v87
	v_add_f32_e32 v85, v82, v85
	v_add_f32_e32 v82, v82, v83
	;; [unrolled: 1-line block ×3, first 2 shown]
	v_rcp_f32_e32 v103, v101
	v_sub_f32_e32 v83, v86, v101
	v_add_f32_e32 v102, v82, v83
	v_add_f32_e32 v83, v84, v85
	v_mul_f32_e32 v113, v83, v103
	v_sub_f32_e32 v82, v84, v83
	v_mul_f32_e32 v84, v101, v113
	v_fma_f32 v86, v113, v101, -v84
	v_fmac_f32_e32 v86, v113, v102
	v_add_f32_e32 v112, v85, v82
	v_add_f32_e32 v82, v84, v86
	v_sub_f32_e32 v85, v83, v82
	v_pk_add_f32 v[96:97], v[82:83], v[84:85] neg_lo:[0,1] neg_hi:[0,1]
	v_mov_b32_e32 v87, v82
	v_pk_add_f32 v[82:83], v[96:97], v[86:87] neg_lo:[0,1] neg_hi:[0,1]
	v_cmp_eq_f32_e32 vcc, s10, v99
	v_add_f32_e32 v83, v112, v83
	v_add_f32_e32 v82, v82, v83
	;; [unrolled: 1-line block ×3, first 2 shown]
	v_mul_f32_e32 v112, v103, v83
	v_mul_f32_e32 v84, v101, v112
	v_fma_f32 v86, v112, v101, -v84
	v_fmac_f32_e32 v86, v112, v102
	v_sub_f32_e32 v85, v85, v83
	v_add_f32_e32 v101, v82, v85
	v_add_f32_e32 v82, v84, v86
	v_sub_f32_e32 v85, v83, v82
	v_pk_add_f32 v[96:97], v[82:83], v[84:85] neg_lo:[0,1] neg_hi:[0,1]
	v_mov_b32_e32 v87, v82
	v_pk_add_f32 v[82:83], v[96:97], v[86:87] neg_lo:[0,1] neg_hi:[0,1]
	v_cvt_f32_i32_e32 v84, v100
	v_add_f32_e32 v83, v101, v83
	v_add_f32_e32 v82, v82, v83
	;; [unrolled: 1-line block ×4, first 2 shown]
	v_sub_f32_e32 v83, v85, v113
	v_mul_f32_e32 v82, v103, v82
	v_sub_f32_e32 v83, v112, v83
	v_add_f32_e32 v82, v83, v82
	v_add_f32_e32 v86, v85, v82
	v_mul_f32_e32 v96, v86, v86
	v_mov_b32_e32 v83, 0x3ecc95a3
	v_sub_f32_e32 v85, v86, v85
	v_fmac_f32_e32 v83, 0x3e9b6dac, v96
	v_sub_f32_e32 v82, v82, v85
	v_fmaak_f32 v83, v96, v83, 0x3f2aaada
	v_ldexp_f32 v97, v82, 1
	v_mul_f32_e32 v85, v86, v96
	v_mov_b32_e32 v82, 0x3f317218
	v_pk_mul_f32 v[82:83], v[84:85], v[82:83]
	v_ldexp_f32 v87, v86, 1
	v_fma_f32 v85, v84, s9, -v82
	v_fmamk_f32 v86, v84, 0xb102e308, v85
	v_pk_add_f32 v[84:85], v[82:83], v[86:87]
	v_mov_b32_e32 v96, v82
	v_sub_f32_e32 v87, v85, v87
	v_sub_f32_e32 v87, v83, v87
	v_add_f32_e32 v97, v97, v87
	v_pk_add_f32 v[82:83], v[84:85], v[82:83] neg_lo:[0,1] neg_hi:[0,1]
	v_pk_add_f32 v[100:101], v[84:85], v[96:97]
	v_mov_b32_e32 v87, v84
	v_mov_b32_e32 v83, v101
	v_pk_add_f32 v[102:103], v[86:87], v[82:83] neg_lo:[0,1] neg_hi:[0,1]
	v_pk_add_f32 v[82:83], v[86:87], v[82:83]
	v_mov_b32_e32 v96, v97
	v_mov_b32_e32 v86, v83
	v_pk_add_f32 v[112:113], v[86:87], v[84:85] neg_lo:[0,1] neg_hi:[0,1]
	v_mov_b32_e32 v82, v101
	v_mov_b32_e32 v87, v112
	v_pk_add_f32 v[114:115], v[100:101], v[86:87] neg_lo:[0,1] neg_hi:[0,1]
	v_mov_b32_e32 v100, v85
	v_mov_b32_e32 v101, v112
	;; [unrolled: 1-line block ×3, first 2 shown]
	v_pk_add_f32 v[82:83], v[82:83], v[100:101] neg_lo:[0,1] neg_hi:[0,1]
	v_mov_b32_e32 v97, v84
	v_pk_add_f32 v[82:83], v[96:97], v[82:83] neg_lo:[0,1] neg_hi:[0,1]
	v_mov_b32_e32 v114, v102
	v_pk_add_f32 v[84:85], v[114:115], v[82:83]
	s_mov_b32 s9, 0x33800000
	v_mov_b32_e32 v96, v85
	v_pk_add_f32 v[96:97], v[84:85], v[96:97]
	v_cmp_lt_f32_e64 s[10:11], |v99|, s9
	v_pk_add_f32 v[86:87], v[86:87], v[96:97]
	v_mov_b32_e32 v83, v96
	v_mov_b32_e32 v85, v86
	v_pk_add_f32 v[100:101], v[84:85], v[102:103] neg_lo:[0,1] neg_hi:[0,1]
	s_or_b64 vcc, vcc, s[10:11]
	v_sub_f32_e32 v84, v84, v100
	v_pk_add_f32 v[82:83], v[82:83], v[100:101] neg_lo:[0,1] neg_hi:[0,1]
	v_sub_f32_e32 v84, v102, v84
	v_add_f32_e32 v82, v82, v84
	v_add_f32_e32 v82, v82, v83
	;; [unrolled: 1-line block ×3, first 2 shown]
	v_cndmask_b32_e32 v82, v82, v99, vcc
	v_add_f32_e32 v65, v65, v82
	v_cvt_f16_f32_e32 v99, v65
	v_cvt_f32_f16_e32 v100, v99
	v_mov_b32_e32 v83, v99
.LBB428_262:
	s_or_b64 exec, exec, s[6:7]
	v_max_f32_e32 v65, v98, v98
	v_max_f32_e32 v82, v100, v100
	v_min_f32_e32 v84, v82, v65
	v_cmp_u_f16_e32 vcc, v99, v99
	v_max_f32_e32 v65, v82, v65
	s_nop 0
	v_cndmask_b32_e32 v84, v84, v100, vcc
	v_cndmask_b32_e32 v65, v65, v100, vcc
	v_cndmask_b32_e64 v84, v84, v98, s[52:53]
	v_cndmask_b32_e64 v82, v65, v98, s[52:53]
	v_cmp_neq_f32_e32 vcc, v84, v82
	v_cmp_class_f32_e64 s[6:7], v84, s8
	s_or_b64 s[8:9], vcc, s[6:7]
	v_mov_b32_e32 v65, v83
	s_and_saveexec_b64 s[6:7], s[8:9]
	s_cbranch_execz .LBB428_264
; %bb.263:
	v_sub_f32_e32 v65, v84, v82
	s_mov_b32 s8, 0x3fb8aa3b
	v_mul_f32_e32 v84, 0x3fb8aa3b, v65
	v_fma_f32 v85, v65, s8, -v84
	v_rndne_f32_e32 v86, v84
	v_fmamk_f32 v85, v65, 0x32a5705f, v85
	v_sub_f32_e32 v84, v84, v86
	v_add_f32_e32 v84, v84, v85
	v_exp_f32_e32 v84, v84
	v_cvt_i32_f32_e32 v85, v86
	s_mov_b32 s8, 0xc2ce8ed0
	v_cmp_ngt_f32_e32 vcc, s8, v65
	s_mov_b32 s8, 0x42b17218
	v_ldexp_f32 v84, v84, v85
	v_cndmask_b32_e32 v84, 0, v84, vcc
	v_mov_b32_e32 v85, 0x7f800000
	v_cmp_nlt_f32_e32 vcc, s8, v65
	s_mov_b32 s8, 0x3f2aaaab
	s_mov_b32 s9, 0x7f800000
	v_cndmask_b32_e32 v116, v85, v84, vcc
	v_add_f32_e32 v65, 1.0, v116
	v_add_f32_e32 v84, -1.0, v65
	v_sub_f32_e32 v85, v84, v65
	v_add_f32_e32 v85, 1.0, v85
	v_sub_f32_e32 v84, v116, v84
	v_add_f32_e32 v86, v84, v85
	v_frexp_mant_f32_e32 v87, v65
	v_cvt_f64_f32_e32 v[84:85], v65
	v_frexp_exp_i32_f64_e32 v84, v[84:85]
	v_cmp_gt_f32_e32 vcc, s8, v87
	s_mov_b32 s8, 0x3f317218
	s_nop 0
	v_subbrev_co_u32_e32 v100, vcc, 0, v84, vcc
	v_sub_u32_e32 v84, 0, v100
	v_ldexp_f32 v65, v65, v84
	v_ldexp_f32 v84, v86, v84
	v_add_f32_e32 v86, -1.0, v65
	v_add_f32_e32 v85, 1.0, v86
	v_sub_f32_e32 v85, v65, v85
	v_add_f32_e32 v87, v84, v85
	v_add_f32_e32 v85, 1.0, v65
	v_add_f32_e32 v96, -1.0, v85
	v_sub_f32_e32 v65, v65, v96
	v_add_f32_e32 v65, v84, v65
	v_add_f32_e32 v101, v85, v65
	v_rcp_f32_e32 v102, v101
	v_sub_f32_e32 v84, v85, v101
	v_add_f32_e32 v85, v86, v87
	v_add_f32_e32 v65, v65, v84
	v_mul_f32_e32 v112, v85, v102
	v_sub_f32_e32 v84, v86, v85
	v_mul_f32_e32 v86, v101, v112
	v_fma_f32 v96, v112, v101, -v86
	v_fmac_f32_e32 v96, v112, v65
	v_add_f32_e32 v103, v87, v84
	v_add_f32_e32 v84, v86, v96
	v_sub_f32_e32 v87, v85, v84
	v_pk_add_f32 v[98:99], v[84:85], v[86:87] neg_lo:[0,1] neg_hi:[0,1]
	v_mov_b32_e32 v97, v84
	v_pk_add_f32 v[84:85], v[98:99], v[96:97] neg_lo:[0,1] neg_hi:[0,1]
	v_cmp_eq_f32_e32 vcc, s9, v116
	v_add_f32_e32 v85, v103, v85
	v_add_f32_e32 v84, v84, v85
	;; [unrolled: 1-line block ×3, first 2 shown]
	v_mul_f32_e32 v103, v102, v85
	v_mul_f32_e32 v86, v101, v103
	v_fma_f32 v96, v103, v101, -v86
	v_fmac_f32_e32 v96, v103, v65
	v_sub_f32_e32 v65, v87, v85
	v_add_f32_e32 v65, v84, v65
	v_add_f32_e32 v84, v86, v96
	v_sub_f32_e32 v87, v85, v84
	v_pk_add_f32 v[98:99], v[84:85], v[86:87] neg_lo:[0,1] neg_hi:[0,1]
	v_mov_b32_e32 v97, v84
	v_pk_add_f32 v[84:85], v[98:99], v[96:97] neg_lo:[0,1] neg_hi:[0,1]
	v_cvt_f32_i32_e32 v86, v100
	v_add_f32_e32 v65, v65, v85
	v_add_f32_e32 v65, v84, v65
	;; [unrolled: 1-line block ×4, first 2 shown]
	v_sub_f32_e32 v85, v84, v112
	v_mul_f32_e32 v65, v102, v65
	v_sub_f32_e32 v85, v103, v85
	v_add_f32_e32 v65, v85, v65
	v_add_f32_e32 v87, v84, v65
	v_mul_f32_e32 v96, v87, v87
	v_mov_b32_e32 v85, 0x3ecc95a3
	v_fmac_f32_e32 v85, 0x3e9b6dac, v96
	v_sub_f32_e32 v84, v87, v84
	v_fmaak_f32 v85, v96, v85, 0x3f2aaada
	v_sub_f32_e32 v65, v65, v84
	v_ldexp_f32 v97, v87, 1
	v_mul_f32_e32 v87, v87, v96
	v_mov_b32_e32 v84, 0x3f317218
	v_pk_mul_f32 v[84:85], v[86:87], v[84:85]
	v_ldexp_f32 v65, v65, 1
	v_fma_f32 v87, v86, s8, -v84
	v_fmamk_f32 v96, v86, 0xb102e308, v87
	v_pk_add_f32 v[86:87], v[84:85], v[96:97]
	v_mov_b32_e32 v98, v84
	v_sub_f32_e32 v97, v87, v97
	v_sub_f32_e32 v97, v85, v97
	v_add_f32_e32 v99, v65, v97
	v_pk_add_f32 v[84:85], v[86:87], v[84:85] neg_lo:[0,1] neg_hi:[0,1]
	v_pk_add_f32 v[100:101], v[86:87], v[98:99]
	v_mov_b32_e32 v97, v86
	v_mov_b32_e32 v85, v101
	v_pk_add_f32 v[102:103], v[96:97], v[84:85] neg_lo:[0,1] neg_hi:[0,1]
	v_pk_add_f32 v[84:85], v[96:97], v[84:85]
	v_mov_b32_e32 v98, v99
	v_mov_b32_e32 v96, v85
	v_pk_add_f32 v[112:113], v[96:97], v[86:87] neg_lo:[0,1] neg_hi:[0,1]
	v_mov_b32_e32 v84, v101
	v_mov_b32_e32 v65, v112
	v_pk_add_f32 v[114:115], v[100:101], v[64:65] neg_lo:[0,1] neg_hi:[0,1]
	v_mov_b32_e32 v100, v87
	v_mov_b32_e32 v101, v112
	;; [unrolled: 1-line block ×3, first 2 shown]
	v_pk_add_f32 v[84:85], v[84:85], v[100:101] neg_lo:[0,1] neg_hi:[0,1]
	v_mov_b32_e32 v99, v86
	v_pk_add_f32 v[84:85], v[98:99], v[84:85] neg_lo:[0,1] neg_hi:[0,1]
	v_mov_b32_e32 v114, v102
	v_pk_add_f32 v[86:87], v[114:115], v[84:85]
	s_mov_b32 s8, 0x33800000
	v_mov_b32_e32 v98, v87
	v_pk_add_f32 v[98:99], v[86:87], v[98:99]
	v_cmp_lt_f32_e64 s[8:9], |v116|, s8
	v_pk_add_f32 v[96:97], v[96:97], v[98:99]
	v_mov_b32_e32 v85, v98
	v_mov_b32_e32 v87, v96
	v_pk_add_f32 v[100:101], v[86:87], v[102:103] neg_lo:[0,1] neg_hi:[0,1]
	s_or_b64 vcc, vcc, s[8:9]
	v_sub_f32_e32 v65, v86, v100
	v_pk_add_f32 v[84:85], v[84:85], v[100:101] neg_lo:[0,1] neg_hi:[0,1]
	v_sub_f32_e32 v65, v102, v65
	v_add_f32_e32 v65, v84, v65
	v_add_f32_e32 v65, v65, v85
	;; [unrolled: 1-line block ×3, first 2 shown]
	v_cndmask_b32_e32 v65, v65, v116, vcc
	v_add_f32_e32 v65, v82, v65
	v_cvt_f16_f32_e32 v65, v65
.LBB428_264:
	s_or_b64 exec, exec, s[6:7]
	s_branch .LBB428_409
.LBB428_265:
                                        ; implicit-def: $vgpr30
                                        ; implicit-def: $vgpr31
                                        ; implicit-def: $vgpr36
                                        ; implicit-def: $vgpr37
                                        ; implicit-def: $vgpr38
                                        ; implicit-def: $vgpr39
                                        ; implicit-def: $vgpr48
                                        ; implicit-def: $vgpr66
                                        ; implicit-def: $vgpr67
                                        ; implicit-def: $vgpr49
                                        ; implicit-def: $vgpr68
                                        ; implicit-def: $vgpr50
                                        ; implicit-def: $vgpr69
                                        ; implicit-def: $vgpr51
                                        ; implicit-def: $vgpr70
                                        ; implicit-def: $vgpr53
                                        ; implicit-def: $vgpr71
                                        ; implicit-def: $vgpr54
                                        ; implicit-def: $vgpr80
                                        ; implicit-def: $vgpr55
                                        ; implicit-def: $vgpr81
                                        ; implicit-def: $vgpr64
                                        ; implicit-def: $vgpr83
                                        ; implicit-def: $vgpr65
	s_cbranch_execz .LBB428_409
; %bb.266:
	v_cmp_ne_u64_e32 vcc, 0, v[6:7]
	s_and_b64 s[6:7], s[4:5], vcc
	v_mov_b32_e32 v30, v24
	s_and_saveexec_b64 s[4:5], s[6:7]
	s_cbranch_execz .LBB428_270
; %bb.267:
	flat_load_ushort v30, v[2:3]
	v_cvt_f32_f16_e32 v2, v24
	s_movk_i32 s6, 0x1f8
	s_waitcnt vmcnt(0) lgkmcnt(0)
	v_cvt_f32_f16_e32 v3, v30
	v_cmp_u_f16_e32 vcc, v30, v30
	v_min_f32_e32 v6, v3, v2
	v_max_f32_e32 v7, v3, v2
	v_cndmask_b32_e32 v6, v6, v3, vcc
	v_cndmask_b32_e32 v7, v7, v3, vcc
	v_cmp_u_f16_e32 vcc, v24, v24
	s_nop 1
	v_cndmask_b32_e32 v3, v6, v2, vcc
	v_cndmask_b32_e32 v2, v7, v2, vcc
	v_cmp_neq_f32_e32 vcc, v3, v2
	v_cmp_class_f32_e64 s[6:7], v3, s6
	s_or_b64 s[8:9], vcc, s[6:7]
	s_and_saveexec_b64 s[6:7], s[8:9]
	s_cbranch_execz .LBB428_269
; %bb.268:
	v_sub_f32_e32 v3, v3, v2
	s_mov_b32 s8, 0x3fb8aa3b
	v_mul_f32_e32 v6, 0x3fb8aa3b, v3
	v_fma_f32 v7, v3, s8, -v6
	v_rndne_f32_e32 v30, v6
	v_fmamk_f32 v7, v3, 0x32a5705f, v7
	v_sub_f32_e32 v6, v6, v30
	v_add_f32_e32 v6, v6, v7
	v_exp_f32_e32 v6, v6
	v_cvt_i32_f32_e32 v7, v30
	s_mov_b32 s8, 0xc2ce8ed0
	v_cmp_ngt_f32_e32 vcc, s8, v3
	s_mov_b32 s8, 0x42b17218
	v_ldexp_f32 v6, v6, v7
	v_cndmask_b32_e32 v6, 0, v6, vcc
	v_mov_b32_e32 v7, 0x7f800000
	v_cmp_nlt_f32_e32 vcc, s8, v3
	s_mov_b32 s8, 0x3f2aaaab
	s_mov_b32 s9, 0x7f800000
	v_cndmask_b32_e32 v53, v7, v6, vcc
	v_add_f32_e32 v3, 1.0, v53
	v_add_f32_e32 v6, -1.0, v3
	v_sub_f32_e32 v7, v6, v3
	v_add_f32_e32 v7, 1.0, v7
	v_sub_f32_e32 v6, v53, v6
	v_add_f32_e32 v30, v6, v7
	v_frexp_mant_f32_e32 v31, v3
	v_cvt_f64_f32_e32 v[6:7], v3
	v_frexp_exp_i32_f64_e32 v6, v[6:7]
	v_cmp_gt_f32_e32 vcc, s8, v31
	s_mov_b32 s8, 0x3f317218
	s_nop 0
	v_subbrev_co_u32_e32 v48, vcc, 0, v6, vcc
	v_sub_u32_e32 v6, 0, v48
	v_ldexp_f32 v3, v3, v6
	v_ldexp_f32 v6, v30, v6
	v_add_f32_e32 v30, -1.0, v3
	v_add_f32_e32 v7, 1.0, v30
	v_sub_f32_e32 v7, v3, v7
	v_add_f32_e32 v31, v6, v7
	v_add_f32_e32 v7, 1.0, v3
	v_add_f32_e32 v36, -1.0, v7
	v_sub_f32_e32 v3, v3, v36
	v_add_f32_e32 v3, v6, v3
	v_add_f32_e32 v49, v7, v3
	v_rcp_f32_e32 v50, v49
	v_sub_f32_e32 v6, v7, v49
	v_add_f32_e32 v7, v30, v31
	v_add_f32_e32 v3, v3, v6
	v_mul_f32_e32 v54, v7, v50
	v_sub_f32_e32 v6, v30, v7
	v_mul_f32_e32 v30, v49, v54
	v_fma_f32 v36, v54, v49, -v30
	v_fmac_f32_e32 v36, v54, v3
	v_add_f32_e32 v51, v31, v6
	v_add_f32_e32 v6, v30, v36
	v_sub_f32_e32 v31, v7, v6
	v_pk_add_f32 v[38:39], v[6:7], v[30:31] neg_lo:[0,1] neg_hi:[0,1]
	v_mov_b32_e32 v37, v6
	v_pk_add_f32 v[6:7], v[38:39], v[36:37] neg_lo:[0,1] neg_hi:[0,1]
	v_cmp_eq_f32_e32 vcc, s9, v53
	v_add_f32_e32 v7, v51, v7
	v_add_f32_e32 v6, v6, v7
	;; [unrolled: 1-line block ×3, first 2 shown]
	v_mul_f32_e32 v51, v50, v7
	v_mul_f32_e32 v30, v49, v51
	v_fma_f32 v36, v51, v49, -v30
	v_fmac_f32_e32 v36, v51, v3
	v_sub_f32_e32 v3, v31, v7
	v_add_f32_e32 v3, v6, v3
	v_add_f32_e32 v6, v30, v36
	v_sub_f32_e32 v31, v7, v6
	v_pk_add_f32 v[38:39], v[6:7], v[30:31] neg_lo:[0,1] neg_hi:[0,1]
	v_mov_b32_e32 v37, v6
	v_pk_add_f32 v[6:7], v[38:39], v[36:37] neg_lo:[0,1] neg_hi:[0,1]
	v_cvt_f32_i32_e32 v30, v48
	v_add_f32_e32 v3, v3, v7
	v_add_f32_e32 v3, v6, v3
	;; [unrolled: 1-line block ×4, first 2 shown]
	v_sub_f32_e32 v7, v6, v54
	v_mul_f32_e32 v3, v50, v3
	v_sub_f32_e32 v7, v51, v7
	v_add_f32_e32 v3, v7, v3
	v_add_f32_e32 v31, v6, v3
	v_mul_f32_e32 v36, v31, v31
	v_mov_b32_e32 v7, 0x3ecc95a3
	v_fmac_f32_e32 v7, 0x3e9b6dac, v36
	v_sub_f32_e32 v6, v31, v6
	v_fmaak_f32 v7, v36, v7, 0x3f2aaada
	v_sub_f32_e32 v3, v3, v6
	v_ldexp_f32 v37, v31, 1
	v_mul_f32_e32 v31, v31, v36
	v_mov_b32_e32 v6, 0x3f317218
	v_pk_mul_f32 v[6:7], v[30:31], v[6:7]
	v_ldexp_f32 v3, v3, 1
	v_fma_f32 v31, v30, s8, -v6
	v_fmamk_f32 v36, v30, 0xb102e308, v31
	v_pk_add_f32 v[30:31], v[6:7], v[36:37]
	v_mov_b32_e32 v38, v6
	v_sub_f32_e32 v37, v31, v37
	v_sub_f32_e32 v37, v7, v37
	v_add_f32_e32 v39, v3, v37
	v_pk_add_f32 v[6:7], v[30:31], v[6:7] neg_lo:[0,1] neg_hi:[0,1]
	v_pk_add_f32 v[48:49], v[30:31], v[38:39]
	v_mov_b32_e32 v37, v30
	v_mov_b32_e32 v7, v49
	v_pk_add_f32 v[50:51], v[36:37], v[6:7] neg_lo:[0,1] neg_hi:[0,1]
	v_pk_add_f32 v[6:7], v[36:37], v[6:7]
	v_mov_b32_e32 v38, v39
	v_mov_b32_e32 v36, v7
	v_pk_add_f32 v[54:55], v[36:37], v[30:31] neg_lo:[0,1] neg_hi:[0,1]
	v_mov_b32_e32 v6, v49
	v_mov_b32_e32 v3, v54
	v_pk_add_f32 v[64:65], v[48:49], v[2:3] neg_lo:[0,1] neg_hi:[0,1]
	v_mov_b32_e32 v48, v31
	v_mov_b32_e32 v49, v54
	;; [unrolled: 1-line block ×3, first 2 shown]
	v_pk_add_f32 v[6:7], v[6:7], v[48:49] neg_lo:[0,1] neg_hi:[0,1]
	v_mov_b32_e32 v39, v30
	v_pk_add_f32 v[6:7], v[38:39], v[6:7] neg_lo:[0,1] neg_hi:[0,1]
	v_mov_b32_e32 v64, v50
	v_pk_add_f32 v[30:31], v[64:65], v[6:7]
	s_mov_b32 s8, 0x33800000
	v_mov_b32_e32 v38, v31
	v_pk_add_f32 v[38:39], v[30:31], v[38:39]
	v_cmp_lt_f32_e64 s[8:9], |v53|, s8
	v_pk_add_f32 v[36:37], v[36:37], v[38:39]
	v_mov_b32_e32 v7, v38
	v_mov_b32_e32 v31, v36
	v_pk_add_f32 v[48:49], v[30:31], v[50:51] neg_lo:[0,1] neg_hi:[0,1]
	s_or_b64 vcc, vcc, s[8:9]
	v_sub_f32_e32 v3, v30, v48
	v_pk_add_f32 v[6:7], v[6:7], v[48:49] neg_lo:[0,1] neg_hi:[0,1]
	v_sub_f32_e32 v3, v50, v3
	v_add_f32_e32 v3, v6, v3
	v_add_f32_e32 v3, v3, v7
	;; [unrolled: 1-line block ×3, first 2 shown]
	v_cndmask_b32_e32 v3, v3, v53, vcc
	v_add_f32_e32 v2, v2, v3
	v_cvt_f16_f32_e32 v30, v2
.LBB428_269:
	s_or_b64 exec, exec, s[6:7]
.LBB428_270:
	s_or_b64 exec, exec, s[4:5]
	v_cvt_f32_f16_e32 v2, v30
	v_cmp_u_f16_e64 s[50:51], v30, v30
	v_cmp_u_f16_sdwa vcc, v24, v24 src0_sel:WORD_1 src1_sel:WORD_1
	s_movk_i32 s8, 0x1f8
	v_min_f32_e32 v31, v2, v33
	v_max_f32_e32 v36, v2, v33
	v_cndmask_b32_e64 v3, v31, v2, s[50:51]
	v_cndmask_b32_e32 v6, v3, v33, vcc
	v_cndmask_b32_e64 v3, v36, v2, s[50:51]
	v_cndmask_b32_e32 v3, v3, v33, vcc
	v_cmp_neq_f32_e64 s[4:5], v6, v3
	v_cmp_class_f32_e64 s[6:7], v6, s8
	s_or_b64 s[4:5], s[4:5], s[6:7]
	v_mov_b32_e32 v38, v2
	v_mov_b32_e32 v37, v30
	s_and_saveexec_b64 s[6:7], s[4:5]
	s_cbranch_execz .LBB428_272
; %bb.271:
	v_sub_f32_e32 v6, v6, v3
	s_mov_b32 s4, 0x3fb8aa3b
	v_mul_f32_e32 v7, 0x3fb8aa3b, v6
	v_fma_f32 v24, v6, s4, -v7
	v_rndne_f32_e32 v37, v7
	v_fmamk_f32 v24, v6, 0x32a5705f, v24
	v_sub_f32_e32 v7, v7, v37
	v_add_f32_e32 v7, v7, v24
	v_exp_f32_e32 v7, v7
	v_cvt_i32_f32_e32 v24, v37
	s_mov_b32 s4, 0xc2ce8ed0
	v_cmp_ngt_f32_e64 s[4:5], s4, v6
	s_mov_b32 s9, 0x7f800000
	v_ldexp_f32 v7, v7, v24
	v_cndmask_b32_e64 v7, 0, v7, s[4:5]
	s_mov_b32 s4, 0x42b17218
	v_mov_b32_e32 v24, 0x7f800000
	v_cmp_nlt_f32_e64 s[4:5], s4, v6
	s_nop 1
	v_cndmask_b32_e64 v53, v24, v7, s[4:5]
	v_add_f32_e32 v24, 1.0, v53
	v_add_f32_e32 v6, -1.0, v24
	v_sub_f32_e32 v7, v6, v24
	v_add_f32_e32 v7, 1.0, v7
	v_sub_f32_e32 v6, v53, v6
	v_add_f32_e32 v37, v6, v7
	v_frexp_mant_f32_e32 v38, v24
	s_mov_b32 s4, 0x3f2aaaab
	v_cvt_f64_f32_e32 v[6:7], v24
	v_frexp_exp_i32_f64_e32 v6, v[6:7]
	v_cmp_gt_f32_e64 s[4:5], s4, v38
	s_nop 1
	v_subbrev_co_u32_e64 v54, s[4:5], 0, v6, s[4:5]
	v_sub_u32_e32 v6, 0, v54
	v_ldexp_f32 v7, v24, v6
	v_add_f32_e32 v24, -1.0, v7
	v_add_f32_e32 v38, 1.0, v7
	v_ldexp_f32 v6, v37, v6
	v_add_f32_e32 v37, 1.0, v24
	v_add_f32_e32 v39, -1.0, v38
	v_sub_f32_e32 v37, v7, v37
	v_sub_f32_e32 v7, v7, v39
	v_add_f32_e32 v37, v6, v37
	v_add_f32_e32 v6, v6, v7
	;; [unrolled: 1-line block ×3, first 2 shown]
	v_rcp_f32_e32 v65, v55
	v_sub_f32_e32 v7, v38, v55
	v_add_f32_e32 v64, v6, v7
	v_add_f32_e32 v7, v24, v37
	v_sub_f32_e32 v6, v24, v7
	v_add_f32_e32 v24, v37, v6
	v_mul_f32_e32 v37, v7, v65
	v_mul_f32_e32 v38, v55, v37
	v_fma_f32 v48, v37, v55, -v38
	v_fmac_f32_e32 v48, v37, v64
	v_add_f32_e32 v6, v38, v48
	v_sub_f32_e32 v39, v7, v6
	v_pk_add_f32 v[50:51], v[6:7], v[38:39] neg_lo:[0,1] neg_hi:[0,1]
	v_mov_b32_e32 v49, v6
	v_pk_add_f32 v[6:7], v[50:51], v[48:49] neg_lo:[0,1] neg_hi:[0,1]
	s_mov_b32 s4, 0x3f317218
	v_add_f32_e32 v7, v24, v7
	v_add_f32_e32 v6, v6, v7
	;; [unrolled: 1-line block ×3, first 2 shown]
	v_mul_f32_e32 v24, v65, v7
	v_mul_f32_e32 v38, v55, v24
	v_fma_f32 v48, v24, v55, -v38
	v_fmac_f32_e32 v48, v24, v64
	v_sub_f32_e32 v39, v39, v7
	v_add_f32_e32 v55, v6, v39
	v_add_f32_e32 v6, v38, v48
	v_sub_f32_e32 v39, v7, v6
	v_pk_add_f32 v[50:51], v[6:7], v[38:39] neg_lo:[0,1] neg_hi:[0,1]
	v_mov_b32_e32 v49, v6
	v_pk_add_f32 v[6:7], v[50:51], v[48:49] neg_lo:[0,1] neg_hi:[0,1]
	v_cvt_f32_i32_e32 v38, v54
	v_add_f32_e32 v7, v55, v7
	v_add_f32_e32 v6, v6, v7
	v_add_f32_e32 v6, v39, v6
	v_add_f32_e32 v39, v37, v24
	v_sub_f32_e32 v7, v39, v37
	v_mul_f32_e32 v6, v65, v6
	v_sub_f32_e32 v7, v24, v7
	v_add_f32_e32 v6, v7, v6
	v_add_f32_e32 v24, v39, v6
	v_mul_f32_e32 v37, v24, v24
	v_mov_b32_e32 v7, 0x3ecc95a3
	v_sub_f32_e32 v39, v24, v39
	v_fmac_f32_e32 v7, 0x3e9b6dac, v37
	v_sub_f32_e32 v6, v6, v39
	v_fmaak_f32 v7, v37, v7, 0x3f2aaada
	v_ldexp_f32 v50, v6, 1
	v_mul_f32_e32 v39, v24, v37
	v_mov_b32_e32 v6, 0x3f317218
	v_pk_mul_f32 v[6:7], v[38:39], v[6:7]
	v_ldexp_f32 v49, v24, 1
	v_fma_f32 v24, v38, s4, -v6
	v_fmamk_f32 v48, v38, 0xb102e308, v24
	v_pk_add_f32 v[38:39], v[6:7], v[48:49]
	v_cmp_eq_f32_e64 s[4:5], s9, v53
	v_sub_f32_e32 v24, v39, v49
	v_sub_f32_e32 v24, v7, v24
	v_add_f32_e32 v51, v50, v24
	v_mov_b32_e32 v50, v6
	v_pk_add_f32 v[6:7], v[38:39], v[6:7] neg_lo:[0,1] neg_hi:[0,1]
	v_pk_add_f32 v[54:55], v[38:39], v[50:51]
	v_mov_b32_e32 v49, v38
	v_mov_b32_e32 v7, v55
	v_pk_add_f32 v[64:65], v[48:49], v[6:7] neg_lo:[0,1] neg_hi:[0,1]
	v_pk_add_f32 v[6:7], v[48:49], v[6:7]
	s_mov_b32 s9, 0x33800000
	v_mov_b32_e32 v24, v7
	v_pk_add_f32 v[48:49], v[24:25], v[38:39] neg_lo:[0,1] neg_hi:[0,1]
	v_mov_b32_e32 v6, v55
	v_mov_b32_e32 v37, v48
	v_pk_add_f32 v[66:67], v[54:55], v[36:37] neg_lo:[0,1] neg_hi:[0,1]
	v_mov_b32_e32 v54, v39
	v_mov_b32_e32 v55, v48
	;; [unrolled: 1-line block ×3, first 2 shown]
	v_pk_add_f32 v[6:7], v[6:7], v[54:55] neg_lo:[0,1] neg_hi:[0,1]
	v_mov_b32_e32 v48, v51
	v_mov_b32_e32 v49, v38
	v_pk_add_f32 v[6:7], v[48:49], v[6:7] neg_lo:[0,1] neg_hi:[0,1]
	v_mov_b32_e32 v66, v64
	v_pk_add_f32 v[38:39], v[66:67], v[6:7]
	v_cmp_lt_f32_e64 s[10:11], |v53|, s9
	v_mov_b32_e32 v48, v39
	v_pk_add_f32 v[48:49], v[38:39], v[48:49]
	s_or_b64 s[4:5], s[4:5], s[10:11]
	v_pk_add_f32 v[50:51], v[24:25], v[48:49]
	v_mov_b32_e32 v7, v48
	v_mov_b32_e32 v39, v50
	v_pk_add_f32 v[54:55], v[38:39], v[64:65] neg_lo:[0,1] neg_hi:[0,1]
	s_nop 0
	v_sub_f32_e32 v24, v38, v54
	v_pk_add_f32 v[6:7], v[6:7], v[54:55] neg_lo:[0,1] neg_hi:[0,1]
	v_sub_f32_e32 v24, v64, v24
	v_add_f32_e32 v6, v6, v24
	v_add_f32_e32 v6, v6, v7
	;; [unrolled: 1-line block ×3, first 2 shown]
	v_cndmask_b32_e64 v6, v6, v53, s[4:5]
	v_add_f32_e32 v3, v3, v6
	v_cvt_f16_f32_e32 v37, v3
	v_cvt_f32_f16_e32 v38, v37
.LBB428_272:
	s_or_b64 exec, exec, s[6:7]
	v_cvt_f32_f16_e32 v3, v25
	v_max_f32_e32 v6, v38, v38
	v_cmp_u_f16_e64 s[6:7], v37, v37
	v_cmp_u_f16_e64 s[4:5], v25, v25
	v_min_f32_e32 v7, v6, v3
	v_max_f32_e32 v6, v6, v3
	v_cndmask_b32_e64 v7, v7, v38, s[6:7]
	v_cndmask_b32_e64 v6, v6, v38, s[6:7]
	;; [unrolled: 1-line block ×4, first 2 shown]
	v_cmp_neq_f32_e64 s[6:7], v7, v6
	v_cmp_class_f32_e64 s[8:9], v7, s8
	s_or_b64 s[6:7], s[6:7], s[8:9]
	s_and_saveexec_b64 s[8:9], s[6:7]
	s_cbranch_execz .LBB428_274
; %bb.273:
	v_sub_f32_e32 v7, v7, v6
	s_mov_b32 s6, 0x3fb8aa3b
	v_mul_f32_e32 v24, 0x3fb8aa3b, v7
	v_fma_f32 v37, v7, s6, -v24
	v_rndne_f32_e32 v38, v24
	v_fmamk_f32 v37, v7, 0x32a5705f, v37
	v_sub_f32_e32 v24, v24, v38
	v_add_f32_e32 v24, v24, v37
	v_exp_f32_e32 v24, v24
	v_cvt_i32_f32_e32 v37, v38
	s_mov_b32 s6, 0xc2ce8ed0
	v_cmp_ngt_f32_e64 s[6:7], s6, v7
	s_mov_b32 s10, 0x7f800000
	v_ldexp_f32 v24, v24, v37
	v_cndmask_b32_e64 v24, 0, v24, s[6:7]
	s_mov_b32 s6, 0x42b17218
	v_mov_b32_e32 v37, 0x7f800000
	v_cmp_nlt_f32_e64 s[6:7], s6, v7
	s_nop 1
	v_cndmask_b32_e64 v37, v37, v24, s[6:7]
	v_add_f32_e32 v7, 1.0, v37
	v_add_f32_e32 v24, -1.0, v7
	v_sub_f32_e32 v38, v24, v7
	v_add_f32_e32 v38, 1.0, v38
	v_sub_f32_e32 v24, v37, v24
	v_add_f32_e32 v24, v24, v38
	v_frexp_mant_f32_e32 v48, v7
	s_mov_b32 s6, 0x3f2aaaab
	v_cvt_f64_f32_e32 v[38:39], v7
	v_frexp_exp_i32_f64_e32 v38, v[38:39]
	v_cmp_gt_f32_e64 s[6:7], s6, v48
	s_nop 1
	v_subbrev_co_u32_e64 v53, s[6:7], 0, v38, s[6:7]
	v_sub_u32_e32 v38, 0, v53
	v_ldexp_f32 v7, v7, v38
	v_ldexp_f32 v24, v24, v38
	v_add_f32_e32 v38, -1.0, v7
	v_add_f32_e32 v39, 1.0, v38
	v_sub_f32_e32 v39, v7, v39
	v_add_f32_e32 v48, v24, v39
	v_add_f32_e32 v39, 1.0, v7
	v_add_f32_e32 v49, -1.0, v39
	v_sub_f32_e32 v7, v7, v49
	v_add_f32_e32 v7, v24, v7
	v_add_f32_e32 v24, v39, v7
	v_rcp_f32_e32 v64, v24
	v_sub_f32_e32 v39, v39, v24
	v_add_f32_e32 v7, v7, v39
	v_add_f32_e32 v39, v38, v48
	v_sub_f32_e32 v38, v38, v39
	v_mul_f32_e32 v66, v39, v64
	v_add_f32_e32 v65, v48, v38
	v_mul_f32_e32 v48, v24, v66
	v_fma_f32 v50, v66, v24, -v48
	v_fmac_f32_e32 v50, v66, v7
	v_add_f32_e32 v38, v48, v50
	v_sub_f32_e32 v49, v39, v38
	v_pk_add_f32 v[54:55], v[38:39], v[48:49] neg_lo:[0,1] neg_hi:[0,1]
	v_mov_b32_e32 v51, v38
	v_pk_add_f32 v[38:39], v[54:55], v[50:51] neg_lo:[0,1] neg_hi:[0,1]
	s_mov_b32 s6, 0x3f317218
	v_add_f32_e32 v39, v65, v39
	v_add_f32_e32 v38, v38, v39
	;; [unrolled: 1-line block ×3, first 2 shown]
	v_mul_f32_e32 v65, v64, v39
	v_mul_f32_e32 v48, v24, v65
	v_fma_f32 v50, v65, v24, -v48
	v_fmac_f32_e32 v50, v65, v7
	v_sub_f32_e32 v7, v49, v39
	v_add_f32_e32 v7, v38, v7
	v_add_f32_e32 v38, v48, v50
	v_sub_f32_e32 v49, v39, v38
	v_pk_add_f32 v[54:55], v[38:39], v[48:49] neg_lo:[0,1] neg_hi:[0,1]
	v_mov_b32_e32 v51, v38
	v_pk_add_f32 v[38:39], v[54:55], v[50:51] neg_lo:[0,1] neg_hi:[0,1]
	v_add_f32_e32 v24, v66, v65
	v_add_f32_e32 v7, v7, v39
	;; [unrolled: 1-line block ×4, first 2 shown]
	v_sub_f32_e32 v38, v24, v66
	v_mul_f32_e32 v7, v64, v7
	v_sub_f32_e32 v38, v65, v38
	v_add_f32_e32 v7, v38, v7
	v_add_f32_e32 v38, v24, v7
	v_cvt_f32_i32_e32 v48, v53
	v_mul_f32_e32 v49, v38, v38
	v_mov_b32_e32 v39, 0x3ecc95a3
	v_fmac_f32_e32 v39, 0x3e9b6dac, v49
	v_fmaak_f32 v39, v49, v39, 0x3f2aaada
	v_sub_f32_e32 v24, v38, v24
	v_ldexp_f32 v51, v38, 1
	v_mul_f32_e32 v49, v38, v49
	v_mov_b32_e32 v38, 0x3f317218
	v_pk_mul_f32 v[38:39], v[48:49], v[38:39]
	v_sub_f32_e32 v7, v7, v24
	v_fma_f32 v24, v48, s6, -v38
	v_fmamk_f32 v50, v48, 0xb102e308, v24
	v_pk_add_f32 v[48:49], v[38:39], v[50:51]
	v_ldexp_f32 v7, v7, 1
	v_sub_f32_e32 v24, v49, v51
	v_sub_f32_e32 v24, v39, v24
	v_add_f32_e32 v55, v7, v24
	v_mov_b32_e32 v54, v38
	v_pk_add_f32 v[38:39], v[48:49], v[38:39] neg_lo:[0,1] neg_hi:[0,1]
	v_pk_add_f32 v[64:65], v[48:49], v[54:55]
	v_mov_b32_e32 v51, v48
	v_mov_b32_e32 v39, v65
	v_pk_add_f32 v[66:67], v[50:51], v[38:39] neg_lo:[0,1] neg_hi:[0,1]
	v_pk_add_f32 v[38:39], v[50:51], v[38:39]
	v_cmp_eq_f32_e64 s[6:7], s10, v37
	v_mov_b32_e32 v24, v39
	v_pk_add_f32 v[50:51], v[24:25], v[48:49] neg_lo:[0,1] neg_hi:[0,1]
	v_mov_b32_e32 v38, v65
	v_mov_b32_e32 v7, v50
	v_pk_add_f32 v[68:69], v[64:65], v[6:7] neg_lo:[0,1] neg_hi:[0,1]
	v_mov_b32_e32 v64, v49
	v_mov_b32_e32 v65, v50
	;; [unrolled: 1-line block ×3, first 2 shown]
	v_pk_add_f32 v[38:39], v[38:39], v[64:65] neg_lo:[0,1] neg_hi:[0,1]
	v_mov_b32_e32 v50, v55
	v_mov_b32_e32 v51, v48
	v_pk_add_f32 v[38:39], v[50:51], v[38:39] neg_lo:[0,1] neg_hi:[0,1]
	v_mov_b32_e32 v68, v66
	v_pk_add_f32 v[48:49], v[68:69], v[38:39]
	s_mov_b32 s10, 0x33800000
	v_mov_b32_e32 v50, v49
	v_pk_add_f32 v[50:51], v[48:49], v[50:51]
	v_cmp_lt_f32_e64 s[10:11], |v37|, s10
	v_pk_add_f32 v[54:55], v[24:25], v[50:51]
	v_mov_b32_e32 v39, v50
	v_mov_b32_e32 v49, v54
	v_pk_add_f32 v[64:65], v[48:49], v[66:67] neg_lo:[0,1] neg_hi:[0,1]
	s_or_b64 s[6:7], s[6:7], s[10:11]
	v_sub_f32_e32 v7, v48, v64
	v_pk_add_f32 v[38:39], v[38:39], v[64:65] neg_lo:[0,1] neg_hi:[0,1]
	v_sub_f32_e32 v7, v66, v7
	v_add_f32_e32 v7, v38, v7
	v_add_f32_e32 v7, v7, v39
	;; [unrolled: 1-line block ×3, first 2 shown]
	v_cndmask_b32_e64 v7, v7, v37, s[6:7]
	v_add_f32_e32 v6, v6, v7
	v_cvt_f16_f32_e32 v37, v6
	v_cvt_f32_f16_e32 v38, v37
.LBB428_274:
	s_or_b64 exec, exec, s[8:9]
	v_cvt_f32_f16_sdwa v6, v25 dst_sel:DWORD dst_unused:UNUSED_PAD src0_sel:WORD_1
	v_max_f32_e32 v7, v38, v38
	v_cmp_u_f16_e64 s[8:9], v37, v37
	v_cmp_u_f16_sdwa s[6:7], v25, v25 src0_sel:WORD_1 src1_sel:WORD_1
	v_min_f32_e32 v24, v7, v6
	v_max_f32_e32 v7, v7, v6
	v_cndmask_b32_e64 v24, v24, v38, s[8:9]
	v_cndmask_b32_e64 v7, v7, v38, s[8:9]
	;; [unrolled: 1-line block ×4, first 2 shown]
	s_movk_i32 s12, 0x1f8
	v_cmp_neq_f32_e64 s[8:9], v24, v7
	v_cmp_class_f32_e64 s[10:11], v24, s12
	s_or_b64 s[8:9], s[8:9], s[10:11]
	s_and_saveexec_b64 s[10:11], s[8:9]
	s_cbranch_execz .LBB428_276
; %bb.275:
	v_sub_f32_e32 v24, v24, v7
	s_mov_b32 s8, 0x3fb8aa3b
	v_mul_f32_e32 v25, 0x3fb8aa3b, v24
	v_fma_f32 v37, v24, s8, -v25
	v_rndne_f32_e32 v38, v25
	v_fmamk_f32 v37, v24, 0x32a5705f, v37
	v_sub_f32_e32 v25, v25, v38
	v_add_f32_e32 v25, v25, v37
	v_exp_f32_e32 v25, v25
	v_cvt_i32_f32_e32 v37, v38
	s_mov_b32 s8, 0xc2ce8ed0
	v_cmp_ngt_f32_e64 s[8:9], s8, v24
	s_mov_b32 s13, 0x7f800000
	v_ldexp_f32 v25, v25, v37
	v_cndmask_b32_e64 v25, 0, v25, s[8:9]
	s_mov_b32 s8, 0x42b17218
	v_mov_b32_e32 v37, 0x7f800000
	v_cmp_nlt_f32_e64 s[8:9], s8, v24
	s_nop 1
	v_cndmask_b32_e64 v53, v37, v25, s[8:9]
	v_add_f32_e32 v37, 1.0, v53
	v_add_f32_e32 v24, -1.0, v37
	v_sub_f32_e32 v25, v24, v37
	v_add_f32_e32 v25, 1.0, v25
	v_sub_f32_e32 v24, v53, v24
	v_add_f32_e32 v38, v24, v25
	v_frexp_mant_f32_e32 v39, v37
	s_mov_b32 s8, 0x3f2aaaab
	v_cvt_f64_f32_e32 v[24:25], v37
	v_frexp_exp_i32_f64_e32 v24, v[24:25]
	v_cmp_gt_f32_e64 s[8:9], s8, v39
	s_nop 1
	v_subbrev_co_u32_e64 v54, s[8:9], 0, v24, s[8:9]
	v_sub_u32_e32 v24, 0, v54
	v_ldexp_f32 v25, v37, v24
	v_add_f32_e32 v37, -1.0, v25
	v_add_f32_e32 v39, 1.0, v25
	v_ldexp_f32 v24, v38, v24
	v_add_f32_e32 v38, 1.0, v37
	v_add_f32_e32 v48, -1.0, v39
	v_sub_f32_e32 v38, v25, v38
	v_sub_f32_e32 v25, v25, v48
	v_add_f32_e32 v38, v24, v38
	v_add_f32_e32 v24, v24, v25
	;; [unrolled: 1-line block ×3, first 2 shown]
	v_rcp_f32_e32 v65, v55
	v_sub_f32_e32 v25, v39, v55
	v_add_f32_e32 v64, v24, v25
	v_add_f32_e32 v25, v37, v38
	v_sub_f32_e32 v24, v37, v25
	v_mul_f32_e32 v66, v25, v65
	v_add_f32_e32 v37, v38, v24
	v_mul_f32_e32 v38, v55, v66
	v_fma_f32 v48, v66, v55, -v38
	v_fmac_f32_e32 v48, v66, v64
	v_add_f32_e32 v24, v38, v48
	v_sub_f32_e32 v39, v25, v24
	v_pk_add_f32 v[50:51], v[24:25], v[38:39] neg_lo:[0,1] neg_hi:[0,1]
	v_mov_b32_e32 v49, v24
	v_pk_add_f32 v[24:25], v[50:51], v[48:49] neg_lo:[0,1] neg_hi:[0,1]
	s_mov_b32 s8, 0x3f317218
	v_add_f32_e32 v25, v37, v25
	v_add_f32_e32 v24, v24, v25
	;; [unrolled: 1-line block ×3, first 2 shown]
	v_mul_f32_e32 v37, v65, v25
	v_mul_f32_e32 v38, v55, v37
	v_fma_f32 v48, v37, v55, -v38
	v_fmac_f32_e32 v48, v37, v64
	v_sub_f32_e32 v39, v39, v25
	v_add_f32_e32 v55, v24, v39
	v_add_f32_e32 v24, v38, v48
	v_sub_f32_e32 v39, v25, v24
	v_pk_add_f32 v[50:51], v[24:25], v[38:39] neg_lo:[0,1] neg_hi:[0,1]
	v_mov_b32_e32 v49, v24
	v_pk_add_f32 v[24:25], v[50:51], v[48:49] neg_lo:[0,1] neg_hi:[0,1]
	v_cvt_f32_i32_e32 v38, v54
	v_add_f32_e32 v25, v55, v25
	v_add_f32_e32 v24, v24, v25
	;; [unrolled: 1-line block ×4, first 2 shown]
	v_sub_f32_e32 v25, v39, v66
	v_mul_f32_e32 v24, v65, v24
	v_sub_f32_e32 v25, v37, v25
	v_add_f32_e32 v24, v25, v24
	v_add_f32_e32 v37, v39, v24
	v_mul_f32_e32 v48, v37, v37
	v_mov_b32_e32 v25, 0x3ecc95a3
	v_sub_f32_e32 v39, v37, v39
	v_fmac_f32_e32 v25, 0x3e9b6dac, v48
	v_sub_f32_e32 v24, v24, v39
	v_fmaak_f32 v25, v48, v25, 0x3f2aaada
	v_ldexp_f32 v50, v24, 1
	v_mul_f32_e32 v39, v37, v48
	v_mov_b32_e32 v24, 0x3f317218
	v_pk_mul_f32 v[24:25], v[38:39], v[24:25]
	v_ldexp_f32 v49, v37, 1
	v_fma_f32 v37, v38, s8, -v24
	v_fmamk_f32 v48, v38, 0xb102e308, v37
	v_pk_add_f32 v[38:39], v[24:25], v[48:49]
	v_cmp_eq_f32_e64 s[8:9], s13, v53
	v_sub_f32_e32 v37, v39, v49
	v_sub_f32_e32 v37, v25, v37
	v_add_f32_e32 v51, v50, v37
	v_mov_b32_e32 v50, v24
	v_pk_add_f32 v[24:25], v[38:39], v[24:25] neg_lo:[0,1] neg_hi:[0,1]
	v_pk_add_f32 v[54:55], v[38:39], v[50:51]
	v_mov_b32_e32 v49, v38
	v_mov_b32_e32 v25, v55
	v_pk_add_f32 v[64:65], v[48:49], v[24:25] neg_lo:[0,1] neg_hi:[0,1]
	v_pk_add_f32 v[24:25], v[48:49], v[24:25]
	v_mov_b32_e32 v50, v51
	v_mov_b32_e32 v48, v25
	v_pk_add_f32 v[66:67], v[48:49], v[38:39] neg_lo:[0,1] neg_hi:[0,1]
	v_mov_b32_e32 v24, v55
	v_mov_b32_e32 v37, v66
	v_pk_add_f32 v[68:69], v[54:55], v[36:37] neg_lo:[0,1] neg_hi:[0,1]
	v_mov_b32_e32 v54, v39
	v_mov_b32_e32 v55, v66
	;; [unrolled: 1-line block ×3, first 2 shown]
	v_pk_add_f32 v[24:25], v[24:25], v[54:55] neg_lo:[0,1] neg_hi:[0,1]
	v_mov_b32_e32 v51, v38
	v_pk_add_f32 v[24:25], v[50:51], v[24:25] neg_lo:[0,1] neg_hi:[0,1]
	v_mov_b32_e32 v68, v64
	v_pk_add_f32 v[38:39], v[68:69], v[24:25]
	s_mov_b32 s13, 0x33800000
	v_mov_b32_e32 v50, v39
	v_pk_add_f32 v[50:51], v[38:39], v[50:51]
	v_cmp_lt_f32_e64 s[14:15], |v53|, s13
	v_pk_add_f32 v[48:49], v[48:49], v[50:51]
	v_mov_b32_e32 v25, v50
	v_mov_b32_e32 v39, v48
	v_pk_add_f32 v[54:55], v[38:39], v[64:65] neg_lo:[0,1] neg_hi:[0,1]
	s_or_b64 s[8:9], s[8:9], s[14:15]
	v_sub_f32_e32 v37, v38, v54
	v_pk_add_f32 v[24:25], v[24:25], v[54:55] neg_lo:[0,1] neg_hi:[0,1]
	v_sub_f32_e32 v37, v64, v37
	v_add_f32_e32 v24, v24, v37
	v_add_f32_e32 v24, v24, v25
	;; [unrolled: 1-line block ×3, first 2 shown]
	v_cndmask_b32_e64 v24, v24, v53, s[8:9]
	v_add_f32_e32 v7, v7, v24
	v_cvt_f16_f32_e32 v37, v7
	v_cvt_f32_f16_e32 v38, v37
.LBB428_276:
	s_or_b64 exec, exec, s[10:11]
	v_cvt_f32_f16_e32 v7, v26
	v_max_f32_e32 v24, v38, v38
	v_cmp_u_f16_e64 s[10:11], v37, v37
	v_cmp_u_f16_e64 s[8:9], v26, v26
	v_min_f32_e32 v25, v24, v7
	v_max_f32_e32 v24, v24, v7
	v_cndmask_b32_e64 v25, v25, v38, s[10:11]
	v_cndmask_b32_e64 v24, v24, v38, s[10:11]
	v_cndmask_b32_e64 v25, v25, v7, s[8:9]
	v_cndmask_b32_e64 v24, v24, v7, s[8:9]
	v_cmp_neq_f32_e64 s[10:11], v25, v24
	v_cmp_class_f32_e64 s[12:13], v25, s12
	s_or_b64 s[10:11], s[10:11], s[12:13]
	s_and_saveexec_b64 s[12:13], s[10:11]
	s_cbranch_execz .LBB428_278
; %bb.277:
	v_sub_f32_e32 v25, v25, v24
	s_mov_b32 s10, 0x3fb8aa3b
	v_mul_f32_e32 v37, 0x3fb8aa3b, v25
	v_fma_f32 v38, v25, s10, -v37
	v_rndne_f32_e32 v39, v37
	v_fmamk_f32 v38, v25, 0x32a5705f, v38
	v_sub_f32_e32 v37, v37, v39
	v_add_f32_e32 v37, v37, v38
	v_exp_f32_e32 v37, v37
	v_cvt_i32_f32_e32 v38, v39
	s_mov_b32 s10, 0xc2ce8ed0
	v_cmp_ngt_f32_e64 s[10:11], s10, v25
	s_mov_b32 s14, 0x7f800000
	v_ldexp_f32 v37, v37, v38
	v_cndmask_b32_e64 v37, 0, v37, s[10:11]
	s_mov_b32 s10, 0x42b17218
	v_mov_b32_e32 v38, 0x7f800000
	v_cmp_nlt_f32_e64 s[10:11], s10, v25
	s_nop 1
	v_cndmask_b32_e64 v37, v38, v37, s[10:11]
	v_add_f32_e32 v25, 1.0, v37
	v_add_f32_e32 v38, -1.0, v25
	v_sub_f32_e32 v39, v38, v25
	v_add_f32_e32 v39, 1.0, v39
	v_sub_f32_e32 v38, v37, v38
	v_add_f32_e32 v48, v38, v39
	v_frexp_mant_f32_e32 v49, v25
	s_mov_b32 s10, 0x3f2aaaab
	v_cvt_f64_f32_e32 v[38:39], v25
	v_frexp_exp_i32_f64_e32 v38, v[38:39]
	v_cmp_gt_f32_e64 s[10:11], s10, v49
	s_nop 1
	v_subbrev_co_u32_e64 v53, s[10:11], 0, v38, s[10:11]
	v_sub_u32_e32 v38, 0, v53
	v_ldexp_f32 v25, v25, v38
	v_ldexp_f32 v38, v48, v38
	v_add_f32_e32 v48, -1.0, v25
	v_add_f32_e32 v39, 1.0, v48
	v_sub_f32_e32 v39, v25, v39
	v_add_f32_e32 v49, v38, v39
	v_add_f32_e32 v39, 1.0, v25
	v_add_f32_e32 v50, -1.0, v39
	v_sub_f32_e32 v25, v25, v50
	v_add_f32_e32 v25, v38, v25
	v_add_f32_e32 v64, v39, v25
	v_rcp_f32_e32 v65, v64
	v_sub_f32_e32 v38, v39, v64
	v_add_f32_e32 v39, v48, v49
	v_add_f32_e32 v25, v25, v38
	v_mul_f32_e32 v67, v39, v65
	v_sub_f32_e32 v38, v48, v39
	v_mul_f32_e32 v48, v64, v67
	v_fma_f32 v50, v67, v64, -v48
	v_fmac_f32_e32 v50, v67, v25
	v_add_f32_e32 v66, v49, v38
	v_add_f32_e32 v38, v48, v50
	v_sub_f32_e32 v49, v39, v38
	v_pk_add_f32 v[54:55], v[38:39], v[48:49] neg_lo:[0,1] neg_hi:[0,1]
	v_mov_b32_e32 v51, v38
	v_pk_add_f32 v[38:39], v[54:55], v[50:51] neg_lo:[0,1] neg_hi:[0,1]
	s_mov_b32 s10, 0x3f317218
	v_add_f32_e32 v39, v66, v39
	v_add_f32_e32 v38, v38, v39
	;; [unrolled: 1-line block ×3, first 2 shown]
	v_mul_f32_e32 v66, v65, v39
	v_mul_f32_e32 v48, v64, v66
	v_fma_f32 v50, v66, v64, -v48
	v_fmac_f32_e32 v50, v66, v25
	v_sub_f32_e32 v25, v49, v39
	v_add_f32_e32 v25, v38, v25
	v_add_f32_e32 v38, v48, v50
	v_sub_f32_e32 v49, v39, v38
	v_pk_add_f32 v[54:55], v[38:39], v[48:49] neg_lo:[0,1] neg_hi:[0,1]
	v_mov_b32_e32 v51, v38
	v_pk_add_f32 v[38:39], v[54:55], v[50:51] neg_lo:[0,1] neg_hi:[0,1]
	v_cvt_f32_i32_e32 v48, v53
	v_add_f32_e32 v25, v25, v39
	v_add_f32_e32 v25, v38, v25
	;; [unrolled: 1-line block ×4, first 2 shown]
	v_sub_f32_e32 v39, v38, v67
	v_mul_f32_e32 v25, v65, v25
	v_sub_f32_e32 v39, v66, v39
	v_add_f32_e32 v25, v39, v25
	v_add_f32_e32 v49, v38, v25
	v_mul_f32_e32 v50, v49, v49
	v_mov_b32_e32 v39, 0x3ecc95a3
	v_fmac_f32_e32 v39, 0x3e9b6dac, v50
	v_sub_f32_e32 v38, v49, v38
	v_fmaak_f32 v39, v50, v39, 0x3f2aaada
	v_sub_f32_e32 v25, v25, v38
	v_ldexp_f32 v51, v49, 1
	v_mul_f32_e32 v49, v49, v50
	v_mov_b32_e32 v38, 0x3f317218
	v_pk_mul_f32 v[38:39], v[48:49], v[38:39]
	v_ldexp_f32 v25, v25, 1
	v_fma_f32 v49, v48, s10, -v38
	v_fmamk_f32 v50, v48, 0xb102e308, v49
	v_pk_add_f32 v[48:49], v[38:39], v[50:51]
	v_mov_b32_e32 v54, v38
	v_sub_f32_e32 v51, v49, v51
	v_sub_f32_e32 v51, v39, v51
	v_add_f32_e32 v55, v25, v51
	v_pk_add_f32 v[38:39], v[48:49], v[38:39] neg_lo:[0,1] neg_hi:[0,1]
	v_pk_add_f32 v[64:65], v[48:49], v[54:55]
	v_mov_b32_e32 v51, v48
	v_mov_b32_e32 v39, v65
	v_pk_add_f32 v[66:67], v[50:51], v[38:39] neg_lo:[0,1] neg_hi:[0,1]
	v_pk_add_f32 v[38:39], v[50:51], v[38:39]
	v_mov_b32_e32 v54, v55
	v_mov_b32_e32 v50, v39
	v_pk_add_f32 v[68:69], v[50:51], v[48:49] neg_lo:[0,1] neg_hi:[0,1]
	v_mov_b32_e32 v38, v65
	v_mov_b32_e32 v25, v68
	v_pk_add_f32 v[70:71], v[64:65], v[24:25] neg_lo:[0,1] neg_hi:[0,1]
	v_mov_b32_e32 v64, v49
	v_mov_b32_e32 v65, v68
	;; [unrolled: 1-line block ×3, first 2 shown]
	v_pk_add_f32 v[38:39], v[38:39], v[64:65] neg_lo:[0,1] neg_hi:[0,1]
	v_mov_b32_e32 v55, v48
	v_pk_add_f32 v[38:39], v[54:55], v[38:39] neg_lo:[0,1] neg_hi:[0,1]
	v_mov_b32_e32 v70, v66
	v_pk_add_f32 v[48:49], v[70:71], v[38:39]
	v_cmp_eq_f32_e64 s[10:11], s14, v37
	v_mov_b32_e32 v54, v49
	v_pk_add_f32 v[54:55], v[48:49], v[54:55]
	s_mov_b32 s14, 0x33800000
	v_pk_add_f32 v[50:51], v[50:51], v[54:55]
	v_mov_b32_e32 v39, v54
	v_mov_b32_e32 v49, v50
	v_pk_add_f32 v[64:65], v[48:49], v[66:67] neg_lo:[0,1] neg_hi:[0,1]
	v_cmp_lt_f32_e64 s[14:15], |v37|, s14
	v_sub_f32_e32 v25, v48, v64
	v_pk_add_f32 v[38:39], v[38:39], v[64:65] neg_lo:[0,1] neg_hi:[0,1]
	v_sub_f32_e32 v25, v66, v25
	v_add_f32_e32 v25, v38, v25
	v_add_f32_e32 v25, v25, v39
	v_add_f32_e32 v25, v50, v25
	s_or_b64 s[10:11], s[10:11], s[14:15]
	v_cndmask_b32_e64 v25, v25, v37, s[10:11]
	v_add_f32_e32 v24, v24, v25
	v_cvt_f16_f32_e32 v37, v24
	v_cvt_f32_f16_e32 v38, v37
.LBB428_278:
	s_or_b64 exec, exec, s[12:13]
	v_cvt_f32_f16_sdwa v24, v26 dst_sel:DWORD dst_unused:UNUSED_PAD src0_sel:WORD_1
	v_max_f32_e32 v25, v38, v38
	v_cmp_u_f16_e64 s[12:13], v37, v37
	v_cmp_u_f16_sdwa s[10:11], v26, v26 src0_sel:WORD_1 src1_sel:WORD_1
	v_min_f32_e32 v39, v25, v24
	v_max_f32_e32 v25, v25, v24
	v_cndmask_b32_e64 v39, v39, v38, s[12:13]
	v_cndmask_b32_e64 v25, v25, v38, s[12:13]
	v_cndmask_b32_e64 v26, v39, v24, s[10:11]
	v_cndmask_b32_e64 v25, v25, v24, s[10:11]
	s_movk_i32 s16, 0x1f8
	v_cmp_neq_f32_e64 s[12:13], v26, v25
	v_cmp_class_f32_e64 s[14:15], v26, s16
	s_or_b64 s[12:13], s[12:13], s[14:15]
	s_and_saveexec_b64 s[14:15], s[12:13]
	s_cbranch_execz .LBB428_280
; %bb.279:
	v_sub_f32_e32 v26, v26, v25
	s_mov_b32 s12, 0x3fb8aa3b
	v_mul_f32_e32 v37, 0x3fb8aa3b, v26
	v_fma_f32 v38, v26, s12, -v37
	v_rndne_f32_e32 v39, v37
	v_fmamk_f32 v38, v26, 0x32a5705f, v38
	v_sub_f32_e32 v37, v37, v39
	v_add_f32_e32 v37, v37, v38
	v_exp_f32_e32 v37, v37
	v_cvt_i32_f32_e32 v38, v39
	s_mov_b32 s12, 0xc2ce8ed0
	v_cmp_ngt_f32_e64 s[12:13], s12, v26
	s_mov_b32 s17, 0x7f800000
	v_ldexp_f32 v37, v37, v38
	v_cndmask_b32_e64 v37, 0, v37, s[12:13]
	s_mov_b32 s12, 0x42b17218
	v_mov_b32_e32 v38, 0x7f800000
	v_cmp_nlt_f32_e64 s[12:13], s12, v26
	s_nop 1
	v_cndmask_b32_e64 v53, v38, v37, s[12:13]
	v_add_f32_e32 v26, 1.0, v53
	v_add_f32_e32 v37, -1.0, v26
	v_sub_f32_e32 v38, v37, v26
	v_add_f32_e32 v38, 1.0, v38
	v_sub_f32_e32 v37, v53, v37
	v_add_f32_e32 v37, v37, v38
	v_frexp_mant_f32_e32 v48, v26
	s_mov_b32 s12, 0x3f2aaaab
	v_cvt_f64_f32_e32 v[38:39], v26
	v_frexp_exp_i32_f64_e32 v38, v[38:39]
	v_cmp_gt_f32_e64 s[12:13], s12, v48
	s_nop 1
	v_subbrev_co_u32_e64 v64, s[12:13], 0, v38, s[12:13]
	v_sub_u32_e32 v38, 0, v64
	v_ldexp_f32 v26, v26, v38
	v_ldexp_f32 v37, v37, v38
	v_add_f32_e32 v38, -1.0, v26
	v_add_f32_e32 v39, 1.0, v38
	v_sub_f32_e32 v39, v26, v39
	v_add_f32_e32 v48, v37, v39
	v_add_f32_e32 v39, 1.0, v26
	v_add_f32_e32 v49, -1.0, v39
	v_sub_f32_e32 v26, v26, v49
	v_add_f32_e32 v26, v37, v26
	v_add_f32_e32 v37, v39, v26
	v_rcp_f32_e32 v65, v37
	v_sub_f32_e32 v39, v39, v37
	v_add_f32_e32 v26, v26, v39
	v_add_f32_e32 v39, v38, v48
	v_sub_f32_e32 v38, v38, v39
	v_mul_f32_e32 v67, v39, v65
	v_add_f32_e32 v66, v48, v38
	v_mul_f32_e32 v48, v37, v67
	v_fma_f32 v50, v67, v37, -v48
	v_fmac_f32_e32 v50, v67, v26
	v_add_f32_e32 v38, v48, v50
	v_sub_f32_e32 v49, v39, v38
	v_pk_add_f32 v[54:55], v[38:39], v[48:49] neg_lo:[0,1] neg_hi:[0,1]
	v_mov_b32_e32 v51, v38
	v_pk_add_f32 v[38:39], v[54:55], v[50:51] neg_lo:[0,1] neg_hi:[0,1]
	s_mov_b32 s12, 0x3f317218
	v_add_f32_e32 v39, v66, v39
	v_add_f32_e32 v38, v38, v39
	;; [unrolled: 1-line block ×3, first 2 shown]
	v_mul_f32_e32 v66, v65, v39
	v_mul_f32_e32 v48, v37, v66
	v_fma_f32 v50, v66, v37, -v48
	v_fmac_f32_e32 v50, v66, v26
	v_sub_f32_e32 v26, v49, v39
	v_add_f32_e32 v26, v38, v26
	v_add_f32_e32 v38, v48, v50
	v_sub_f32_e32 v49, v39, v38
	v_pk_add_f32 v[54:55], v[38:39], v[48:49] neg_lo:[0,1] neg_hi:[0,1]
	v_mov_b32_e32 v51, v38
	v_pk_add_f32 v[38:39], v[54:55], v[50:51] neg_lo:[0,1] neg_hi:[0,1]
	v_add_f32_e32 v37, v67, v66
	v_add_f32_e32 v26, v26, v39
	;; [unrolled: 1-line block ×4, first 2 shown]
	v_sub_f32_e32 v38, v37, v67
	v_mul_f32_e32 v26, v65, v26
	v_sub_f32_e32 v38, v66, v38
	v_add_f32_e32 v26, v38, v26
	v_add_f32_e32 v38, v37, v26
	v_cvt_f32_i32_e32 v48, v64
	v_mul_f32_e32 v49, v38, v38
	v_mov_b32_e32 v39, 0x3ecc95a3
	v_fmac_f32_e32 v39, 0x3e9b6dac, v49
	v_fmaak_f32 v39, v49, v39, 0x3f2aaada
	v_sub_f32_e32 v37, v38, v37
	v_ldexp_f32 v51, v38, 1
	v_mul_f32_e32 v49, v38, v49
	v_mov_b32_e32 v38, 0x3f317218
	v_pk_mul_f32 v[38:39], v[48:49], v[38:39]
	v_sub_f32_e32 v26, v26, v37
	v_fma_f32 v37, v48, s12, -v38
	v_fmamk_f32 v50, v48, 0xb102e308, v37
	v_pk_add_f32 v[48:49], v[38:39], v[50:51]
	v_ldexp_f32 v26, v26, 1
	v_sub_f32_e32 v37, v49, v51
	v_sub_f32_e32 v37, v39, v37
	v_add_f32_e32 v55, v26, v37
	v_mov_b32_e32 v54, v38
	v_pk_add_f32 v[38:39], v[48:49], v[38:39] neg_lo:[0,1] neg_hi:[0,1]
	v_pk_add_f32 v[64:65], v[48:49], v[54:55]
	v_mov_b32_e32 v51, v48
	v_mov_b32_e32 v39, v65
	v_pk_add_f32 v[66:67], v[50:51], v[38:39] neg_lo:[0,1] neg_hi:[0,1]
	v_pk_add_f32 v[38:39], v[50:51], v[38:39]
	v_cmp_eq_f32_e64 s[12:13], s17, v53
	v_mov_b32_e32 v26, v39
	v_pk_add_f32 v[50:51], v[26:27], v[48:49] neg_lo:[0,1] neg_hi:[0,1]
	v_mov_b32_e32 v38, v65
	v_mov_b32_e32 v37, v50
	v_pk_add_f32 v[68:69], v[64:65], v[36:37] neg_lo:[0,1] neg_hi:[0,1]
	v_mov_b32_e32 v64, v49
	v_mov_b32_e32 v65, v50
	;; [unrolled: 1-line block ×3, first 2 shown]
	v_pk_add_f32 v[38:39], v[38:39], v[64:65] neg_lo:[0,1] neg_hi:[0,1]
	v_mov_b32_e32 v50, v55
	v_mov_b32_e32 v51, v48
	v_pk_add_f32 v[38:39], v[50:51], v[38:39] neg_lo:[0,1] neg_hi:[0,1]
	v_mov_b32_e32 v68, v66
	v_pk_add_f32 v[48:49], v[68:69], v[38:39]
	s_mov_b32 s17, 0x33800000
	v_mov_b32_e32 v50, v49
	v_pk_add_f32 v[50:51], v[48:49], v[50:51]
	v_cmp_lt_f32_e64 s[18:19], |v53|, s17
	v_pk_add_f32 v[54:55], v[26:27], v[50:51]
	v_mov_b32_e32 v39, v50
	v_mov_b32_e32 v49, v54
	v_pk_add_f32 v[64:65], v[48:49], v[66:67] neg_lo:[0,1] neg_hi:[0,1]
	s_or_b64 s[12:13], s[12:13], s[18:19]
	v_sub_f32_e32 v26, v48, v64
	v_pk_add_f32 v[38:39], v[38:39], v[64:65] neg_lo:[0,1] neg_hi:[0,1]
	v_sub_f32_e32 v26, v66, v26
	v_add_f32_e32 v26, v38, v26
	v_add_f32_e32 v26, v26, v39
	;; [unrolled: 1-line block ×3, first 2 shown]
	v_cndmask_b32_e64 v26, v26, v53, s[12:13]
	v_add_f32_e32 v25, v25, v26
	v_cvt_f16_f32_e32 v37, v25
	v_cvt_f32_f16_e32 v38, v37
.LBB428_280:
	s_or_b64 exec, exec, s[14:15]
	v_cvt_f32_f16_e32 v25, v27
	v_max_f32_e32 v26, v38, v38
	v_cmp_u_f16_e64 s[14:15], v37, v37
	v_cmp_u_f16_e64 s[12:13], v27, v27
	v_min_f32_e32 v39, v26, v25
	v_max_f32_e32 v26, v26, v25
	v_cndmask_b32_e64 v39, v39, v38, s[14:15]
	v_cndmask_b32_e64 v26, v26, v38, s[14:15]
	;; [unrolled: 1-line block ×4, first 2 shown]
	v_cmp_neq_f32_e64 s[14:15], v39, v26
	v_cmp_class_f32_e64 s[16:17], v39, s16
	s_or_b64 s[14:15], s[14:15], s[16:17]
	s_and_saveexec_b64 s[16:17], s[14:15]
	s_cbranch_execz .LBB428_282
; %bb.281:
	v_sub_f32_e32 v37, v39, v26
	s_mov_b32 s14, 0x3fb8aa3b
	v_mul_f32_e32 v38, 0x3fb8aa3b, v37
	v_fma_f32 v39, v37, s14, -v38
	v_rndne_f32_e32 v48, v38
	v_fmamk_f32 v39, v37, 0x32a5705f, v39
	v_sub_f32_e32 v38, v38, v48
	v_add_f32_e32 v38, v38, v39
	v_exp_f32_e32 v38, v38
	v_cvt_i32_f32_e32 v39, v48
	s_mov_b32 s14, 0xc2ce8ed0
	v_cmp_ngt_f32_e64 s[14:15], s14, v37
	s_mov_b32 s18, 0x7f800000
	v_ldexp_f32 v38, v38, v39
	v_cndmask_b32_e64 v38, 0, v38, s[14:15]
	s_mov_b32 s14, 0x42b17218
	v_mov_b32_e32 v39, 0x7f800000
	v_cmp_nlt_f32_e64 s[14:15], s14, v37
	s_nop 1
	v_cndmask_b32_e64 v53, v39, v38, s[14:15]
	v_add_f32_e32 v37, 1.0, v53
	v_add_f32_e32 v38, -1.0, v37
	v_sub_f32_e32 v39, v38, v37
	v_add_f32_e32 v39, 1.0, v39
	v_sub_f32_e32 v38, v53, v38
	v_add_f32_e32 v48, v38, v39
	v_frexp_mant_f32_e32 v49, v37
	s_mov_b32 s14, 0x3f2aaaab
	v_cvt_f64_f32_e32 v[38:39], v37
	v_frexp_exp_i32_f64_e32 v38, v[38:39]
	v_cmp_gt_f32_e64 s[14:15], s14, v49
	s_nop 1
	v_subbrev_co_u32_e64 v64, s[14:15], 0, v38, s[14:15]
	v_sub_u32_e32 v38, 0, v64
	v_ldexp_f32 v37, v37, v38
	v_ldexp_f32 v38, v48, v38
	v_add_f32_e32 v48, -1.0, v37
	v_add_f32_e32 v39, 1.0, v48
	v_sub_f32_e32 v39, v37, v39
	v_add_f32_e32 v49, v38, v39
	v_add_f32_e32 v39, 1.0, v37
	v_add_f32_e32 v50, -1.0, v39
	v_sub_f32_e32 v37, v37, v50
	v_add_f32_e32 v37, v38, v37
	v_add_f32_e32 v65, v39, v37
	v_rcp_f32_e32 v66, v65
	v_sub_f32_e32 v38, v39, v65
	v_add_f32_e32 v39, v48, v49
	v_add_f32_e32 v37, v37, v38
	v_mul_f32_e32 v68, v39, v66
	v_sub_f32_e32 v38, v48, v39
	v_mul_f32_e32 v48, v65, v68
	v_fma_f32 v50, v68, v65, -v48
	v_fmac_f32_e32 v50, v68, v37
	v_add_f32_e32 v67, v49, v38
	v_add_f32_e32 v38, v48, v50
	v_sub_f32_e32 v49, v39, v38
	v_pk_add_f32 v[54:55], v[38:39], v[48:49] neg_lo:[0,1] neg_hi:[0,1]
	v_mov_b32_e32 v51, v38
	v_pk_add_f32 v[38:39], v[54:55], v[50:51] neg_lo:[0,1] neg_hi:[0,1]
	s_mov_b32 s14, 0x3f317218
	v_add_f32_e32 v39, v67, v39
	v_add_f32_e32 v38, v38, v39
	;; [unrolled: 1-line block ×3, first 2 shown]
	v_mul_f32_e32 v67, v66, v39
	v_mul_f32_e32 v48, v65, v67
	v_fma_f32 v50, v67, v65, -v48
	v_fmac_f32_e32 v50, v67, v37
	v_sub_f32_e32 v37, v49, v39
	v_add_f32_e32 v37, v38, v37
	v_add_f32_e32 v38, v48, v50
	v_sub_f32_e32 v49, v39, v38
	v_pk_add_f32 v[54:55], v[38:39], v[48:49] neg_lo:[0,1] neg_hi:[0,1]
	v_mov_b32_e32 v51, v38
	v_pk_add_f32 v[38:39], v[54:55], v[50:51] neg_lo:[0,1] neg_hi:[0,1]
	v_cvt_f32_i32_e32 v48, v64
	v_add_f32_e32 v37, v37, v39
	v_add_f32_e32 v37, v38, v37
	v_add_f32_e32 v38, v68, v67
	v_add_f32_e32 v37, v49, v37
	v_sub_f32_e32 v39, v38, v68
	v_mul_f32_e32 v37, v66, v37
	v_sub_f32_e32 v39, v67, v39
	v_add_f32_e32 v37, v39, v37
	v_add_f32_e32 v49, v38, v37
	v_mul_f32_e32 v50, v49, v49
	v_mov_b32_e32 v39, 0x3ecc95a3
	v_fmac_f32_e32 v39, 0x3e9b6dac, v50
	v_sub_f32_e32 v38, v49, v38
	v_fmaak_f32 v39, v50, v39, 0x3f2aaada
	v_sub_f32_e32 v37, v37, v38
	v_ldexp_f32 v51, v49, 1
	v_mul_f32_e32 v49, v49, v50
	v_mov_b32_e32 v38, 0x3f317218
	v_pk_mul_f32 v[38:39], v[48:49], v[38:39]
	v_ldexp_f32 v37, v37, 1
	v_fma_f32 v49, v48, s14, -v38
	v_fmamk_f32 v50, v48, 0xb102e308, v49
	v_pk_add_f32 v[48:49], v[38:39], v[50:51]
	v_mov_b32_e32 v54, v38
	v_sub_f32_e32 v51, v49, v51
	v_sub_f32_e32 v51, v39, v51
	v_add_f32_e32 v55, v37, v51
	v_pk_add_f32 v[38:39], v[48:49], v[38:39] neg_lo:[0,1] neg_hi:[0,1]
	v_pk_add_f32 v[64:65], v[48:49], v[54:55]
	v_mov_b32_e32 v51, v48
	v_mov_b32_e32 v39, v65
	v_pk_add_f32 v[66:67], v[50:51], v[38:39] neg_lo:[0,1] neg_hi:[0,1]
	v_pk_add_f32 v[38:39], v[50:51], v[38:39]
	v_mov_b32_e32 v54, v55
	v_mov_b32_e32 v50, v39
	v_pk_add_f32 v[68:69], v[50:51], v[48:49] neg_lo:[0,1] neg_hi:[0,1]
	v_mov_b32_e32 v38, v65
	v_mov_b32_e32 v37, v68
	v_pk_add_f32 v[70:71], v[64:65], v[36:37] neg_lo:[0,1] neg_hi:[0,1]
	v_mov_b32_e32 v64, v49
	v_mov_b32_e32 v65, v68
	;; [unrolled: 1-line block ×3, first 2 shown]
	v_pk_add_f32 v[38:39], v[38:39], v[64:65] neg_lo:[0,1] neg_hi:[0,1]
	v_mov_b32_e32 v55, v48
	v_pk_add_f32 v[38:39], v[54:55], v[38:39] neg_lo:[0,1] neg_hi:[0,1]
	v_mov_b32_e32 v70, v66
	v_pk_add_f32 v[48:49], v[70:71], v[38:39]
	v_cmp_eq_f32_e64 s[14:15], s18, v53
	v_mov_b32_e32 v54, v49
	v_pk_add_f32 v[54:55], v[48:49], v[54:55]
	s_mov_b32 s18, 0x33800000
	v_pk_add_f32 v[50:51], v[50:51], v[54:55]
	v_mov_b32_e32 v39, v54
	v_mov_b32_e32 v49, v50
	v_pk_add_f32 v[64:65], v[48:49], v[66:67] neg_lo:[0,1] neg_hi:[0,1]
	v_cmp_lt_f32_e64 s[18:19], |v53|, s18
	v_sub_f32_e32 v37, v48, v64
	v_pk_add_f32 v[38:39], v[38:39], v[64:65] neg_lo:[0,1] neg_hi:[0,1]
	v_sub_f32_e32 v37, v66, v37
	v_add_f32_e32 v37, v38, v37
	v_add_f32_e32 v37, v37, v39
	;; [unrolled: 1-line block ×3, first 2 shown]
	s_or_b64 s[14:15], s[14:15], s[18:19]
	v_cndmask_b32_e64 v37, v37, v53, s[14:15]
	v_add_f32_e32 v26, v26, v37
	v_cvt_f16_f32_e32 v37, v26
	v_cvt_f32_f16_e32 v38, v37
.LBB428_282:
	s_or_b64 exec, exec, s[16:17]
	v_cvt_f32_f16_sdwa v26, v27 dst_sel:DWORD dst_unused:UNUSED_PAD src0_sel:WORD_1
	v_max_f32_e32 v48, v38, v38
	v_cmp_u_f16_e64 s[16:17], v37, v37
	v_cmp_u_f16_sdwa s[14:15], v27, v27 src0_sel:WORD_1 src1_sel:WORD_1
	v_min_f32_e32 v39, v48, v26
	v_max_f32_e32 v27, v48, v26
	v_cndmask_b32_e64 v39, v39, v38, s[16:17]
	v_cndmask_b32_e64 v27, v27, v38, s[16:17]
	;; [unrolled: 1-line block ×4, first 2 shown]
	s_movk_i32 s20, 0x1f8
	v_cmp_neq_f32_e64 s[16:17], v39, v27
	v_cmp_class_f32_e64 s[18:19], v39, s20
	s_or_b64 s[16:17], s[16:17], s[18:19]
	s_and_saveexec_b64 s[18:19], s[16:17]
	s_cbranch_execz .LBB428_284
; %bb.283:
	v_sub_f32_e32 v37, v39, v27
	s_mov_b32 s16, 0x3fb8aa3b
	v_mul_f32_e32 v38, 0x3fb8aa3b, v37
	v_fma_f32 v39, v37, s16, -v38
	v_rndne_f32_e32 v48, v38
	v_fmamk_f32 v39, v37, 0x32a5705f, v39
	v_sub_f32_e32 v38, v38, v48
	v_add_f32_e32 v38, v38, v39
	v_exp_f32_e32 v38, v38
	v_cvt_i32_f32_e32 v39, v48
	s_mov_b32 s16, 0xc2ce8ed0
	v_cmp_ngt_f32_e64 s[16:17], s16, v37
	s_mov_b32 s21, 0x7f800000
	v_ldexp_f32 v38, v38, v39
	v_cndmask_b32_e64 v38, 0, v38, s[16:17]
	s_mov_b32 s16, 0x42b17218
	v_mov_b32_e32 v39, 0x7f800000
	v_cmp_nlt_f32_e64 s[16:17], s16, v37
	s_nop 1
	v_cndmask_b32_e64 v53, v39, v38, s[16:17]
	v_add_f32_e32 v37, 1.0, v53
	v_add_f32_e32 v38, -1.0, v37
	v_sub_f32_e32 v39, v38, v37
	v_add_f32_e32 v39, 1.0, v39
	v_sub_f32_e32 v38, v53, v38
	v_add_f32_e32 v48, v38, v39
	v_frexp_mant_f32_e32 v49, v37
	s_mov_b32 s16, 0x3f2aaaab
	v_cvt_f64_f32_e32 v[38:39], v37
	v_frexp_exp_i32_f64_e32 v38, v[38:39]
	v_cmp_gt_f32_e64 s[16:17], s16, v49
	s_nop 1
	v_subbrev_co_u32_e64 v64, s[16:17], 0, v38, s[16:17]
	v_sub_u32_e32 v38, 0, v64
	v_ldexp_f32 v37, v37, v38
	v_ldexp_f32 v38, v48, v38
	v_add_f32_e32 v48, -1.0, v37
	v_add_f32_e32 v39, 1.0, v48
	v_sub_f32_e32 v39, v37, v39
	v_add_f32_e32 v49, v38, v39
	v_add_f32_e32 v39, 1.0, v37
	v_add_f32_e32 v50, -1.0, v39
	v_sub_f32_e32 v37, v37, v50
	v_add_f32_e32 v37, v38, v37
	v_add_f32_e32 v65, v39, v37
	v_rcp_f32_e32 v66, v65
	v_sub_f32_e32 v38, v39, v65
	v_add_f32_e32 v39, v48, v49
	v_add_f32_e32 v37, v37, v38
	v_mul_f32_e32 v68, v39, v66
	v_sub_f32_e32 v38, v48, v39
	v_mul_f32_e32 v48, v65, v68
	v_fma_f32 v50, v68, v65, -v48
	v_fmac_f32_e32 v50, v68, v37
	v_add_f32_e32 v67, v49, v38
	v_add_f32_e32 v38, v48, v50
	v_sub_f32_e32 v49, v39, v38
	v_pk_add_f32 v[54:55], v[38:39], v[48:49] neg_lo:[0,1] neg_hi:[0,1]
	v_mov_b32_e32 v51, v38
	v_pk_add_f32 v[38:39], v[54:55], v[50:51] neg_lo:[0,1] neg_hi:[0,1]
	s_mov_b32 s16, 0x3f317218
	v_add_f32_e32 v39, v67, v39
	v_add_f32_e32 v38, v38, v39
	;; [unrolled: 1-line block ×3, first 2 shown]
	v_mul_f32_e32 v67, v66, v39
	v_mul_f32_e32 v48, v65, v67
	v_fma_f32 v50, v67, v65, -v48
	v_fmac_f32_e32 v50, v67, v37
	v_sub_f32_e32 v37, v49, v39
	v_add_f32_e32 v37, v38, v37
	v_add_f32_e32 v38, v48, v50
	v_sub_f32_e32 v49, v39, v38
	v_pk_add_f32 v[54:55], v[38:39], v[48:49] neg_lo:[0,1] neg_hi:[0,1]
	v_mov_b32_e32 v51, v38
	v_pk_add_f32 v[38:39], v[54:55], v[50:51] neg_lo:[0,1] neg_hi:[0,1]
	v_cvt_f32_i32_e32 v48, v64
	v_add_f32_e32 v37, v37, v39
	v_add_f32_e32 v37, v38, v37
	;; [unrolled: 1-line block ×4, first 2 shown]
	v_sub_f32_e32 v39, v38, v68
	v_mul_f32_e32 v37, v66, v37
	v_sub_f32_e32 v39, v67, v39
	v_add_f32_e32 v37, v39, v37
	v_add_f32_e32 v49, v38, v37
	v_mul_f32_e32 v50, v49, v49
	v_mov_b32_e32 v39, 0x3ecc95a3
	v_fmac_f32_e32 v39, 0x3e9b6dac, v50
	v_sub_f32_e32 v38, v49, v38
	v_fmaak_f32 v39, v50, v39, 0x3f2aaada
	v_sub_f32_e32 v37, v37, v38
	v_ldexp_f32 v51, v49, 1
	v_mul_f32_e32 v49, v49, v50
	v_mov_b32_e32 v38, 0x3f317218
	v_pk_mul_f32 v[38:39], v[48:49], v[38:39]
	v_ldexp_f32 v37, v37, 1
	v_fma_f32 v49, v48, s16, -v38
	v_fmamk_f32 v50, v48, 0xb102e308, v49
	v_pk_add_f32 v[48:49], v[38:39], v[50:51]
	v_mov_b32_e32 v54, v38
	v_sub_f32_e32 v51, v49, v51
	v_sub_f32_e32 v51, v39, v51
	v_add_f32_e32 v55, v37, v51
	v_pk_add_f32 v[38:39], v[48:49], v[38:39] neg_lo:[0,1] neg_hi:[0,1]
	v_pk_add_f32 v[64:65], v[48:49], v[54:55]
	v_mov_b32_e32 v51, v48
	v_mov_b32_e32 v39, v65
	v_pk_add_f32 v[66:67], v[50:51], v[38:39] neg_lo:[0,1] neg_hi:[0,1]
	v_pk_add_f32 v[38:39], v[50:51], v[38:39]
	v_mov_b32_e32 v54, v55
	v_mov_b32_e32 v50, v39
	v_pk_add_f32 v[68:69], v[50:51], v[48:49] neg_lo:[0,1] neg_hi:[0,1]
	v_mov_b32_e32 v38, v65
	v_mov_b32_e32 v37, v68
	v_pk_add_f32 v[70:71], v[64:65], v[36:37] neg_lo:[0,1] neg_hi:[0,1]
	v_mov_b32_e32 v64, v49
	v_mov_b32_e32 v65, v68
	;; [unrolled: 1-line block ×3, first 2 shown]
	v_pk_add_f32 v[38:39], v[38:39], v[64:65] neg_lo:[0,1] neg_hi:[0,1]
	v_mov_b32_e32 v55, v48
	v_pk_add_f32 v[38:39], v[54:55], v[38:39] neg_lo:[0,1] neg_hi:[0,1]
	v_mov_b32_e32 v70, v66
	v_pk_add_f32 v[48:49], v[70:71], v[38:39]
	v_cmp_eq_f32_e64 s[16:17], s21, v53
	v_mov_b32_e32 v54, v49
	v_pk_add_f32 v[54:55], v[48:49], v[54:55]
	s_mov_b32 s21, 0x33800000
	v_pk_add_f32 v[50:51], v[50:51], v[54:55]
	v_mov_b32_e32 v39, v54
	v_mov_b32_e32 v49, v50
	v_pk_add_f32 v[64:65], v[48:49], v[66:67] neg_lo:[0,1] neg_hi:[0,1]
	v_cmp_lt_f32_e64 s[22:23], |v53|, s21
	v_sub_f32_e32 v37, v48, v64
	v_pk_add_f32 v[38:39], v[38:39], v[64:65] neg_lo:[0,1] neg_hi:[0,1]
	v_sub_f32_e32 v37, v66, v37
	v_add_f32_e32 v37, v38, v37
	v_add_f32_e32 v37, v37, v39
	;; [unrolled: 1-line block ×3, first 2 shown]
	s_or_b64 s[16:17], s[16:17], s[22:23]
	v_cndmask_b32_e64 v37, v37, v53, s[16:17]
	v_add_f32_e32 v27, v27, v37
	v_cvt_f16_f32_e32 v37, v27
	v_cvt_f32_f16_e32 v38, v37
.LBB428_284:
	s_or_b64 exec, exec, s[18:19]
	v_cvt_f32_f16_e32 v27, v20
	v_max_f32_e32 v39, v38, v38
	v_cmp_u_f16_e64 s[18:19], v37, v37
	v_cmp_u_f16_e64 s[16:17], v20, v20
	v_min_f32_e32 v48, v39, v27
	v_max_f32_e32 v39, v39, v27
	v_cndmask_b32_e64 v48, v48, v38, s[18:19]
	v_cndmask_b32_e64 v39, v39, v38, s[18:19]
	;; [unrolled: 1-line block ×4, first 2 shown]
	v_cmp_neq_f32_e64 s[18:19], v48, v39
	v_cmp_class_f32_e64 s[20:21], v48, s20
	s_or_b64 s[18:19], s[18:19], s[20:21]
	s_and_saveexec_b64 s[20:21], s[18:19]
	s_cbranch_execz .LBB428_286
; %bb.285:
	v_sub_f32_e32 v37, v48, v39
	s_mov_b32 s18, 0x3fb8aa3b
	v_mul_f32_e32 v38, 0x3fb8aa3b, v37
	v_fma_f32 v48, v37, s18, -v38
	v_rndne_f32_e32 v49, v38
	v_fmamk_f32 v48, v37, 0x32a5705f, v48
	v_sub_f32_e32 v38, v38, v49
	v_add_f32_e32 v38, v38, v48
	v_exp_f32_e32 v38, v38
	v_cvt_i32_f32_e32 v48, v49
	s_mov_b32 s18, 0xc2ce8ed0
	v_cmp_ngt_f32_e64 s[18:19], s18, v37
	s_mov_b32 s22, 0x7f800000
	v_ldexp_f32 v38, v38, v48
	v_cndmask_b32_e64 v38, 0, v38, s[18:19]
	s_mov_b32 s18, 0x42b17218
	v_mov_b32_e32 v48, 0x7f800000
	v_cmp_nlt_f32_e64 s[18:19], s18, v37
	s_nop 1
	v_cndmask_b32_e64 v53, v48, v38, s[18:19]
	v_add_f32_e32 v37, 1.0, v53
	v_add_f32_e32 v38, -1.0, v37
	v_sub_f32_e32 v48, v38, v37
	v_add_f32_e32 v48, 1.0, v48
	v_sub_f32_e32 v38, v53, v38
	v_add_f32_e32 v38, v38, v48
	v_frexp_mant_f32_e32 v50, v37
	s_mov_b32 s18, 0x3f2aaaab
	v_cvt_f64_f32_e32 v[48:49], v37
	v_frexp_exp_i32_f64_e32 v48, v[48:49]
	v_cmp_gt_f32_e64 s[18:19], s18, v50
	s_nop 1
	v_subbrev_co_u32_e64 v66, s[18:19], 0, v48, s[18:19]
	v_sub_u32_e32 v48, 0, v66
	v_ldexp_f32 v37, v37, v48
	v_ldexp_f32 v38, v38, v48
	v_add_f32_e32 v48, -1.0, v37
	v_add_f32_e32 v49, 1.0, v48
	v_sub_f32_e32 v49, v37, v49
	v_add_f32_e32 v50, v38, v49
	v_add_f32_e32 v49, 1.0, v37
	v_add_f32_e32 v51, -1.0, v49
	v_sub_f32_e32 v37, v37, v51
	v_add_f32_e32 v37, v38, v37
	v_add_f32_e32 v38, v49, v37
	v_rcp_f32_e32 v67, v38
	v_sub_f32_e32 v49, v49, v38
	v_add_f32_e32 v37, v37, v49
	v_add_f32_e32 v49, v48, v50
	v_sub_f32_e32 v48, v48, v49
	v_mul_f32_e32 v69, v49, v67
	v_add_f32_e32 v68, v50, v48
	v_mul_f32_e32 v50, v38, v69
	v_fma_f32 v54, v69, v38, -v50
	v_fmac_f32_e32 v54, v69, v37
	v_add_f32_e32 v48, v50, v54
	v_sub_f32_e32 v51, v49, v48
	v_pk_add_f32 v[64:65], v[48:49], v[50:51] neg_lo:[0,1] neg_hi:[0,1]
	v_mov_b32_e32 v55, v48
	v_pk_add_f32 v[48:49], v[64:65], v[54:55] neg_lo:[0,1] neg_hi:[0,1]
	s_mov_b32 s18, 0x3f317218
	v_add_f32_e32 v49, v68, v49
	v_add_f32_e32 v48, v48, v49
	;; [unrolled: 1-line block ×3, first 2 shown]
	v_mul_f32_e32 v68, v67, v49
	v_mul_f32_e32 v50, v38, v68
	v_fma_f32 v54, v68, v38, -v50
	v_fmac_f32_e32 v54, v68, v37
	v_sub_f32_e32 v37, v51, v49
	v_add_f32_e32 v37, v48, v37
	v_add_f32_e32 v48, v50, v54
	v_sub_f32_e32 v51, v49, v48
	v_pk_add_f32 v[64:65], v[48:49], v[50:51] neg_lo:[0,1] neg_hi:[0,1]
	v_mov_b32_e32 v55, v48
	v_pk_add_f32 v[48:49], v[64:65], v[54:55] neg_lo:[0,1] neg_hi:[0,1]
	v_add_f32_e32 v38, v69, v68
	v_add_f32_e32 v37, v37, v49
	;; [unrolled: 1-line block ×4, first 2 shown]
	v_sub_f32_e32 v48, v38, v69
	v_mul_f32_e32 v37, v67, v37
	v_sub_f32_e32 v48, v68, v48
	v_add_f32_e32 v37, v48, v37
	v_add_f32_e32 v48, v38, v37
	v_cvt_f32_i32_e32 v50, v66
	v_mul_f32_e32 v51, v48, v48
	v_mov_b32_e32 v49, 0x3ecc95a3
	v_fmac_f32_e32 v49, 0x3e9b6dac, v51
	v_fmaak_f32 v49, v51, v49, 0x3f2aaada
	v_sub_f32_e32 v38, v48, v38
	v_ldexp_f32 v55, v48, 1
	v_mul_f32_e32 v51, v48, v51
	v_mov_b32_e32 v48, 0x3f317218
	v_pk_mul_f32 v[48:49], v[50:51], v[48:49]
	v_sub_f32_e32 v37, v37, v38
	v_fma_f32 v38, v50, s18, -v48
	v_fmamk_f32 v54, v50, 0xb102e308, v38
	v_pk_add_f32 v[50:51], v[48:49], v[54:55]
	v_ldexp_f32 v37, v37, 1
	v_sub_f32_e32 v38, v51, v55
	v_sub_f32_e32 v38, v49, v38
	v_add_f32_e32 v65, v37, v38
	v_mov_b32_e32 v64, v48
	v_pk_add_f32 v[48:49], v[50:51], v[48:49] neg_lo:[0,1] neg_hi:[0,1]
	v_pk_add_f32 v[66:67], v[50:51], v[64:65]
	v_mov_b32_e32 v55, v50
	v_mov_b32_e32 v49, v67
	v_pk_add_f32 v[68:69], v[54:55], v[48:49] neg_lo:[0,1] neg_hi:[0,1]
	v_pk_add_f32 v[48:49], v[54:55], v[48:49]
	v_cmp_eq_f32_e64 s[18:19], s22, v53
	v_mov_b32_e32 v38, v49
	v_pk_add_f32 v[54:55], v[38:39], v[50:51] neg_lo:[0,1] neg_hi:[0,1]
	v_mov_b32_e32 v48, v67
	v_mov_b32_e32 v37, v54
	v_pk_add_f32 v[70:71], v[66:67], v[36:37] neg_lo:[0,1] neg_hi:[0,1]
	v_mov_b32_e32 v66, v51
	v_mov_b32_e32 v67, v54
	;; [unrolled: 1-line block ×3, first 2 shown]
	v_pk_add_f32 v[48:49], v[48:49], v[66:67] neg_lo:[0,1] neg_hi:[0,1]
	v_mov_b32_e32 v54, v65
	v_mov_b32_e32 v55, v50
	v_pk_add_f32 v[48:49], v[54:55], v[48:49] neg_lo:[0,1] neg_hi:[0,1]
	v_mov_b32_e32 v70, v68
	v_pk_add_f32 v[50:51], v[70:71], v[48:49]
	s_mov_b32 s22, 0x33800000
	v_mov_b32_e32 v54, v51
	v_pk_add_f32 v[54:55], v[50:51], v[54:55]
	v_cmp_lt_f32_e64 s[22:23], |v53|, s22
	v_pk_add_f32 v[64:65], v[38:39], v[54:55]
	v_mov_b32_e32 v49, v54
	v_mov_b32_e32 v51, v64
	v_pk_add_f32 v[66:67], v[50:51], v[68:69] neg_lo:[0,1] neg_hi:[0,1]
	s_or_b64 s[18:19], s[18:19], s[22:23]
	v_sub_f32_e32 v37, v50, v66
	v_pk_add_f32 v[48:49], v[48:49], v[66:67] neg_lo:[0,1] neg_hi:[0,1]
	v_sub_f32_e32 v37, v68, v37
	v_add_f32_e32 v37, v48, v37
	v_add_f32_e32 v37, v37, v49
	;; [unrolled: 1-line block ×3, first 2 shown]
	v_cndmask_b32_e64 v37, v37, v53, s[18:19]
	v_add_f32_e32 v37, v39, v37
	v_cvt_f16_f32_e32 v37, v37
	v_cvt_f32_f16_e32 v38, v37
.LBB428_286:
	s_or_b64 exec, exec, s[20:21]
	v_cvt_f32_f16_sdwa v49, v20 dst_sel:DWORD dst_unused:UNUSED_PAD src0_sel:WORD_1
	v_max_f32_e32 v48, v38, v38
	v_cmp_u_f16_e64 s[20:21], v37, v37
	v_cmp_u_f16_sdwa s[18:19], v20, v20 src0_sel:WORD_1 src1_sel:WORD_1
	v_min_f32_e32 v39, v48, v49
	v_max_f32_e32 v20, v48, v49
	v_cndmask_b32_e64 v39, v39, v38, s[20:21]
	v_cndmask_b32_e64 v20, v20, v38, s[20:21]
	;; [unrolled: 1-line block ×4, first 2 shown]
	s_movk_i32 s24, 0x1f8
	v_cmp_neq_f32_e64 s[20:21], v39, v20
	v_cmp_class_f32_e64 s[22:23], v39, s24
	s_or_b64 s[20:21], s[20:21], s[22:23]
	s_and_saveexec_b64 s[22:23], s[20:21]
	s_cbranch_execz .LBB428_288
; %bb.287:
	v_sub_f32_e32 v37, v39, v20
	s_mov_b32 s20, 0x3fb8aa3b
	v_mul_f32_e32 v38, 0x3fb8aa3b, v37
	v_fma_f32 v39, v37, s20, -v38
	v_rndne_f32_e32 v48, v38
	v_fmamk_f32 v39, v37, 0x32a5705f, v39
	v_sub_f32_e32 v38, v38, v48
	v_add_f32_e32 v38, v38, v39
	v_exp_f32_e32 v38, v38
	v_cvt_i32_f32_e32 v39, v48
	s_mov_b32 s20, 0xc2ce8ed0
	v_cmp_ngt_f32_e64 s[20:21], s20, v37
	s_mov_b32 s25, 0x7f800000
	v_ldexp_f32 v38, v38, v39
	v_cndmask_b32_e64 v38, 0, v38, s[20:21]
	s_mov_b32 s20, 0x42b17218
	v_mov_b32_e32 v39, 0x7f800000
	v_cmp_nlt_f32_e64 s[20:21], s20, v37
	s_nop 1
	v_cndmask_b32_e64 v53, v39, v38, s[20:21]
	v_add_f32_e32 v37, 1.0, v53
	v_add_f32_e32 v38, -1.0, v37
	v_sub_f32_e32 v39, v38, v37
	v_add_f32_e32 v39, 1.0, v39
	v_sub_f32_e32 v38, v53, v38
	v_add_f32_e32 v48, v38, v39
	v_frexp_mant_f32_e32 v50, v37
	s_mov_b32 s20, 0x3f2aaaab
	v_cvt_f64_f32_e32 v[38:39], v37
	v_frexp_exp_i32_f64_e32 v38, v[38:39]
	v_cmp_gt_f32_e64 s[20:21], s20, v50
	s_nop 1
	v_subbrev_co_u32_e64 v66, s[20:21], 0, v38, s[20:21]
	v_sub_u32_e32 v38, 0, v66
	v_ldexp_f32 v37, v37, v38
	v_ldexp_f32 v38, v48, v38
	v_add_f32_e32 v48, -1.0, v37
	v_add_f32_e32 v39, 1.0, v48
	v_sub_f32_e32 v39, v37, v39
	v_add_f32_e32 v50, v38, v39
	v_add_f32_e32 v39, 1.0, v37
	v_add_f32_e32 v51, -1.0, v39
	v_sub_f32_e32 v37, v37, v51
	v_add_f32_e32 v37, v38, v37
	v_add_f32_e32 v67, v39, v37
	v_rcp_f32_e32 v68, v67
	v_sub_f32_e32 v38, v39, v67
	v_add_f32_e32 v39, v48, v50
	v_add_f32_e32 v37, v37, v38
	v_sub_f32_e32 v38, v48, v39
	v_mul_f32_e32 v69, v39, v68
	v_add_f32_e32 v48, v50, v38
	v_mul_f32_e32 v50, v67, v69
	v_fma_f32 v54, v69, v67, -v50
	v_fmac_f32_e32 v54, v69, v37
	v_add_f32_e32 v38, v50, v54
	v_sub_f32_e32 v51, v39, v38
	v_pk_add_f32 v[64:65], v[38:39], v[50:51] neg_lo:[0,1] neg_hi:[0,1]
	v_mov_b32_e32 v55, v38
	v_pk_add_f32 v[38:39], v[64:65], v[54:55] neg_lo:[0,1] neg_hi:[0,1]
	s_mov_b32 s20, 0x3f317218
	v_add_f32_e32 v39, v48, v39
	v_add_f32_e32 v38, v38, v39
	v_add_f32_e32 v39, v51, v38
	v_mul_f32_e32 v48, v68, v39
	v_mul_f32_e32 v50, v67, v48
	v_fma_f32 v54, v48, v67, -v50
	v_fmac_f32_e32 v54, v48, v37
	v_sub_f32_e32 v37, v51, v39
	v_add_f32_e32 v37, v38, v37
	v_add_f32_e32 v38, v50, v54
	v_sub_f32_e32 v51, v39, v38
	v_pk_add_f32 v[64:65], v[38:39], v[50:51] neg_lo:[0,1] neg_hi:[0,1]
	v_mov_b32_e32 v55, v38
	v_pk_add_f32 v[38:39], v[64:65], v[54:55] neg_lo:[0,1] neg_hi:[0,1]
	v_cvt_f32_i32_e32 v50, v66
	v_add_f32_e32 v37, v37, v39
	v_add_f32_e32 v37, v38, v37
	;; [unrolled: 1-line block ×4, first 2 shown]
	v_sub_f32_e32 v39, v38, v69
	v_mul_f32_e32 v37, v68, v37
	v_sub_f32_e32 v39, v48, v39
	v_add_f32_e32 v37, v39, v37
	v_add_f32_e32 v48, v38, v37
	v_mul_f32_e32 v51, v48, v48
	v_mov_b32_e32 v39, 0x3ecc95a3
	v_fmac_f32_e32 v39, 0x3e9b6dac, v51
	v_sub_f32_e32 v38, v48, v38
	v_fmaak_f32 v39, v51, v39, 0x3f2aaada
	v_sub_f32_e32 v37, v37, v38
	v_mul_f32_e32 v51, v48, v51
	v_mov_b32_e32 v38, 0x3f317218
	v_pk_mul_f32 v[38:39], v[50:51], v[38:39]
	v_ldexp_f32 v55, v48, 1
	v_fma_f32 v48, v50, s20, -v38
	v_fmamk_f32 v54, v50, 0xb102e308, v48
	v_pk_add_f32 v[50:51], v[38:39], v[54:55]
	v_ldexp_f32 v37, v37, 1
	v_sub_f32_e32 v48, v51, v55
	v_sub_f32_e32 v48, v39, v48
	v_add_f32_e32 v65, v37, v48
	v_mov_b32_e32 v64, v38
	v_pk_add_f32 v[38:39], v[50:51], v[38:39] neg_lo:[0,1] neg_hi:[0,1]
	v_pk_add_f32 v[66:67], v[50:51], v[64:65]
	v_mov_b32_e32 v55, v50
	v_mov_b32_e32 v39, v67
	v_pk_add_f32 v[68:69], v[54:55], v[38:39] neg_lo:[0,1] neg_hi:[0,1]
	v_pk_add_f32 v[38:39], v[54:55], v[38:39]
	v_cmp_eq_f32_e64 s[20:21], s25, v53
	v_mov_b32_e32 v48, v39
	v_pk_add_f32 v[54:55], v[48:49], v[50:51] neg_lo:[0,1] neg_hi:[0,1]
	v_mov_b32_e32 v38, v67
	v_mov_b32_e32 v37, v54
	v_pk_add_f32 v[70:71], v[66:67], v[36:37] neg_lo:[0,1] neg_hi:[0,1]
	v_mov_b32_e32 v66, v51
	v_mov_b32_e32 v67, v54
	;; [unrolled: 1-line block ×3, first 2 shown]
	v_pk_add_f32 v[38:39], v[38:39], v[66:67] neg_lo:[0,1] neg_hi:[0,1]
	v_mov_b32_e32 v54, v65
	v_mov_b32_e32 v55, v50
	v_pk_add_f32 v[38:39], v[54:55], v[38:39] neg_lo:[0,1] neg_hi:[0,1]
	v_mov_b32_e32 v70, v68
	v_pk_add_f32 v[50:51], v[70:71], v[38:39]
	s_mov_b32 s25, 0x33800000
	v_mov_b32_e32 v54, v51
	v_pk_add_f32 v[54:55], v[50:51], v[54:55]
	v_cmp_lt_f32_e64 s[26:27], |v53|, s25
	v_pk_add_f32 v[64:65], v[48:49], v[54:55]
	v_mov_b32_e32 v39, v54
	v_mov_b32_e32 v51, v64
	v_pk_add_f32 v[66:67], v[50:51], v[68:69] neg_lo:[0,1] neg_hi:[0,1]
	s_or_b64 s[20:21], s[20:21], s[26:27]
	v_sub_f32_e32 v37, v50, v66
	v_pk_add_f32 v[38:39], v[38:39], v[66:67] neg_lo:[0,1] neg_hi:[0,1]
	v_sub_f32_e32 v37, v68, v37
	v_add_f32_e32 v37, v38, v37
	v_add_f32_e32 v37, v37, v39
	;; [unrolled: 1-line block ×3, first 2 shown]
	v_cndmask_b32_e64 v37, v37, v53, s[20:21]
	v_add_f32_e32 v20, v20, v37
	v_cvt_f16_f32_e32 v37, v20
	v_cvt_f32_f16_e32 v38, v37
.LBB428_288:
	s_or_b64 exec, exec, s[22:23]
	v_cvt_f32_f16_e32 v20, v21
	v_max_f32_e32 v39, v38, v38
	v_cmp_u_f16_e64 s[22:23], v37, v37
	v_cmp_u_f16_e64 s[20:21], v21, v21
	v_min_f32_e32 v48, v39, v20
	v_max_f32_e32 v39, v39, v20
	v_cndmask_b32_e64 v48, v48, v38, s[22:23]
	v_cndmask_b32_e64 v39, v39, v38, s[22:23]
	;; [unrolled: 1-line block ×4, first 2 shown]
	v_cmp_neq_f32_e64 s[22:23], v48, v39
	v_cmp_class_f32_e64 s[24:25], v48, s24
	s_or_b64 s[22:23], s[22:23], s[24:25]
	s_and_saveexec_b64 s[24:25], s[22:23]
	s_cbranch_execz .LBB428_290
; %bb.289:
	v_sub_f32_e32 v37, v48, v39
	s_mov_b32 s22, 0x3fb8aa3b
	v_mul_f32_e32 v38, 0x3fb8aa3b, v37
	v_fma_f32 v48, v37, s22, -v38
	v_rndne_f32_e32 v50, v38
	v_fmamk_f32 v48, v37, 0x32a5705f, v48
	v_sub_f32_e32 v38, v38, v50
	v_add_f32_e32 v38, v38, v48
	v_exp_f32_e32 v38, v38
	v_cvt_i32_f32_e32 v48, v50
	s_mov_b32 s22, 0xc2ce8ed0
	v_cmp_ngt_f32_e64 s[22:23], s22, v37
	s_mov_b32 s26, 0x7f800000
	v_ldexp_f32 v38, v38, v48
	v_cndmask_b32_e64 v38, 0, v38, s[22:23]
	s_mov_b32 s22, 0x42b17218
	v_mov_b32_e32 v48, 0x7f800000
	v_cmp_nlt_f32_e64 s[22:23], s22, v37
	s_nop 1
	v_cndmask_b32_e64 v53, v48, v38, s[22:23]
	v_add_f32_e32 v37, 1.0, v53
	v_add_f32_e32 v38, -1.0, v37
	v_sub_f32_e32 v48, v38, v37
	v_add_f32_e32 v48, 1.0, v48
	v_sub_f32_e32 v38, v53, v38
	v_add_f32_e32 v38, v38, v48
	v_frexp_mant_f32_e32 v48, v37
	s_mov_b32 s22, 0x3f2aaaab
	v_cvt_f64_f32_e32 v[50:51], v37
	v_frexp_exp_i32_f64_e32 v50, v[50:51]
	v_cmp_gt_f32_e64 s[22:23], s22, v48
	s_nop 1
	v_subbrev_co_u32_e64 v48, s[22:23], 0, v50, s[22:23]
	v_sub_u32_e32 v50, 0, v48
	v_ldexp_f32 v37, v37, v50
	v_ldexp_f32 v38, v38, v50
	v_add_f32_e32 v50, -1.0, v37
	v_add_f32_e32 v51, 1.0, v50
	v_sub_f32_e32 v51, v37, v51
	v_add_f32_e32 v54, v38, v51
	v_add_f32_e32 v51, 1.0, v37
	v_add_f32_e32 v55, -1.0, v51
	v_sub_f32_e32 v37, v37, v55
	v_add_f32_e32 v37, v38, v37
	v_add_f32_e32 v38, v51, v37
	v_rcp_f32_e32 v68, v38
	v_sub_f32_e32 v51, v51, v38
	v_add_f32_e32 v37, v37, v51
	v_add_f32_e32 v51, v50, v54
	v_sub_f32_e32 v50, v50, v51
	v_mul_f32_e32 v70, v51, v68
	v_add_f32_e32 v69, v54, v50
	v_mul_f32_e32 v54, v38, v70
	v_fma_f32 v64, v70, v38, -v54
	v_fmac_f32_e32 v64, v70, v37
	v_add_f32_e32 v50, v54, v64
	v_sub_f32_e32 v55, v51, v50
	v_pk_add_f32 v[66:67], v[50:51], v[54:55] neg_lo:[0,1] neg_hi:[0,1]
	v_mov_b32_e32 v65, v50
	v_pk_add_f32 v[50:51], v[66:67], v[64:65] neg_lo:[0,1] neg_hi:[0,1]
	s_mov_b32 s22, 0x3f317218
	v_add_f32_e32 v51, v69, v51
	v_add_f32_e32 v50, v50, v51
	;; [unrolled: 1-line block ×3, first 2 shown]
	v_mul_f32_e32 v69, v68, v51
	v_mul_f32_e32 v54, v38, v69
	v_fma_f32 v64, v69, v38, -v54
	v_fmac_f32_e32 v64, v69, v37
	v_sub_f32_e32 v37, v55, v51
	v_add_f32_e32 v37, v50, v37
	v_add_f32_e32 v50, v54, v64
	v_sub_f32_e32 v55, v51, v50
	v_pk_add_f32 v[66:67], v[50:51], v[54:55] neg_lo:[0,1] neg_hi:[0,1]
	v_mov_b32_e32 v65, v50
	v_pk_add_f32 v[50:51], v[66:67], v[64:65] neg_lo:[0,1] neg_hi:[0,1]
	v_add_f32_e32 v38, v70, v69
	v_add_f32_e32 v37, v37, v51
	;; [unrolled: 1-line block ×4, first 2 shown]
	v_sub_f32_e32 v50, v38, v70
	v_mul_f32_e32 v37, v68, v37
	v_sub_f32_e32 v50, v69, v50
	v_add_f32_e32 v37, v50, v37
	v_add_f32_e32 v50, v38, v37
	v_cvt_f32_i32_e32 v54, v48
	v_mul_f32_e32 v55, v50, v50
	v_mov_b32_e32 v51, 0x3ecc95a3
	v_fmac_f32_e32 v51, 0x3e9b6dac, v55
	v_fmaak_f32 v51, v55, v51, 0x3f2aaada
	v_sub_f32_e32 v38, v50, v38
	v_ldexp_f32 v65, v50, 1
	v_mul_f32_e32 v55, v50, v55
	v_mov_b32_e32 v50, 0x3f317218
	v_pk_mul_f32 v[50:51], v[54:55], v[50:51]
	v_sub_f32_e32 v37, v37, v38
	v_fma_f32 v38, v54, s22, -v50
	v_fmamk_f32 v64, v54, 0xb102e308, v38
	v_pk_add_f32 v[54:55], v[50:51], v[64:65]
	v_ldexp_f32 v37, v37, 1
	v_sub_f32_e32 v38, v55, v65
	v_sub_f32_e32 v38, v51, v38
	v_add_f32_e32 v67, v37, v38
	v_mov_b32_e32 v66, v50
	v_pk_add_f32 v[50:51], v[54:55], v[50:51] neg_lo:[0,1] neg_hi:[0,1]
	v_pk_add_f32 v[68:69], v[54:55], v[66:67]
	v_mov_b32_e32 v65, v54
	v_mov_b32_e32 v51, v69
	v_pk_add_f32 v[70:71], v[64:65], v[50:51] neg_lo:[0,1] neg_hi:[0,1]
	v_pk_add_f32 v[50:51], v[64:65], v[50:51]
	v_cmp_eq_f32_e64 s[22:23], s26, v53
	v_mov_b32_e32 v38, v51
	v_pk_add_f32 v[64:65], v[38:39], v[54:55] neg_lo:[0,1] neg_hi:[0,1]
	v_mov_b32_e32 v50, v69
	v_mov_b32_e32 v37, v64
	v_pk_add_f32 v[80:81], v[68:69], v[36:37] neg_lo:[0,1] neg_hi:[0,1]
	v_mov_b32_e32 v68, v55
	v_mov_b32_e32 v69, v64
	;; [unrolled: 1-line block ×3, first 2 shown]
	v_pk_add_f32 v[50:51], v[50:51], v[68:69] neg_lo:[0,1] neg_hi:[0,1]
	v_mov_b32_e32 v64, v67
	v_mov_b32_e32 v65, v54
	v_pk_add_f32 v[50:51], v[64:65], v[50:51] neg_lo:[0,1] neg_hi:[0,1]
	v_mov_b32_e32 v80, v70
	v_pk_add_f32 v[54:55], v[80:81], v[50:51]
	s_mov_b32 s26, 0x33800000
	v_mov_b32_e32 v48, v55
	v_pk_add_f32 v[64:65], v[54:55], v[48:49]
	v_cmp_lt_f32_e64 s[26:27], |v53|, s26
	v_pk_add_f32 v[66:67], v[38:39], v[64:65]
	v_mov_b32_e32 v51, v64
	v_mov_b32_e32 v55, v66
	v_pk_add_f32 v[68:69], v[54:55], v[70:71] neg_lo:[0,1] neg_hi:[0,1]
	s_or_b64 s[22:23], s[22:23], s[26:27]
	v_sub_f32_e32 v37, v54, v68
	v_pk_add_f32 v[50:51], v[50:51], v[68:69] neg_lo:[0,1] neg_hi:[0,1]
	v_sub_f32_e32 v37, v70, v37
	v_add_f32_e32 v37, v50, v37
	v_add_f32_e32 v37, v37, v51
	;; [unrolled: 1-line block ×3, first 2 shown]
	v_cndmask_b32_e64 v37, v37, v53, s[22:23]
	v_add_f32_e32 v37, v39, v37
	v_cvt_f16_f32_e32 v37, v37
	v_cvt_f32_f16_e32 v38, v37
.LBB428_290:
	s_or_b64 exec, exec, s[24:25]
	v_cvt_f32_f16_sdwa v50, v21 dst_sel:DWORD dst_unused:UNUSED_PAD src0_sel:WORD_1
	v_max_f32_e32 v48, v38, v38
	v_cmp_u_f16_e64 s[24:25], v37, v37
	v_cmp_u_f16_sdwa s[22:23], v21, v21 src0_sel:WORD_1 src1_sel:WORD_1
	v_min_f32_e32 v39, v48, v50
	v_max_f32_e32 v21, v48, v50
	v_cndmask_b32_e64 v39, v39, v38, s[24:25]
	v_cndmask_b32_e64 v21, v21, v38, s[24:25]
	;; [unrolled: 1-line block ×4, first 2 shown]
	s_movk_i32 s28, 0x1f8
	v_cmp_neq_f32_e64 s[24:25], v39, v21
	v_cmp_class_f32_e64 s[26:27], v39, s28
	s_or_b64 s[24:25], s[24:25], s[26:27]
	s_and_saveexec_b64 s[26:27], s[24:25]
	s_cbranch_execz .LBB428_292
; %bb.291:
	v_sub_f32_e32 v37, v39, v21
	s_mov_b32 s24, 0x3fb8aa3b
	v_mul_f32_e32 v38, 0x3fb8aa3b, v37
	v_fma_f32 v39, v37, s24, -v38
	v_rndne_f32_e32 v48, v38
	v_fmamk_f32 v39, v37, 0x32a5705f, v39
	v_sub_f32_e32 v38, v38, v48
	v_add_f32_e32 v38, v38, v39
	v_exp_f32_e32 v38, v38
	v_cvt_i32_f32_e32 v39, v48
	s_mov_b32 s24, 0xc2ce8ed0
	v_cmp_ngt_f32_e64 s[24:25], s24, v37
	s_mov_b32 s29, 0x7f800000
	v_ldexp_f32 v38, v38, v39
	v_cndmask_b32_e64 v38, 0, v38, s[24:25]
	s_mov_b32 s24, 0x42b17218
	v_mov_b32_e32 v39, 0x7f800000
	v_cmp_nlt_f32_e64 s[24:25], s24, v37
	s_nop 1
	v_cndmask_b32_e64 v51, v39, v38, s[24:25]
	v_add_f32_e32 v37, 1.0, v51
	v_add_f32_e32 v38, -1.0, v37
	v_sub_f32_e32 v39, v38, v37
	v_add_f32_e32 v39, 1.0, v39
	v_sub_f32_e32 v38, v51, v38
	v_add_f32_e32 v48, v38, v39
	v_frexp_mant_f32_e32 v53, v37
	s_mov_b32 s24, 0x3f2aaaab
	v_cvt_f64_f32_e32 v[38:39], v37
	v_frexp_exp_i32_f64_e32 v38, v[38:39]
	v_cmp_gt_f32_e64 s[24:25], s24, v53
	s_nop 1
	v_subbrev_co_u32_e64 v53, s[24:25], 0, v38, s[24:25]
	v_sub_u32_e32 v38, 0, v53
	v_ldexp_f32 v37, v37, v38
	v_ldexp_f32 v38, v48, v38
	v_add_f32_e32 v48, -1.0, v37
	v_add_f32_e32 v39, 1.0, v48
	v_sub_f32_e32 v39, v37, v39
	v_add_f32_e32 v54, v38, v39
	v_add_f32_e32 v39, 1.0, v37
	v_add_f32_e32 v55, -1.0, v39
	v_sub_f32_e32 v37, v37, v55
	v_add_f32_e32 v37, v38, v37
	v_add_f32_e32 v68, v39, v37
	v_rcp_f32_e32 v69, v68
	v_sub_f32_e32 v38, v39, v68
	v_add_f32_e32 v39, v48, v54
	v_add_f32_e32 v37, v37, v38
	v_sub_f32_e32 v38, v48, v39
	v_mul_f32_e32 v70, v39, v69
	v_add_f32_e32 v48, v54, v38
	v_mul_f32_e32 v54, v68, v70
	v_fma_f32 v64, v70, v68, -v54
	v_fmac_f32_e32 v64, v70, v37
	v_add_f32_e32 v38, v54, v64
	v_sub_f32_e32 v55, v39, v38
	v_pk_add_f32 v[66:67], v[38:39], v[54:55] neg_lo:[0,1] neg_hi:[0,1]
	v_mov_b32_e32 v65, v38
	v_pk_add_f32 v[38:39], v[66:67], v[64:65] neg_lo:[0,1] neg_hi:[0,1]
	s_mov_b32 s24, 0x3f317218
	v_add_f32_e32 v39, v48, v39
	v_add_f32_e32 v38, v38, v39
	;; [unrolled: 1-line block ×3, first 2 shown]
	v_mul_f32_e32 v48, v69, v39
	v_mul_f32_e32 v54, v68, v48
	v_fma_f32 v64, v48, v68, -v54
	v_fmac_f32_e32 v64, v48, v37
	v_sub_f32_e32 v37, v55, v39
	v_add_f32_e32 v37, v38, v37
	v_add_f32_e32 v38, v54, v64
	v_sub_f32_e32 v55, v39, v38
	v_pk_add_f32 v[66:67], v[38:39], v[54:55] neg_lo:[0,1] neg_hi:[0,1]
	v_mov_b32_e32 v65, v38
	v_pk_add_f32 v[38:39], v[66:67], v[64:65] neg_lo:[0,1] neg_hi:[0,1]
	v_cvt_f32_i32_e32 v54, v53
	v_add_f32_e32 v37, v37, v39
	v_add_f32_e32 v37, v38, v37
	;; [unrolled: 1-line block ×4, first 2 shown]
	v_sub_f32_e32 v39, v38, v70
	v_mul_f32_e32 v37, v69, v37
	v_sub_f32_e32 v39, v48, v39
	v_add_f32_e32 v37, v39, v37
	v_add_f32_e32 v48, v38, v37
	v_mul_f32_e32 v55, v48, v48
	v_mov_b32_e32 v39, 0x3ecc95a3
	v_fmac_f32_e32 v39, 0x3e9b6dac, v55
	v_sub_f32_e32 v38, v48, v38
	v_fmaak_f32 v39, v55, v39, 0x3f2aaada
	v_sub_f32_e32 v37, v37, v38
	v_mul_f32_e32 v55, v48, v55
	v_mov_b32_e32 v38, 0x3f317218
	v_pk_mul_f32 v[38:39], v[54:55], v[38:39]
	v_ldexp_f32 v65, v48, 1
	v_fma_f32 v48, v54, s24, -v38
	v_fmamk_f32 v64, v54, 0xb102e308, v48
	v_pk_add_f32 v[54:55], v[38:39], v[64:65]
	v_ldexp_f32 v37, v37, 1
	v_sub_f32_e32 v48, v55, v65
	v_sub_f32_e32 v48, v39, v48
	v_add_f32_e32 v67, v37, v48
	v_mov_b32_e32 v66, v38
	v_pk_add_f32 v[38:39], v[54:55], v[38:39] neg_lo:[0,1] neg_hi:[0,1]
	v_pk_add_f32 v[68:69], v[54:55], v[66:67]
	v_mov_b32_e32 v65, v54
	v_mov_b32_e32 v39, v69
	v_pk_add_f32 v[70:71], v[64:65], v[38:39] neg_lo:[0,1] neg_hi:[0,1]
	v_pk_add_f32 v[38:39], v[64:65], v[38:39]
	v_cmp_eq_f32_e64 s[24:25], s29, v51
	v_mov_b32_e32 v48, v39
	v_pk_add_f32 v[64:65], v[48:49], v[54:55] neg_lo:[0,1] neg_hi:[0,1]
	v_mov_b32_e32 v38, v69
	v_mov_b32_e32 v37, v64
	v_pk_add_f32 v[80:81], v[68:69], v[36:37] neg_lo:[0,1] neg_hi:[0,1]
	v_mov_b32_e32 v68, v55
	v_mov_b32_e32 v69, v64
	;; [unrolled: 1-line block ×3, first 2 shown]
	v_pk_add_f32 v[38:39], v[38:39], v[68:69] neg_lo:[0,1] neg_hi:[0,1]
	v_mov_b32_e32 v64, v67
	v_mov_b32_e32 v65, v54
	v_pk_add_f32 v[38:39], v[64:65], v[38:39] neg_lo:[0,1] neg_hi:[0,1]
	v_mov_b32_e32 v80, v70
	v_pk_add_f32 v[54:55], v[80:81], v[38:39]
	s_mov_b32 s29, 0x33800000
	v_mov_b32_e32 v64, v55
	v_pk_add_f32 v[64:65], v[54:55], v[64:65]
	v_cmp_lt_f32_e64 s[30:31], |v51|, s29
	v_pk_add_f32 v[66:67], v[48:49], v[64:65]
	v_mov_b32_e32 v39, v64
	v_mov_b32_e32 v55, v66
	v_pk_add_f32 v[68:69], v[54:55], v[70:71] neg_lo:[0,1] neg_hi:[0,1]
	s_or_b64 s[24:25], s[24:25], s[30:31]
	v_sub_f32_e32 v37, v54, v68
	v_pk_add_f32 v[38:39], v[38:39], v[68:69] neg_lo:[0,1] neg_hi:[0,1]
	v_sub_f32_e32 v37, v70, v37
	v_add_f32_e32 v37, v38, v37
	v_add_f32_e32 v37, v37, v39
	;; [unrolled: 1-line block ×3, first 2 shown]
	v_cndmask_b32_e64 v37, v37, v51, s[24:25]
	v_add_f32_e32 v21, v21, v37
	v_cvt_f16_f32_e32 v37, v21
	v_cvt_f32_f16_e32 v38, v37
.LBB428_292:
	s_or_b64 exec, exec, s[26:27]
	v_cvt_f32_f16_e32 v21, v22
	v_max_f32_e32 v39, v38, v38
	v_cmp_u_f16_e64 s[26:27], v37, v37
	v_cmp_u_f16_e64 s[24:25], v22, v22
	v_min_f32_e32 v48, v39, v21
	v_max_f32_e32 v39, v39, v21
	v_cndmask_b32_e64 v48, v48, v38, s[26:27]
	v_cndmask_b32_e64 v39, v39, v38, s[26:27]
	;; [unrolled: 1-line block ×4, first 2 shown]
	v_cmp_neq_f32_e64 s[26:27], v48, v39
	v_cmp_class_f32_e64 s[28:29], v48, s28
	s_or_b64 s[26:27], s[26:27], s[28:29]
	s_and_saveexec_b64 s[28:29], s[26:27]
	s_cbranch_execz .LBB428_294
; %bb.293:
	v_sub_f32_e32 v37, v48, v39
	s_mov_b32 s26, 0x3fb8aa3b
	v_mul_f32_e32 v38, 0x3fb8aa3b, v37
	v_fma_f32 v48, v37, s26, -v38
	v_rndne_f32_e32 v51, v38
	v_fmamk_f32 v48, v37, 0x32a5705f, v48
	v_sub_f32_e32 v38, v38, v51
	v_add_f32_e32 v38, v38, v48
	v_exp_f32_e32 v38, v38
	v_cvt_i32_f32_e32 v48, v51
	s_mov_b32 s26, 0xc2ce8ed0
	v_cmp_ngt_f32_e64 s[26:27], s26, v37
	s_mov_b32 s30, 0x7f800000
	v_ldexp_f32 v38, v38, v48
	v_cndmask_b32_e64 v38, 0, v38, s[26:27]
	s_mov_b32 s26, 0x42b17218
	v_mov_b32_e32 v48, 0x7f800000
	v_cmp_nlt_f32_e64 s[26:27], s26, v37
	s_nop 1
	v_cndmask_b32_e64 v51, v48, v38, s[26:27]
	v_add_f32_e32 v37, 1.0, v51
	v_add_f32_e32 v38, -1.0, v37
	v_sub_f32_e32 v48, v38, v37
	v_add_f32_e32 v48, 1.0, v48
	v_sub_f32_e32 v38, v51, v38
	v_add_f32_e32 v38, v38, v48
	v_frexp_mant_f32_e32 v48, v37
	s_mov_b32 s26, 0x3f2aaaab
	v_cvt_f64_f32_e32 v[54:55], v37
	v_frexp_exp_i32_f64_e32 v53, v[54:55]
	v_cmp_gt_f32_e64 s[26:27], s26, v48
	s_nop 1
	v_subbrev_co_u32_e64 v48, s[26:27], 0, v53, s[26:27]
	v_sub_u32_e32 v53, 0, v48
	v_ldexp_f32 v37, v37, v53
	v_ldexp_f32 v38, v38, v53
	v_add_f32_e32 v53, -1.0, v37
	v_add_f32_e32 v55, 1.0, v37
	v_add_f32_e32 v54, 1.0, v53
	v_add_f32_e32 v64, -1.0, v55
	v_sub_f32_e32 v54, v37, v54
	v_sub_f32_e32 v37, v37, v64
	v_add_f32_e32 v37, v38, v37
	v_add_f32_e32 v54, v38, v54
	v_add_f32_e32 v38, v55, v37
	v_rcp_f32_e32 v70, v38
	v_sub_f32_e32 v55, v55, v38
	v_add_f32_e32 v37, v37, v55
	v_add_f32_e32 v55, v53, v54
	v_mul_f32_e32 v71, v55, v70
	v_mul_f32_e32 v64, v38, v71
	v_fma_f32 v66, v71, v38, -v64
	v_sub_f32_e32 v53, v53, v55
	v_fmac_f32_e32 v66, v71, v37
	v_add_f32_e32 v53, v54, v53
	v_add_f32_e32 v54, v64, v66
	v_sub_f32_e32 v65, v55, v54
	v_pk_add_f32 v[68:69], v[54:55], v[64:65] neg_lo:[0,1] neg_hi:[0,1]
	v_mov_b32_e32 v67, v54
	v_pk_add_f32 v[54:55], v[68:69], v[66:67] neg_lo:[0,1] neg_hi:[0,1]
	s_mov_b32 s26, 0x3f317218
	v_add_f32_e32 v53, v53, v55
	v_add_f32_e32 v53, v54, v53
	;; [unrolled: 1-line block ×3, first 2 shown]
	v_mul_f32_e32 v80, v70, v55
	v_mul_f32_e32 v64, v38, v80
	v_fma_f32 v66, v80, v38, -v64
	v_fmac_f32_e32 v66, v80, v37
	v_add_f32_e32 v54, v64, v66
	v_sub_f32_e32 v37, v65, v55
	v_sub_f32_e32 v65, v55, v54
	v_pk_add_f32 v[68:69], v[54:55], v[64:65] neg_lo:[0,1] neg_hi:[0,1]
	v_mov_b32_e32 v67, v54
	v_add_f32_e32 v37, v53, v37
	v_pk_add_f32 v[54:55], v[68:69], v[66:67] neg_lo:[0,1] neg_hi:[0,1]
	v_add_f32_e32 v38, v71, v80
	v_add_f32_e32 v37, v37, v55
	;; [unrolled: 1-line block ×4, first 2 shown]
	v_sub_f32_e32 v53, v38, v71
	v_mul_f32_e32 v37, v70, v37
	v_sub_f32_e32 v53, v80, v53
	v_add_f32_e32 v37, v53, v37
	v_add_f32_e32 v53, v38, v37
	v_cvt_f32_i32_e32 v64, v48
	v_mul_f32_e32 v54, v53, v53
	v_mov_b32_e32 v55, 0x3ecc95a3
	v_fmac_f32_e32 v55, 0x3e9b6dac, v54
	v_fmaak_f32 v55, v54, v55, 0x3f2aaada
	v_mul_f32_e32 v65, v53, v54
	v_mov_b32_e32 v54, 0x3f317218
	v_sub_f32_e32 v38, v53, v38
	v_pk_mul_f32 v[54:55], v[64:65], v[54:55]
	v_sub_f32_e32 v37, v37, v38
	v_fma_f32 v38, v64, s26, -v54
	v_ldexp_f32 v67, v53, 1
	v_fmamk_f32 v66, v64, 0xb102e308, v38
	v_pk_add_f32 v[64:65], v[54:55], v[66:67]
	v_ldexp_f32 v37, v37, 1
	v_sub_f32_e32 v38, v65, v67
	v_sub_f32_e32 v38, v55, v38
	v_add_f32_e32 v69, v37, v38
	v_mov_b32_e32 v68, v54
	v_pk_add_f32 v[54:55], v[64:65], v[54:55] neg_lo:[0,1] neg_hi:[0,1]
	v_pk_add_f32 v[70:71], v[64:65], v[68:69]
	v_mov_b32_e32 v67, v64
	v_mov_b32_e32 v55, v71
	v_pk_add_f32 v[80:81], v[66:67], v[54:55] neg_lo:[0,1] neg_hi:[0,1]
	v_pk_add_f32 v[54:55], v[66:67], v[54:55]
	v_cmp_eq_f32_e64 s[26:27], s30, v51
	v_mov_b32_e32 v38, v55
	v_pk_add_f32 v[66:67], v[38:39], v[64:65] neg_lo:[0,1] neg_hi:[0,1]
	v_mov_b32_e32 v54, v71
	v_mov_b32_e32 v37, v66
	v_pk_add_f32 v[82:83], v[70:71], v[36:37] neg_lo:[0,1] neg_hi:[0,1]
	v_mov_b32_e32 v70, v65
	v_mov_b32_e32 v71, v66
	;; [unrolled: 1-line block ×3, first 2 shown]
	v_pk_add_f32 v[54:55], v[54:55], v[70:71] neg_lo:[0,1] neg_hi:[0,1]
	v_mov_b32_e32 v66, v69
	v_mov_b32_e32 v67, v64
	v_pk_add_f32 v[54:55], v[66:67], v[54:55] neg_lo:[0,1] neg_hi:[0,1]
	v_mov_b32_e32 v82, v80
	v_pk_add_f32 v[64:65], v[82:83], v[54:55]
	s_mov_b32 s30, 0x33800000
	v_mov_b32_e32 v48, v65
	v_pk_add_f32 v[66:67], v[64:65], v[48:49]
	v_cmp_lt_f32_e64 s[30:31], |v51|, s30
	v_pk_add_f32 v[68:69], v[38:39], v[66:67]
	v_mov_b32_e32 v55, v66
	v_mov_b32_e32 v65, v68
	v_pk_add_f32 v[70:71], v[64:65], v[80:81] neg_lo:[0,1] neg_hi:[0,1]
	s_or_b64 s[26:27], s[26:27], s[30:31]
	v_sub_f32_e32 v37, v64, v70
	v_pk_add_f32 v[54:55], v[54:55], v[70:71] neg_lo:[0,1] neg_hi:[0,1]
	v_sub_f32_e32 v37, v80, v37
	v_add_f32_e32 v37, v54, v37
	v_add_f32_e32 v37, v37, v55
	;; [unrolled: 1-line block ×3, first 2 shown]
	v_cndmask_b32_e64 v37, v37, v51, s[26:27]
	v_add_f32_e32 v37, v39, v37
	v_cvt_f16_f32_e32 v37, v37
	v_cvt_f32_f16_e32 v38, v37
.LBB428_294:
	s_or_b64 exec, exec, s[28:29]
	v_cvt_f32_f16_sdwa v51, v22 dst_sel:DWORD dst_unused:UNUSED_PAD src0_sel:WORD_1
	v_max_f32_e32 v48, v38, v38
	v_cmp_u_f16_e64 s[28:29], v37, v37
	v_cmp_u_f16_sdwa s[26:27], v22, v22 src0_sel:WORD_1 src1_sel:WORD_1
	v_min_f32_e32 v39, v48, v51
	v_max_f32_e32 v22, v48, v51
	v_cndmask_b32_e64 v39, v39, v38, s[28:29]
	v_cndmask_b32_e64 v22, v22, v38, s[28:29]
	;; [unrolled: 1-line block ×4, first 2 shown]
	s_movk_i32 s34, 0x1f8
	v_cmp_neq_f32_e64 s[28:29], v39, v22
	v_cmp_class_f32_e64 s[30:31], v39, s34
	s_or_b64 s[28:29], s[28:29], s[30:31]
	s_and_saveexec_b64 s[30:31], s[28:29]
	s_cbranch_execz .LBB428_296
; %bb.295:
	v_sub_f32_e32 v37, v39, v22
	s_mov_b32 s28, 0x3fb8aa3b
	v_mul_f32_e32 v38, 0x3fb8aa3b, v37
	v_fma_f32 v39, v37, s28, -v38
	v_rndne_f32_e32 v48, v38
	v_fmamk_f32 v39, v37, 0x32a5705f, v39
	v_sub_f32_e32 v38, v38, v48
	v_add_f32_e32 v38, v38, v39
	v_exp_f32_e32 v38, v38
	v_cvt_i32_f32_e32 v39, v48
	s_mov_b32 s28, 0xc2ce8ed0
	v_cmp_ngt_f32_e64 s[28:29], s28, v37
	s_mov_b32 s35, 0x7f800000
	v_ldexp_f32 v38, v38, v39
	v_cndmask_b32_e64 v38, 0, v38, s[28:29]
	s_mov_b32 s28, 0x42b17218
	v_mov_b32_e32 v39, 0x7f800000
	v_cmp_nlt_f32_e64 s[28:29], s28, v37
	s_nop 1
	v_cndmask_b32_e64 v53, v39, v38, s[28:29]
	v_add_f32_e32 v37, 1.0, v53
	v_add_f32_e32 v38, -1.0, v37
	v_sub_f32_e32 v39, v38, v37
	v_add_f32_e32 v39, 1.0, v39
	v_sub_f32_e32 v38, v53, v38
	v_add_f32_e32 v48, v38, v39
	v_frexp_mant_f32_e32 v54, v37
	s_mov_b32 s28, 0x3f2aaaab
	v_cvt_f64_f32_e32 v[38:39], v37
	v_frexp_exp_i32_f64_e32 v38, v[38:39]
	v_cmp_gt_f32_e64 s[28:29], s28, v54
	s_nop 1
	v_subbrev_co_u32_e64 v68, s[28:29], 0, v38, s[28:29]
	v_sub_u32_e32 v38, 0, v68
	v_ldexp_f32 v37, v37, v38
	v_ldexp_f32 v38, v48, v38
	v_add_f32_e32 v48, -1.0, v37
	v_add_f32_e32 v39, 1.0, v48
	v_sub_f32_e32 v39, v37, v39
	v_add_f32_e32 v54, v38, v39
	v_add_f32_e32 v39, 1.0, v37
	v_add_f32_e32 v55, -1.0, v39
	v_sub_f32_e32 v37, v37, v55
	v_add_f32_e32 v37, v38, v37
	v_add_f32_e32 v69, v39, v37
	v_rcp_f32_e32 v70, v69
	v_sub_f32_e32 v38, v39, v69
	v_add_f32_e32 v39, v48, v54
	v_add_f32_e32 v37, v37, v38
	v_sub_f32_e32 v38, v48, v39
	v_mul_f32_e32 v71, v39, v70
	v_add_f32_e32 v48, v54, v38
	v_mul_f32_e32 v54, v69, v71
	v_fma_f32 v64, v71, v69, -v54
	v_fmac_f32_e32 v64, v71, v37
	v_add_f32_e32 v38, v54, v64
	v_sub_f32_e32 v55, v39, v38
	v_pk_add_f32 v[66:67], v[38:39], v[54:55] neg_lo:[0,1] neg_hi:[0,1]
	v_mov_b32_e32 v65, v38
	v_pk_add_f32 v[38:39], v[66:67], v[64:65] neg_lo:[0,1] neg_hi:[0,1]
	s_mov_b32 s28, 0x3f317218
	v_add_f32_e32 v39, v48, v39
	v_add_f32_e32 v38, v38, v39
	;; [unrolled: 1-line block ×3, first 2 shown]
	v_mul_f32_e32 v48, v70, v39
	v_mul_f32_e32 v54, v69, v48
	v_fma_f32 v64, v48, v69, -v54
	v_fmac_f32_e32 v64, v48, v37
	v_sub_f32_e32 v37, v55, v39
	v_add_f32_e32 v37, v38, v37
	v_add_f32_e32 v38, v54, v64
	v_sub_f32_e32 v55, v39, v38
	v_pk_add_f32 v[66:67], v[38:39], v[54:55] neg_lo:[0,1] neg_hi:[0,1]
	v_mov_b32_e32 v65, v38
	v_pk_add_f32 v[38:39], v[66:67], v[64:65] neg_lo:[0,1] neg_hi:[0,1]
	v_cvt_f32_i32_e32 v54, v68
	v_add_f32_e32 v37, v37, v39
	v_add_f32_e32 v37, v38, v37
	;; [unrolled: 1-line block ×4, first 2 shown]
	v_sub_f32_e32 v39, v38, v71
	v_mul_f32_e32 v37, v70, v37
	v_sub_f32_e32 v39, v48, v39
	v_add_f32_e32 v37, v39, v37
	v_add_f32_e32 v48, v38, v37
	v_mul_f32_e32 v55, v48, v48
	v_mov_b32_e32 v39, 0x3ecc95a3
	v_fmac_f32_e32 v39, 0x3e9b6dac, v55
	v_sub_f32_e32 v38, v48, v38
	v_fmaak_f32 v39, v55, v39, 0x3f2aaada
	v_sub_f32_e32 v37, v37, v38
	v_mul_f32_e32 v55, v48, v55
	v_mov_b32_e32 v38, 0x3f317218
	v_pk_mul_f32 v[38:39], v[54:55], v[38:39]
	v_ldexp_f32 v65, v48, 1
	v_fma_f32 v48, v54, s28, -v38
	v_fmamk_f32 v64, v54, 0xb102e308, v48
	v_pk_add_f32 v[54:55], v[38:39], v[64:65]
	v_ldexp_f32 v37, v37, 1
	v_sub_f32_e32 v48, v55, v65
	v_sub_f32_e32 v48, v39, v48
	v_add_f32_e32 v67, v37, v48
	v_mov_b32_e32 v66, v38
	v_pk_add_f32 v[38:39], v[54:55], v[38:39] neg_lo:[0,1] neg_hi:[0,1]
	v_pk_add_f32 v[68:69], v[54:55], v[66:67]
	v_mov_b32_e32 v65, v54
	v_mov_b32_e32 v39, v69
	v_pk_add_f32 v[70:71], v[64:65], v[38:39] neg_lo:[0,1] neg_hi:[0,1]
	v_pk_add_f32 v[38:39], v[64:65], v[38:39]
	v_cmp_eq_f32_e64 s[28:29], s35, v53
	v_mov_b32_e32 v48, v39
	v_pk_add_f32 v[64:65], v[48:49], v[54:55] neg_lo:[0,1] neg_hi:[0,1]
	v_mov_b32_e32 v38, v69
	v_mov_b32_e32 v37, v64
	v_pk_add_f32 v[80:81], v[68:69], v[36:37] neg_lo:[0,1] neg_hi:[0,1]
	v_mov_b32_e32 v68, v55
	v_mov_b32_e32 v69, v64
	;; [unrolled: 1-line block ×3, first 2 shown]
	v_pk_add_f32 v[38:39], v[38:39], v[68:69] neg_lo:[0,1] neg_hi:[0,1]
	v_mov_b32_e32 v64, v67
	v_mov_b32_e32 v65, v54
	v_pk_add_f32 v[38:39], v[64:65], v[38:39] neg_lo:[0,1] neg_hi:[0,1]
	v_mov_b32_e32 v80, v70
	v_pk_add_f32 v[54:55], v[80:81], v[38:39]
	s_mov_b32 s35, 0x33800000
	v_mov_b32_e32 v64, v55
	v_pk_add_f32 v[64:65], v[54:55], v[64:65]
	v_cmp_lt_f32_e64 s[36:37], |v53|, s35
	v_pk_add_f32 v[66:67], v[48:49], v[64:65]
	v_mov_b32_e32 v39, v64
	v_mov_b32_e32 v55, v66
	v_pk_add_f32 v[68:69], v[54:55], v[70:71] neg_lo:[0,1] neg_hi:[0,1]
	s_or_b64 s[28:29], s[28:29], s[36:37]
	v_sub_f32_e32 v37, v54, v68
	v_pk_add_f32 v[38:39], v[38:39], v[68:69] neg_lo:[0,1] neg_hi:[0,1]
	v_sub_f32_e32 v37, v70, v37
	v_add_f32_e32 v37, v38, v37
	v_add_f32_e32 v37, v37, v39
	;; [unrolled: 1-line block ×3, first 2 shown]
	v_cndmask_b32_e64 v37, v37, v53, s[28:29]
	v_add_f32_e32 v22, v22, v37
	v_cvt_f16_f32_e32 v37, v22
	v_cvt_f32_f16_e32 v38, v37
.LBB428_296:
	s_or_b64 exec, exec, s[30:31]
	v_cvt_f32_f16_e32 v22, v23
	v_max_f32_e32 v39, v38, v38
	v_cmp_u_f16_e64 s[30:31], v37, v37
	v_cmp_u_f16_e64 s[28:29], v23, v23
	v_min_f32_e32 v48, v39, v22
	v_max_f32_e32 v39, v39, v22
	v_cndmask_b32_e64 v48, v48, v38, s[30:31]
	v_cndmask_b32_e64 v39, v39, v38, s[30:31]
	;; [unrolled: 1-line block ×4, first 2 shown]
	v_cmp_neq_f32_e64 s[30:31], v48, v39
	v_cmp_class_f32_e64 s[34:35], v48, s34
	s_or_b64 s[30:31], s[30:31], s[34:35]
	s_and_saveexec_b64 s[34:35], s[30:31]
	s_cbranch_execz .LBB428_298
; %bb.297:
	v_sub_f32_e32 v37, v48, v39
	s_mov_b32 s30, 0x3fb8aa3b
	v_mul_f32_e32 v38, 0x3fb8aa3b, v37
	v_fma_f32 v48, v37, s30, -v38
	v_rndne_f32_e32 v53, v38
	v_fmamk_f32 v48, v37, 0x32a5705f, v48
	v_sub_f32_e32 v38, v38, v53
	v_add_f32_e32 v38, v38, v48
	v_exp_f32_e32 v38, v38
	v_cvt_i32_f32_e32 v48, v53
	s_mov_b32 s30, 0xc2ce8ed0
	v_cmp_ngt_f32_e64 s[30:31], s30, v37
	s_mov_b32 s36, 0x7f800000
	v_ldexp_f32 v38, v38, v48
	v_cndmask_b32_e64 v38, 0, v38, s[30:31]
	s_mov_b32 s30, 0x42b17218
	v_mov_b32_e32 v48, 0x7f800000
	v_cmp_nlt_f32_e64 s[30:31], s30, v37
	s_nop 1
	v_cndmask_b32_e64 v53, v48, v38, s[30:31]
	v_add_f32_e32 v37, 1.0, v53
	v_add_f32_e32 v38, -1.0, v37
	v_sub_f32_e32 v48, v38, v37
	v_add_f32_e32 v48, 1.0, v48
	v_sub_f32_e32 v38, v53, v38
	v_add_f32_e32 v38, v38, v48
	v_frexp_mant_f32_e32 v48, v37
	s_mov_b32 s30, 0x3f2aaaab
	v_cvt_f64_f32_e32 v[54:55], v37
	v_frexp_exp_i32_f64_e32 v54, v[54:55]
	v_cmp_gt_f32_e64 s[30:31], s30, v48
	s_nop 1
	v_subbrev_co_u32_e64 v48, s[30:31], 0, v54, s[30:31]
	v_sub_u32_e32 v54, 0, v48
	v_ldexp_f32 v37, v37, v54
	v_ldexp_f32 v38, v38, v54
	v_add_f32_e32 v54, -1.0, v37
	v_add_f32_e32 v55, 1.0, v54
	v_sub_f32_e32 v55, v37, v55
	v_add_f32_e32 v64, v38, v55
	v_add_f32_e32 v55, 1.0, v37
	v_add_f32_e32 v65, -1.0, v55
	v_sub_f32_e32 v37, v37, v65
	v_add_f32_e32 v37, v38, v37
	v_add_f32_e32 v38, v55, v37
	v_rcp_f32_e32 v70, v38
	v_sub_f32_e32 v55, v55, v38
	v_add_f32_e32 v37, v37, v55
	v_add_f32_e32 v55, v54, v64
	v_sub_f32_e32 v54, v54, v55
	v_mul_f32_e32 v80, v55, v70
	v_add_f32_e32 v71, v64, v54
	v_mul_f32_e32 v64, v38, v80
	v_fma_f32 v66, v80, v38, -v64
	v_fmac_f32_e32 v66, v80, v37
	v_add_f32_e32 v54, v64, v66
	v_sub_f32_e32 v65, v55, v54
	v_pk_add_f32 v[68:69], v[54:55], v[64:65] neg_lo:[0,1] neg_hi:[0,1]
	v_mov_b32_e32 v67, v54
	v_pk_add_f32 v[54:55], v[68:69], v[66:67] neg_lo:[0,1] neg_hi:[0,1]
	s_mov_b32 s30, 0x3f317218
	v_add_f32_e32 v55, v71, v55
	v_add_f32_e32 v54, v54, v55
	;; [unrolled: 1-line block ×3, first 2 shown]
	v_mul_f32_e32 v71, v70, v55
	v_mul_f32_e32 v64, v38, v71
	v_fma_f32 v66, v71, v38, -v64
	v_fmac_f32_e32 v66, v71, v37
	v_sub_f32_e32 v37, v65, v55
	v_add_f32_e32 v37, v54, v37
	v_add_f32_e32 v54, v64, v66
	v_sub_f32_e32 v65, v55, v54
	v_pk_add_f32 v[68:69], v[54:55], v[64:65] neg_lo:[0,1] neg_hi:[0,1]
	v_mov_b32_e32 v67, v54
	v_pk_add_f32 v[54:55], v[68:69], v[66:67] neg_lo:[0,1] neg_hi:[0,1]
	v_add_f32_e32 v38, v80, v71
	v_add_f32_e32 v37, v37, v55
	;; [unrolled: 1-line block ×4, first 2 shown]
	v_sub_f32_e32 v54, v38, v80
	v_mul_f32_e32 v37, v70, v37
	v_sub_f32_e32 v54, v71, v54
	v_add_f32_e32 v37, v54, v37
	v_add_f32_e32 v54, v38, v37
	v_cvt_f32_i32_e32 v64, v48
	v_mul_f32_e32 v65, v54, v54
	v_mov_b32_e32 v55, 0x3ecc95a3
	v_fmac_f32_e32 v55, 0x3e9b6dac, v65
	v_fmaak_f32 v55, v65, v55, 0x3f2aaada
	v_sub_f32_e32 v38, v54, v38
	v_ldexp_f32 v67, v54, 1
	v_mul_f32_e32 v65, v54, v65
	v_mov_b32_e32 v54, 0x3f317218
	v_pk_mul_f32 v[54:55], v[64:65], v[54:55]
	v_sub_f32_e32 v37, v37, v38
	v_fma_f32 v38, v64, s30, -v54
	v_fmamk_f32 v66, v64, 0xb102e308, v38
	v_pk_add_f32 v[64:65], v[54:55], v[66:67]
	v_ldexp_f32 v37, v37, 1
	v_sub_f32_e32 v38, v65, v67
	v_sub_f32_e32 v38, v55, v38
	v_add_f32_e32 v69, v37, v38
	v_mov_b32_e32 v68, v54
	v_pk_add_f32 v[54:55], v[64:65], v[54:55] neg_lo:[0,1] neg_hi:[0,1]
	v_pk_add_f32 v[70:71], v[64:65], v[68:69]
	v_mov_b32_e32 v67, v64
	v_mov_b32_e32 v55, v71
	v_pk_add_f32 v[80:81], v[66:67], v[54:55] neg_lo:[0,1] neg_hi:[0,1]
	v_pk_add_f32 v[54:55], v[66:67], v[54:55]
	v_cmp_eq_f32_e64 s[30:31], s36, v53
	v_mov_b32_e32 v38, v55
	v_pk_add_f32 v[66:67], v[38:39], v[64:65] neg_lo:[0,1] neg_hi:[0,1]
	v_mov_b32_e32 v54, v71
	v_mov_b32_e32 v37, v66
	v_pk_add_f32 v[82:83], v[70:71], v[36:37] neg_lo:[0,1] neg_hi:[0,1]
	v_mov_b32_e32 v70, v65
	v_mov_b32_e32 v71, v66
	;; [unrolled: 1-line block ×3, first 2 shown]
	v_pk_add_f32 v[54:55], v[54:55], v[70:71] neg_lo:[0,1] neg_hi:[0,1]
	v_mov_b32_e32 v66, v69
	v_mov_b32_e32 v67, v64
	v_pk_add_f32 v[54:55], v[66:67], v[54:55] neg_lo:[0,1] neg_hi:[0,1]
	v_mov_b32_e32 v82, v80
	v_pk_add_f32 v[64:65], v[82:83], v[54:55]
	s_mov_b32 s36, 0x33800000
	v_mov_b32_e32 v48, v65
	v_pk_add_f32 v[66:67], v[64:65], v[48:49]
	v_cmp_lt_f32_e64 s[36:37], |v53|, s36
	v_pk_add_f32 v[68:69], v[38:39], v[66:67]
	v_mov_b32_e32 v55, v66
	v_mov_b32_e32 v65, v68
	v_pk_add_f32 v[70:71], v[64:65], v[80:81] neg_lo:[0,1] neg_hi:[0,1]
	s_or_b64 s[30:31], s[30:31], s[36:37]
	v_sub_f32_e32 v37, v64, v70
	v_pk_add_f32 v[54:55], v[54:55], v[70:71] neg_lo:[0,1] neg_hi:[0,1]
	v_sub_f32_e32 v37, v80, v37
	v_add_f32_e32 v37, v54, v37
	v_add_f32_e32 v37, v37, v55
	;; [unrolled: 1-line block ×3, first 2 shown]
	v_cndmask_b32_e64 v37, v37, v53, s[30:31]
	v_add_f32_e32 v37, v39, v37
	v_cvt_f16_f32_e32 v37, v37
	v_cvt_f32_f16_e32 v38, v37
.LBB428_298:
	s_or_b64 exec, exec, s[34:35]
	v_cvt_f32_f16_sdwa v53, v23 dst_sel:DWORD dst_unused:UNUSED_PAD src0_sel:WORD_1
	v_max_f32_e32 v48, v38, v38
	v_cmp_u_f16_e64 s[34:35], v37, v37
	v_cmp_u_f16_sdwa s[30:31], v23, v23 src0_sel:WORD_1 src1_sel:WORD_1
	v_min_f32_e32 v39, v48, v53
	v_max_f32_e32 v23, v48, v53
	v_cndmask_b32_e64 v39, v39, v38, s[34:35]
	v_cndmask_b32_e64 v23, v23, v38, s[34:35]
	v_cndmask_b32_e64 v39, v39, v53, s[30:31]
	v_cndmask_b32_e64 v23, v23, v53, s[30:31]
	s_movk_i32 s38, 0x1f8
	v_cmp_neq_f32_e64 s[34:35], v39, v23
	v_cmp_class_f32_e64 s[36:37], v39, s38
	s_or_b64 s[34:35], s[34:35], s[36:37]
	s_and_saveexec_b64 s[36:37], s[34:35]
	s_cbranch_execz .LBB428_300
; %bb.299:
	v_sub_f32_e32 v37, v39, v23
	s_mov_b32 s34, 0x3fb8aa3b
	v_mul_f32_e32 v38, 0x3fb8aa3b, v37
	v_fma_f32 v39, v37, s34, -v38
	v_rndne_f32_e32 v48, v38
	v_fmamk_f32 v39, v37, 0x32a5705f, v39
	v_sub_f32_e32 v38, v38, v48
	v_add_f32_e32 v38, v38, v39
	v_exp_f32_e32 v38, v38
	v_cvt_i32_f32_e32 v39, v48
	s_mov_b32 s34, 0xc2ce8ed0
	v_cmp_ngt_f32_e64 s[34:35], s34, v37
	s_mov_b32 s39, 0x7f800000
	v_ldexp_f32 v38, v38, v39
	v_cndmask_b32_e64 v38, 0, v38, s[34:35]
	s_mov_b32 s34, 0x42b17218
	v_mov_b32_e32 v39, 0x7f800000
	v_cmp_nlt_f32_e64 s[34:35], s34, v37
	s_nop 1
	v_cndmask_b32_e64 v82, v39, v38, s[34:35]
	v_add_f32_e32 v37, 1.0, v82
	v_add_f32_e32 v38, -1.0, v37
	v_sub_f32_e32 v39, v38, v37
	v_add_f32_e32 v39, 1.0, v39
	v_sub_f32_e32 v38, v82, v38
	v_add_f32_e32 v48, v38, v39
	v_frexp_mant_f32_e32 v54, v37
	s_mov_b32 s34, 0x3f2aaaab
	v_cvt_f64_f32_e32 v[38:39], v37
	v_frexp_exp_i32_f64_e32 v38, v[38:39]
	v_cmp_gt_f32_e64 s[34:35], s34, v54
	s_nop 1
	v_subbrev_co_u32_e64 v68, s[34:35], 0, v38, s[34:35]
	v_sub_u32_e32 v38, 0, v68
	v_ldexp_f32 v37, v37, v38
	v_ldexp_f32 v38, v48, v38
	v_add_f32_e32 v48, -1.0, v37
	v_add_f32_e32 v39, 1.0, v48
	v_sub_f32_e32 v39, v37, v39
	v_add_f32_e32 v54, v38, v39
	v_add_f32_e32 v39, 1.0, v37
	v_add_f32_e32 v55, -1.0, v39
	v_sub_f32_e32 v37, v37, v55
	v_add_f32_e32 v37, v38, v37
	v_add_f32_e32 v69, v39, v37
	v_rcp_f32_e32 v70, v69
	v_sub_f32_e32 v38, v39, v69
	v_add_f32_e32 v39, v48, v54
	v_add_f32_e32 v37, v37, v38
	v_sub_f32_e32 v38, v48, v39
	v_mul_f32_e32 v71, v39, v70
	v_add_f32_e32 v48, v54, v38
	v_mul_f32_e32 v54, v69, v71
	v_fma_f32 v64, v71, v69, -v54
	v_fmac_f32_e32 v64, v71, v37
	v_add_f32_e32 v38, v54, v64
	v_sub_f32_e32 v55, v39, v38
	v_pk_add_f32 v[66:67], v[38:39], v[54:55] neg_lo:[0,1] neg_hi:[0,1]
	v_mov_b32_e32 v65, v38
	v_pk_add_f32 v[38:39], v[66:67], v[64:65] neg_lo:[0,1] neg_hi:[0,1]
	s_mov_b32 s34, 0x3f317218
	v_add_f32_e32 v39, v48, v39
	v_add_f32_e32 v38, v38, v39
	;; [unrolled: 1-line block ×3, first 2 shown]
	v_mul_f32_e32 v48, v70, v39
	v_mul_f32_e32 v54, v69, v48
	v_fma_f32 v64, v48, v69, -v54
	v_fmac_f32_e32 v64, v48, v37
	v_sub_f32_e32 v37, v55, v39
	v_add_f32_e32 v37, v38, v37
	v_add_f32_e32 v38, v54, v64
	v_sub_f32_e32 v55, v39, v38
	v_pk_add_f32 v[66:67], v[38:39], v[54:55] neg_lo:[0,1] neg_hi:[0,1]
	v_mov_b32_e32 v65, v38
	v_pk_add_f32 v[38:39], v[66:67], v[64:65] neg_lo:[0,1] neg_hi:[0,1]
	v_cvt_f32_i32_e32 v54, v68
	v_add_f32_e32 v37, v37, v39
	v_add_f32_e32 v37, v38, v37
	;; [unrolled: 1-line block ×4, first 2 shown]
	v_sub_f32_e32 v39, v38, v71
	v_mul_f32_e32 v37, v70, v37
	v_sub_f32_e32 v39, v48, v39
	v_add_f32_e32 v37, v39, v37
	v_add_f32_e32 v48, v38, v37
	v_mul_f32_e32 v55, v48, v48
	v_mov_b32_e32 v39, 0x3ecc95a3
	v_fmac_f32_e32 v39, 0x3e9b6dac, v55
	v_sub_f32_e32 v38, v48, v38
	v_fmaak_f32 v39, v55, v39, 0x3f2aaada
	v_sub_f32_e32 v37, v37, v38
	v_mul_f32_e32 v55, v48, v55
	v_mov_b32_e32 v38, 0x3f317218
	v_pk_mul_f32 v[38:39], v[54:55], v[38:39]
	v_ldexp_f32 v65, v48, 1
	v_fma_f32 v48, v54, s34, -v38
	v_fmamk_f32 v64, v54, 0xb102e308, v48
	v_pk_add_f32 v[54:55], v[38:39], v[64:65]
	v_ldexp_f32 v37, v37, 1
	v_sub_f32_e32 v48, v55, v65
	v_sub_f32_e32 v48, v39, v48
	v_add_f32_e32 v67, v37, v48
	v_mov_b32_e32 v66, v38
	v_pk_add_f32 v[38:39], v[54:55], v[38:39] neg_lo:[0,1] neg_hi:[0,1]
	v_pk_add_f32 v[68:69], v[54:55], v[66:67]
	v_mov_b32_e32 v65, v54
	v_mov_b32_e32 v39, v69
	v_pk_add_f32 v[70:71], v[64:65], v[38:39] neg_lo:[0,1] neg_hi:[0,1]
	v_pk_add_f32 v[38:39], v[64:65], v[38:39]
	v_cmp_eq_f32_e64 s[34:35], s39, v82
	v_mov_b32_e32 v48, v39
	v_pk_add_f32 v[64:65], v[48:49], v[54:55] neg_lo:[0,1] neg_hi:[0,1]
	v_mov_b32_e32 v38, v69
	v_mov_b32_e32 v37, v64
	v_pk_add_f32 v[80:81], v[68:69], v[36:37] neg_lo:[0,1] neg_hi:[0,1]
	v_mov_b32_e32 v68, v55
	v_mov_b32_e32 v69, v64
	;; [unrolled: 1-line block ×3, first 2 shown]
	v_pk_add_f32 v[38:39], v[38:39], v[68:69] neg_lo:[0,1] neg_hi:[0,1]
	v_mov_b32_e32 v64, v67
	v_mov_b32_e32 v65, v54
	v_pk_add_f32 v[38:39], v[64:65], v[38:39] neg_lo:[0,1] neg_hi:[0,1]
	v_mov_b32_e32 v80, v70
	v_pk_add_f32 v[54:55], v[80:81], v[38:39]
	s_mov_b32 s39, 0x33800000
	v_mov_b32_e32 v64, v55
	v_pk_add_f32 v[64:65], v[54:55], v[64:65]
	v_cmp_lt_f32_e64 s[40:41], |v82|, s39
	v_pk_add_f32 v[66:67], v[48:49], v[64:65]
	v_mov_b32_e32 v39, v64
	v_mov_b32_e32 v55, v66
	v_pk_add_f32 v[68:69], v[54:55], v[70:71] neg_lo:[0,1] neg_hi:[0,1]
	s_or_b64 s[34:35], s[34:35], s[40:41]
	v_sub_f32_e32 v37, v54, v68
	v_pk_add_f32 v[38:39], v[38:39], v[68:69] neg_lo:[0,1] neg_hi:[0,1]
	v_sub_f32_e32 v37, v70, v37
	v_add_f32_e32 v37, v38, v37
	v_add_f32_e32 v37, v37, v39
	;; [unrolled: 1-line block ×3, first 2 shown]
	v_cndmask_b32_e64 v37, v37, v82, s[34:35]
	v_add_f32_e32 v23, v23, v37
	v_cvt_f16_f32_e32 v37, v23
	v_cvt_f32_f16_e32 v38, v37
.LBB428_300:
	s_or_b64 exec, exec, s[36:37]
	v_cvt_f32_f16_e32 v23, v16
	v_max_f32_e32 v39, v38, v38
	v_cmp_u_f16_e64 s[36:37], v37, v37
	v_cmp_u_f16_e64 s[34:35], v16, v16
	v_min_f32_e32 v48, v39, v23
	v_max_f32_e32 v39, v39, v23
	v_cndmask_b32_e64 v48, v48, v38, s[36:37]
	v_cndmask_b32_e64 v39, v39, v38, s[36:37]
	;; [unrolled: 1-line block ×4, first 2 shown]
	v_cmp_neq_f32_e64 s[36:37], v48, v39
	v_cmp_class_f32_e64 s[38:39], v48, s38
	s_or_b64 s[36:37], s[36:37], s[38:39]
	s_and_saveexec_b64 s[38:39], s[36:37]
	s_cbranch_execz .LBB428_302
; %bb.301:
	v_sub_f32_e32 v37, v48, v39
	s_mov_b32 s36, 0x3fb8aa3b
	v_mul_f32_e32 v38, 0x3fb8aa3b, v37
	v_fma_f32 v48, v37, s36, -v38
	v_rndne_f32_e32 v54, v38
	v_fmamk_f32 v48, v37, 0x32a5705f, v48
	v_sub_f32_e32 v38, v38, v54
	v_add_f32_e32 v38, v38, v48
	v_exp_f32_e32 v38, v38
	v_cvt_i32_f32_e32 v48, v54
	s_mov_b32 s36, 0xc2ce8ed0
	v_cmp_ngt_f32_e64 s[36:37], s36, v37
	s_mov_b32 s40, 0x7f800000
	v_ldexp_f32 v38, v38, v48
	v_cndmask_b32_e64 v38, 0, v38, s[36:37]
	s_mov_b32 s36, 0x42b17218
	v_mov_b32_e32 v48, 0x7f800000
	v_cmp_nlt_f32_e64 s[36:37], s36, v37
	s_nop 1
	v_cndmask_b32_e64 v84, v48, v38, s[36:37]
	v_add_f32_e32 v37, 1.0, v84
	v_add_f32_e32 v38, -1.0, v37
	v_sub_f32_e32 v48, v38, v37
	v_add_f32_e32 v48, 1.0, v48
	v_sub_f32_e32 v38, v84, v38
	v_add_f32_e32 v38, v38, v48
	v_frexp_mant_f32_e32 v48, v37
	s_mov_b32 s36, 0x3f2aaaab
	v_cvt_f64_f32_e32 v[54:55], v37
	v_frexp_exp_i32_f64_e32 v54, v[54:55]
	v_cmp_gt_f32_e64 s[36:37], s36, v48
	s_nop 1
	v_subbrev_co_u32_e64 v48, s[36:37], 0, v54, s[36:37]
	v_sub_u32_e32 v54, 0, v48
	v_ldexp_f32 v37, v37, v54
	v_ldexp_f32 v38, v38, v54
	v_add_f32_e32 v54, -1.0, v37
	v_add_f32_e32 v55, 1.0, v54
	v_sub_f32_e32 v55, v37, v55
	v_add_f32_e32 v64, v38, v55
	v_add_f32_e32 v55, 1.0, v37
	v_add_f32_e32 v65, -1.0, v55
	v_sub_f32_e32 v37, v37, v65
	v_add_f32_e32 v37, v38, v37
	v_add_f32_e32 v38, v55, v37
	v_rcp_f32_e32 v70, v38
	v_sub_f32_e32 v55, v55, v38
	v_add_f32_e32 v37, v37, v55
	v_add_f32_e32 v55, v54, v64
	v_sub_f32_e32 v54, v54, v55
	v_mul_f32_e32 v80, v55, v70
	v_add_f32_e32 v71, v64, v54
	v_mul_f32_e32 v64, v38, v80
	v_fma_f32 v66, v80, v38, -v64
	v_fmac_f32_e32 v66, v80, v37
	v_add_f32_e32 v54, v64, v66
	v_sub_f32_e32 v65, v55, v54
	v_pk_add_f32 v[68:69], v[54:55], v[64:65] neg_lo:[0,1] neg_hi:[0,1]
	v_mov_b32_e32 v67, v54
	v_pk_add_f32 v[54:55], v[68:69], v[66:67] neg_lo:[0,1] neg_hi:[0,1]
	s_mov_b32 s36, 0x3f317218
	v_add_f32_e32 v55, v71, v55
	v_add_f32_e32 v54, v54, v55
	;; [unrolled: 1-line block ×3, first 2 shown]
	v_mul_f32_e32 v71, v70, v55
	v_mul_f32_e32 v64, v38, v71
	v_fma_f32 v66, v71, v38, -v64
	v_fmac_f32_e32 v66, v71, v37
	v_sub_f32_e32 v37, v65, v55
	v_add_f32_e32 v37, v54, v37
	v_add_f32_e32 v54, v64, v66
	v_sub_f32_e32 v65, v55, v54
	v_pk_add_f32 v[68:69], v[54:55], v[64:65] neg_lo:[0,1] neg_hi:[0,1]
	v_mov_b32_e32 v67, v54
	v_pk_add_f32 v[54:55], v[68:69], v[66:67] neg_lo:[0,1] neg_hi:[0,1]
	v_add_f32_e32 v38, v80, v71
	v_add_f32_e32 v37, v37, v55
	;; [unrolled: 1-line block ×4, first 2 shown]
	v_sub_f32_e32 v54, v38, v80
	v_mul_f32_e32 v37, v70, v37
	v_sub_f32_e32 v54, v71, v54
	v_add_f32_e32 v37, v54, v37
	v_add_f32_e32 v54, v38, v37
	v_cvt_f32_i32_e32 v64, v48
	v_mul_f32_e32 v65, v54, v54
	v_mov_b32_e32 v55, 0x3ecc95a3
	v_fmac_f32_e32 v55, 0x3e9b6dac, v65
	v_fmaak_f32 v55, v65, v55, 0x3f2aaada
	v_sub_f32_e32 v38, v54, v38
	v_ldexp_f32 v67, v54, 1
	v_mul_f32_e32 v65, v54, v65
	v_mov_b32_e32 v54, 0x3f317218
	v_pk_mul_f32 v[54:55], v[64:65], v[54:55]
	v_sub_f32_e32 v37, v37, v38
	v_fma_f32 v38, v64, s36, -v54
	v_fmamk_f32 v66, v64, 0xb102e308, v38
	v_pk_add_f32 v[64:65], v[54:55], v[66:67]
	v_ldexp_f32 v37, v37, 1
	v_sub_f32_e32 v38, v65, v67
	v_sub_f32_e32 v38, v55, v38
	v_add_f32_e32 v69, v37, v38
	v_mov_b32_e32 v68, v54
	v_pk_add_f32 v[54:55], v[64:65], v[54:55] neg_lo:[0,1] neg_hi:[0,1]
	v_pk_add_f32 v[70:71], v[64:65], v[68:69]
	v_mov_b32_e32 v67, v64
	v_mov_b32_e32 v55, v71
	v_pk_add_f32 v[80:81], v[66:67], v[54:55] neg_lo:[0,1] neg_hi:[0,1]
	v_pk_add_f32 v[54:55], v[66:67], v[54:55]
	v_cmp_eq_f32_e64 s[36:37], s40, v84
	v_mov_b32_e32 v38, v55
	v_pk_add_f32 v[66:67], v[38:39], v[64:65] neg_lo:[0,1] neg_hi:[0,1]
	v_mov_b32_e32 v54, v71
	v_mov_b32_e32 v37, v66
	v_pk_add_f32 v[82:83], v[70:71], v[36:37] neg_lo:[0,1] neg_hi:[0,1]
	v_mov_b32_e32 v70, v65
	v_mov_b32_e32 v71, v66
	;; [unrolled: 1-line block ×3, first 2 shown]
	v_pk_add_f32 v[54:55], v[54:55], v[70:71] neg_lo:[0,1] neg_hi:[0,1]
	v_mov_b32_e32 v66, v69
	v_mov_b32_e32 v67, v64
	v_pk_add_f32 v[54:55], v[66:67], v[54:55] neg_lo:[0,1] neg_hi:[0,1]
	v_mov_b32_e32 v82, v80
	v_pk_add_f32 v[64:65], v[82:83], v[54:55]
	s_mov_b32 s40, 0x33800000
	v_mov_b32_e32 v48, v65
	v_pk_add_f32 v[66:67], v[64:65], v[48:49]
	v_cmp_lt_f32_e64 s[40:41], |v84|, s40
	v_pk_add_f32 v[68:69], v[38:39], v[66:67]
	v_mov_b32_e32 v55, v66
	v_mov_b32_e32 v65, v68
	v_pk_add_f32 v[70:71], v[64:65], v[80:81] neg_lo:[0,1] neg_hi:[0,1]
	s_or_b64 s[36:37], s[36:37], s[40:41]
	v_sub_f32_e32 v37, v64, v70
	v_pk_add_f32 v[54:55], v[54:55], v[70:71] neg_lo:[0,1] neg_hi:[0,1]
	v_sub_f32_e32 v37, v80, v37
	v_add_f32_e32 v37, v54, v37
	v_add_f32_e32 v37, v37, v55
	;; [unrolled: 1-line block ×3, first 2 shown]
	v_cndmask_b32_e64 v37, v37, v84, s[36:37]
	v_add_f32_e32 v37, v39, v37
	v_cvt_f16_f32_e32 v37, v37
	v_cvt_f32_f16_e32 v38, v37
.LBB428_302:
	s_or_b64 exec, exec, s[38:39]
	v_cvt_f32_f16_sdwa v54, v16 dst_sel:DWORD dst_unused:UNUSED_PAD src0_sel:WORD_1
	v_max_f32_e32 v48, v38, v38
	v_cmp_u_f16_e64 s[38:39], v37, v37
	v_cmp_u_f16_sdwa s[36:37], v16, v16 src0_sel:WORD_1 src1_sel:WORD_1
	v_min_f32_e32 v39, v48, v54
	v_max_f32_e32 v16, v48, v54
	v_cndmask_b32_e64 v39, v39, v38, s[38:39]
	v_cndmask_b32_e64 v16, v16, v38, s[38:39]
	;; [unrolled: 1-line block ×4, first 2 shown]
	s_movk_i32 s42, 0x1f8
	v_cmp_neq_f32_e64 s[38:39], v39, v16
	v_cmp_class_f32_e64 s[40:41], v39, s42
	s_or_b64 s[38:39], s[38:39], s[40:41]
	s_and_saveexec_b64 s[40:41], s[38:39]
	s_cbranch_execz .LBB428_304
; %bb.303:
	v_sub_f32_e32 v37, v39, v16
	s_mov_b32 s38, 0x3fb8aa3b
	v_mul_f32_e32 v38, 0x3fb8aa3b, v37
	v_fma_f32 v39, v37, s38, -v38
	v_rndne_f32_e32 v48, v38
	v_fmamk_f32 v39, v37, 0x32a5705f, v39
	v_sub_f32_e32 v38, v38, v48
	v_add_f32_e32 v38, v38, v39
	v_exp_f32_e32 v38, v38
	v_cvt_i32_f32_e32 v39, v48
	s_mov_b32 s38, 0xc2ce8ed0
	v_cmp_ngt_f32_e64 s[38:39], s38, v37
	s_mov_b32 s43, 0x7f800000
	v_ldexp_f32 v38, v38, v39
	v_cndmask_b32_e64 v38, 0, v38, s[38:39]
	s_mov_b32 s38, 0x42b17218
	v_mov_b32_e32 v39, 0x7f800000
	v_cmp_nlt_f32_e64 s[38:39], s38, v37
	s_nop 1
	v_cndmask_b32_e64 v55, v39, v38, s[38:39]
	v_add_f32_e32 v37, 1.0, v55
	v_add_f32_e32 v38, -1.0, v37
	v_sub_f32_e32 v39, v38, v37
	v_add_f32_e32 v39, 1.0, v39
	v_sub_f32_e32 v38, v55, v38
	v_add_f32_e32 v48, v38, v39
	v_frexp_mant_f32_e32 v64, v37
	s_mov_b32 s38, 0x3f2aaaab
	v_cvt_f64_f32_e32 v[38:39], v37
	v_frexp_exp_i32_f64_e32 v38, v[38:39]
	v_cmp_gt_f32_e64 s[38:39], s38, v64
	s_nop 1
	v_subbrev_co_u32_e64 v70, s[38:39], 0, v38, s[38:39]
	v_sub_u32_e32 v38, 0, v70
	v_ldexp_f32 v37, v37, v38
	v_ldexp_f32 v38, v48, v38
	v_add_f32_e32 v48, -1.0, v37
	v_add_f32_e32 v39, 1.0, v48
	v_sub_f32_e32 v39, v37, v39
	v_add_f32_e32 v64, v38, v39
	v_add_f32_e32 v39, 1.0, v37
	v_add_f32_e32 v65, -1.0, v39
	v_sub_f32_e32 v37, v37, v65
	v_add_f32_e32 v37, v38, v37
	v_add_f32_e32 v71, v39, v37
	v_rcp_f32_e32 v80, v71
	v_sub_f32_e32 v38, v39, v71
	v_add_f32_e32 v39, v48, v64
	v_add_f32_e32 v37, v37, v38
	v_sub_f32_e32 v38, v48, v39
	v_mul_f32_e32 v81, v39, v80
	v_add_f32_e32 v48, v64, v38
	v_mul_f32_e32 v64, v71, v81
	v_fma_f32 v66, v81, v71, -v64
	v_fmac_f32_e32 v66, v81, v37
	v_add_f32_e32 v38, v64, v66
	v_sub_f32_e32 v65, v39, v38
	v_pk_add_f32 v[68:69], v[38:39], v[64:65] neg_lo:[0,1] neg_hi:[0,1]
	v_mov_b32_e32 v67, v38
	v_pk_add_f32 v[38:39], v[68:69], v[66:67] neg_lo:[0,1] neg_hi:[0,1]
	s_mov_b32 s38, 0x3f317218
	v_add_f32_e32 v39, v48, v39
	v_add_f32_e32 v38, v38, v39
	;; [unrolled: 1-line block ×3, first 2 shown]
	v_mul_f32_e32 v48, v80, v39
	v_mul_f32_e32 v64, v71, v48
	v_fma_f32 v66, v48, v71, -v64
	v_fmac_f32_e32 v66, v48, v37
	v_sub_f32_e32 v37, v65, v39
	v_add_f32_e32 v37, v38, v37
	v_add_f32_e32 v38, v64, v66
	v_sub_f32_e32 v65, v39, v38
	v_pk_add_f32 v[68:69], v[38:39], v[64:65] neg_lo:[0,1] neg_hi:[0,1]
	v_mov_b32_e32 v67, v38
	v_pk_add_f32 v[38:39], v[68:69], v[66:67] neg_lo:[0,1] neg_hi:[0,1]
	v_cvt_f32_i32_e32 v64, v70
	v_add_f32_e32 v37, v37, v39
	v_add_f32_e32 v37, v38, v37
	;; [unrolled: 1-line block ×4, first 2 shown]
	v_sub_f32_e32 v39, v38, v81
	v_mul_f32_e32 v37, v80, v37
	v_sub_f32_e32 v39, v48, v39
	v_add_f32_e32 v37, v39, v37
	v_add_f32_e32 v48, v38, v37
	v_mul_f32_e32 v65, v48, v48
	v_mov_b32_e32 v39, 0x3ecc95a3
	v_fmac_f32_e32 v39, 0x3e9b6dac, v65
	v_sub_f32_e32 v38, v48, v38
	v_fmaak_f32 v39, v65, v39, 0x3f2aaada
	v_sub_f32_e32 v37, v37, v38
	v_mul_f32_e32 v65, v48, v65
	v_mov_b32_e32 v38, 0x3f317218
	v_pk_mul_f32 v[38:39], v[64:65], v[38:39]
	v_ldexp_f32 v67, v48, 1
	v_fma_f32 v48, v64, s38, -v38
	v_fmamk_f32 v66, v64, 0xb102e308, v48
	v_pk_add_f32 v[64:65], v[38:39], v[66:67]
	v_ldexp_f32 v37, v37, 1
	v_sub_f32_e32 v48, v65, v67
	v_sub_f32_e32 v48, v39, v48
	v_add_f32_e32 v69, v37, v48
	v_mov_b32_e32 v68, v38
	v_pk_add_f32 v[38:39], v[64:65], v[38:39] neg_lo:[0,1] neg_hi:[0,1]
	v_pk_add_f32 v[70:71], v[64:65], v[68:69]
	v_mov_b32_e32 v67, v64
	v_mov_b32_e32 v39, v71
	v_pk_add_f32 v[80:81], v[66:67], v[38:39] neg_lo:[0,1] neg_hi:[0,1]
	v_pk_add_f32 v[38:39], v[66:67], v[38:39]
	v_cmp_eq_f32_e64 s[38:39], s43, v55
	v_mov_b32_e32 v48, v39
	v_pk_add_f32 v[66:67], v[48:49], v[64:65] neg_lo:[0,1] neg_hi:[0,1]
	v_mov_b32_e32 v38, v71
	v_mov_b32_e32 v37, v66
	v_pk_add_f32 v[82:83], v[70:71], v[36:37] neg_lo:[0,1] neg_hi:[0,1]
	v_mov_b32_e32 v70, v65
	v_mov_b32_e32 v71, v66
	v_mov_b32_e32 v81, v39
	v_pk_add_f32 v[38:39], v[38:39], v[70:71] neg_lo:[0,1] neg_hi:[0,1]
	v_mov_b32_e32 v66, v69
	v_mov_b32_e32 v67, v64
	v_pk_add_f32 v[38:39], v[66:67], v[38:39] neg_lo:[0,1] neg_hi:[0,1]
	v_mov_b32_e32 v82, v80
	v_pk_add_f32 v[64:65], v[82:83], v[38:39]
	s_mov_b32 s43, 0x33800000
	v_mov_b32_e32 v66, v65
	v_pk_add_f32 v[66:67], v[64:65], v[66:67]
	v_cmp_lt_f32_e64 s[44:45], |v55|, s43
	v_pk_add_f32 v[68:69], v[48:49], v[66:67]
	v_mov_b32_e32 v39, v66
	v_mov_b32_e32 v65, v68
	v_pk_add_f32 v[70:71], v[64:65], v[80:81] neg_lo:[0,1] neg_hi:[0,1]
	s_or_b64 s[38:39], s[38:39], s[44:45]
	v_sub_f32_e32 v37, v64, v70
	v_pk_add_f32 v[38:39], v[38:39], v[70:71] neg_lo:[0,1] neg_hi:[0,1]
	v_sub_f32_e32 v37, v80, v37
	v_add_f32_e32 v37, v38, v37
	v_add_f32_e32 v37, v37, v39
	;; [unrolled: 1-line block ×3, first 2 shown]
	v_cndmask_b32_e64 v37, v37, v55, s[38:39]
	v_add_f32_e32 v16, v16, v37
	v_cvt_f16_f32_e32 v37, v16
	v_cvt_f32_f16_e32 v38, v37
.LBB428_304:
	s_or_b64 exec, exec, s[40:41]
	v_cvt_f32_f16_e32 v16, v17
	v_max_f32_e32 v39, v38, v38
	v_cmp_u_f16_e64 s[40:41], v37, v37
	v_cmp_u_f16_e64 s[38:39], v17, v17
	v_min_f32_e32 v48, v39, v16
	v_max_f32_e32 v39, v39, v16
	v_cndmask_b32_e64 v48, v48, v38, s[40:41]
	v_cndmask_b32_e64 v39, v39, v38, s[40:41]
	;; [unrolled: 1-line block ×4, first 2 shown]
	v_cmp_neq_f32_e64 s[40:41], v48, v39
	v_cmp_class_f32_e64 s[42:43], v48, s42
	s_or_b64 s[40:41], s[40:41], s[42:43]
	s_and_saveexec_b64 s[42:43], s[40:41]
	s_cbranch_execz .LBB428_306
; %bb.305:
	v_sub_f32_e32 v37, v48, v39
	s_mov_b32 s40, 0x3fb8aa3b
	v_mul_f32_e32 v38, 0x3fb8aa3b, v37
	v_fma_f32 v48, v37, s40, -v38
	v_rndne_f32_e32 v55, v38
	v_fmamk_f32 v48, v37, 0x32a5705f, v48
	v_sub_f32_e32 v38, v38, v55
	v_add_f32_e32 v38, v38, v48
	v_exp_f32_e32 v38, v38
	v_cvt_i32_f32_e32 v48, v55
	s_mov_b32 s40, 0xc2ce8ed0
	v_cmp_ngt_f32_e64 s[40:41], s40, v37
	s_mov_b32 s44, 0x7f800000
	v_ldexp_f32 v38, v38, v48
	v_cndmask_b32_e64 v38, 0, v38, s[40:41]
	s_mov_b32 s40, 0x42b17218
	v_mov_b32_e32 v48, 0x7f800000
	v_cmp_nlt_f32_e64 s[40:41], s40, v37
	s_nop 1
	v_cndmask_b32_e64 v55, v48, v38, s[40:41]
	v_add_f32_e32 v37, 1.0, v55
	v_add_f32_e32 v38, -1.0, v37
	v_sub_f32_e32 v48, v38, v37
	v_add_f32_e32 v48, 1.0, v48
	v_sub_f32_e32 v38, v55, v38
	v_add_f32_e32 v38, v38, v48
	v_frexp_mant_f32_e32 v48, v37
	s_mov_b32 s40, 0x3f2aaaab
	v_cvt_f64_f32_e32 v[64:65], v37
	v_frexp_exp_i32_f64_e32 v64, v[64:65]
	v_cmp_gt_f32_e64 s[40:41], s40, v48
	s_nop 1
	v_subbrev_co_u32_e64 v48, s[40:41], 0, v64, s[40:41]
	v_sub_u32_e32 v64, 0, v48
	v_ldexp_f32 v37, v37, v64
	v_ldexp_f32 v38, v38, v64
	v_add_f32_e32 v64, -1.0, v37
	v_add_f32_e32 v65, 1.0, v64
	v_sub_f32_e32 v65, v37, v65
	v_add_f32_e32 v66, v38, v65
	v_add_f32_e32 v65, 1.0, v37
	v_add_f32_e32 v67, -1.0, v65
	v_sub_f32_e32 v37, v37, v67
	v_add_f32_e32 v37, v38, v37
	v_add_f32_e32 v38, v65, v37
	v_rcp_f32_e32 v80, v38
	v_sub_f32_e32 v65, v65, v38
	v_add_f32_e32 v37, v37, v65
	v_add_f32_e32 v65, v64, v66
	v_sub_f32_e32 v64, v64, v65
	v_mul_f32_e32 v82, v65, v80
	v_add_f32_e32 v81, v66, v64
	v_mul_f32_e32 v66, v38, v82
	v_fma_f32 v68, v82, v38, -v66
	v_fmac_f32_e32 v68, v82, v37
	v_add_f32_e32 v64, v66, v68
	v_sub_f32_e32 v67, v65, v64
	v_pk_add_f32 v[70:71], v[64:65], v[66:67] neg_lo:[0,1] neg_hi:[0,1]
	v_mov_b32_e32 v69, v64
	v_pk_add_f32 v[64:65], v[70:71], v[68:69] neg_lo:[0,1] neg_hi:[0,1]
	s_mov_b32 s40, 0x3f317218
	v_add_f32_e32 v65, v81, v65
	v_add_f32_e32 v64, v64, v65
	;; [unrolled: 1-line block ×3, first 2 shown]
	v_mul_f32_e32 v81, v80, v65
	v_mul_f32_e32 v66, v38, v81
	v_fma_f32 v68, v81, v38, -v66
	v_fmac_f32_e32 v68, v81, v37
	v_sub_f32_e32 v37, v67, v65
	v_add_f32_e32 v37, v64, v37
	v_add_f32_e32 v64, v66, v68
	v_sub_f32_e32 v67, v65, v64
	v_pk_add_f32 v[70:71], v[64:65], v[66:67] neg_lo:[0,1] neg_hi:[0,1]
	v_mov_b32_e32 v69, v64
	v_pk_add_f32 v[64:65], v[70:71], v[68:69] neg_lo:[0,1] neg_hi:[0,1]
	v_add_f32_e32 v38, v82, v81
	v_add_f32_e32 v37, v37, v65
	;; [unrolled: 1-line block ×4, first 2 shown]
	v_sub_f32_e32 v64, v38, v82
	v_mul_f32_e32 v37, v80, v37
	v_sub_f32_e32 v64, v81, v64
	v_add_f32_e32 v37, v64, v37
	v_add_f32_e32 v64, v38, v37
	v_cvt_f32_i32_e32 v66, v48
	v_mul_f32_e32 v67, v64, v64
	v_mov_b32_e32 v65, 0x3ecc95a3
	v_fmac_f32_e32 v65, 0x3e9b6dac, v67
	v_fmaak_f32 v65, v67, v65, 0x3f2aaada
	v_sub_f32_e32 v38, v64, v38
	v_ldexp_f32 v69, v64, 1
	v_mul_f32_e32 v67, v64, v67
	v_mov_b32_e32 v64, 0x3f317218
	v_pk_mul_f32 v[64:65], v[66:67], v[64:65]
	v_sub_f32_e32 v37, v37, v38
	v_fma_f32 v38, v66, s40, -v64
	v_fmamk_f32 v68, v66, 0xb102e308, v38
	v_pk_add_f32 v[66:67], v[64:65], v[68:69]
	v_ldexp_f32 v37, v37, 1
	v_sub_f32_e32 v38, v67, v69
	v_sub_f32_e32 v38, v65, v38
	v_add_f32_e32 v71, v37, v38
	v_mov_b32_e32 v70, v64
	v_pk_add_f32 v[64:65], v[66:67], v[64:65] neg_lo:[0,1] neg_hi:[0,1]
	v_pk_add_f32 v[80:81], v[66:67], v[70:71]
	v_mov_b32_e32 v69, v66
	v_mov_b32_e32 v65, v81
	v_pk_add_f32 v[82:83], v[68:69], v[64:65] neg_lo:[0,1] neg_hi:[0,1]
	v_pk_add_f32 v[64:65], v[68:69], v[64:65]
	v_cmp_eq_f32_e64 s[40:41], s44, v55
	v_mov_b32_e32 v38, v65
	v_pk_add_f32 v[68:69], v[38:39], v[66:67] neg_lo:[0,1] neg_hi:[0,1]
	v_mov_b32_e32 v64, v81
	v_mov_b32_e32 v37, v68
	v_pk_add_f32 v[84:85], v[80:81], v[36:37] neg_lo:[0,1] neg_hi:[0,1]
	v_mov_b32_e32 v80, v67
	v_mov_b32_e32 v81, v68
	v_mov_b32_e32 v83, v65
	v_pk_add_f32 v[64:65], v[64:65], v[80:81] neg_lo:[0,1] neg_hi:[0,1]
	v_mov_b32_e32 v68, v71
	v_mov_b32_e32 v69, v66
	v_pk_add_f32 v[64:65], v[68:69], v[64:65] neg_lo:[0,1] neg_hi:[0,1]
	v_mov_b32_e32 v84, v82
	v_pk_add_f32 v[66:67], v[84:85], v[64:65]
	s_mov_b32 s44, 0x33800000
	v_mov_b32_e32 v48, v67
	v_pk_add_f32 v[68:69], v[66:67], v[48:49]
	v_cmp_lt_f32_e64 s[44:45], |v55|, s44
	v_pk_add_f32 v[70:71], v[38:39], v[68:69]
	v_mov_b32_e32 v65, v68
	v_mov_b32_e32 v67, v70
	v_pk_add_f32 v[80:81], v[66:67], v[82:83] neg_lo:[0,1] neg_hi:[0,1]
	s_or_b64 s[40:41], s[40:41], s[44:45]
	v_sub_f32_e32 v37, v66, v80
	v_pk_add_f32 v[64:65], v[64:65], v[80:81] neg_lo:[0,1] neg_hi:[0,1]
	v_sub_f32_e32 v37, v82, v37
	v_add_f32_e32 v37, v64, v37
	v_add_f32_e32 v37, v37, v65
	;; [unrolled: 1-line block ×3, first 2 shown]
	v_cndmask_b32_e64 v37, v37, v55, s[40:41]
	v_add_f32_e32 v37, v39, v37
	v_cvt_f16_f32_e32 v37, v37
	v_cvt_f32_f16_e32 v38, v37
.LBB428_306:
	s_or_b64 exec, exec, s[42:43]
	v_cvt_f32_f16_sdwa v55, v17 dst_sel:DWORD dst_unused:UNUSED_PAD src0_sel:WORD_1
	v_max_f32_e32 v48, v38, v38
	v_cmp_u_f16_e64 s[42:43], v37, v37
	v_cmp_u_f16_sdwa s[40:41], v17, v17 src0_sel:WORD_1 src1_sel:WORD_1
	v_min_f32_e32 v39, v48, v55
	v_max_f32_e32 v17, v48, v55
	v_cndmask_b32_e64 v39, v39, v38, s[42:43]
	v_cndmask_b32_e64 v17, v17, v38, s[42:43]
	;; [unrolled: 1-line block ×4, first 2 shown]
	s_movk_i32 s46, 0x1f8
	v_cmp_neq_f32_e64 s[42:43], v39, v17
	v_cmp_class_f32_e64 s[44:45], v39, s46
	s_or_b64 s[42:43], s[42:43], s[44:45]
	s_and_saveexec_b64 s[44:45], s[42:43]
	s_cbranch_execz .LBB428_308
; %bb.307:
	v_sub_f32_e32 v37, v39, v17
	s_mov_b32 s42, 0x3fb8aa3b
	v_mul_f32_e32 v38, 0x3fb8aa3b, v37
	v_fma_f32 v39, v37, s42, -v38
	v_rndne_f32_e32 v48, v38
	v_fmamk_f32 v39, v37, 0x32a5705f, v39
	v_sub_f32_e32 v38, v38, v48
	v_add_f32_e32 v38, v38, v39
	v_exp_f32_e32 v38, v38
	v_cvt_i32_f32_e32 v39, v48
	s_mov_b32 s42, 0xc2ce8ed0
	v_cmp_ngt_f32_e64 s[42:43], s42, v37
	s_mov_b32 s47, 0x7f800000
	v_ldexp_f32 v38, v38, v39
	v_cndmask_b32_e64 v38, 0, v38, s[42:43]
	s_mov_b32 s42, 0x42b17218
	v_mov_b32_e32 v39, 0x7f800000
	v_cmp_nlt_f32_e64 s[42:43], s42, v37
	s_nop 1
	v_cndmask_b32_e64 v84, v39, v38, s[42:43]
	v_add_f32_e32 v37, 1.0, v84
	v_add_f32_e32 v38, -1.0, v37
	v_sub_f32_e32 v39, v38, v37
	v_add_f32_e32 v39, 1.0, v39
	v_sub_f32_e32 v38, v84, v38
	v_add_f32_e32 v48, v38, v39
	v_frexp_mant_f32_e32 v64, v37
	s_mov_b32 s42, 0x3f2aaaab
	v_cvt_f64_f32_e32 v[38:39], v37
	v_frexp_exp_i32_f64_e32 v38, v[38:39]
	v_cmp_gt_f32_e64 s[42:43], s42, v64
	s_nop 1
	v_subbrev_co_u32_e64 v70, s[42:43], 0, v38, s[42:43]
	v_sub_u32_e32 v38, 0, v70
	v_ldexp_f32 v37, v37, v38
	v_ldexp_f32 v38, v48, v38
	v_add_f32_e32 v48, -1.0, v37
	v_add_f32_e32 v39, 1.0, v48
	v_sub_f32_e32 v39, v37, v39
	v_add_f32_e32 v64, v38, v39
	v_add_f32_e32 v39, 1.0, v37
	v_add_f32_e32 v65, -1.0, v39
	v_sub_f32_e32 v37, v37, v65
	v_add_f32_e32 v37, v38, v37
	v_add_f32_e32 v71, v39, v37
	v_rcp_f32_e32 v80, v71
	v_sub_f32_e32 v38, v39, v71
	v_add_f32_e32 v39, v48, v64
	v_add_f32_e32 v37, v37, v38
	v_sub_f32_e32 v38, v48, v39
	v_mul_f32_e32 v81, v39, v80
	v_add_f32_e32 v48, v64, v38
	v_mul_f32_e32 v64, v71, v81
	v_fma_f32 v66, v81, v71, -v64
	v_fmac_f32_e32 v66, v81, v37
	v_add_f32_e32 v38, v64, v66
	v_sub_f32_e32 v65, v39, v38
	v_pk_add_f32 v[68:69], v[38:39], v[64:65] neg_lo:[0,1] neg_hi:[0,1]
	v_mov_b32_e32 v67, v38
	v_pk_add_f32 v[38:39], v[68:69], v[66:67] neg_lo:[0,1] neg_hi:[0,1]
	s_mov_b32 s42, 0x3f317218
	v_add_f32_e32 v39, v48, v39
	v_add_f32_e32 v38, v38, v39
	;; [unrolled: 1-line block ×3, first 2 shown]
	v_mul_f32_e32 v48, v80, v39
	v_mul_f32_e32 v64, v71, v48
	v_fma_f32 v66, v48, v71, -v64
	v_fmac_f32_e32 v66, v48, v37
	v_sub_f32_e32 v37, v65, v39
	v_add_f32_e32 v37, v38, v37
	v_add_f32_e32 v38, v64, v66
	v_sub_f32_e32 v65, v39, v38
	v_pk_add_f32 v[68:69], v[38:39], v[64:65] neg_lo:[0,1] neg_hi:[0,1]
	v_mov_b32_e32 v67, v38
	v_pk_add_f32 v[38:39], v[68:69], v[66:67] neg_lo:[0,1] neg_hi:[0,1]
	v_cvt_f32_i32_e32 v64, v70
	v_add_f32_e32 v37, v37, v39
	v_add_f32_e32 v37, v38, v37
	;; [unrolled: 1-line block ×4, first 2 shown]
	v_sub_f32_e32 v39, v38, v81
	v_mul_f32_e32 v37, v80, v37
	v_sub_f32_e32 v39, v48, v39
	v_add_f32_e32 v37, v39, v37
	v_add_f32_e32 v48, v38, v37
	v_mul_f32_e32 v65, v48, v48
	v_mov_b32_e32 v39, 0x3ecc95a3
	v_fmac_f32_e32 v39, 0x3e9b6dac, v65
	v_sub_f32_e32 v38, v48, v38
	v_fmaak_f32 v39, v65, v39, 0x3f2aaada
	v_sub_f32_e32 v37, v37, v38
	v_mul_f32_e32 v65, v48, v65
	v_mov_b32_e32 v38, 0x3f317218
	v_pk_mul_f32 v[38:39], v[64:65], v[38:39]
	v_ldexp_f32 v67, v48, 1
	v_fma_f32 v48, v64, s42, -v38
	v_fmamk_f32 v66, v64, 0xb102e308, v48
	v_pk_add_f32 v[64:65], v[38:39], v[66:67]
	v_ldexp_f32 v37, v37, 1
	v_sub_f32_e32 v48, v65, v67
	v_sub_f32_e32 v48, v39, v48
	v_add_f32_e32 v69, v37, v48
	v_mov_b32_e32 v68, v38
	v_pk_add_f32 v[38:39], v[64:65], v[38:39] neg_lo:[0,1] neg_hi:[0,1]
	v_pk_add_f32 v[70:71], v[64:65], v[68:69]
	v_mov_b32_e32 v67, v64
	v_mov_b32_e32 v39, v71
	v_pk_add_f32 v[80:81], v[66:67], v[38:39] neg_lo:[0,1] neg_hi:[0,1]
	v_pk_add_f32 v[38:39], v[66:67], v[38:39]
	v_cmp_eq_f32_e64 s[42:43], s47, v84
	v_mov_b32_e32 v48, v39
	v_pk_add_f32 v[66:67], v[48:49], v[64:65] neg_lo:[0,1] neg_hi:[0,1]
	v_mov_b32_e32 v38, v71
	v_mov_b32_e32 v37, v66
	v_pk_add_f32 v[82:83], v[70:71], v[36:37] neg_lo:[0,1] neg_hi:[0,1]
	v_mov_b32_e32 v70, v65
	v_mov_b32_e32 v71, v66
	;; [unrolled: 1-line block ×3, first 2 shown]
	v_pk_add_f32 v[38:39], v[38:39], v[70:71] neg_lo:[0,1] neg_hi:[0,1]
	v_mov_b32_e32 v66, v69
	v_mov_b32_e32 v67, v64
	v_pk_add_f32 v[38:39], v[66:67], v[38:39] neg_lo:[0,1] neg_hi:[0,1]
	v_mov_b32_e32 v82, v80
	v_pk_add_f32 v[64:65], v[82:83], v[38:39]
	s_mov_b32 s47, 0x33800000
	v_mov_b32_e32 v66, v65
	v_pk_add_f32 v[66:67], v[64:65], v[66:67]
	v_cmp_lt_f32_e64 s[48:49], |v84|, s47
	v_pk_add_f32 v[68:69], v[48:49], v[66:67]
	v_mov_b32_e32 v39, v66
	v_mov_b32_e32 v65, v68
	v_pk_add_f32 v[70:71], v[64:65], v[80:81] neg_lo:[0,1] neg_hi:[0,1]
	s_or_b64 s[42:43], s[42:43], s[48:49]
	v_sub_f32_e32 v37, v64, v70
	v_pk_add_f32 v[38:39], v[38:39], v[70:71] neg_lo:[0,1] neg_hi:[0,1]
	v_sub_f32_e32 v37, v80, v37
	v_add_f32_e32 v37, v38, v37
	v_add_f32_e32 v37, v37, v39
	;; [unrolled: 1-line block ×3, first 2 shown]
	v_cndmask_b32_e64 v37, v37, v84, s[42:43]
	v_add_f32_e32 v17, v17, v37
	v_cvt_f16_f32_e32 v37, v17
	v_cvt_f32_f16_e32 v38, v37
.LBB428_308:
	s_or_b64 exec, exec, s[44:45]
	v_cvt_f32_f16_e32 v17, v18
	v_max_f32_e32 v39, v38, v38
	v_cmp_u_f16_e64 s[44:45], v37, v37
	v_cmp_u_f16_e64 s[42:43], v18, v18
	v_min_f32_e32 v48, v39, v17
	v_max_f32_e32 v39, v39, v17
	v_cndmask_b32_e64 v48, v48, v38, s[44:45]
	v_cndmask_b32_e64 v39, v39, v38, s[44:45]
	;; [unrolled: 1-line block ×4, first 2 shown]
	v_cmp_neq_f32_e64 s[44:45], v48, v39
	v_cmp_class_f32_e64 s[46:47], v48, s46
	s_or_b64 s[44:45], s[44:45], s[46:47]
	s_and_saveexec_b64 s[46:47], s[44:45]
	s_cbranch_execz .LBB428_310
; %bb.309:
	v_sub_f32_e32 v37, v48, v39
	s_mov_b32 s44, 0x3fb8aa3b
	v_mul_f32_e32 v38, 0x3fb8aa3b, v37
	v_fma_f32 v48, v37, s44, -v38
	v_rndne_f32_e32 v64, v38
	v_fmamk_f32 v48, v37, 0x32a5705f, v48
	v_sub_f32_e32 v38, v38, v64
	v_add_f32_e32 v38, v38, v48
	v_exp_f32_e32 v38, v38
	v_cvt_i32_f32_e32 v48, v64
	s_mov_b32 s44, 0xc2ce8ed0
	v_cmp_ngt_f32_e64 s[44:45], s44, v37
	s_mov_b32 s48, 0x7f800000
	v_ldexp_f32 v38, v38, v48
	v_cndmask_b32_e64 v38, 0, v38, s[44:45]
	s_mov_b32 s44, 0x42b17218
	v_mov_b32_e32 v48, 0x7f800000
	v_cmp_nlt_f32_e64 s[44:45], s44, v37
	s_nop 1
	v_cndmask_b32_e64 v86, v48, v38, s[44:45]
	v_add_f32_e32 v37, 1.0, v86
	v_add_f32_e32 v38, -1.0, v37
	v_sub_f32_e32 v48, v38, v37
	v_add_f32_e32 v48, 1.0, v48
	v_sub_f32_e32 v38, v86, v38
	v_add_f32_e32 v38, v38, v48
	v_frexp_mant_f32_e32 v48, v37
	s_mov_b32 s44, 0x3f2aaaab
	v_cvt_f64_f32_e32 v[64:65], v37
	v_frexp_exp_i32_f64_e32 v64, v[64:65]
	v_cmp_gt_f32_e64 s[44:45], s44, v48
	s_nop 1
	v_subbrev_co_u32_e64 v48, s[44:45], 0, v64, s[44:45]
	v_sub_u32_e32 v64, 0, v48
	v_ldexp_f32 v37, v37, v64
	v_ldexp_f32 v38, v38, v64
	v_add_f32_e32 v64, -1.0, v37
	v_add_f32_e32 v65, 1.0, v64
	v_sub_f32_e32 v65, v37, v65
	v_add_f32_e32 v66, v38, v65
	v_add_f32_e32 v65, 1.0, v37
	v_add_f32_e32 v67, -1.0, v65
	v_sub_f32_e32 v37, v37, v67
	v_add_f32_e32 v37, v38, v37
	v_add_f32_e32 v38, v65, v37
	v_rcp_f32_e32 v80, v38
	v_sub_f32_e32 v65, v65, v38
	v_add_f32_e32 v37, v37, v65
	v_add_f32_e32 v65, v64, v66
	v_sub_f32_e32 v64, v64, v65
	v_mul_f32_e32 v82, v65, v80
	v_add_f32_e32 v81, v66, v64
	v_mul_f32_e32 v66, v38, v82
	v_fma_f32 v68, v82, v38, -v66
	v_fmac_f32_e32 v68, v82, v37
	v_add_f32_e32 v64, v66, v68
	v_sub_f32_e32 v67, v65, v64
	v_pk_add_f32 v[70:71], v[64:65], v[66:67] neg_lo:[0,1] neg_hi:[0,1]
	v_mov_b32_e32 v69, v64
	v_pk_add_f32 v[64:65], v[70:71], v[68:69] neg_lo:[0,1] neg_hi:[0,1]
	s_mov_b32 s44, 0x3f317218
	v_add_f32_e32 v65, v81, v65
	v_add_f32_e32 v64, v64, v65
	;; [unrolled: 1-line block ×3, first 2 shown]
	v_mul_f32_e32 v81, v80, v65
	v_mul_f32_e32 v66, v38, v81
	v_fma_f32 v68, v81, v38, -v66
	v_fmac_f32_e32 v68, v81, v37
	v_sub_f32_e32 v37, v67, v65
	v_add_f32_e32 v37, v64, v37
	v_add_f32_e32 v64, v66, v68
	v_sub_f32_e32 v67, v65, v64
	v_pk_add_f32 v[70:71], v[64:65], v[66:67] neg_lo:[0,1] neg_hi:[0,1]
	v_mov_b32_e32 v69, v64
	v_pk_add_f32 v[64:65], v[70:71], v[68:69] neg_lo:[0,1] neg_hi:[0,1]
	v_add_f32_e32 v38, v82, v81
	v_add_f32_e32 v37, v37, v65
	;; [unrolled: 1-line block ×4, first 2 shown]
	v_sub_f32_e32 v64, v38, v82
	v_mul_f32_e32 v37, v80, v37
	v_sub_f32_e32 v64, v81, v64
	v_add_f32_e32 v37, v64, v37
	v_add_f32_e32 v64, v38, v37
	v_cvt_f32_i32_e32 v66, v48
	v_mul_f32_e32 v67, v64, v64
	v_mov_b32_e32 v65, 0x3ecc95a3
	v_fmac_f32_e32 v65, 0x3e9b6dac, v67
	v_fmaak_f32 v65, v67, v65, 0x3f2aaada
	v_sub_f32_e32 v38, v64, v38
	v_ldexp_f32 v69, v64, 1
	v_mul_f32_e32 v67, v64, v67
	v_mov_b32_e32 v64, 0x3f317218
	v_pk_mul_f32 v[64:65], v[66:67], v[64:65]
	v_sub_f32_e32 v37, v37, v38
	v_fma_f32 v38, v66, s44, -v64
	v_fmamk_f32 v68, v66, 0xb102e308, v38
	v_pk_add_f32 v[66:67], v[64:65], v[68:69]
	v_ldexp_f32 v37, v37, 1
	v_sub_f32_e32 v38, v67, v69
	v_sub_f32_e32 v38, v65, v38
	v_add_f32_e32 v71, v37, v38
	v_mov_b32_e32 v70, v64
	v_pk_add_f32 v[64:65], v[66:67], v[64:65] neg_lo:[0,1] neg_hi:[0,1]
	v_pk_add_f32 v[80:81], v[66:67], v[70:71]
	v_mov_b32_e32 v69, v66
	v_mov_b32_e32 v65, v81
	v_pk_add_f32 v[82:83], v[68:69], v[64:65] neg_lo:[0,1] neg_hi:[0,1]
	v_pk_add_f32 v[64:65], v[68:69], v[64:65]
	v_cmp_eq_f32_e64 s[44:45], s48, v86
	v_mov_b32_e32 v38, v65
	v_pk_add_f32 v[68:69], v[38:39], v[66:67] neg_lo:[0,1] neg_hi:[0,1]
	v_mov_b32_e32 v64, v81
	v_mov_b32_e32 v37, v68
	v_pk_add_f32 v[84:85], v[80:81], v[36:37] neg_lo:[0,1] neg_hi:[0,1]
	v_mov_b32_e32 v80, v67
	v_mov_b32_e32 v81, v68
	;; [unrolled: 1-line block ×3, first 2 shown]
	v_pk_add_f32 v[64:65], v[64:65], v[80:81] neg_lo:[0,1] neg_hi:[0,1]
	v_mov_b32_e32 v68, v71
	v_mov_b32_e32 v69, v66
	v_pk_add_f32 v[64:65], v[68:69], v[64:65] neg_lo:[0,1] neg_hi:[0,1]
	v_mov_b32_e32 v84, v82
	v_pk_add_f32 v[66:67], v[84:85], v[64:65]
	s_mov_b32 s48, 0x33800000
	v_mov_b32_e32 v48, v67
	v_pk_add_f32 v[68:69], v[66:67], v[48:49]
	v_cmp_lt_f32_e64 s[48:49], |v86|, s48
	v_pk_add_f32 v[70:71], v[38:39], v[68:69]
	v_mov_b32_e32 v65, v68
	v_mov_b32_e32 v67, v70
	v_pk_add_f32 v[80:81], v[66:67], v[82:83] neg_lo:[0,1] neg_hi:[0,1]
	s_or_b64 s[44:45], s[44:45], s[48:49]
	v_sub_f32_e32 v37, v66, v80
	v_pk_add_f32 v[64:65], v[64:65], v[80:81] neg_lo:[0,1] neg_hi:[0,1]
	v_sub_f32_e32 v37, v82, v37
	v_add_f32_e32 v37, v64, v37
	v_add_f32_e32 v37, v37, v65
	;; [unrolled: 1-line block ×3, first 2 shown]
	v_cndmask_b32_e64 v37, v37, v86, s[44:45]
	v_add_f32_e32 v37, v39, v37
	v_cvt_f16_f32_e32 v37, v37
	v_cvt_f32_f16_e32 v38, v37
.LBB428_310:
	s_or_b64 exec, exec, s[46:47]
	v_cvt_f32_f16_sdwa v64, v18 dst_sel:DWORD dst_unused:UNUSED_PAD src0_sel:WORD_1
	v_max_f32_e32 v48, v38, v38
	v_cmp_u_f16_e64 s[46:47], v37, v37
	v_cmp_u_f16_sdwa s[44:45], v18, v18 src0_sel:WORD_1 src1_sel:WORD_1
	v_min_f32_e32 v39, v48, v64
	v_max_f32_e32 v18, v48, v64
	v_cndmask_b32_e64 v39, v39, v38, s[46:47]
	v_cndmask_b32_e64 v18, v18, v38, s[46:47]
	v_cndmask_b32_e64 v39, v39, v64, s[44:45]
	v_cndmask_b32_e64 v18, v18, v64, s[44:45]
	s_movk_i32 s52, 0x1f8
	v_cmp_neq_f32_e64 s[46:47], v39, v18
	v_cmp_class_f32_e64 s[48:49], v39, s52
	s_or_b64 s[46:47], s[46:47], s[48:49]
	s_and_saveexec_b64 s[48:49], s[46:47]
	s_cbranch_execz .LBB428_312
; %bb.311:
	v_sub_f32_e32 v37, v39, v18
	s_mov_b32 s46, 0x3fb8aa3b
	v_mul_f32_e32 v38, 0x3fb8aa3b, v37
	v_fma_f32 v39, v37, s46, -v38
	v_rndne_f32_e32 v48, v38
	v_fmamk_f32 v39, v37, 0x32a5705f, v39
	v_sub_f32_e32 v38, v38, v48
	v_add_f32_e32 v38, v38, v39
	v_exp_f32_e32 v38, v38
	v_cvt_i32_f32_e32 v39, v48
	s_mov_b32 s46, 0xc2ce8ed0
	v_cmp_ngt_f32_e64 s[46:47], s46, v37
	s_mov_b32 s53, 0x7f800000
	v_ldexp_f32 v38, v38, v39
	v_cndmask_b32_e64 v38, 0, v38, s[46:47]
	s_mov_b32 s46, 0x42b17218
	v_mov_b32_e32 v39, 0x7f800000
	v_cmp_nlt_f32_e64 s[46:47], s46, v37
	s_nop 1
	v_cndmask_b32_e64 v65, v39, v38, s[46:47]
	v_add_f32_e32 v37, 1.0, v65
	v_add_f32_e32 v38, -1.0, v37
	v_sub_f32_e32 v39, v38, v37
	v_add_f32_e32 v39, 1.0, v39
	v_sub_f32_e32 v38, v65, v38
	v_add_f32_e32 v48, v38, v39
	v_frexp_mant_f32_e32 v66, v37
	s_mov_b32 s46, 0x3f2aaaab
	v_cvt_f64_f32_e32 v[38:39], v37
	v_frexp_exp_i32_f64_e32 v38, v[38:39]
	v_cmp_gt_f32_e64 s[46:47], s46, v66
	s_nop 1
	v_subbrev_co_u32_e64 v80, s[46:47], 0, v38, s[46:47]
	v_sub_u32_e32 v38, 0, v80
	v_ldexp_f32 v37, v37, v38
	v_ldexp_f32 v38, v48, v38
	v_add_f32_e32 v48, -1.0, v37
	v_add_f32_e32 v39, 1.0, v48
	v_sub_f32_e32 v39, v37, v39
	v_add_f32_e32 v66, v38, v39
	v_add_f32_e32 v39, 1.0, v37
	v_add_f32_e32 v67, -1.0, v39
	v_sub_f32_e32 v37, v37, v67
	v_add_f32_e32 v37, v38, v37
	v_add_f32_e32 v81, v39, v37
	v_rcp_f32_e32 v82, v81
	v_sub_f32_e32 v38, v39, v81
	v_add_f32_e32 v39, v48, v66
	v_add_f32_e32 v37, v37, v38
	v_sub_f32_e32 v38, v48, v39
	v_mul_f32_e32 v83, v39, v82
	v_add_f32_e32 v48, v66, v38
	v_mul_f32_e32 v66, v81, v83
	v_fma_f32 v68, v83, v81, -v66
	v_fmac_f32_e32 v68, v83, v37
	v_add_f32_e32 v38, v66, v68
	v_sub_f32_e32 v67, v39, v38
	v_pk_add_f32 v[70:71], v[38:39], v[66:67] neg_lo:[0,1] neg_hi:[0,1]
	v_mov_b32_e32 v69, v38
	v_pk_add_f32 v[38:39], v[70:71], v[68:69] neg_lo:[0,1] neg_hi:[0,1]
	s_mov_b32 s46, 0x3f317218
	v_add_f32_e32 v39, v48, v39
	v_add_f32_e32 v38, v38, v39
	;; [unrolled: 1-line block ×3, first 2 shown]
	v_mul_f32_e32 v48, v82, v39
	v_mul_f32_e32 v66, v81, v48
	v_fma_f32 v68, v48, v81, -v66
	v_fmac_f32_e32 v68, v48, v37
	v_sub_f32_e32 v37, v67, v39
	v_add_f32_e32 v37, v38, v37
	v_add_f32_e32 v38, v66, v68
	v_sub_f32_e32 v67, v39, v38
	v_pk_add_f32 v[70:71], v[38:39], v[66:67] neg_lo:[0,1] neg_hi:[0,1]
	v_mov_b32_e32 v69, v38
	v_pk_add_f32 v[38:39], v[70:71], v[68:69] neg_lo:[0,1] neg_hi:[0,1]
	v_cvt_f32_i32_e32 v66, v80
	v_add_f32_e32 v37, v37, v39
	v_add_f32_e32 v37, v38, v37
	;; [unrolled: 1-line block ×4, first 2 shown]
	v_sub_f32_e32 v39, v38, v83
	v_mul_f32_e32 v37, v82, v37
	v_sub_f32_e32 v39, v48, v39
	v_add_f32_e32 v37, v39, v37
	v_add_f32_e32 v48, v38, v37
	v_mul_f32_e32 v67, v48, v48
	v_mov_b32_e32 v39, 0x3ecc95a3
	v_fmac_f32_e32 v39, 0x3e9b6dac, v67
	v_sub_f32_e32 v38, v48, v38
	v_fmaak_f32 v39, v67, v39, 0x3f2aaada
	v_sub_f32_e32 v37, v37, v38
	v_mul_f32_e32 v67, v48, v67
	v_mov_b32_e32 v38, 0x3f317218
	v_pk_mul_f32 v[38:39], v[66:67], v[38:39]
	v_ldexp_f32 v69, v48, 1
	v_fma_f32 v48, v66, s46, -v38
	v_fmamk_f32 v68, v66, 0xb102e308, v48
	v_pk_add_f32 v[66:67], v[38:39], v[68:69]
	v_ldexp_f32 v37, v37, 1
	v_sub_f32_e32 v48, v67, v69
	v_sub_f32_e32 v48, v39, v48
	v_add_f32_e32 v71, v37, v48
	v_mov_b32_e32 v70, v38
	v_pk_add_f32 v[38:39], v[66:67], v[38:39] neg_lo:[0,1] neg_hi:[0,1]
	v_pk_add_f32 v[80:81], v[66:67], v[70:71]
	v_mov_b32_e32 v69, v66
	v_mov_b32_e32 v39, v81
	v_pk_add_f32 v[82:83], v[68:69], v[38:39] neg_lo:[0,1] neg_hi:[0,1]
	v_pk_add_f32 v[38:39], v[68:69], v[38:39]
	v_cmp_eq_f32_e64 s[46:47], s53, v65
	v_mov_b32_e32 v48, v39
	v_pk_add_f32 v[68:69], v[48:49], v[66:67] neg_lo:[0,1] neg_hi:[0,1]
	v_mov_b32_e32 v38, v81
	v_mov_b32_e32 v37, v68
	v_pk_add_f32 v[84:85], v[80:81], v[36:37] neg_lo:[0,1] neg_hi:[0,1]
	v_mov_b32_e32 v80, v67
	v_mov_b32_e32 v81, v68
	;; [unrolled: 1-line block ×3, first 2 shown]
	v_pk_add_f32 v[38:39], v[38:39], v[80:81] neg_lo:[0,1] neg_hi:[0,1]
	v_mov_b32_e32 v68, v71
	v_mov_b32_e32 v69, v66
	v_pk_add_f32 v[38:39], v[68:69], v[38:39] neg_lo:[0,1] neg_hi:[0,1]
	v_mov_b32_e32 v84, v82
	v_pk_add_f32 v[66:67], v[84:85], v[38:39]
	s_mov_b32 s53, 0x33800000
	v_mov_b32_e32 v68, v67
	v_pk_add_f32 v[68:69], v[66:67], v[68:69]
	v_cmp_lt_f32_e64 s[54:55], |v65|, s53
	v_pk_add_f32 v[70:71], v[48:49], v[68:69]
	v_mov_b32_e32 v39, v68
	v_mov_b32_e32 v67, v70
	v_pk_add_f32 v[80:81], v[66:67], v[82:83] neg_lo:[0,1] neg_hi:[0,1]
	s_or_b64 s[46:47], s[46:47], s[54:55]
	v_sub_f32_e32 v37, v66, v80
	v_pk_add_f32 v[38:39], v[38:39], v[80:81] neg_lo:[0,1] neg_hi:[0,1]
	v_sub_f32_e32 v37, v82, v37
	v_add_f32_e32 v37, v38, v37
	v_add_f32_e32 v37, v37, v39
	;; [unrolled: 1-line block ×3, first 2 shown]
	v_cndmask_b32_e64 v37, v37, v65, s[46:47]
	v_add_f32_e32 v18, v18, v37
	v_cvt_f16_f32_e32 v37, v18
	v_cvt_f32_f16_e32 v38, v37
.LBB428_312:
	s_or_b64 exec, exec, s[48:49]
	v_cvt_f32_f16_e32 v18, v19
	v_max_f32_e32 v39, v38, v38
	v_cmp_u_f16_e64 s[48:49], v37, v37
	v_cmp_u_f16_e64 s[46:47], v19, v19
	v_min_f32_e32 v48, v39, v18
	v_max_f32_e32 v39, v39, v18
	v_cndmask_b32_e64 v48, v48, v38, s[48:49]
	v_cndmask_b32_e64 v39, v39, v38, s[48:49]
	;; [unrolled: 1-line block ×4, first 2 shown]
	v_cmp_neq_f32_e64 s[48:49], v48, v39
	v_cmp_class_f32_e64 s[52:53], v48, s52
	s_or_b64 s[48:49], s[48:49], s[52:53]
	s_and_saveexec_b64 s[52:53], s[48:49]
	s_cbranch_execz .LBB428_314
; %bb.313:
	v_sub_f32_e32 v37, v48, v39
	s_mov_b32 s48, 0x3fb8aa3b
	v_mul_f32_e32 v38, 0x3fb8aa3b, v37
	v_fma_f32 v48, v37, s48, -v38
	v_rndne_f32_e32 v65, v38
	v_fmamk_f32 v48, v37, 0x32a5705f, v48
	v_sub_f32_e32 v38, v38, v65
	v_add_f32_e32 v38, v38, v48
	v_exp_f32_e32 v38, v38
	v_cvt_i32_f32_e32 v48, v65
	s_mov_b32 s48, 0xc2ce8ed0
	v_cmp_ngt_f32_e64 s[48:49], s48, v37
	s_mov_b32 s54, 0x7f800000
	v_ldexp_f32 v38, v38, v48
	v_cndmask_b32_e64 v38, 0, v38, s[48:49]
	s_mov_b32 s48, 0x42b17218
	v_mov_b32_e32 v48, 0x7f800000
	v_cmp_nlt_f32_e64 s[48:49], s48, v37
	s_nop 1
	v_cndmask_b32_e64 v65, v48, v38, s[48:49]
	v_add_f32_e32 v37, 1.0, v65
	v_add_f32_e32 v38, -1.0, v37
	v_sub_f32_e32 v48, v38, v37
	v_add_f32_e32 v48, 1.0, v48
	v_sub_f32_e32 v38, v65, v38
	v_add_f32_e32 v38, v38, v48
	v_frexp_mant_f32_e32 v48, v37
	s_mov_b32 s48, 0x3f2aaaab
	v_cvt_f64_f32_e32 v[66:67], v37
	v_frexp_exp_i32_f64_e32 v66, v[66:67]
	v_cmp_gt_f32_e64 s[48:49], s48, v48
	s_nop 1
	v_subbrev_co_u32_e64 v48, s[48:49], 0, v66, s[48:49]
	v_sub_u32_e32 v66, 0, v48
	v_ldexp_f32 v37, v37, v66
	v_ldexp_f32 v38, v38, v66
	v_add_f32_e32 v66, -1.0, v37
	v_add_f32_e32 v67, 1.0, v66
	v_sub_f32_e32 v67, v37, v67
	v_add_f32_e32 v68, v38, v67
	v_add_f32_e32 v67, 1.0, v37
	v_add_f32_e32 v69, -1.0, v67
	v_sub_f32_e32 v37, v37, v69
	v_add_f32_e32 v37, v38, v37
	v_add_f32_e32 v38, v67, v37
	v_rcp_f32_e32 v82, v38
	v_sub_f32_e32 v67, v67, v38
	v_add_f32_e32 v37, v37, v67
	v_add_f32_e32 v67, v66, v68
	v_sub_f32_e32 v66, v66, v67
	v_mul_f32_e32 v84, v67, v82
	v_add_f32_e32 v83, v68, v66
	v_mul_f32_e32 v68, v38, v84
	v_fma_f32 v70, v84, v38, -v68
	v_fmac_f32_e32 v70, v84, v37
	v_add_f32_e32 v66, v68, v70
	v_sub_f32_e32 v69, v67, v66
	v_pk_add_f32 v[80:81], v[66:67], v[68:69] neg_lo:[0,1] neg_hi:[0,1]
	v_mov_b32_e32 v71, v66
	v_pk_add_f32 v[66:67], v[80:81], v[70:71] neg_lo:[0,1] neg_hi:[0,1]
	s_mov_b32 s48, 0x3f317218
	v_add_f32_e32 v67, v83, v67
	v_add_f32_e32 v66, v66, v67
	v_add_f32_e32 v67, v69, v66
	v_mul_f32_e32 v83, v82, v67
	v_mul_f32_e32 v68, v38, v83
	v_fma_f32 v70, v83, v38, -v68
	v_fmac_f32_e32 v70, v83, v37
	v_sub_f32_e32 v37, v69, v67
	v_add_f32_e32 v37, v66, v37
	v_add_f32_e32 v66, v68, v70
	v_sub_f32_e32 v69, v67, v66
	v_pk_add_f32 v[80:81], v[66:67], v[68:69] neg_lo:[0,1] neg_hi:[0,1]
	v_mov_b32_e32 v71, v66
	v_pk_add_f32 v[66:67], v[80:81], v[70:71] neg_lo:[0,1] neg_hi:[0,1]
	v_add_f32_e32 v38, v84, v83
	v_add_f32_e32 v37, v37, v67
	;; [unrolled: 1-line block ×4, first 2 shown]
	v_sub_f32_e32 v66, v38, v84
	v_mul_f32_e32 v37, v82, v37
	v_sub_f32_e32 v66, v83, v66
	v_add_f32_e32 v37, v66, v37
	v_add_f32_e32 v66, v38, v37
	v_cvt_f32_i32_e32 v68, v48
	v_mul_f32_e32 v69, v66, v66
	v_mov_b32_e32 v67, 0x3ecc95a3
	v_fmac_f32_e32 v67, 0x3e9b6dac, v69
	v_fmaak_f32 v67, v69, v67, 0x3f2aaada
	v_sub_f32_e32 v38, v66, v38
	v_ldexp_f32 v71, v66, 1
	v_mul_f32_e32 v69, v66, v69
	v_mov_b32_e32 v66, 0x3f317218
	v_pk_mul_f32 v[66:67], v[68:69], v[66:67]
	v_sub_f32_e32 v37, v37, v38
	v_fma_f32 v38, v68, s48, -v66
	v_fmamk_f32 v70, v68, 0xb102e308, v38
	v_pk_add_f32 v[68:69], v[66:67], v[70:71]
	v_ldexp_f32 v37, v37, 1
	v_sub_f32_e32 v38, v69, v71
	v_sub_f32_e32 v38, v67, v38
	v_add_f32_e32 v81, v37, v38
	v_mov_b32_e32 v80, v66
	v_pk_add_f32 v[66:67], v[68:69], v[66:67] neg_lo:[0,1] neg_hi:[0,1]
	v_pk_add_f32 v[82:83], v[68:69], v[80:81]
	v_mov_b32_e32 v71, v68
	v_mov_b32_e32 v67, v83
	v_pk_add_f32 v[84:85], v[70:71], v[66:67] neg_lo:[0,1] neg_hi:[0,1]
	v_pk_add_f32 v[66:67], v[70:71], v[66:67]
	v_cmp_eq_f32_e64 s[48:49], s54, v65
	v_mov_b32_e32 v38, v67
	v_pk_add_f32 v[70:71], v[38:39], v[68:69] neg_lo:[0,1] neg_hi:[0,1]
	v_mov_b32_e32 v66, v83
	v_mov_b32_e32 v37, v70
	v_pk_add_f32 v[86:87], v[82:83], v[36:37] neg_lo:[0,1] neg_hi:[0,1]
	v_mov_b32_e32 v82, v69
	v_mov_b32_e32 v83, v70
	;; [unrolled: 1-line block ×3, first 2 shown]
	v_pk_add_f32 v[66:67], v[66:67], v[82:83] neg_lo:[0,1] neg_hi:[0,1]
	v_mov_b32_e32 v70, v81
	v_mov_b32_e32 v71, v68
	v_pk_add_f32 v[66:67], v[70:71], v[66:67] neg_lo:[0,1] neg_hi:[0,1]
	v_mov_b32_e32 v86, v84
	v_pk_add_f32 v[68:69], v[86:87], v[66:67]
	s_mov_b32 s54, 0x33800000
	v_mov_b32_e32 v48, v69
	v_pk_add_f32 v[70:71], v[68:69], v[48:49]
	v_cmp_lt_f32_e64 s[54:55], |v65|, s54
	v_pk_add_f32 v[80:81], v[38:39], v[70:71]
	v_mov_b32_e32 v67, v70
	v_mov_b32_e32 v69, v80
	v_pk_add_f32 v[82:83], v[68:69], v[84:85] neg_lo:[0,1] neg_hi:[0,1]
	s_or_b64 s[48:49], s[48:49], s[54:55]
	v_sub_f32_e32 v37, v68, v82
	v_pk_add_f32 v[66:67], v[66:67], v[82:83] neg_lo:[0,1] neg_hi:[0,1]
	v_sub_f32_e32 v37, v84, v37
	v_add_f32_e32 v37, v66, v37
	v_add_f32_e32 v37, v37, v67
	;; [unrolled: 1-line block ×3, first 2 shown]
	v_cndmask_b32_e64 v37, v37, v65, s[48:49]
	v_add_f32_e32 v37, v39, v37
	v_cvt_f16_f32_e32 v37, v37
	v_cvt_f32_f16_e32 v38, v37
.LBB428_314:
	s_or_b64 exec, exec, s[52:53]
	v_cvt_f32_f16_sdwa v65, v19 dst_sel:DWORD dst_unused:UNUSED_PAD src0_sel:WORD_1
	v_max_f32_e32 v48, v38, v38
	v_cmp_u_f16_e64 s[52:53], v37, v37
	v_cmp_u_f16_sdwa s[48:49], v19, v19 src0_sel:WORD_1 src1_sel:WORD_1
	v_min_f32_e32 v39, v48, v65
	v_max_f32_e32 v19, v48, v65
	v_cndmask_b32_e64 v39, v39, v38, s[52:53]
	v_cndmask_b32_e64 v19, v19, v38, s[52:53]
	;; [unrolled: 1-line block ×4, first 2 shown]
	s_movk_i32 s54, 0x1f8
	v_cmp_neq_f32_e64 s[52:53], v39, v19
	v_cmp_class_f32_e64 s[54:55], v39, s54
	s_or_b64 s[52:53], s[52:53], s[54:55]
	s_and_saveexec_b64 s[54:55], s[52:53]
	s_cbranch_execz .LBB428_316
; %bb.315:
	v_sub_f32_e32 v37, v39, v19
	s_mov_b32 s52, 0x3fb8aa3b
	v_mul_f32_e32 v38, 0x3fb8aa3b, v37
	v_fma_f32 v39, v37, s52, -v38
	v_rndne_f32_e32 v48, v38
	v_fmamk_f32 v39, v37, 0x32a5705f, v39
	v_sub_f32_e32 v38, v38, v48
	v_add_f32_e32 v38, v38, v39
	v_exp_f32_e32 v38, v38
	v_cvt_i32_f32_e32 v39, v48
	s_mov_b32 s52, 0xc2ce8ed0
	v_cmp_ngt_f32_e64 s[52:53], s52, v37
	s_mov_b32 s56, 0x7f800000
	v_ldexp_f32 v38, v38, v39
	v_cndmask_b32_e64 v38, 0, v38, s[52:53]
	s_mov_b32 s52, 0x42b17218
	v_mov_b32_e32 v39, 0x7f800000
	v_cmp_nlt_f32_e64 s[52:53], s52, v37
	s_nop 1
	v_cndmask_b32_e64 v86, v39, v38, s[52:53]
	v_add_f32_e32 v37, 1.0, v86
	v_add_f32_e32 v38, -1.0, v37
	v_sub_f32_e32 v39, v38, v37
	v_add_f32_e32 v39, 1.0, v39
	v_sub_f32_e32 v38, v86, v38
	v_add_f32_e32 v48, v38, v39
	v_frexp_mant_f32_e32 v66, v37
	s_mov_b32 s52, 0x3f2aaaab
	v_cvt_f64_f32_e32 v[38:39], v37
	v_frexp_exp_i32_f64_e32 v38, v[38:39]
	v_cmp_gt_f32_e64 s[52:53], s52, v66
	s_nop 1
	v_subbrev_co_u32_e64 v80, s[52:53], 0, v38, s[52:53]
	v_sub_u32_e32 v38, 0, v80
	v_ldexp_f32 v37, v37, v38
	v_ldexp_f32 v38, v48, v38
	v_add_f32_e32 v48, -1.0, v37
	v_add_f32_e32 v39, 1.0, v48
	v_sub_f32_e32 v39, v37, v39
	v_add_f32_e32 v66, v38, v39
	v_add_f32_e32 v39, 1.0, v37
	v_add_f32_e32 v67, -1.0, v39
	v_sub_f32_e32 v37, v37, v67
	v_add_f32_e32 v37, v38, v37
	v_add_f32_e32 v81, v39, v37
	v_rcp_f32_e32 v82, v81
	v_sub_f32_e32 v38, v39, v81
	v_add_f32_e32 v39, v48, v66
	v_add_f32_e32 v37, v37, v38
	v_sub_f32_e32 v38, v48, v39
	v_mul_f32_e32 v83, v39, v82
	v_add_f32_e32 v48, v66, v38
	v_mul_f32_e32 v66, v81, v83
	v_fma_f32 v68, v83, v81, -v66
	v_fmac_f32_e32 v68, v83, v37
	v_add_f32_e32 v38, v66, v68
	v_sub_f32_e32 v67, v39, v38
	v_pk_add_f32 v[70:71], v[38:39], v[66:67] neg_lo:[0,1] neg_hi:[0,1]
	v_mov_b32_e32 v69, v38
	v_pk_add_f32 v[38:39], v[70:71], v[68:69] neg_lo:[0,1] neg_hi:[0,1]
	s_mov_b32 s52, 0x3f317218
	v_add_f32_e32 v39, v48, v39
	v_add_f32_e32 v38, v38, v39
	;; [unrolled: 1-line block ×3, first 2 shown]
	v_mul_f32_e32 v48, v82, v39
	v_mul_f32_e32 v66, v81, v48
	v_fma_f32 v68, v48, v81, -v66
	v_fmac_f32_e32 v68, v48, v37
	v_sub_f32_e32 v37, v67, v39
	v_add_f32_e32 v37, v38, v37
	v_add_f32_e32 v38, v66, v68
	v_sub_f32_e32 v67, v39, v38
	v_pk_add_f32 v[70:71], v[38:39], v[66:67] neg_lo:[0,1] neg_hi:[0,1]
	v_mov_b32_e32 v69, v38
	v_pk_add_f32 v[38:39], v[70:71], v[68:69] neg_lo:[0,1] neg_hi:[0,1]
	v_cvt_f32_i32_e32 v66, v80
	v_add_f32_e32 v37, v37, v39
	v_add_f32_e32 v37, v38, v37
	;; [unrolled: 1-line block ×4, first 2 shown]
	v_sub_f32_e32 v39, v38, v83
	v_mul_f32_e32 v37, v82, v37
	v_sub_f32_e32 v39, v48, v39
	v_add_f32_e32 v37, v39, v37
	v_add_f32_e32 v48, v38, v37
	v_mul_f32_e32 v67, v48, v48
	v_mov_b32_e32 v39, 0x3ecc95a3
	v_fmac_f32_e32 v39, 0x3e9b6dac, v67
	v_sub_f32_e32 v38, v48, v38
	v_fmaak_f32 v39, v67, v39, 0x3f2aaada
	v_sub_f32_e32 v37, v37, v38
	v_mul_f32_e32 v67, v48, v67
	v_mov_b32_e32 v38, 0x3f317218
	v_pk_mul_f32 v[38:39], v[66:67], v[38:39]
	v_ldexp_f32 v69, v48, 1
	v_fma_f32 v48, v66, s52, -v38
	v_fmamk_f32 v68, v66, 0xb102e308, v48
	v_pk_add_f32 v[66:67], v[38:39], v[68:69]
	v_ldexp_f32 v37, v37, 1
	v_sub_f32_e32 v48, v67, v69
	v_sub_f32_e32 v48, v39, v48
	v_add_f32_e32 v71, v37, v48
	v_mov_b32_e32 v70, v38
	v_pk_add_f32 v[38:39], v[66:67], v[38:39] neg_lo:[0,1] neg_hi:[0,1]
	v_pk_add_f32 v[80:81], v[66:67], v[70:71]
	v_mov_b32_e32 v69, v66
	v_mov_b32_e32 v39, v81
	v_pk_add_f32 v[82:83], v[68:69], v[38:39] neg_lo:[0,1] neg_hi:[0,1]
	v_pk_add_f32 v[38:39], v[68:69], v[38:39]
	v_cmp_eq_f32_e64 s[52:53], s56, v86
	v_mov_b32_e32 v48, v39
	v_pk_add_f32 v[68:69], v[48:49], v[66:67] neg_lo:[0,1] neg_hi:[0,1]
	v_mov_b32_e32 v38, v81
	v_mov_b32_e32 v37, v68
	v_pk_add_f32 v[84:85], v[80:81], v[36:37] neg_lo:[0,1] neg_hi:[0,1]
	v_mov_b32_e32 v80, v67
	v_mov_b32_e32 v81, v68
	;; [unrolled: 1-line block ×3, first 2 shown]
	v_pk_add_f32 v[38:39], v[38:39], v[80:81] neg_lo:[0,1] neg_hi:[0,1]
	v_mov_b32_e32 v68, v71
	v_mov_b32_e32 v69, v66
	v_pk_add_f32 v[38:39], v[68:69], v[38:39] neg_lo:[0,1] neg_hi:[0,1]
	v_mov_b32_e32 v84, v82
	v_pk_add_f32 v[66:67], v[84:85], v[38:39]
	s_mov_b32 s56, 0x33800000
	v_mov_b32_e32 v68, v67
	v_pk_add_f32 v[68:69], v[66:67], v[68:69]
	v_cmp_lt_f32_e64 s[56:57], |v86|, s56
	v_pk_add_f32 v[70:71], v[48:49], v[68:69]
	v_mov_b32_e32 v39, v68
	v_mov_b32_e32 v67, v70
	v_pk_add_f32 v[80:81], v[66:67], v[82:83] neg_lo:[0,1] neg_hi:[0,1]
	s_or_b64 s[52:53], s[52:53], s[56:57]
	v_sub_f32_e32 v37, v66, v80
	v_pk_add_f32 v[38:39], v[38:39], v[80:81] neg_lo:[0,1] neg_hi:[0,1]
	v_sub_f32_e32 v37, v82, v37
	v_add_f32_e32 v37, v38, v37
	v_add_f32_e32 v37, v37, v39
	;; [unrolled: 1-line block ×3, first 2 shown]
	v_cndmask_b32_e64 v37, v37, v86, s[52:53]
	v_add_f32_e32 v19, v19, v37
	v_cvt_f16_f32_e32 v37, v19
.LBB428_316:
	s_or_b64 exec, exec, s[54:55]
	v_mbcnt_lo_u32_b32 v19, -1, 0
	v_mbcnt_hi_u32_b32 v19, -1, v19
	v_and_b32_e32 v38, 15, v19
	v_and_b32_e32 v39, 0xffff, v37
	v_cmp_ne_u32_e64 s[52:53], 0, v38
	s_nop 0
	v_mov_b32_dpp v48, v39 row_shr:1 row_mask:0xf bank_mask:0xf
	s_and_saveexec_b64 s[56:57], s[52:53]
	s_cbranch_execz .LBB428_320
; %bb.317:
	v_cvt_f32_f16_e32 v66, v48
	v_cvt_f32_f16_e32 v67, v37
	v_cmp_u_f16_e64 s[52:53], v48, v48
	v_cmp_u_f16_e64 s[54:55], v37, v37
	v_min_f32_e32 v39, v66, v67
	v_max_f32_e32 v37, v66, v67
	v_cndmask_b32_e64 v39, v39, v66, s[52:53]
	v_cndmask_b32_e64 v37, v37, v66, s[52:53]
	;; [unrolled: 1-line block ×4, first 2 shown]
	s_movk_i32 s54, 0x1f8
	v_cmp_neq_f32_e64 s[52:53], v39, v37
	v_cmp_class_f32_e64 s[54:55], v39, s54
	s_or_b64 s[52:53], s[52:53], s[54:55]
	s_and_saveexec_b64 s[54:55], s[52:53]
	s_cbranch_execz .LBB428_319
; %bb.318:
	v_sub_f32_e32 v39, v39, v37
	s_mov_b32 s52, 0x3fb8aa3b
	v_mul_f32_e32 v48, 0x3fb8aa3b, v39
	v_fma_f32 v66, v39, s52, -v48
	v_rndne_f32_e32 v67, v48
	v_fmamk_f32 v66, v39, 0x32a5705f, v66
	v_sub_f32_e32 v48, v48, v67
	v_add_f32_e32 v48, v48, v66
	v_exp_f32_e32 v48, v48
	v_cvt_i32_f32_e32 v66, v67
	s_mov_b32 s52, 0xc2ce8ed0
	v_cmp_ngt_f32_e64 s[52:53], s52, v39
	s_mov_b32 s58, 0x7f800000
	v_ldexp_f32 v48, v48, v66
	v_cndmask_b32_e64 v48, 0, v48, s[52:53]
	s_mov_b32 s52, 0x42b17218
	v_mov_b32_e32 v66, 0x7f800000
	v_cmp_nlt_f32_e64 s[52:53], s52, v39
	s_nop 1
	v_cndmask_b32_e64 v96, v66, v48, s[52:53]
	v_add_f32_e32 v39, 1.0, v96
	v_add_f32_e32 v48, -1.0, v39
	v_sub_f32_e32 v66, v48, v39
	v_add_f32_e32 v66, 1.0, v66
	v_sub_f32_e32 v48, v96, v48
	v_add_f32_e32 v48, v48, v66
	v_frexp_mant_f32_e32 v68, v39
	s_mov_b32 s52, 0x3f2aaaab
	v_cvt_f64_f32_e32 v[66:67], v39
	v_frexp_exp_i32_f64_e32 v66, v[66:67]
	v_cmp_gt_f32_e64 s[52:53], s52, v68
	s_nop 1
	v_subbrev_co_u32_e64 v82, s[52:53], 0, v66, s[52:53]
	v_sub_u32_e32 v66, 0, v82
	v_ldexp_f32 v39, v39, v66
	v_ldexp_f32 v48, v48, v66
	v_add_f32_e32 v66, -1.0, v39
	v_add_f32_e32 v67, 1.0, v66
	v_sub_f32_e32 v67, v39, v67
	v_add_f32_e32 v68, v48, v67
	v_add_f32_e32 v67, 1.0, v39
	v_add_f32_e32 v69, -1.0, v67
	v_sub_f32_e32 v39, v39, v69
	v_add_f32_e32 v39, v48, v39
	v_add_f32_e32 v48, v67, v39
	v_rcp_f32_e32 v83, v48
	v_sub_f32_e32 v67, v67, v48
	v_add_f32_e32 v39, v39, v67
	v_add_f32_e32 v67, v66, v68
	v_sub_f32_e32 v66, v66, v67
	v_mul_f32_e32 v85, v67, v83
	v_add_f32_e32 v84, v68, v66
	v_mul_f32_e32 v68, v48, v85
	v_fma_f32 v70, v85, v48, -v68
	v_fmac_f32_e32 v70, v85, v39
	v_add_f32_e32 v66, v68, v70
	v_sub_f32_e32 v69, v67, v66
	v_pk_add_f32 v[80:81], v[66:67], v[68:69] neg_lo:[0,1] neg_hi:[0,1]
	v_mov_b32_e32 v71, v66
	v_pk_add_f32 v[66:67], v[80:81], v[70:71] neg_lo:[0,1] neg_hi:[0,1]
	s_mov_b32 s52, 0x3f317218
	v_add_f32_e32 v67, v84, v67
	v_add_f32_e32 v66, v66, v67
	;; [unrolled: 1-line block ×3, first 2 shown]
	v_mul_f32_e32 v84, v83, v67
	v_mul_f32_e32 v68, v48, v84
	v_fma_f32 v70, v84, v48, -v68
	v_fmac_f32_e32 v70, v84, v39
	v_sub_f32_e32 v39, v69, v67
	v_add_f32_e32 v39, v66, v39
	v_add_f32_e32 v66, v68, v70
	v_sub_f32_e32 v69, v67, v66
	v_pk_add_f32 v[80:81], v[66:67], v[68:69] neg_lo:[0,1] neg_hi:[0,1]
	v_mov_b32_e32 v71, v66
	v_pk_add_f32 v[66:67], v[80:81], v[70:71] neg_lo:[0,1] neg_hi:[0,1]
	v_add_f32_e32 v48, v85, v84
	v_add_f32_e32 v39, v39, v67
	;; [unrolled: 1-line block ×4, first 2 shown]
	v_sub_f32_e32 v66, v48, v85
	v_mul_f32_e32 v39, v83, v39
	v_sub_f32_e32 v66, v84, v66
	v_add_f32_e32 v39, v66, v39
	v_add_f32_e32 v66, v48, v39
	v_cvt_f32_i32_e32 v68, v82
	v_mul_f32_e32 v69, v66, v66
	v_mov_b32_e32 v67, 0x3ecc95a3
	v_fmac_f32_e32 v67, 0x3e9b6dac, v69
	v_fmaak_f32 v67, v69, v67, 0x3f2aaada
	v_sub_f32_e32 v48, v66, v48
	v_ldexp_f32 v71, v66, 1
	v_mul_f32_e32 v69, v66, v69
	v_mov_b32_e32 v66, 0x3f317218
	v_pk_mul_f32 v[66:67], v[68:69], v[66:67]
	v_sub_f32_e32 v39, v39, v48
	v_fma_f32 v48, v68, s52, -v66
	v_fmamk_f32 v70, v68, 0xb102e308, v48
	v_pk_add_f32 v[68:69], v[66:67], v[70:71]
	v_ldexp_f32 v39, v39, 1
	v_sub_f32_e32 v48, v69, v71
	v_sub_f32_e32 v48, v67, v48
	v_add_f32_e32 v81, v39, v48
	v_mov_b32_e32 v80, v66
	v_pk_add_f32 v[66:67], v[68:69], v[66:67] neg_lo:[0,1] neg_hi:[0,1]
	v_pk_add_f32 v[82:83], v[68:69], v[80:81]
	v_mov_b32_e32 v71, v68
	v_mov_b32_e32 v67, v83
	v_pk_add_f32 v[84:85], v[70:71], v[66:67] neg_lo:[0,1] neg_hi:[0,1]
	v_pk_add_f32 v[66:67], v[70:71], v[66:67]
	v_cmp_eq_f32_e64 s[52:53], s58, v96
	v_mov_b32_e32 v48, v67
	v_pk_add_f32 v[70:71], v[48:49], v[68:69] neg_lo:[0,1] neg_hi:[0,1]
	v_mov_b32_e32 v66, v83
	v_mov_b32_e32 v39, v70
	v_pk_add_f32 v[86:87], v[82:83], v[38:39] neg_lo:[0,1] neg_hi:[0,1]
	v_mov_b32_e32 v82, v69
	v_mov_b32_e32 v83, v70
	;; [unrolled: 1-line block ×3, first 2 shown]
	v_pk_add_f32 v[66:67], v[66:67], v[82:83] neg_lo:[0,1] neg_hi:[0,1]
	v_mov_b32_e32 v70, v81
	v_mov_b32_e32 v71, v68
	v_pk_add_f32 v[66:67], v[70:71], v[66:67] neg_lo:[0,1] neg_hi:[0,1]
	v_mov_b32_e32 v86, v84
	v_pk_add_f32 v[68:69], v[86:87], v[66:67]
	s_mov_b32 s58, 0x33800000
	v_mov_b32_e32 v70, v69
	v_pk_add_f32 v[70:71], v[68:69], v[70:71]
	v_cmp_lt_f32_e64 s[58:59], |v96|, s58
	v_pk_add_f32 v[80:81], v[48:49], v[70:71]
	v_mov_b32_e32 v67, v70
	v_mov_b32_e32 v69, v80
	v_pk_add_f32 v[82:83], v[68:69], v[84:85] neg_lo:[0,1] neg_hi:[0,1]
	s_or_b64 s[52:53], s[52:53], s[58:59]
	v_sub_f32_e32 v39, v68, v82
	v_pk_add_f32 v[66:67], v[66:67], v[82:83] neg_lo:[0,1] neg_hi:[0,1]
	v_sub_f32_e32 v39, v84, v39
	v_add_f32_e32 v39, v66, v39
	v_add_f32_e32 v39, v39, v67
	;; [unrolled: 1-line block ×3, first 2 shown]
	v_cndmask_b32_e64 v39, v39, v96, s[52:53]
	v_add_f32_e32 v37, v37, v39
	v_cvt_f16_f32_e32 v48, v37
.LBB428_319:
	s_or_b64 exec, exec, s[54:55]
	v_and_b32_e32 v39, 0xffff, v48
	v_mov_b32_e32 v37, v48
.LBB428_320:
	s_or_b64 exec, exec, s[56:57]
	v_mov_b32_dpp v48, v39 row_shr:2 row_mask:0xf bank_mask:0xf
	v_cmp_lt_u32_e64 s[52:53], 1, v38
	s_and_saveexec_b64 s[56:57], s[52:53]
	s_cbranch_execz .LBB428_324
; %bb.321:
	v_cvt_f32_f16_e32 v66, v48
	v_cvt_f32_f16_e32 v67, v37
	v_cmp_u_f16_e64 s[52:53], v48, v48
	v_cmp_u_f16_e64 s[54:55], v37, v37
	v_min_f32_e32 v39, v66, v67
	v_max_f32_e32 v37, v66, v67
	v_cndmask_b32_e64 v39, v39, v66, s[52:53]
	v_cndmask_b32_e64 v37, v37, v66, s[52:53]
	;; [unrolled: 1-line block ×4, first 2 shown]
	s_movk_i32 s54, 0x1f8
	v_cmp_neq_f32_e64 s[52:53], v39, v37
	v_cmp_class_f32_e64 s[54:55], v39, s54
	s_or_b64 s[52:53], s[52:53], s[54:55]
	s_and_saveexec_b64 s[54:55], s[52:53]
	s_cbranch_execz .LBB428_323
; %bb.322:
	v_sub_f32_e32 v39, v39, v37
	s_mov_b32 s52, 0x3fb8aa3b
	v_mul_f32_e32 v48, 0x3fb8aa3b, v39
	v_fma_f32 v66, v39, s52, -v48
	v_rndne_f32_e32 v67, v48
	v_fmamk_f32 v66, v39, 0x32a5705f, v66
	v_sub_f32_e32 v48, v48, v67
	v_add_f32_e32 v48, v48, v66
	v_exp_f32_e32 v48, v48
	v_cvt_i32_f32_e32 v66, v67
	s_mov_b32 s52, 0xc2ce8ed0
	v_cmp_ngt_f32_e64 s[52:53], s52, v39
	s_mov_b32 s58, 0x7f800000
	v_ldexp_f32 v48, v48, v66
	v_cndmask_b32_e64 v48, 0, v48, s[52:53]
	s_mov_b32 s52, 0x42b17218
	v_mov_b32_e32 v66, 0x7f800000
	v_cmp_nlt_f32_e64 s[52:53], s52, v39
	s_nop 1
	v_cndmask_b32_e64 v96, v66, v48, s[52:53]
	v_add_f32_e32 v39, 1.0, v96
	v_add_f32_e32 v48, -1.0, v39
	v_sub_f32_e32 v66, v48, v39
	v_add_f32_e32 v66, 1.0, v66
	v_sub_f32_e32 v48, v96, v48
	v_add_f32_e32 v48, v48, v66
	v_frexp_mant_f32_e32 v68, v39
	s_mov_b32 s52, 0x3f2aaaab
	v_cvt_f64_f32_e32 v[66:67], v39
	v_frexp_exp_i32_f64_e32 v66, v[66:67]
	v_cmp_gt_f32_e64 s[52:53], s52, v68
	s_nop 1
	v_subbrev_co_u32_e64 v82, s[52:53], 0, v66, s[52:53]
	v_sub_u32_e32 v66, 0, v82
	v_ldexp_f32 v39, v39, v66
	v_ldexp_f32 v48, v48, v66
	v_add_f32_e32 v66, -1.0, v39
	v_add_f32_e32 v67, 1.0, v66
	v_sub_f32_e32 v67, v39, v67
	v_add_f32_e32 v68, v48, v67
	v_add_f32_e32 v67, 1.0, v39
	v_add_f32_e32 v69, -1.0, v67
	v_sub_f32_e32 v39, v39, v69
	v_add_f32_e32 v39, v48, v39
	v_add_f32_e32 v48, v67, v39
	v_rcp_f32_e32 v83, v48
	v_sub_f32_e32 v67, v67, v48
	v_add_f32_e32 v39, v39, v67
	v_add_f32_e32 v67, v66, v68
	v_sub_f32_e32 v66, v66, v67
	v_mul_f32_e32 v85, v67, v83
	v_add_f32_e32 v84, v68, v66
	v_mul_f32_e32 v68, v48, v85
	v_fma_f32 v70, v85, v48, -v68
	v_fmac_f32_e32 v70, v85, v39
	v_add_f32_e32 v66, v68, v70
	v_sub_f32_e32 v69, v67, v66
	v_pk_add_f32 v[80:81], v[66:67], v[68:69] neg_lo:[0,1] neg_hi:[0,1]
	v_mov_b32_e32 v71, v66
	v_pk_add_f32 v[66:67], v[80:81], v[70:71] neg_lo:[0,1] neg_hi:[0,1]
	s_mov_b32 s52, 0x3f317218
	v_add_f32_e32 v67, v84, v67
	v_add_f32_e32 v66, v66, v67
	;; [unrolled: 1-line block ×3, first 2 shown]
	v_mul_f32_e32 v84, v83, v67
	v_mul_f32_e32 v68, v48, v84
	v_fma_f32 v70, v84, v48, -v68
	v_fmac_f32_e32 v70, v84, v39
	v_sub_f32_e32 v39, v69, v67
	v_add_f32_e32 v39, v66, v39
	v_add_f32_e32 v66, v68, v70
	v_sub_f32_e32 v69, v67, v66
	v_pk_add_f32 v[80:81], v[66:67], v[68:69] neg_lo:[0,1] neg_hi:[0,1]
	v_mov_b32_e32 v71, v66
	v_pk_add_f32 v[66:67], v[80:81], v[70:71] neg_lo:[0,1] neg_hi:[0,1]
	v_add_f32_e32 v48, v85, v84
	v_add_f32_e32 v39, v39, v67
	;; [unrolled: 1-line block ×4, first 2 shown]
	v_sub_f32_e32 v66, v48, v85
	v_mul_f32_e32 v39, v83, v39
	v_sub_f32_e32 v66, v84, v66
	v_add_f32_e32 v39, v66, v39
	v_add_f32_e32 v66, v48, v39
	v_cvt_f32_i32_e32 v68, v82
	v_mul_f32_e32 v69, v66, v66
	v_mov_b32_e32 v67, 0x3ecc95a3
	v_fmac_f32_e32 v67, 0x3e9b6dac, v69
	v_fmaak_f32 v67, v69, v67, 0x3f2aaada
	v_sub_f32_e32 v48, v66, v48
	v_ldexp_f32 v71, v66, 1
	v_mul_f32_e32 v69, v66, v69
	v_mov_b32_e32 v66, 0x3f317218
	v_pk_mul_f32 v[66:67], v[68:69], v[66:67]
	v_sub_f32_e32 v39, v39, v48
	v_fma_f32 v48, v68, s52, -v66
	v_fmamk_f32 v70, v68, 0xb102e308, v48
	v_pk_add_f32 v[68:69], v[66:67], v[70:71]
	v_ldexp_f32 v39, v39, 1
	v_sub_f32_e32 v48, v69, v71
	v_sub_f32_e32 v48, v67, v48
	v_add_f32_e32 v81, v39, v48
	v_mov_b32_e32 v80, v66
	v_pk_add_f32 v[66:67], v[68:69], v[66:67] neg_lo:[0,1] neg_hi:[0,1]
	v_pk_add_f32 v[82:83], v[68:69], v[80:81]
	v_mov_b32_e32 v71, v68
	v_mov_b32_e32 v67, v83
	v_pk_add_f32 v[84:85], v[70:71], v[66:67] neg_lo:[0,1] neg_hi:[0,1]
	v_pk_add_f32 v[66:67], v[70:71], v[66:67]
	v_cmp_eq_f32_e64 s[52:53], s58, v96
	v_mov_b32_e32 v48, v67
	v_pk_add_f32 v[70:71], v[48:49], v[68:69] neg_lo:[0,1] neg_hi:[0,1]
	v_mov_b32_e32 v66, v83
	v_mov_b32_e32 v39, v70
	v_pk_add_f32 v[86:87], v[82:83], v[38:39] neg_lo:[0,1] neg_hi:[0,1]
	v_mov_b32_e32 v82, v69
	v_mov_b32_e32 v83, v70
	;; [unrolled: 1-line block ×3, first 2 shown]
	v_pk_add_f32 v[66:67], v[66:67], v[82:83] neg_lo:[0,1] neg_hi:[0,1]
	v_mov_b32_e32 v70, v81
	v_mov_b32_e32 v71, v68
	v_pk_add_f32 v[66:67], v[70:71], v[66:67] neg_lo:[0,1] neg_hi:[0,1]
	v_mov_b32_e32 v86, v84
	v_pk_add_f32 v[68:69], v[86:87], v[66:67]
	s_mov_b32 s58, 0x33800000
	v_mov_b32_e32 v70, v69
	v_pk_add_f32 v[70:71], v[68:69], v[70:71]
	v_cmp_lt_f32_e64 s[58:59], |v96|, s58
	v_pk_add_f32 v[80:81], v[48:49], v[70:71]
	v_mov_b32_e32 v67, v70
	v_mov_b32_e32 v69, v80
	v_pk_add_f32 v[82:83], v[68:69], v[84:85] neg_lo:[0,1] neg_hi:[0,1]
	s_or_b64 s[52:53], s[52:53], s[58:59]
	v_sub_f32_e32 v39, v68, v82
	v_pk_add_f32 v[66:67], v[66:67], v[82:83] neg_lo:[0,1] neg_hi:[0,1]
	v_sub_f32_e32 v39, v84, v39
	v_add_f32_e32 v39, v66, v39
	v_add_f32_e32 v39, v39, v67
	;; [unrolled: 1-line block ×3, first 2 shown]
	v_cndmask_b32_e64 v39, v39, v96, s[52:53]
	v_add_f32_e32 v37, v37, v39
	v_cvt_f16_f32_e32 v48, v37
.LBB428_323:
	s_or_b64 exec, exec, s[54:55]
	v_and_b32_e32 v39, 0xffff, v48
	v_mov_b32_e32 v37, v48
.LBB428_324:
	s_or_b64 exec, exec, s[56:57]
	v_mov_b32_dpp v48, v39 row_shr:4 row_mask:0xf bank_mask:0xf
	v_cmp_lt_u32_e64 s[52:53], 3, v38
	s_and_saveexec_b64 s[56:57], s[52:53]
	s_cbranch_execz .LBB428_328
; %bb.325:
	v_cvt_f32_f16_e32 v66, v48
	v_cvt_f32_f16_e32 v67, v37
	v_cmp_u_f16_e64 s[52:53], v48, v48
	v_cmp_u_f16_e64 s[54:55], v37, v37
	v_min_f32_e32 v39, v66, v67
	v_max_f32_e32 v37, v66, v67
	v_cndmask_b32_e64 v39, v39, v66, s[52:53]
	v_cndmask_b32_e64 v37, v37, v66, s[52:53]
	v_cndmask_b32_e64 v39, v39, v67, s[54:55]
	v_cndmask_b32_e64 v37, v37, v67, s[54:55]
	s_movk_i32 s54, 0x1f8
	v_cmp_neq_f32_e64 s[52:53], v39, v37
	v_cmp_class_f32_e64 s[54:55], v39, s54
	s_or_b64 s[52:53], s[52:53], s[54:55]
	s_and_saveexec_b64 s[54:55], s[52:53]
	s_cbranch_execz .LBB428_327
; %bb.326:
	v_sub_f32_e32 v39, v39, v37
	s_mov_b32 s52, 0x3fb8aa3b
	v_mul_f32_e32 v48, 0x3fb8aa3b, v39
	v_fma_f32 v66, v39, s52, -v48
	v_rndne_f32_e32 v67, v48
	v_fmamk_f32 v66, v39, 0x32a5705f, v66
	v_sub_f32_e32 v48, v48, v67
	v_add_f32_e32 v48, v48, v66
	v_exp_f32_e32 v48, v48
	v_cvt_i32_f32_e32 v66, v67
	s_mov_b32 s52, 0xc2ce8ed0
	v_cmp_ngt_f32_e64 s[52:53], s52, v39
	s_mov_b32 s58, 0x7f800000
	v_ldexp_f32 v48, v48, v66
	v_cndmask_b32_e64 v48, 0, v48, s[52:53]
	s_mov_b32 s52, 0x42b17218
	v_mov_b32_e32 v66, 0x7f800000
	v_cmp_nlt_f32_e64 s[52:53], s52, v39
	s_nop 1
	v_cndmask_b32_e64 v96, v66, v48, s[52:53]
	v_add_f32_e32 v39, 1.0, v96
	v_add_f32_e32 v48, -1.0, v39
	v_sub_f32_e32 v66, v48, v39
	v_add_f32_e32 v66, 1.0, v66
	v_sub_f32_e32 v48, v96, v48
	v_add_f32_e32 v48, v48, v66
	v_frexp_mant_f32_e32 v68, v39
	s_mov_b32 s52, 0x3f2aaaab
	v_cvt_f64_f32_e32 v[66:67], v39
	v_frexp_exp_i32_f64_e32 v66, v[66:67]
	v_cmp_gt_f32_e64 s[52:53], s52, v68
	s_nop 1
	v_subbrev_co_u32_e64 v82, s[52:53], 0, v66, s[52:53]
	v_sub_u32_e32 v66, 0, v82
	v_ldexp_f32 v39, v39, v66
	v_ldexp_f32 v48, v48, v66
	v_add_f32_e32 v66, -1.0, v39
	v_add_f32_e32 v67, 1.0, v66
	v_sub_f32_e32 v67, v39, v67
	v_add_f32_e32 v68, v48, v67
	v_add_f32_e32 v67, 1.0, v39
	v_add_f32_e32 v69, -1.0, v67
	v_sub_f32_e32 v39, v39, v69
	v_add_f32_e32 v39, v48, v39
	v_add_f32_e32 v48, v67, v39
	v_rcp_f32_e32 v83, v48
	v_sub_f32_e32 v67, v67, v48
	v_add_f32_e32 v39, v39, v67
	v_add_f32_e32 v67, v66, v68
	v_sub_f32_e32 v66, v66, v67
	v_mul_f32_e32 v85, v67, v83
	v_add_f32_e32 v84, v68, v66
	v_mul_f32_e32 v68, v48, v85
	v_fma_f32 v70, v85, v48, -v68
	v_fmac_f32_e32 v70, v85, v39
	v_add_f32_e32 v66, v68, v70
	v_sub_f32_e32 v69, v67, v66
	v_pk_add_f32 v[80:81], v[66:67], v[68:69] neg_lo:[0,1] neg_hi:[0,1]
	v_mov_b32_e32 v71, v66
	v_pk_add_f32 v[66:67], v[80:81], v[70:71] neg_lo:[0,1] neg_hi:[0,1]
	s_mov_b32 s52, 0x3f317218
	v_add_f32_e32 v67, v84, v67
	v_add_f32_e32 v66, v66, v67
	;; [unrolled: 1-line block ×3, first 2 shown]
	v_mul_f32_e32 v84, v83, v67
	v_mul_f32_e32 v68, v48, v84
	v_fma_f32 v70, v84, v48, -v68
	v_fmac_f32_e32 v70, v84, v39
	v_sub_f32_e32 v39, v69, v67
	v_add_f32_e32 v39, v66, v39
	v_add_f32_e32 v66, v68, v70
	v_sub_f32_e32 v69, v67, v66
	v_pk_add_f32 v[80:81], v[66:67], v[68:69] neg_lo:[0,1] neg_hi:[0,1]
	v_mov_b32_e32 v71, v66
	v_pk_add_f32 v[66:67], v[80:81], v[70:71] neg_lo:[0,1] neg_hi:[0,1]
	v_add_f32_e32 v48, v85, v84
	v_add_f32_e32 v39, v39, v67
	;; [unrolled: 1-line block ×4, first 2 shown]
	v_sub_f32_e32 v66, v48, v85
	v_mul_f32_e32 v39, v83, v39
	v_sub_f32_e32 v66, v84, v66
	v_add_f32_e32 v39, v66, v39
	v_add_f32_e32 v66, v48, v39
	v_cvt_f32_i32_e32 v68, v82
	v_mul_f32_e32 v69, v66, v66
	v_mov_b32_e32 v67, 0x3ecc95a3
	v_fmac_f32_e32 v67, 0x3e9b6dac, v69
	v_fmaak_f32 v67, v69, v67, 0x3f2aaada
	v_sub_f32_e32 v48, v66, v48
	v_ldexp_f32 v71, v66, 1
	v_mul_f32_e32 v69, v66, v69
	v_mov_b32_e32 v66, 0x3f317218
	v_pk_mul_f32 v[66:67], v[68:69], v[66:67]
	v_sub_f32_e32 v39, v39, v48
	v_fma_f32 v48, v68, s52, -v66
	v_fmamk_f32 v70, v68, 0xb102e308, v48
	v_pk_add_f32 v[68:69], v[66:67], v[70:71]
	v_ldexp_f32 v39, v39, 1
	v_sub_f32_e32 v48, v69, v71
	v_sub_f32_e32 v48, v67, v48
	v_add_f32_e32 v81, v39, v48
	v_mov_b32_e32 v80, v66
	v_pk_add_f32 v[66:67], v[68:69], v[66:67] neg_lo:[0,1] neg_hi:[0,1]
	v_pk_add_f32 v[82:83], v[68:69], v[80:81]
	v_mov_b32_e32 v71, v68
	v_mov_b32_e32 v67, v83
	v_pk_add_f32 v[84:85], v[70:71], v[66:67] neg_lo:[0,1] neg_hi:[0,1]
	v_pk_add_f32 v[66:67], v[70:71], v[66:67]
	v_cmp_eq_f32_e64 s[52:53], s58, v96
	v_mov_b32_e32 v48, v67
	v_pk_add_f32 v[70:71], v[48:49], v[68:69] neg_lo:[0,1] neg_hi:[0,1]
	v_mov_b32_e32 v66, v83
	v_mov_b32_e32 v39, v70
	v_pk_add_f32 v[86:87], v[82:83], v[38:39] neg_lo:[0,1] neg_hi:[0,1]
	v_mov_b32_e32 v82, v69
	v_mov_b32_e32 v83, v70
	;; [unrolled: 1-line block ×3, first 2 shown]
	v_pk_add_f32 v[66:67], v[66:67], v[82:83] neg_lo:[0,1] neg_hi:[0,1]
	v_mov_b32_e32 v70, v81
	v_mov_b32_e32 v71, v68
	v_pk_add_f32 v[66:67], v[70:71], v[66:67] neg_lo:[0,1] neg_hi:[0,1]
	v_mov_b32_e32 v86, v84
	v_pk_add_f32 v[68:69], v[86:87], v[66:67]
	s_mov_b32 s58, 0x33800000
	v_mov_b32_e32 v70, v69
	v_pk_add_f32 v[70:71], v[68:69], v[70:71]
	v_cmp_lt_f32_e64 s[58:59], |v96|, s58
	v_pk_add_f32 v[80:81], v[48:49], v[70:71]
	v_mov_b32_e32 v67, v70
	v_mov_b32_e32 v69, v80
	v_pk_add_f32 v[82:83], v[68:69], v[84:85] neg_lo:[0,1] neg_hi:[0,1]
	s_or_b64 s[52:53], s[52:53], s[58:59]
	v_sub_f32_e32 v39, v68, v82
	v_pk_add_f32 v[66:67], v[66:67], v[82:83] neg_lo:[0,1] neg_hi:[0,1]
	v_sub_f32_e32 v39, v84, v39
	v_add_f32_e32 v39, v66, v39
	v_add_f32_e32 v39, v39, v67
	;; [unrolled: 1-line block ×3, first 2 shown]
	v_cndmask_b32_e64 v39, v39, v96, s[52:53]
	v_add_f32_e32 v37, v37, v39
	v_cvt_f16_f32_e32 v48, v37
.LBB428_327:
	s_or_b64 exec, exec, s[54:55]
	v_and_b32_e32 v39, 0xffff, v48
	v_mov_b32_e32 v37, v48
.LBB428_328:
	s_or_b64 exec, exec, s[56:57]
	v_mov_b32_dpp v48, v39 row_shr:8 row_mask:0xf bank_mask:0xf
	v_cmp_lt_u32_e64 s[52:53], 7, v38
	s_and_saveexec_b64 s[56:57], s[52:53]
	s_cbranch_execz .LBB428_332
; %bb.329:
	v_cvt_f32_f16_e32 v39, v48
	v_cvt_f32_f16_e32 v66, v37
	v_cmp_u_f16_e64 s[52:53], v48, v48
	v_cmp_u_f16_e64 s[54:55], v37, v37
	v_min_f32_e32 v38, v39, v66
	v_max_f32_e32 v37, v39, v66
	v_cndmask_b32_e64 v38, v38, v39, s[52:53]
	v_cndmask_b32_e64 v37, v37, v39, s[52:53]
	;; [unrolled: 1-line block ×4, first 2 shown]
	s_movk_i32 s54, 0x1f8
	v_cmp_neq_f32_e64 s[52:53], v38, v37
	v_cmp_class_f32_e64 s[54:55], v38, s54
	s_or_b64 s[52:53], s[52:53], s[54:55]
	s_and_saveexec_b64 s[54:55], s[52:53]
	s_cbranch_execz .LBB428_331
; %bb.330:
	v_sub_f32_e32 v38, v38, v37
	s_mov_b32 s52, 0x3fb8aa3b
	v_mul_f32_e32 v39, 0x3fb8aa3b, v38
	v_fma_f32 v48, v38, s52, -v39
	v_rndne_f32_e32 v66, v39
	v_fmamk_f32 v48, v38, 0x32a5705f, v48
	v_sub_f32_e32 v39, v39, v66
	v_add_f32_e32 v39, v39, v48
	v_exp_f32_e32 v39, v39
	v_cvt_i32_f32_e32 v48, v66
	s_mov_b32 s52, 0xc2ce8ed0
	v_cmp_ngt_f32_e64 s[52:53], s52, v38
	s_mov_b32 s58, 0x7f800000
	v_ldexp_f32 v39, v39, v48
	v_cndmask_b32_e64 v39, 0, v39, s[52:53]
	s_mov_b32 s52, 0x42b17218
	v_mov_b32_e32 v48, 0x7f800000
	v_cmp_nlt_f32_e64 s[52:53], s52, v38
	s_nop 1
	v_cndmask_b32_e64 v86, v48, v39, s[52:53]
	v_add_f32_e32 v48, 1.0, v86
	v_add_f32_e32 v38, -1.0, v48
	v_sub_f32_e32 v39, v38, v48
	v_add_f32_e32 v39, 1.0, v39
	v_sub_f32_e32 v38, v86, v38
	v_add_f32_e32 v66, v38, v39
	v_frexp_mant_f32_e32 v67, v48
	s_mov_b32 s52, 0x3f2aaaab
	v_cvt_f64_f32_e32 v[38:39], v48
	v_frexp_exp_i32_f64_e32 v38, v[38:39]
	v_cmp_gt_f32_e64 s[52:53], s52, v67
	s_nop 1
	v_subbrev_co_u32_e64 v80, s[52:53], 0, v38, s[52:53]
	v_sub_u32_e32 v38, 0, v80
	v_ldexp_f32 v39, v48, v38
	v_add_f32_e32 v48, -1.0, v39
	v_add_f32_e32 v67, 1.0, v39
	v_ldexp_f32 v38, v66, v38
	v_add_f32_e32 v66, 1.0, v48
	v_add_f32_e32 v68, -1.0, v67
	v_sub_f32_e32 v66, v39, v66
	v_sub_f32_e32 v39, v39, v68
	v_add_f32_e32 v66, v38, v66
	v_add_f32_e32 v38, v38, v39
	;; [unrolled: 1-line block ×3, first 2 shown]
	v_rcp_f32_e32 v83, v81
	v_sub_f32_e32 v39, v67, v81
	v_add_f32_e32 v82, v38, v39
	v_add_f32_e32 v39, v48, v66
	v_sub_f32_e32 v38, v48, v39
	v_mul_f32_e32 v84, v39, v83
	v_add_f32_e32 v48, v66, v38
	v_mul_f32_e32 v66, v81, v84
	v_fma_f32 v68, v84, v81, -v66
	v_fmac_f32_e32 v68, v84, v82
	v_add_f32_e32 v38, v66, v68
	v_sub_f32_e32 v67, v39, v38
	v_pk_add_f32 v[70:71], v[38:39], v[66:67] neg_lo:[0,1] neg_hi:[0,1]
	v_mov_b32_e32 v69, v38
	v_pk_add_f32 v[38:39], v[70:71], v[68:69] neg_lo:[0,1] neg_hi:[0,1]
	s_mov_b32 s52, 0x3f317218
	v_add_f32_e32 v39, v48, v39
	v_add_f32_e32 v38, v38, v39
	;; [unrolled: 1-line block ×3, first 2 shown]
	v_mul_f32_e32 v48, v83, v39
	v_mul_f32_e32 v66, v81, v48
	v_fma_f32 v68, v48, v81, -v66
	v_fmac_f32_e32 v68, v48, v82
	v_sub_f32_e32 v67, v67, v39
	v_add_f32_e32 v81, v38, v67
	v_add_f32_e32 v38, v66, v68
	v_sub_f32_e32 v67, v39, v38
	v_pk_add_f32 v[70:71], v[38:39], v[66:67] neg_lo:[0,1] neg_hi:[0,1]
	v_mov_b32_e32 v69, v38
	v_pk_add_f32 v[38:39], v[70:71], v[68:69] neg_lo:[0,1] neg_hi:[0,1]
	v_cvt_f32_i32_e32 v66, v80
	v_add_f32_e32 v39, v81, v39
	v_add_f32_e32 v38, v38, v39
	;; [unrolled: 1-line block ×4, first 2 shown]
	v_sub_f32_e32 v39, v67, v84
	v_mul_f32_e32 v38, v83, v38
	v_sub_f32_e32 v39, v48, v39
	v_add_f32_e32 v38, v39, v38
	v_add_f32_e32 v48, v67, v38
	v_mul_f32_e32 v68, v48, v48
	v_mov_b32_e32 v39, 0x3ecc95a3
	v_sub_f32_e32 v67, v48, v67
	v_fmac_f32_e32 v39, 0x3e9b6dac, v68
	v_sub_f32_e32 v38, v38, v67
	v_fmaak_f32 v39, v68, v39, 0x3f2aaada
	v_ldexp_f32 v70, v38, 1
	v_mul_f32_e32 v67, v48, v68
	v_mov_b32_e32 v38, 0x3f317218
	v_pk_mul_f32 v[38:39], v[66:67], v[38:39]
	v_ldexp_f32 v69, v48, 1
	v_fma_f32 v48, v66, s52, -v38
	v_fmamk_f32 v68, v66, 0xb102e308, v48
	v_pk_add_f32 v[66:67], v[38:39], v[68:69]
	v_cmp_eq_f32_e64 s[52:53], s58, v86
	v_sub_f32_e32 v48, v67, v69
	v_sub_f32_e32 v48, v39, v48
	v_add_f32_e32 v71, v70, v48
	v_mov_b32_e32 v70, v38
	v_pk_add_f32 v[38:39], v[66:67], v[38:39] neg_lo:[0,1] neg_hi:[0,1]
	v_pk_add_f32 v[80:81], v[66:67], v[70:71]
	v_mov_b32_e32 v69, v66
	v_mov_b32_e32 v39, v81
	v_pk_add_f32 v[82:83], v[68:69], v[38:39] neg_lo:[0,1] neg_hi:[0,1]
	v_pk_add_f32 v[38:39], v[68:69], v[38:39]
	s_mov_b32 s58, 0x33800000
	v_mov_b32_e32 v48, v39
	v_pk_add_f32 v[68:69], v[48:49], v[66:67] neg_lo:[0,1] neg_hi:[0,1]
	v_mov_b32_e32 v38, v81
	v_mov_b32_e32 v69, v68
	v_pk_add_f32 v[84:85], v[80:81], v[68:69] neg_lo:[0,1] neg_hi:[0,1]
	v_mov_b32_e32 v80, v67
	v_mov_b32_e32 v81, v68
	;; [unrolled: 1-line block ×3, first 2 shown]
	v_pk_add_f32 v[38:39], v[38:39], v[80:81] neg_lo:[0,1] neg_hi:[0,1]
	v_mov_b32_e32 v68, v71
	v_mov_b32_e32 v69, v66
	v_pk_add_f32 v[38:39], v[68:69], v[38:39] neg_lo:[0,1] neg_hi:[0,1]
	v_mov_b32_e32 v84, v82
	v_pk_add_f32 v[66:67], v[84:85], v[38:39]
	v_cmp_lt_f32_e64 s[58:59], |v86|, s58
	v_mov_b32_e32 v68, v67
	v_pk_add_f32 v[68:69], v[66:67], v[68:69]
	s_or_b64 s[52:53], s[52:53], s[58:59]
	v_pk_add_f32 v[70:71], v[48:49], v[68:69]
	v_mov_b32_e32 v39, v68
	v_mov_b32_e32 v67, v70
	v_pk_add_f32 v[80:81], v[66:67], v[82:83] neg_lo:[0,1] neg_hi:[0,1]
	s_nop 0
	v_sub_f32_e32 v48, v66, v80
	v_pk_add_f32 v[38:39], v[38:39], v[80:81] neg_lo:[0,1] neg_hi:[0,1]
	v_sub_f32_e32 v48, v82, v48
	v_add_f32_e32 v38, v38, v48
	v_add_f32_e32 v38, v38, v39
	;; [unrolled: 1-line block ×3, first 2 shown]
	v_cndmask_b32_e64 v38, v38, v86, s[52:53]
	v_add_f32_e32 v37, v37, v38
	v_cvt_f16_f32_e32 v48, v37
.LBB428_331:
	s_or_b64 exec, exec, s[54:55]
	v_and_b32_e32 v39, 0xffff, v48
	v_mov_b32_e32 v37, v48
.LBB428_332:
	s_or_b64 exec, exec, s[56:57]
	v_and_b32_e32 v48, 16, v19
	v_mov_b32_dpp v38, v39 row_bcast:15 row_mask:0xf bank_mask:0xf
	v_cmp_ne_u32_e64 s[52:53], 0, v48
	s_and_saveexec_b64 s[56:57], s[52:53]
	s_cbranch_execz .LBB428_336
; %bb.333:
	v_cvt_f32_f16_e32 v48, v38
	v_cvt_f32_f16_e32 v66, v37
	v_cmp_u_f16_e64 s[52:53], v38, v38
	v_cmp_u_f16_e64 s[54:55], v37, v37
	v_min_f32_e32 v39, v48, v66
	v_max_f32_e32 v37, v48, v66
	v_cndmask_b32_e64 v39, v39, v48, s[52:53]
	v_cndmask_b32_e64 v37, v37, v48, s[52:53]
	v_cndmask_b32_e64 v39, v39, v66, s[54:55]
	v_cndmask_b32_e64 v37, v37, v66, s[54:55]
	s_movk_i32 s54, 0x1f8
	v_cmp_neq_f32_e64 s[52:53], v39, v37
	v_cmp_class_f32_e64 s[54:55], v39, s54
	s_or_b64 s[52:53], s[52:53], s[54:55]
	s_and_saveexec_b64 s[54:55], s[52:53]
	s_cbranch_execz .LBB428_335
; %bb.334:
	v_sub_f32_e32 v38, v39, v37
	s_mov_b32 s52, 0x3fb8aa3b
	v_mul_f32_e32 v39, 0x3fb8aa3b, v38
	v_fma_f32 v48, v38, s52, -v39
	v_rndne_f32_e32 v66, v39
	v_fmamk_f32 v48, v38, 0x32a5705f, v48
	v_sub_f32_e32 v39, v39, v66
	v_add_f32_e32 v39, v39, v48
	v_exp_f32_e32 v39, v39
	v_cvt_i32_f32_e32 v48, v66
	s_mov_b32 s52, 0xc2ce8ed0
	v_cmp_ngt_f32_e64 s[52:53], s52, v38
	s_mov_b32 s58, 0x7f800000
	v_ldexp_f32 v39, v39, v48
	v_cndmask_b32_e64 v39, 0, v39, s[52:53]
	s_mov_b32 s52, 0x42b17218
	v_mov_b32_e32 v48, 0x7f800000
	v_cmp_nlt_f32_e64 s[52:53], s52, v38
	s_nop 1
	v_cndmask_b32_e64 v86, v48, v39, s[52:53]
	v_add_f32_e32 v48, 1.0, v86
	v_add_f32_e32 v38, -1.0, v48
	v_sub_f32_e32 v39, v38, v48
	v_add_f32_e32 v39, 1.0, v39
	v_sub_f32_e32 v38, v86, v38
	v_add_f32_e32 v66, v38, v39
	v_frexp_mant_f32_e32 v67, v48
	s_mov_b32 s52, 0x3f2aaaab
	v_cvt_f64_f32_e32 v[38:39], v48
	v_frexp_exp_i32_f64_e32 v38, v[38:39]
	v_cmp_gt_f32_e64 s[52:53], s52, v67
	s_nop 1
	v_subbrev_co_u32_e64 v80, s[52:53], 0, v38, s[52:53]
	v_sub_u32_e32 v38, 0, v80
	v_ldexp_f32 v39, v48, v38
	v_add_f32_e32 v48, -1.0, v39
	v_add_f32_e32 v67, 1.0, v39
	v_ldexp_f32 v38, v66, v38
	v_add_f32_e32 v66, 1.0, v48
	v_add_f32_e32 v68, -1.0, v67
	v_sub_f32_e32 v66, v39, v66
	v_sub_f32_e32 v39, v39, v68
	v_add_f32_e32 v66, v38, v66
	v_add_f32_e32 v38, v38, v39
	;; [unrolled: 1-line block ×3, first 2 shown]
	v_rcp_f32_e32 v83, v81
	v_sub_f32_e32 v39, v67, v81
	v_add_f32_e32 v82, v38, v39
	v_add_f32_e32 v39, v48, v66
	v_sub_f32_e32 v38, v48, v39
	v_mul_f32_e32 v84, v39, v83
	v_add_f32_e32 v48, v66, v38
	v_mul_f32_e32 v66, v81, v84
	v_fma_f32 v68, v84, v81, -v66
	v_fmac_f32_e32 v68, v84, v82
	v_add_f32_e32 v38, v66, v68
	v_sub_f32_e32 v67, v39, v38
	v_pk_add_f32 v[70:71], v[38:39], v[66:67] neg_lo:[0,1] neg_hi:[0,1]
	v_mov_b32_e32 v69, v38
	v_pk_add_f32 v[38:39], v[70:71], v[68:69] neg_lo:[0,1] neg_hi:[0,1]
	s_mov_b32 s52, 0x3f317218
	v_add_f32_e32 v39, v48, v39
	v_add_f32_e32 v38, v38, v39
	;; [unrolled: 1-line block ×3, first 2 shown]
	v_mul_f32_e32 v48, v83, v39
	v_mul_f32_e32 v66, v81, v48
	v_fma_f32 v68, v48, v81, -v66
	v_fmac_f32_e32 v68, v48, v82
	v_sub_f32_e32 v67, v67, v39
	v_add_f32_e32 v81, v38, v67
	v_add_f32_e32 v38, v66, v68
	v_sub_f32_e32 v67, v39, v38
	v_pk_add_f32 v[70:71], v[38:39], v[66:67] neg_lo:[0,1] neg_hi:[0,1]
	v_mov_b32_e32 v69, v38
	v_pk_add_f32 v[38:39], v[70:71], v[68:69] neg_lo:[0,1] neg_hi:[0,1]
	v_cvt_f32_i32_e32 v66, v80
	v_add_f32_e32 v39, v81, v39
	v_add_f32_e32 v38, v38, v39
	;; [unrolled: 1-line block ×4, first 2 shown]
	v_sub_f32_e32 v39, v67, v84
	v_mul_f32_e32 v38, v83, v38
	v_sub_f32_e32 v39, v48, v39
	v_add_f32_e32 v38, v39, v38
	v_add_f32_e32 v48, v67, v38
	v_mul_f32_e32 v68, v48, v48
	v_mov_b32_e32 v39, 0x3ecc95a3
	v_sub_f32_e32 v67, v48, v67
	v_fmac_f32_e32 v39, 0x3e9b6dac, v68
	v_sub_f32_e32 v38, v38, v67
	v_fmaak_f32 v39, v68, v39, 0x3f2aaada
	v_ldexp_f32 v70, v38, 1
	v_mul_f32_e32 v67, v48, v68
	v_mov_b32_e32 v38, 0x3f317218
	v_pk_mul_f32 v[38:39], v[66:67], v[38:39]
	v_ldexp_f32 v69, v48, 1
	v_fma_f32 v48, v66, s52, -v38
	v_fmamk_f32 v68, v66, 0xb102e308, v48
	v_pk_add_f32 v[66:67], v[38:39], v[68:69]
	v_cmp_eq_f32_e64 s[52:53], s58, v86
	v_sub_f32_e32 v48, v67, v69
	v_sub_f32_e32 v48, v39, v48
	v_add_f32_e32 v71, v70, v48
	v_mov_b32_e32 v70, v38
	v_pk_add_f32 v[38:39], v[66:67], v[38:39] neg_lo:[0,1] neg_hi:[0,1]
	v_pk_add_f32 v[80:81], v[66:67], v[70:71]
	v_mov_b32_e32 v69, v66
	v_mov_b32_e32 v39, v81
	v_pk_add_f32 v[82:83], v[68:69], v[38:39] neg_lo:[0,1] neg_hi:[0,1]
	v_pk_add_f32 v[38:39], v[68:69], v[38:39]
	s_mov_b32 s58, 0x33800000
	v_mov_b32_e32 v48, v39
	v_pk_add_f32 v[68:69], v[48:49], v[66:67] neg_lo:[0,1] neg_hi:[0,1]
	v_mov_b32_e32 v38, v81
	v_mov_b32_e32 v69, v68
	v_pk_add_f32 v[84:85], v[80:81], v[68:69] neg_lo:[0,1] neg_hi:[0,1]
	v_mov_b32_e32 v80, v67
	v_mov_b32_e32 v81, v68
	;; [unrolled: 1-line block ×3, first 2 shown]
	v_pk_add_f32 v[38:39], v[38:39], v[80:81] neg_lo:[0,1] neg_hi:[0,1]
	v_mov_b32_e32 v68, v71
	v_mov_b32_e32 v69, v66
	v_pk_add_f32 v[38:39], v[68:69], v[38:39] neg_lo:[0,1] neg_hi:[0,1]
	v_mov_b32_e32 v84, v82
	v_pk_add_f32 v[66:67], v[84:85], v[38:39]
	v_cmp_lt_f32_e64 s[58:59], |v86|, s58
	v_mov_b32_e32 v68, v67
	v_pk_add_f32 v[68:69], v[66:67], v[68:69]
	s_or_b64 s[52:53], s[52:53], s[58:59]
	v_pk_add_f32 v[70:71], v[48:49], v[68:69]
	v_mov_b32_e32 v39, v68
	v_mov_b32_e32 v67, v70
	v_pk_add_f32 v[80:81], v[66:67], v[82:83] neg_lo:[0,1] neg_hi:[0,1]
	s_nop 0
	v_sub_f32_e32 v48, v66, v80
	v_pk_add_f32 v[38:39], v[38:39], v[80:81] neg_lo:[0,1] neg_hi:[0,1]
	v_sub_f32_e32 v48, v82, v48
	v_add_f32_e32 v38, v38, v48
	v_add_f32_e32 v38, v38, v39
	v_add_f32_e32 v38, v70, v38
	v_cndmask_b32_e64 v38, v38, v86, s[52:53]
	v_add_f32_e32 v37, v37, v38
	v_cvt_f16_f32_e32 v38, v37
.LBB428_335:
	s_or_b64 exec, exec, s[54:55]
	v_and_b32_e32 v39, 0xffff, v38
	v_mov_b32_e32 v37, v38
.LBB428_336:
	s_or_b64 exec, exec, s[56:57]
	v_mov_b32_dpp v38, v39 row_bcast:31 row_mask:0xf bank_mask:0xf
	v_cmp_lt_u32_e64 s[52:53], 31, v19
	s_and_saveexec_b64 s[56:57], s[52:53]
	s_cbranch_execz .LBB428_340
; %bb.337:
	v_cvt_f32_f16_e32 v48, v38
	v_cvt_f32_f16_e32 v66, v37
	v_cmp_u_f16_e64 s[52:53], v38, v38
	v_cmp_u_f16_e64 s[54:55], v37, v37
	v_min_f32_e32 v39, v48, v66
	v_max_f32_e32 v37, v48, v66
	v_cndmask_b32_e64 v39, v39, v48, s[52:53]
	v_cndmask_b32_e64 v37, v37, v48, s[52:53]
	;; [unrolled: 1-line block ×4, first 2 shown]
	s_movk_i32 s54, 0x1f8
	v_cmp_neq_f32_e64 s[52:53], v39, v37
	v_cmp_class_f32_e64 s[54:55], v39, s54
	s_or_b64 s[52:53], s[52:53], s[54:55]
	s_and_saveexec_b64 s[54:55], s[52:53]
	s_cbranch_execz .LBB428_339
; %bb.338:
	v_sub_f32_e32 v38, v39, v37
	s_mov_b32 s52, 0x3fb8aa3b
	v_mul_f32_e32 v39, 0x3fb8aa3b, v38
	v_fma_f32 v48, v38, s52, -v39
	v_rndne_f32_e32 v66, v39
	v_fmamk_f32 v48, v38, 0x32a5705f, v48
	v_sub_f32_e32 v39, v39, v66
	v_add_f32_e32 v39, v39, v48
	v_exp_f32_e32 v39, v39
	v_cvt_i32_f32_e32 v48, v66
	s_mov_b32 s52, 0xc2ce8ed0
	v_cmp_ngt_f32_e64 s[52:53], s52, v38
	s_mov_b32 s58, 0x7f800000
	v_ldexp_f32 v39, v39, v48
	v_cndmask_b32_e64 v39, 0, v39, s[52:53]
	s_mov_b32 s52, 0x42b17218
	v_mov_b32_e32 v48, 0x7f800000
	v_cmp_nlt_f32_e64 s[52:53], s52, v38
	s_nop 1
	v_cndmask_b32_e64 v86, v48, v39, s[52:53]
	v_add_f32_e32 v48, 1.0, v86
	v_add_f32_e32 v38, -1.0, v48
	v_sub_f32_e32 v39, v38, v48
	v_add_f32_e32 v39, 1.0, v39
	v_sub_f32_e32 v38, v86, v38
	v_add_f32_e32 v66, v38, v39
	v_frexp_mant_f32_e32 v67, v48
	s_mov_b32 s52, 0x3f2aaaab
	v_cvt_f64_f32_e32 v[38:39], v48
	v_frexp_exp_i32_f64_e32 v38, v[38:39]
	v_cmp_gt_f32_e64 s[52:53], s52, v67
	s_nop 1
	v_subbrev_co_u32_e64 v80, s[52:53], 0, v38, s[52:53]
	v_sub_u32_e32 v38, 0, v80
	v_ldexp_f32 v39, v48, v38
	v_add_f32_e32 v48, -1.0, v39
	v_add_f32_e32 v67, 1.0, v39
	v_ldexp_f32 v38, v66, v38
	v_add_f32_e32 v66, 1.0, v48
	v_add_f32_e32 v68, -1.0, v67
	v_sub_f32_e32 v66, v39, v66
	v_sub_f32_e32 v39, v39, v68
	v_add_f32_e32 v66, v38, v66
	v_add_f32_e32 v38, v38, v39
	;; [unrolled: 1-line block ×3, first 2 shown]
	v_rcp_f32_e32 v83, v81
	v_sub_f32_e32 v39, v67, v81
	v_add_f32_e32 v82, v38, v39
	v_add_f32_e32 v39, v48, v66
	v_sub_f32_e32 v38, v48, v39
	v_mul_f32_e32 v84, v39, v83
	v_add_f32_e32 v48, v66, v38
	v_mul_f32_e32 v66, v81, v84
	v_fma_f32 v68, v84, v81, -v66
	v_fmac_f32_e32 v68, v84, v82
	v_add_f32_e32 v38, v66, v68
	v_sub_f32_e32 v67, v39, v38
	v_pk_add_f32 v[70:71], v[38:39], v[66:67] neg_lo:[0,1] neg_hi:[0,1]
	v_mov_b32_e32 v69, v38
	v_pk_add_f32 v[38:39], v[70:71], v[68:69] neg_lo:[0,1] neg_hi:[0,1]
	s_mov_b32 s52, 0x3f317218
	v_add_f32_e32 v39, v48, v39
	v_add_f32_e32 v38, v38, v39
	v_add_f32_e32 v39, v67, v38
	v_mul_f32_e32 v48, v83, v39
	v_mul_f32_e32 v66, v81, v48
	v_fma_f32 v68, v48, v81, -v66
	v_fmac_f32_e32 v68, v48, v82
	v_sub_f32_e32 v67, v67, v39
	v_add_f32_e32 v81, v38, v67
	v_add_f32_e32 v38, v66, v68
	v_sub_f32_e32 v67, v39, v38
	v_pk_add_f32 v[70:71], v[38:39], v[66:67] neg_lo:[0,1] neg_hi:[0,1]
	v_mov_b32_e32 v69, v38
	v_pk_add_f32 v[38:39], v[70:71], v[68:69] neg_lo:[0,1] neg_hi:[0,1]
	v_cvt_f32_i32_e32 v66, v80
	v_add_f32_e32 v39, v81, v39
	v_add_f32_e32 v38, v38, v39
	;; [unrolled: 1-line block ×4, first 2 shown]
	v_sub_f32_e32 v39, v67, v84
	v_mul_f32_e32 v38, v83, v38
	v_sub_f32_e32 v39, v48, v39
	v_add_f32_e32 v38, v39, v38
	v_add_f32_e32 v48, v67, v38
	v_mul_f32_e32 v68, v48, v48
	v_mov_b32_e32 v39, 0x3ecc95a3
	v_sub_f32_e32 v67, v48, v67
	v_fmac_f32_e32 v39, 0x3e9b6dac, v68
	v_sub_f32_e32 v38, v38, v67
	v_fmaak_f32 v39, v68, v39, 0x3f2aaada
	v_ldexp_f32 v70, v38, 1
	v_mul_f32_e32 v67, v48, v68
	v_mov_b32_e32 v38, 0x3f317218
	v_pk_mul_f32 v[38:39], v[66:67], v[38:39]
	v_ldexp_f32 v69, v48, 1
	v_fma_f32 v48, v66, s52, -v38
	v_fmamk_f32 v68, v66, 0xb102e308, v48
	v_pk_add_f32 v[66:67], v[38:39], v[68:69]
	v_cmp_eq_f32_e64 s[52:53], s58, v86
	v_sub_f32_e32 v48, v67, v69
	v_sub_f32_e32 v48, v39, v48
	v_add_f32_e32 v71, v70, v48
	v_mov_b32_e32 v70, v38
	v_pk_add_f32 v[38:39], v[66:67], v[38:39] neg_lo:[0,1] neg_hi:[0,1]
	v_pk_add_f32 v[80:81], v[66:67], v[70:71]
	v_mov_b32_e32 v69, v66
	v_mov_b32_e32 v39, v81
	v_pk_add_f32 v[82:83], v[68:69], v[38:39] neg_lo:[0,1] neg_hi:[0,1]
	v_pk_add_f32 v[38:39], v[68:69], v[38:39]
	s_mov_b32 s58, 0x33800000
	v_mov_b32_e32 v48, v39
	v_pk_add_f32 v[68:69], v[48:49], v[66:67] neg_lo:[0,1] neg_hi:[0,1]
	v_mov_b32_e32 v38, v81
	v_mov_b32_e32 v69, v68
	v_pk_add_f32 v[84:85], v[80:81], v[68:69] neg_lo:[0,1] neg_hi:[0,1]
	v_mov_b32_e32 v80, v67
	v_mov_b32_e32 v81, v68
	;; [unrolled: 1-line block ×3, first 2 shown]
	v_pk_add_f32 v[38:39], v[38:39], v[80:81] neg_lo:[0,1] neg_hi:[0,1]
	v_mov_b32_e32 v68, v71
	v_mov_b32_e32 v69, v66
	v_pk_add_f32 v[38:39], v[68:69], v[38:39] neg_lo:[0,1] neg_hi:[0,1]
	v_mov_b32_e32 v84, v82
	v_pk_add_f32 v[66:67], v[84:85], v[38:39]
	v_cmp_lt_f32_e64 s[58:59], |v86|, s58
	v_mov_b32_e32 v68, v67
	v_pk_add_f32 v[68:69], v[66:67], v[68:69]
	s_or_b64 s[52:53], s[52:53], s[58:59]
	v_pk_add_f32 v[70:71], v[48:49], v[68:69]
	v_mov_b32_e32 v39, v68
	v_mov_b32_e32 v67, v70
	v_pk_add_f32 v[80:81], v[66:67], v[82:83] neg_lo:[0,1] neg_hi:[0,1]
	s_nop 0
	v_sub_f32_e32 v48, v66, v80
	v_pk_add_f32 v[38:39], v[38:39], v[80:81] neg_lo:[0,1] neg_hi:[0,1]
	v_sub_f32_e32 v48, v82, v48
	v_add_f32_e32 v38, v38, v48
	v_add_f32_e32 v38, v38, v39
	;; [unrolled: 1-line block ×3, first 2 shown]
	v_cndmask_b32_e64 v38, v38, v86, s[52:53]
	v_add_f32_e32 v37, v37, v38
	v_cvt_f16_f32_e32 v38, v37
.LBB428_339:
	s_or_b64 exec, exec, s[54:55]
	v_mov_b32_e32 v37, v38
.LBB428_340:
	s_or_b64 exec, exec, s[56:57]
	v_and_b32_e32 v39, 0x3c0, v32
	v_min_u32_e32 v39, 0xc0, v39
	v_or_b32_e32 v39, 63, v39
	v_lshrrev_b32_e32 v38, 6, v32
	v_cmp_eq_u32_e64 s[52:53], v39, v32
	s_and_saveexec_b64 s[54:55], s[52:53]
	s_cbranch_execz .LBB428_342
; %bb.341:
	v_lshlrev_b32_e32 v39, 1, v38
	ds_write_b16 v39, v37
.LBB428_342:
	s_or_b64 exec, exec, s[54:55]
	v_cmp_gt_u32_e64 s[52:53], 4, v32
	s_waitcnt lgkmcnt(0)
	s_barrier
	s_and_saveexec_b64 s[56:57], s[52:53]
	s_cbranch_execz .LBB428_352
; %bb.343:
	ds_read_u16 v48, v0
	v_and_b32_e32 v39, 3, v19
	v_cmp_ne_u32_e64 s[52:53], 0, v39
	s_waitcnt lgkmcnt(0)
	v_and_b32_e32 v67, 0xffff, v48
	s_nop 1
	v_mov_b32_dpp v66, v67 row_shr:1 row_mask:0xf bank_mask:0xf
	s_and_saveexec_b64 s[58:59], s[52:53]
	s_cbranch_execz .LBB428_347
; %bb.344:
	v_cvt_f32_f16_e32 v68, v66
	v_cvt_f32_f16_e32 v69, v48
	v_cmp_u_f16_e64 s[52:53], v66, v66
	v_cmp_u_f16_e64 s[54:55], v48, v48
	v_min_f32_e32 v67, v68, v69
	v_max_f32_e32 v48, v68, v69
	v_cndmask_b32_e64 v67, v67, v68, s[52:53]
	v_cndmask_b32_e64 v48, v48, v68, s[52:53]
	;; [unrolled: 1-line block ×4, first 2 shown]
	s_movk_i32 s54, 0x1f8
	v_cmp_neq_f32_e64 s[52:53], v67, v48
	v_cmp_class_f32_e64 s[54:55], v67, s54
	s_or_b64 s[52:53], s[52:53], s[54:55]
	s_and_saveexec_b64 s[54:55], s[52:53]
	s_cbranch_execz .LBB428_346
; %bb.345:
	v_sub_f32_e32 v66, v67, v48
	s_mov_b32 s52, 0x3fb8aa3b
	v_mul_f32_e32 v67, 0x3fb8aa3b, v66
	v_fma_f32 v68, v66, s52, -v67
	v_rndne_f32_e32 v69, v67
	v_fmamk_f32 v68, v66, 0x32a5705f, v68
	v_sub_f32_e32 v67, v67, v69
	v_add_f32_e32 v67, v67, v68
	v_exp_f32_e32 v67, v67
	v_cvt_i32_f32_e32 v68, v69
	s_mov_b32 s52, 0xc2ce8ed0
	v_cmp_ngt_f32_e64 s[52:53], s52, v66
	s_mov_b32 s60, 0x7f800000
	v_ldexp_f32 v67, v67, v68
	v_cndmask_b32_e64 v67, 0, v67, s[52:53]
	s_mov_b32 s52, 0x42b17218
	v_mov_b32_e32 v68, 0x7f800000
	v_cmp_nlt_f32_e64 s[52:53], s52, v66
	s_nop 1
	v_cndmask_b32_e64 v98, v68, v67, s[52:53]
	v_add_f32_e32 v68, 1.0, v98
	v_add_f32_e32 v66, -1.0, v68
	v_sub_f32_e32 v67, v66, v68
	v_add_f32_e32 v67, 1.0, v67
	v_sub_f32_e32 v66, v98, v66
	v_add_f32_e32 v69, v66, v67
	v_frexp_mant_f32_e32 v70, v68
	s_mov_b32 s52, 0x3f2aaaab
	v_cvt_f64_f32_e32 v[66:67], v68
	v_frexp_exp_i32_f64_e32 v66, v[66:67]
	v_cmp_gt_f32_e64 s[52:53], s52, v70
	s_nop 1
	v_subbrev_co_u32_e64 v82, s[52:53], 0, v66, s[52:53]
	v_sub_u32_e32 v66, 0, v82
	v_ldexp_f32 v67, v68, v66
	v_add_f32_e32 v68, -1.0, v67
	v_add_f32_e32 v70, 1.0, v67
	v_ldexp_f32 v66, v69, v66
	v_add_f32_e32 v69, 1.0, v68
	v_add_f32_e32 v71, -1.0, v70
	v_sub_f32_e32 v69, v67, v69
	v_sub_f32_e32 v67, v67, v71
	v_add_f32_e32 v69, v66, v69
	v_add_f32_e32 v66, v66, v67
	;; [unrolled: 1-line block ×3, first 2 shown]
	v_rcp_f32_e32 v85, v83
	v_sub_f32_e32 v67, v70, v83
	v_add_f32_e32 v84, v66, v67
	v_add_f32_e32 v67, v68, v69
	v_mul_f32_e32 v87, v67, v85
	v_sub_f32_e32 v66, v68, v67
	v_mul_f32_e32 v68, v83, v87
	v_fma_f32 v70, v87, v83, -v68
	v_fmac_f32_e32 v70, v87, v84
	v_add_f32_e32 v86, v69, v66
	v_add_f32_e32 v66, v68, v70
	v_sub_f32_e32 v69, v67, v66
	v_pk_add_f32 v[80:81], v[66:67], v[68:69] neg_lo:[0,1] neg_hi:[0,1]
	v_mov_b32_e32 v71, v66
	v_pk_add_f32 v[66:67], v[80:81], v[70:71] neg_lo:[0,1] neg_hi:[0,1]
	s_mov_b32 s52, 0x3f317218
	v_add_f32_e32 v67, v86, v67
	v_add_f32_e32 v66, v66, v67
	;; [unrolled: 1-line block ×3, first 2 shown]
	v_mul_f32_e32 v86, v85, v67
	v_mul_f32_e32 v68, v83, v86
	v_fma_f32 v70, v86, v83, -v68
	v_fmac_f32_e32 v70, v86, v84
	v_sub_f32_e32 v69, v69, v67
	v_add_f32_e32 v83, v66, v69
	v_add_f32_e32 v66, v68, v70
	v_sub_f32_e32 v69, v67, v66
	v_pk_add_f32 v[80:81], v[66:67], v[68:69] neg_lo:[0,1] neg_hi:[0,1]
	v_mov_b32_e32 v71, v66
	v_pk_add_f32 v[66:67], v[80:81], v[70:71] neg_lo:[0,1] neg_hi:[0,1]
	v_cvt_f32_i32_e32 v68, v82
	v_add_f32_e32 v67, v83, v67
	v_add_f32_e32 v66, v66, v67
	;; [unrolled: 1-line block ×4, first 2 shown]
	v_sub_f32_e32 v67, v69, v87
	v_mul_f32_e32 v66, v85, v66
	v_sub_f32_e32 v67, v86, v67
	v_add_f32_e32 v66, v67, v66
	v_add_f32_e32 v70, v69, v66
	v_mul_f32_e32 v80, v70, v70
	v_mov_b32_e32 v67, 0x3ecc95a3
	v_sub_f32_e32 v69, v70, v69
	v_fmac_f32_e32 v67, 0x3e9b6dac, v80
	v_sub_f32_e32 v66, v66, v69
	v_fmaak_f32 v67, v80, v67, 0x3f2aaada
	v_ldexp_f32 v81, v66, 1
	v_mul_f32_e32 v69, v70, v80
	v_mov_b32_e32 v66, 0x3f317218
	v_pk_mul_f32 v[66:67], v[68:69], v[66:67]
	v_ldexp_f32 v71, v70, 1
	v_fma_f32 v69, v68, s52, -v66
	v_fmamk_f32 v70, v68, 0xb102e308, v69
	v_pk_add_f32 v[68:69], v[66:67], v[70:71]
	v_mov_b32_e32 v80, v66
	v_sub_f32_e32 v71, v69, v71
	v_sub_f32_e32 v71, v67, v71
	v_add_f32_e32 v81, v81, v71
	v_pk_add_f32 v[66:67], v[68:69], v[66:67] neg_lo:[0,1] neg_hi:[0,1]
	v_pk_add_f32 v[82:83], v[68:69], v[80:81]
	v_mov_b32_e32 v71, v68
	v_mov_b32_e32 v67, v83
	v_pk_add_f32 v[84:85], v[70:71], v[66:67] neg_lo:[0,1] neg_hi:[0,1]
	v_pk_add_f32 v[66:67], v[70:71], v[66:67]
	v_mov_b32_e32 v80, v81
	v_mov_b32_e32 v70, v67
	v_pk_add_f32 v[86:87], v[70:71], v[68:69] neg_lo:[0,1] neg_hi:[0,1]
	v_mov_b32_e32 v66, v83
	v_mov_b32_e32 v71, v86
	v_pk_add_f32 v[96:97], v[82:83], v[70:71] neg_lo:[0,1] neg_hi:[0,1]
	v_mov_b32_e32 v82, v69
	v_mov_b32_e32 v83, v86
	;; [unrolled: 1-line block ×3, first 2 shown]
	v_pk_add_f32 v[66:67], v[66:67], v[82:83] neg_lo:[0,1] neg_hi:[0,1]
	v_mov_b32_e32 v81, v68
	v_pk_add_f32 v[66:67], v[80:81], v[66:67] neg_lo:[0,1] neg_hi:[0,1]
	v_mov_b32_e32 v96, v84
	v_pk_add_f32 v[68:69], v[96:97], v[66:67]
	v_cmp_eq_f32_e64 s[52:53], s60, v98
	v_mov_b32_e32 v80, v69
	v_pk_add_f32 v[80:81], v[68:69], v[80:81]
	s_mov_b32 s60, 0x33800000
	v_pk_add_f32 v[70:71], v[70:71], v[80:81]
	v_mov_b32_e32 v67, v80
	v_mov_b32_e32 v69, v70
	v_pk_add_f32 v[82:83], v[68:69], v[84:85] neg_lo:[0,1] neg_hi:[0,1]
	v_cmp_lt_f32_e64 s[60:61], |v98|, s60
	v_sub_f32_e32 v68, v68, v82
	v_pk_add_f32 v[66:67], v[66:67], v[82:83] neg_lo:[0,1] neg_hi:[0,1]
	v_sub_f32_e32 v68, v84, v68
	v_add_f32_e32 v66, v66, v68
	v_add_f32_e32 v66, v66, v67
	;; [unrolled: 1-line block ×3, first 2 shown]
	s_or_b64 s[52:53], s[52:53], s[60:61]
	v_cndmask_b32_e64 v66, v66, v98, s[52:53]
	v_add_f32_e32 v48, v48, v66
	v_cvt_f16_f32_e32 v66, v48
.LBB428_346:
	s_or_b64 exec, exec, s[54:55]
	v_and_b32_e32 v67, 0xffff, v66
	v_mov_b32_e32 v48, v66
.LBB428_347:
	s_or_b64 exec, exec, s[58:59]
	v_mov_b32_dpp v66, v67 row_shr:2 row_mask:0xf bank_mask:0xf
	v_cmp_lt_u32_e64 s[52:53], 1, v39
	s_and_saveexec_b64 s[58:59], s[52:53]
	s_cbranch_execz .LBB428_351
; %bb.348:
	v_cvt_f32_f16_e32 v39, v66
	v_cvt_f32_f16_e32 v67, v48
	v_cmp_u_f16_e64 s[52:53], v66, v66
	v_cmp_u_f16_e64 s[54:55], v48, v48
	v_min_f32_e32 v68, v39, v67
	v_cndmask_b32_e64 v68, v68, v39, s[52:53]
	v_cndmask_b32_e64 v48, v68, v67, s[54:55]
	v_max_f32_e32 v68, v39, v67
	v_cndmask_b32_e64 v39, v68, v39, s[52:53]
	v_cndmask_b32_e64 v39, v39, v67, s[54:55]
	s_movk_i32 s54, 0x1f8
	v_cmp_neq_f32_e64 s[52:53], v48, v39
	v_cmp_class_f32_e64 s[54:55], v48, s54
	s_or_b64 s[52:53], s[52:53], s[54:55]
	s_and_saveexec_b64 s[54:55], s[52:53]
	s_cbranch_execz .LBB428_350
; %bb.349:
	v_sub_f32_e32 v48, v48, v39
	s_mov_b32 s52, 0x3fb8aa3b
	v_mul_f32_e32 v66, 0x3fb8aa3b, v48
	v_fma_f32 v67, v48, s52, -v66
	v_rndne_f32_e32 v68, v66
	v_fmamk_f32 v67, v48, 0x32a5705f, v67
	v_sub_f32_e32 v66, v66, v68
	v_add_f32_e32 v66, v66, v67
	v_exp_f32_e32 v66, v66
	v_cvt_i32_f32_e32 v67, v68
	s_mov_b32 s52, 0xc2ce8ed0
	v_cmp_ngt_f32_e64 s[52:53], s52, v48
	s_mov_b32 s60, 0x7f800000
	v_ldexp_f32 v66, v66, v67
	v_cndmask_b32_e64 v66, 0, v66, s[52:53]
	s_mov_b32 s52, 0x42b17218
	v_mov_b32_e32 v67, 0x7f800000
	v_cmp_nlt_f32_e64 s[52:53], s52, v48
	s_nop 1
	v_cndmask_b32_e64 v96, v67, v66, s[52:53]
	v_add_f32_e32 v48, 1.0, v96
	v_add_f32_e32 v66, -1.0, v48
	v_sub_f32_e32 v67, v66, v48
	v_add_f32_e32 v67, 1.0, v67
	v_sub_f32_e32 v66, v96, v66
	v_add_f32_e32 v68, v66, v67
	v_frexp_mant_f32_e32 v69, v48
	s_mov_b32 s52, 0x3f2aaaab
	v_cvt_f64_f32_e32 v[66:67], v48
	v_frexp_exp_i32_f64_e32 v66, v[66:67]
	v_cmp_gt_f32_e64 s[52:53], s52, v69
	s_nop 1
	v_subbrev_co_u32_e64 v82, s[52:53], 0, v66, s[52:53]
	v_sub_u32_e32 v66, 0, v82
	v_ldexp_f32 v48, v48, v66
	v_ldexp_f32 v66, v68, v66
	v_add_f32_e32 v68, -1.0, v48
	v_add_f32_e32 v67, 1.0, v68
	v_sub_f32_e32 v67, v48, v67
	v_add_f32_e32 v69, v66, v67
	v_add_f32_e32 v67, 1.0, v48
	v_add_f32_e32 v70, -1.0, v67
	v_sub_f32_e32 v48, v48, v70
	v_add_f32_e32 v48, v66, v48
	v_add_f32_e32 v83, v67, v48
	v_rcp_f32_e32 v84, v83
	v_sub_f32_e32 v66, v67, v83
	v_add_f32_e32 v67, v68, v69
	v_add_f32_e32 v48, v48, v66
	v_mul_f32_e32 v86, v67, v84
	v_sub_f32_e32 v66, v68, v67
	v_mul_f32_e32 v68, v83, v86
	v_fma_f32 v70, v86, v83, -v68
	v_fmac_f32_e32 v70, v86, v48
	v_add_f32_e32 v85, v69, v66
	v_add_f32_e32 v66, v68, v70
	v_sub_f32_e32 v69, v67, v66
	v_pk_add_f32 v[80:81], v[66:67], v[68:69] neg_lo:[0,1] neg_hi:[0,1]
	v_mov_b32_e32 v71, v66
	v_pk_add_f32 v[66:67], v[80:81], v[70:71] neg_lo:[0,1] neg_hi:[0,1]
	s_mov_b32 s52, 0x3f317218
	v_add_f32_e32 v67, v85, v67
	v_add_f32_e32 v66, v66, v67
	;; [unrolled: 1-line block ×3, first 2 shown]
	v_mul_f32_e32 v85, v84, v67
	v_mul_f32_e32 v68, v83, v85
	v_fma_f32 v70, v85, v83, -v68
	v_fmac_f32_e32 v70, v85, v48
	v_sub_f32_e32 v48, v69, v67
	v_add_f32_e32 v48, v66, v48
	v_add_f32_e32 v66, v68, v70
	v_sub_f32_e32 v69, v67, v66
	v_pk_add_f32 v[80:81], v[66:67], v[68:69] neg_lo:[0,1] neg_hi:[0,1]
	v_mov_b32_e32 v71, v66
	v_pk_add_f32 v[66:67], v[80:81], v[70:71] neg_lo:[0,1] neg_hi:[0,1]
	v_cvt_f32_i32_e32 v68, v82
	v_add_f32_e32 v48, v48, v67
	v_add_f32_e32 v48, v66, v48
	;; [unrolled: 1-line block ×4, first 2 shown]
	v_sub_f32_e32 v67, v66, v86
	v_mul_f32_e32 v48, v84, v48
	v_sub_f32_e32 v67, v85, v67
	v_add_f32_e32 v48, v67, v48
	v_add_f32_e32 v69, v66, v48
	v_mul_f32_e32 v70, v69, v69
	v_mov_b32_e32 v67, 0x3ecc95a3
	v_fmac_f32_e32 v67, 0x3e9b6dac, v70
	v_sub_f32_e32 v66, v69, v66
	v_fmaak_f32 v67, v70, v67, 0x3f2aaada
	v_sub_f32_e32 v48, v48, v66
	v_ldexp_f32 v71, v69, 1
	v_mul_f32_e32 v69, v69, v70
	v_mov_b32_e32 v66, 0x3f317218
	v_pk_mul_f32 v[66:67], v[68:69], v[66:67]
	v_ldexp_f32 v48, v48, 1
	v_fma_f32 v69, v68, s52, -v66
	v_fmamk_f32 v70, v68, 0xb102e308, v69
	v_pk_add_f32 v[68:69], v[66:67], v[70:71]
	v_mov_b32_e32 v80, v66
	v_sub_f32_e32 v71, v69, v71
	v_sub_f32_e32 v71, v67, v71
	v_add_f32_e32 v81, v48, v71
	v_pk_add_f32 v[66:67], v[68:69], v[66:67] neg_lo:[0,1] neg_hi:[0,1]
	v_pk_add_f32 v[82:83], v[68:69], v[80:81]
	v_mov_b32_e32 v71, v68
	v_mov_b32_e32 v67, v83
	v_pk_add_f32 v[84:85], v[70:71], v[66:67] neg_lo:[0,1] neg_hi:[0,1]
	v_pk_add_f32 v[66:67], v[70:71], v[66:67]
	v_cmp_eq_f32_e64 s[52:53], s60, v96
	v_mov_b32_e32 v48, v67
	v_pk_add_f32 v[70:71], v[48:49], v[68:69] neg_lo:[0,1] neg_hi:[0,1]
	v_mov_b32_e32 v66, v83
	v_mov_b32_e32 v71, v70
	v_pk_add_f32 v[86:87], v[82:83], v[70:71] neg_lo:[0,1] neg_hi:[0,1]
	v_mov_b32_e32 v82, v69
	v_mov_b32_e32 v83, v70
	;; [unrolled: 1-line block ×3, first 2 shown]
	v_pk_add_f32 v[66:67], v[66:67], v[82:83] neg_lo:[0,1] neg_hi:[0,1]
	v_mov_b32_e32 v70, v81
	v_mov_b32_e32 v71, v68
	v_pk_add_f32 v[66:67], v[70:71], v[66:67] neg_lo:[0,1] neg_hi:[0,1]
	v_mov_b32_e32 v86, v84
	v_pk_add_f32 v[68:69], v[86:87], v[66:67]
	s_mov_b32 s60, 0x33800000
	v_mov_b32_e32 v70, v69
	v_pk_add_f32 v[70:71], v[68:69], v[70:71]
	v_cmp_lt_f32_e64 s[60:61], |v96|, s60
	v_pk_add_f32 v[80:81], v[48:49], v[70:71]
	v_mov_b32_e32 v67, v70
	v_mov_b32_e32 v69, v80
	v_pk_add_f32 v[82:83], v[68:69], v[84:85] neg_lo:[0,1] neg_hi:[0,1]
	s_or_b64 s[52:53], s[52:53], s[60:61]
	v_sub_f32_e32 v48, v68, v82
	v_pk_add_f32 v[66:67], v[66:67], v[82:83] neg_lo:[0,1] neg_hi:[0,1]
	v_sub_f32_e32 v48, v84, v48
	v_add_f32_e32 v48, v66, v48
	v_add_f32_e32 v48, v48, v67
	;; [unrolled: 1-line block ×3, first 2 shown]
	v_cndmask_b32_e64 v48, v48, v96, s[52:53]
	v_add_f32_e32 v39, v39, v48
	v_cvt_f16_f32_e32 v66, v39
.LBB428_350:
	s_or_b64 exec, exec, s[54:55]
	v_mov_b32_e32 v48, v66
.LBB428_351:
	s_or_b64 exec, exec, s[58:59]
	ds_write_b16 v0, v48
.LBB428_352:
	s_or_b64 exec, exec, s[56:57]
	v_cmp_lt_u32_e64 s[52:53], 63, v32
	s_waitcnt lgkmcnt(0)
	s_barrier
	s_waitcnt lgkmcnt(0)
                                        ; implicit-def: $vgpr39
	s_and_saveexec_b64 s[54:55], s[52:53]
	s_cbranch_execz .LBB428_356
; %bb.353:
	v_lshl_add_u32 v38, v38, 1, -2
	ds_read_u16 v39, v38
	v_cvt_f32_f16_e32 v38, v37
	s_movk_i32 s56, 0x1f8
	s_waitcnt lgkmcnt(0)
	v_cvt_f32_f16_e32 v48, v39
	v_cmp_u_f16_e64 s[52:53], v39, v39
	v_min_f32_e32 v66, v48, v38
	v_max_f32_e32 v67, v48, v38
	v_cndmask_b32_e64 v66, v66, v48, s[52:53]
	v_cndmask_b32_e64 v67, v67, v48, s[52:53]
	v_cmp_u_f16_e64 s[52:53], v37, v37
	v_mov_b32_e32 v37, v39
	s_nop 0
	v_cndmask_b32_e64 v48, v66, v38, s[52:53]
	v_cndmask_b32_e64 v38, v67, v38, s[52:53]
	v_cmp_neq_f32_e64 s[52:53], v48, v38
	v_cmp_class_f32_e64 s[56:57], v48, s56
	s_or_b64 s[52:53], s[52:53], s[56:57]
	s_and_saveexec_b64 s[56:57], s[52:53]
	s_cbranch_execz .LBB428_355
; %bb.354:
	v_sub_f32_e32 v37, v48, v38
	s_mov_b32 s52, 0x3fb8aa3b
	v_mul_f32_e32 v48, 0x3fb8aa3b, v37
	v_fma_f32 v66, v37, s52, -v48
	v_rndne_f32_e32 v67, v48
	v_fmamk_f32 v66, v37, 0x32a5705f, v66
	v_sub_f32_e32 v48, v48, v67
	v_add_f32_e32 v48, v48, v66
	v_exp_f32_e32 v48, v48
	v_cvt_i32_f32_e32 v66, v67
	s_mov_b32 s52, 0xc2ce8ed0
	v_cmp_ngt_f32_e64 s[52:53], s52, v37
	s_mov_b32 s58, 0x7f800000
	v_ldexp_f32 v48, v48, v66
	v_cndmask_b32_e64 v48, 0, v48, s[52:53]
	s_mov_b32 s52, 0x42b17218
	v_mov_b32_e32 v66, 0x7f800000
	v_cmp_nlt_f32_e64 s[52:53], s52, v37
	s_nop 1
	v_cndmask_b32_e64 v96, v66, v48, s[52:53]
	v_add_f32_e32 v37, 1.0, v96
	v_add_f32_e32 v48, -1.0, v37
	v_sub_f32_e32 v66, v48, v37
	v_add_f32_e32 v66, 1.0, v66
	v_sub_f32_e32 v48, v96, v48
	v_add_f32_e32 v48, v48, v66
	v_frexp_mant_f32_e32 v68, v37
	s_mov_b32 s52, 0x3f2aaaab
	v_cvt_f64_f32_e32 v[66:67], v37
	v_frexp_exp_i32_f64_e32 v66, v[66:67]
	v_cmp_gt_f32_e64 s[52:53], s52, v68
	s_nop 1
	v_subbrev_co_u32_e64 v82, s[52:53], 0, v66, s[52:53]
	v_sub_u32_e32 v66, 0, v82
	v_ldexp_f32 v37, v37, v66
	v_ldexp_f32 v48, v48, v66
	v_add_f32_e32 v66, -1.0, v37
	v_add_f32_e32 v67, 1.0, v66
	v_sub_f32_e32 v67, v37, v67
	v_add_f32_e32 v68, v48, v67
	v_add_f32_e32 v67, 1.0, v37
	v_add_f32_e32 v69, -1.0, v67
	v_sub_f32_e32 v37, v37, v69
	v_add_f32_e32 v37, v48, v37
	v_add_f32_e32 v48, v67, v37
	v_rcp_f32_e32 v83, v48
	v_sub_f32_e32 v67, v67, v48
	v_add_f32_e32 v37, v37, v67
	v_add_f32_e32 v67, v66, v68
	v_sub_f32_e32 v66, v66, v67
	v_mul_f32_e32 v85, v67, v83
	v_add_f32_e32 v84, v68, v66
	v_mul_f32_e32 v68, v48, v85
	v_fma_f32 v70, v85, v48, -v68
	v_fmac_f32_e32 v70, v85, v37
	v_add_f32_e32 v66, v68, v70
	v_sub_f32_e32 v69, v67, v66
	v_pk_add_f32 v[80:81], v[66:67], v[68:69] neg_lo:[0,1] neg_hi:[0,1]
	v_mov_b32_e32 v71, v66
	v_pk_add_f32 v[66:67], v[80:81], v[70:71] neg_lo:[0,1] neg_hi:[0,1]
	s_mov_b32 s52, 0x3f317218
	v_add_f32_e32 v67, v84, v67
	v_add_f32_e32 v66, v66, v67
	;; [unrolled: 1-line block ×3, first 2 shown]
	v_mul_f32_e32 v84, v83, v67
	v_mul_f32_e32 v68, v48, v84
	v_fma_f32 v70, v84, v48, -v68
	v_fmac_f32_e32 v70, v84, v37
	v_sub_f32_e32 v37, v69, v67
	v_add_f32_e32 v37, v66, v37
	v_add_f32_e32 v66, v68, v70
	v_sub_f32_e32 v69, v67, v66
	v_pk_add_f32 v[80:81], v[66:67], v[68:69] neg_lo:[0,1] neg_hi:[0,1]
	v_mov_b32_e32 v71, v66
	v_pk_add_f32 v[66:67], v[80:81], v[70:71] neg_lo:[0,1] neg_hi:[0,1]
	v_add_f32_e32 v48, v85, v84
	v_add_f32_e32 v37, v37, v67
	;; [unrolled: 1-line block ×4, first 2 shown]
	v_sub_f32_e32 v66, v48, v85
	v_mul_f32_e32 v37, v83, v37
	v_sub_f32_e32 v66, v84, v66
	v_add_f32_e32 v37, v66, v37
	v_add_f32_e32 v66, v48, v37
	v_cvt_f32_i32_e32 v68, v82
	v_mul_f32_e32 v69, v66, v66
	v_mov_b32_e32 v67, 0x3ecc95a3
	v_fmac_f32_e32 v67, 0x3e9b6dac, v69
	v_fmaak_f32 v67, v69, v67, 0x3f2aaada
	v_sub_f32_e32 v48, v66, v48
	v_ldexp_f32 v71, v66, 1
	v_mul_f32_e32 v69, v66, v69
	v_mov_b32_e32 v66, 0x3f317218
	v_pk_mul_f32 v[66:67], v[68:69], v[66:67]
	v_sub_f32_e32 v37, v37, v48
	v_fma_f32 v48, v68, s52, -v66
	v_fmamk_f32 v70, v68, 0xb102e308, v48
	v_pk_add_f32 v[68:69], v[66:67], v[70:71]
	v_ldexp_f32 v37, v37, 1
	v_sub_f32_e32 v48, v69, v71
	v_sub_f32_e32 v48, v67, v48
	v_add_f32_e32 v81, v37, v48
	v_mov_b32_e32 v80, v66
	v_pk_add_f32 v[66:67], v[68:69], v[66:67] neg_lo:[0,1] neg_hi:[0,1]
	v_pk_add_f32 v[82:83], v[68:69], v[80:81]
	v_mov_b32_e32 v71, v68
	v_mov_b32_e32 v67, v83
	v_pk_add_f32 v[84:85], v[70:71], v[66:67] neg_lo:[0,1] neg_hi:[0,1]
	v_pk_add_f32 v[66:67], v[70:71], v[66:67]
	v_cmp_eq_f32_e64 s[52:53], s58, v96
	v_mov_b32_e32 v48, v67
	v_pk_add_f32 v[70:71], v[48:49], v[68:69] neg_lo:[0,1] neg_hi:[0,1]
	v_mov_b32_e32 v66, v83
	v_mov_b32_e32 v37, v70
	v_pk_add_f32 v[86:87], v[82:83], v[36:37] neg_lo:[0,1] neg_hi:[0,1]
	v_mov_b32_e32 v82, v69
	v_mov_b32_e32 v83, v70
	;; [unrolled: 1-line block ×3, first 2 shown]
	v_pk_add_f32 v[66:67], v[66:67], v[82:83] neg_lo:[0,1] neg_hi:[0,1]
	v_mov_b32_e32 v70, v81
	v_mov_b32_e32 v71, v68
	v_pk_add_f32 v[66:67], v[70:71], v[66:67] neg_lo:[0,1] neg_hi:[0,1]
	v_mov_b32_e32 v86, v84
	v_pk_add_f32 v[68:69], v[86:87], v[66:67]
	s_mov_b32 s58, 0x33800000
	v_mov_b32_e32 v70, v69
	v_pk_add_f32 v[70:71], v[68:69], v[70:71]
	v_cmp_lt_f32_e64 s[58:59], |v96|, s58
	v_pk_add_f32 v[80:81], v[48:49], v[70:71]
	v_mov_b32_e32 v67, v70
	v_mov_b32_e32 v69, v80
	v_pk_add_f32 v[82:83], v[68:69], v[84:85] neg_lo:[0,1] neg_hi:[0,1]
	s_or_b64 s[52:53], s[52:53], s[58:59]
	v_sub_f32_e32 v37, v68, v82
	v_pk_add_f32 v[66:67], v[66:67], v[82:83] neg_lo:[0,1] neg_hi:[0,1]
	v_sub_f32_e32 v37, v84, v37
	v_add_f32_e32 v37, v66, v37
	v_add_f32_e32 v37, v37, v67
	;; [unrolled: 1-line block ×3, first 2 shown]
	v_cndmask_b32_e64 v37, v37, v96, s[52:53]
	v_add_f32_e32 v37, v38, v37
	v_cvt_f16_f32_e32 v37, v37
.LBB428_355:
	s_or_b64 exec, exec, s[56:57]
.LBB428_356:
	s_or_b64 exec, exec, s[54:55]
	v_add_u32_e32 v38, -1, v19
	v_and_b32_e32 v48, 64, v19
	v_cmp_lt_i32_e64 s[52:53], v38, v48
	v_and_b32_e32 v37, 0xffff, v37
	v_mov_b32_e32 v82, v30
	v_cndmask_b32_e64 v38, v38, v19, s[52:53]
	v_lshlrev_b32_e32 v38, 2, v38
	ds_bpermute_b32 v37, v38, v37
	s_and_saveexec_b64 s[52:53], s[2:3]
	s_cbranch_execz .LBB428_360
; %bb.357:
	v_cmp_eq_u32_e64 s[2:3], 0, v19
	v_max_f32_e32 v36, v2, v2
	s_waitcnt lgkmcnt(0)
	v_cndmask_b32_e64 v30, v37, v39, s[2:3]
	v_cvt_f32_f16_e32 v19, v30
	v_cmp_u_f16_e64 s[2:3], v30, v30
	v_min_f32_e32 v31, v19, v36
	v_max_f32_e32 v36, v19, v36
	v_cndmask_b32_e64 v31, v31, v19, s[2:3]
	v_cndmask_b32_e64 v36, v36, v19, s[2:3]
	;; [unrolled: 1-line block ×4, first 2 shown]
	s_movk_i32 s50, 0x1f8
	v_cmp_neq_f32_e64 s[2:3], v31, v2
	v_cmp_class_f32_e64 s[50:51], v31, s50
	s_or_b64 s[2:3], s[2:3], s[50:51]
	s_and_saveexec_b64 s[50:51], s[2:3]
	s_cbranch_execz .LBB428_359
; %bb.358:
	v_sub_f32_e32 v19, v31, v2
	s_mov_b32 s2, 0x3fb8aa3b
	v_mul_f32_e32 v30, 0x3fb8aa3b, v19
	v_fma_f32 v31, v19, s2, -v30
	v_rndne_f32_e32 v36, v30
	v_fmamk_f32 v31, v19, 0x32a5705f, v31
	v_sub_f32_e32 v30, v30, v36
	v_add_f32_e32 v30, v30, v31
	v_exp_f32_e32 v30, v30
	v_cvt_i32_f32_e32 v31, v36
	s_mov_b32 s2, 0xc2ce8ed0
	v_cmp_ngt_f32_e64 s[2:3], s2, v19
	s_mov_b32 s54, 0x7f800000
	v_ldexp_f32 v30, v30, v31
	v_cndmask_b32_e64 v30, 0, v30, s[2:3]
	s_mov_b32 s2, 0x42b17218
	v_mov_b32_e32 v31, 0x7f800000
	v_cmp_nlt_f32_e64 s[2:3], s2, v19
	s_nop 1
	v_cndmask_b32_e64 v84, v31, v30, s[2:3]
	v_add_f32_e32 v19, 1.0, v84
	v_add_f32_e32 v30, -1.0, v19
	v_sub_f32_e32 v31, v30, v19
	v_add_f32_e32 v31, 1.0, v31
	v_sub_f32_e32 v30, v84, v30
	v_add_f32_e32 v36, v30, v31
	v_frexp_mant_f32_e32 v37, v19
	s_mov_b32 s2, 0x3f2aaaab
	v_cvt_f64_f32_e32 v[30:31], v19
	v_frexp_exp_i32_f64_e32 v30, v[30:31]
	v_cmp_gt_f32_e64 s[2:3], s2, v37
	s_nop 1
	v_subbrev_co_u32_e64 v48, s[2:3], 0, v30, s[2:3]
	v_sub_u32_e32 v30, 0, v48
	v_ldexp_f32 v19, v19, v30
	v_ldexp_f32 v30, v36, v30
	v_add_f32_e32 v36, -1.0, v19
	v_add_f32_e32 v31, 1.0, v36
	v_sub_f32_e32 v31, v19, v31
	v_add_f32_e32 v37, v30, v31
	v_add_f32_e32 v31, 1.0, v19
	v_add_f32_e32 v38, -1.0, v31
	v_sub_f32_e32 v19, v19, v38
	v_add_f32_e32 v19, v30, v19
	v_add_f32_e32 v68, v31, v19
	v_rcp_f32_e32 v69, v68
	v_sub_f32_e32 v30, v31, v68
	v_add_f32_e32 v31, v36, v37
	v_add_f32_e32 v19, v19, v30
	v_mul_f32_e32 v71, v31, v69
	v_sub_f32_e32 v30, v36, v31
	v_mul_f32_e32 v36, v68, v71
	v_fma_f32 v38, v71, v68, -v36
	v_fmac_f32_e32 v38, v71, v19
	v_add_f32_e32 v70, v37, v30
	v_add_f32_e32 v30, v36, v38
	v_sub_f32_e32 v37, v31, v30
	v_pk_add_f32 v[66:67], v[30:31], v[36:37] neg_lo:[0,1] neg_hi:[0,1]
	v_mov_b32_e32 v39, v30
	v_pk_add_f32 v[30:31], v[66:67], v[38:39] neg_lo:[0,1] neg_hi:[0,1]
	s_mov_b32 s2, 0x3f317218
	v_add_f32_e32 v31, v70, v31
	v_add_f32_e32 v30, v30, v31
	;; [unrolled: 1-line block ×3, first 2 shown]
	v_mul_f32_e32 v70, v69, v31
	v_mul_f32_e32 v36, v68, v70
	v_fma_f32 v38, v70, v68, -v36
	v_fmac_f32_e32 v38, v70, v19
	v_sub_f32_e32 v19, v37, v31
	v_add_f32_e32 v19, v30, v19
	v_add_f32_e32 v30, v36, v38
	v_sub_f32_e32 v37, v31, v30
	v_pk_add_f32 v[66:67], v[30:31], v[36:37] neg_lo:[0,1] neg_hi:[0,1]
	v_mov_b32_e32 v39, v30
	v_pk_add_f32 v[30:31], v[66:67], v[38:39] neg_lo:[0,1] neg_hi:[0,1]
	v_cvt_f32_i32_e32 v36, v48
	v_add_f32_e32 v19, v19, v31
	v_add_f32_e32 v19, v30, v19
	v_add_f32_e32 v30, v71, v70
	v_add_f32_e32 v19, v37, v19
	v_sub_f32_e32 v31, v30, v71
	v_mul_f32_e32 v19, v69, v19
	v_sub_f32_e32 v31, v70, v31
	v_add_f32_e32 v19, v31, v19
	v_add_f32_e32 v37, v30, v19
	v_mul_f32_e32 v38, v37, v37
	v_mov_b32_e32 v31, 0x3ecc95a3
	v_fmac_f32_e32 v31, 0x3e9b6dac, v38
	v_sub_f32_e32 v30, v37, v30
	v_fmaak_f32 v31, v38, v31, 0x3f2aaada
	v_sub_f32_e32 v19, v19, v30
	v_ldexp_f32 v39, v37, 1
	v_mul_f32_e32 v37, v37, v38
	v_mov_b32_e32 v30, 0x3f317218
	v_pk_mul_f32 v[30:31], v[36:37], v[30:31]
	v_ldexp_f32 v19, v19, 1
	v_fma_f32 v37, v36, s2, -v30
	v_fmamk_f32 v38, v36, 0xb102e308, v37
	v_pk_add_f32 v[36:37], v[30:31], v[38:39]
	v_mov_b32_e32 v66, v30
	v_sub_f32_e32 v39, v37, v39
	v_sub_f32_e32 v39, v31, v39
	v_add_f32_e32 v67, v19, v39
	v_pk_add_f32 v[30:31], v[36:37], v[30:31] neg_lo:[0,1] neg_hi:[0,1]
	v_pk_add_f32 v[68:69], v[36:37], v[66:67]
	v_mov_b32_e32 v39, v36
	v_mov_b32_e32 v31, v69
	v_pk_add_f32 v[70:71], v[38:39], v[30:31] neg_lo:[0,1] neg_hi:[0,1]
	v_pk_add_f32 v[30:31], v[38:39], v[30:31]
	v_mov_b32_e32 v66, v67
	v_mov_b32_e32 v38, v31
	v_pk_add_f32 v[80:81], v[38:39], v[36:37] neg_lo:[0,1] neg_hi:[0,1]
	v_mov_b32_e32 v30, v69
	v_mov_b32_e32 v19, v80
	v_pk_add_f32 v[82:83], v[68:69], v[18:19] neg_lo:[0,1] neg_hi:[0,1]
	v_mov_b32_e32 v68, v37
	v_mov_b32_e32 v69, v80
	;; [unrolled: 1-line block ×3, first 2 shown]
	v_pk_add_f32 v[30:31], v[30:31], v[68:69] neg_lo:[0,1] neg_hi:[0,1]
	v_mov_b32_e32 v67, v36
	v_pk_add_f32 v[30:31], v[66:67], v[30:31] neg_lo:[0,1] neg_hi:[0,1]
	v_mov_b32_e32 v82, v70
	v_pk_add_f32 v[36:37], v[82:83], v[30:31]
	v_cmp_eq_f32_e64 s[2:3], s54, v84
	v_mov_b32_e32 v48, v37
	v_pk_add_f32 v[66:67], v[36:37], v[48:49]
	s_mov_b32 s54, 0x33800000
	v_pk_add_f32 v[38:39], v[38:39], v[66:67]
	v_mov_b32_e32 v31, v66
	v_mov_b32_e32 v37, v38
	v_pk_add_f32 v[68:69], v[36:37], v[70:71] neg_lo:[0,1] neg_hi:[0,1]
	v_cmp_lt_f32_e64 s[54:55], |v84|, s54
	v_sub_f32_e32 v19, v36, v68
	v_pk_add_f32 v[30:31], v[30:31], v[68:69] neg_lo:[0,1] neg_hi:[0,1]
	v_sub_f32_e32 v19, v70, v19
	v_add_f32_e32 v19, v30, v19
	v_add_f32_e32 v19, v19, v31
	;; [unrolled: 1-line block ×3, first 2 shown]
	s_or_b64 s[2:3], s[2:3], s[54:55]
	v_cndmask_b32_e64 v19, v19, v84, s[2:3]
	v_add_f32_e32 v2, v2, v19
	v_cvt_f16_f32_e32 v30, v2
	v_cvt_f32_f16_e32 v19, v30
.LBB428_359:
	s_or_b64 exec, exec, s[50:51]
	v_max_f32_e32 v2, v33, v33
	v_max_f32_e32 v36, v19, v19
	v_min_f32_e32 v31, v36, v2
	v_max_f32_e32 v36, v36, v2
	v_mov_b32_e32 v82, v30
	v_mov_b32_e32 v2, v19
	;;#ASMSTART
	;;#ASMEND
.LBB428_360:
	s_or_b64 exec, exec, s[52:53]
	v_cmp_u_f16_e64 s[2:3], v82, v82
	s_movk_i32 s50, 0x1f8
	s_nop 0
	v_cndmask_b32_e64 v19, v31, v2, s[2:3]
	s_waitcnt lgkmcnt(0)
	v_cndmask_b32_e32 v37, v19, v33, vcc
	v_cndmask_b32_e64 v19, v36, v2, s[2:3]
	v_cndmask_b32_e32 v19, v19, v33, vcc
	v_cmp_neq_f32_e32 vcc, v37, v19
	v_cmp_class_f32_e64 s[2:3], v37, s50
	s_or_b64 vcc, vcc, s[2:3]
	v_mov_b32_e32 v31, v30
	s_and_saveexec_b64 s[2:3], vcc
	s_cbranch_execz .LBB428_362
; %bb.361:
	v_sub_f32_e32 v2, v37, v19
	s_mov_b32 s51, 0x3fb8aa3b
	v_mul_f32_e32 v31, 0x3fb8aa3b, v2
	v_fma_f32 v33, v2, s51, -v31
	v_rndne_f32_e32 v36, v31
	v_fmamk_f32 v33, v2, 0x32a5705f, v33
	v_sub_f32_e32 v31, v31, v36
	v_add_f32_e32 v31, v31, v33
	v_exp_f32_e32 v31, v31
	v_cvt_i32_f32_e32 v33, v36
	s_mov_b32 s51, 0xc2ce8ed0
	v_cmp_ngt_f32_e32 vcc, s51, v2
	s_mov_b32 s51, 0x42b17218
	v_ldexp_f32 v31, v31, v33
	v_cndmask_b32_e32 v31, 0, v31, vcc
	v_mov_b32_e32 v33, 0x7f800000
	v_cmp_nlt_f32_e32 vcc, s51, v2
	s_mov_b32 s51, 0x3f2aaaab
	s_mov_b32 s52, 0x7f800000
	v_cndmask_b32_e32 v33, v33, v31, vcc
	v_add_f32_e32 v2, 1.0, v33
	v_add_f32_e32 v31, -1.0, v2
	v_sub_f32_e32 v36, v31, v2
	v_add_f32_e32 v36, 1.0, v36
	v_sub_f32_e32 v31, v33, v31
	v_add_f32_e32 v31, v31, v36
	v_frexp_mant_f32_e32 v38, v2
	v_cvt_f64_f32_e32 v[36:37], v2
	v_frexp_exp_i32_f64_e32 v36, v[36:37]
	v_cmp_gt_f32_e32 vcc, s51, v38
	s_mov_b32 s51, 0x3f317218
	s_nop 0
	v_subbrev_co_u32_e32 v48, vcc, 0, v36, vcc
	v_sub_u32_e32 v36, 0, v48
	v_ldexp_f32 v2, v2, v36
	v_ldexp_f32 v31, v31, v36
	v_add_f32_e32 v36, -1.0, v2
	v_add_f32_e32 v37, 1.0, v36
	v_sub_f32_e32 v37, v2, v37
	v_add_f32_e32 v38, v31, v37
	v_add_f32_e32 v37, 1.0, v2
	v_add_f32_e32 v39, -1.0, v37
	v_sub_f32_e32 v2, v2, v39
	v_add_f32_e32 v2, v31, v2
	v_add_f32_e32 v31, v37, v2
	v_rcp_f32_e32 v70, v31
	v_sub_f32_e32 v37, v37, v31
	v_add_f32_e32 v2, v2, v37
	v_add_f32_e32 v37, v36, v38
	v_sub_f32_e32 v36, v36, v37
	v_mul_f32_e32 v80, v37, v70
	v_add_f32_e32 v71, v38, v36
	v_mul_f32_e32 v38, v31, v80
	v_fma_f32 v66, v80, v31, -v38
	v_fmac_f32_e32 v66, v80, v2
	v_add_f32_e32 v36, v38, v66
	v_sub_f32_e32 v39, v37, v36
	v_pk_add_f32 v[68:69], v[36:37], v[38:39] neg_lo:[0,1] neg_hi:[0,1]
	v_mov_b32_e32 v67, v36
	v_pk_add_f32 v[36:37], v[68:69], v[66:67] neg_lo:[0,1] neg_hi:[0,1]
	v_cmp_eq_f32_e32 vcc, s52, v33
	v_add_f32_e32 v37, v71, v37
	v_add_f32_e32 v36, v36, v37
	;; [unrolled: 1-line block ×3, first 2 shown]
	v_mul_f32_e32 v71, v70, v37
	v_mul_f32_e32 v38, v31, v71
	v_fma_f32 v66, v71, v31, -v38
	v_fmac_f32_e32 v66, v71, v2
	v_sub_f32_e32 v2, v39, v37
	v_add_f32_e32 v2, v36, v2
	v_add_f32_e32 v36, v38, v66
	v_sub_f32_e32 v39, v37, v36
	v_pk_add_f32 v[68:69], v[36:37], v[38:39] neg_lo:[0,1] neg_hi:[0,1]
	v_mov_b32_e32 v67, v36
	v_pk_add_f32 v[36:37], v[68:69], v[66:67] neg_lo:[0,1] neg_hi:[0,1]
	v_add_f32_e32 v31, v80, v71
	v_add_f32_e32 v2, v2, v37
	;; [unrolled: 1-line block ×4, first 2 shown]
	v_sub_f32_e32 v36, v31, v80
	v_mul_f32_e32 v2, v70, v2
	v_sub_f32_e32 v36, v71, v36
	v_add_f32_e32 v2, v36, v2
	v_add_f32_e32 v36, v31, v2
	v_cvt_f32_i32_e32 v38, v48
	v_mul_f32_e32 v39, v36, v36
	v_mov_b32_e32 v37, 0x3ecc95a3
	v_fmac_f32_e32 v37, 0x3e9b6dac, v39
	v_fmaak_f32 v37, v39, v37, 0x3f2aaada
	v_sub_f32_e32 v31, v36, v31
	v_ldexp_f32 v67, v36, 1
	v_mul_f32_e32 v39, v36, v39
	v_mov_b32_e32 v36, 0x3f317218
	v_pk_mul_f32 v[36:37], v[38:39], v[36:37]
	v_sub_f32_e32 v2, v2, v31
	v_fma_f32 v31, v38, s51, -v36
	v_fmamk_f32 v66, v38, 0xb102e308, v31
	v_pk_add_f32 v[38:39], v[36:37], v[66:67]
	v_ldexp_f32 v2, v2, 1
	v_sub_f32_e32 v31, v39, v67
	v_sub_f32_e32 v31, v37, v31
	v_add_f32_e32 v69, v2, v31
	v_mov_b32_e32 v68, v36
	v_pk_add_f32 v[36:37], v[38:39], v[36:37] neg_lo:[0,1] neg_hi:[0,1]
	v_pk_add_f32 v[70:71], v[38:39], v[68:69]
	v_mov_b32_e32 v67, v38
	v_mov_b32_e32 v37, v71
	v_pk_add_f32 v[80:81], v[66:67], v[36:37] neg_lo:[0,1] neg_hi:[0,1]
	v_pk_add_f32 v[36:37], v[66:67], v[36:37]
	s_mov_b32 s51, 0x33800000
	v_mov_b32_e32 v2, v37
	v_pk_add_f32 v[66:67], v[2:3], v[38:39] neg_lo:[0,1] neg_hi:[0,1]
	v_mov_b32_e32 v36, v71
	v_mov_b32_e32 v31, v66
	v_pk_add_f32 v[82:83], v[70:71], v[30:31] neg_lo:[0,1] neg_hi:[0,1]
	v_mov_b32_e32 v70, v39
	v_mov_b32_e32 v71, v66
	;; [unrolled: 1-line block ×3, first 2 shown]
	v_pk_add_f32 v[36:37], v[36:37], v[70:71] neg_lo:[0,1] neg_hi:[0,1]
	v_mov_b32_e32 v66, v69
	v_mov_b32_e32 v67, v38
	v_pk_add_f32 v[36:37], v[66:67], v[36:37] neg_lo:[0,1] neg_hi:[0,1]
	v_mov_b32_e32 v82, v80
	v_pk_add_f32 v[38:39], v[82:83], v[36:37]
	v_cmp_lt_f32_e64 s[52:53], |v33|, s51
	v_mov_b32_e32 v48, v39
	v_pk_add_f32 v[66:67], v[38:39], v[48:49]
	s_or_b64 vcc, vcc, s[52:53]
	v_pk_add_f32 v[68:69], v[2:3], v[66:67]
	v_mov_b32_e32 v37, v66
	v_mov_b32_e32 v39, v68
	v_pk_add_f32 v[70:71], v[38:39], v[80:81] neg_lo:[0,1] neg_hi:[0,1]
	s_nop 0
	v_sub_f32_e32 v2, v38, v70
	v_pk_add_f32 v[36:37], v[36:37], v[70:71] neg_lo:[0,1] neg_hi:[0,1]
	v_sub_f32_e32 v2, v80, v2
	v_add_f32_e32 v2, v36, v2
	v_add_f32_e32 v2, v2, v37
	;; [unrolled: 1-line block ×3, first 2 shown]
	v_cndmask_b32_e32 v2, v2, v33, vcc
	v_add_f32_e32 v2, v19, v2
	v_cvt_f16_f32_e32 v82, v2
	v_cvt_f32_f16_e32 v2, v82
	v_mov_b32_e32 v31, v82
.LBB428_362:
	s_or_b64 exec, exec, s[2:3]
	v_max_f32_e32 v33, v3, v3
	v_max_f32_e32 v36, v2, v2
	v_min_f32_e32 v19, v36, v33
	v_cmp_u_f16_e32 vcc, v82, v82
	v_max_f32_e32 v33, v36, v33
	v_mov_b32_e32 v36, v31
	v_cndmask_b32_e32 v19, v19, v2, vcc
	v_cndmask_b32_e32 v33, v33, v2, vcc
	v_cndmask_b32_e64 v19, v19, v3, s[4:5]
	v_cndmask_b32_e64 v3, v33, v3, s[4:5]
	v_cmp_neq_f32_e32 vcc, v19, v3
	v_cmp_class_f32_e64 s[2:3], v19, s50
	s_or_b64 s[4:5], vcc, s[2:3]
	s_and_saveexec_b64 s[2:3], s[4:5]
	s_cbranch_execz .LBB428_364
; %bb.363:
	v_sub_f32_e32 v2, v19, v3
	s_mov_b32 s4, 0x3fb8aa3b
	v_mul_f32_e32 v19, 0x3fb8aa3b, v2
	v_fma_f32 v33, v2, s4, -v19
	v_rndne_f32_e32 v36, v19
	v_fmamk_f32 v33, v2, 0x32a5705f, v33
	v_sub_f32_e32 v19, v19, v36
	v_add_f32_e32 v19, v19, v33
	v_exp_f32_e32 v19, v19
	v_cvt_i32_f32_e32 v33, v36
	s_mov_b32 s4, 0xc2ce8ed0
	v_cmp_ngt_f32_e32 vcc, s4, v2
	s_mov_b32 s4, 0x42b17218
	v_ldexp_f32 v19, v19, v33
	v_cndmask_b32_e32 v19, 0, v19, vcc
	v_mov_b32_e32 v33, 0x7f800000
	v_cmp_nlt_f32_e32 vcc, s4, v2
	s_mov_b32 s4, 0x3f2aaaab
	s_mov_b32 s5, 0x7f800000
	v_cndmask_b32_e32 v33, v33, v19, vcc
	v_add_f32_e32 v2, 1.0, v33
	v_add_f32_e32 v19, -1.0, v2
	v_sub_f32_e32 v36, v19, v2
	v_add_f32_e32 v36, 1.0, v36
	v_sub_f32_e32 v19, v33, v19
	v_add_f32_e32 v19, v19, v36
	v_frexp_mant_f32_e32 v38, v2
	v_cvt_f64_f32_e32 v[36:37], v2
	v_frexp_exp_i32_f64_e32 v36, v[36:37]
	v_cmp_gt_f32_e32 vcc, s4, v38
	s_mov_b32 s4, 0x3f317218
	s_nop 0
	v_subbrev_co_u32_e32 v48, vcc, 0, v36, vcc
	v_sub_u32_e32 v36, 0, v48
	v_ldexp_f32 v2, v2, v36
	v_ldexp_f32 v19, v19, v36
	v_add_f32_e32 v36, -1.0, v2
	v_add_f32_e32 v37, 1.0, v36
	v_sub_f32_e32 v37, v2, v37
	v_add_f32_e32 v38, v19, v37
	v_add_f32_e32 v37, 1.0, v2
	v_add_f32_e32 v39, -1.0, v37
	v_sub_f32_e32 v2, v2, v39
	v_add_f32_e32 v2, v19, v2
	v_add_f32_e32 v19, v37, v2
	v_rcp_f32_e32 v70, v19
	v_sub_f32_e32 v37, v37, v19
	v_add_f32_e32 v2, v2, v37
	v_add_f32_e32 v37, v36, v38
	v_sub_f32_e32 v36, v36, v37
	v_mul_f32_e32 v80, v37, v70
	v_add_f32_e32 v71, v38, v36
	v_mul_f32_e32 v38, v19, v80
	v_fma_f32 v66, v80, v19, -v38
	v_fmac_f32_e32 v66, v80, v2
	v_add_f32_e32 v36, v38, v66
	v_sub_f32_e32 v39, v37, v36
	v_pk_add_f32 v[68:69], v[36:37], v[38:39] neg_lo:[0,1] neg_hi:[0,1]
	v_mov_b32_e32 v67, v36
	v_pk_add_f32 v[36:37], v[68:69], v[66:67] neg_lo:[0,1] neg_hi:[0,1]
	v_cmp_eq_f32_e32 vcc, s5, v33
	v_add_f32_e32 v37, v71, v37
	v_add_f32_e32 v36, v36, v37
	;; [unrolled: 1-line block ×3, first 2 shown]
	v_mul_f32_e32 v71, v70, v37
	v_mul_f32_e32 v38, v19, v71
	v_fma_f32 v66, v71, v19, -v38
	v_fmac_f32_e32 v66, v71, v2
	v_sub_f32_e32 v2, v39, v37
	v_add_f32_e32 v2, v36, v2
	v_add_f32_e32 v36, v38, v66
	v_sub_f32_e32 v39, v37, v36
	v_pk_add_f32 v[68:69], v[36:37], v[38:39] neg_lo:[0,1] neg_hi:[0,1]
	v_mov_b32_e32 v67, v36
	v_pk_add_f32 v[36:37], v[68:69], v[66:67] neg_lo:[0,1] neg_hi:[0,1]
	v_add_f32_e32 v19, v80, v71
	v_add_f32_e32 v2, v2, v37
	;; [unrolled: 1-line block ×4, first 2 shown]
	v_sub_f32_e32 v36, v19, v80
	v_mul_f32_e32 v2, v70, v2
	v_sub_f32_e32 v36, v71, v36
	v_add_f32_e32 v2, v36, v2
	v_add_f32_e32 v36, v19, v2
	v_cvt_f32_i32_e32 v38, v48
	v_mul_f32_e32 v39, v36, v36
	v_mov_b32_e32 v37, 0x3ecc95a3
	v_fmac_f32_e32 v37, 0x3e9b6dac, v39
	v_fmaak_f32 v37, v39, v37, 0x3f2aaada
	v_sub_f32_e32 v19, v36, v19
	v_ldexp_f32 v67, v36, 1
	v_mul_f32_e32 v39, v36, v39
	v_mov_b32_e32 v36, 0x3f317218
	v_pk_mul_f32 v[36:37], v[38:39], v[36:37]
	v_sub_f32_e32 v2, v2, v19
	v_fma_f32 v19, v38, s4, -v36
	v_fmamk_f32 v66, v38, 0xb102e308, v19
	v_pk_add_f32 v[38:39], v[36:37], v[66:67]
	v_ldexp_f32 v2, v2, 1
	v_sub_f32_e32 v19, v39, v67
	v_sub_f32_e32 v19, v37, v19
	v_add_f32_e32 v69, v2, v19
	v_mov_b32_e32 v68, v36
	v_pk_add_f32 v[36:37], v[38:39], v[36:37] neg_lo:[0,1] neg_hi:[0,1]
	v_pk_add_f32 v[70:71], v[38:39], v[68:69]
	v_mov_b32_e32 v67, v38
	v_mov_b32_e32 v37, v71
	v_pk_add_f32 v[80:81], v[66:67], v[36:37] neg_lo:[0,1] neg_hi:[0,1]
	v_pk_add_f32 v[36:37], v[66:67], v[36:37]
	s_mov_b32 s4, 0x33800000
	v_mov_b32_e32 v2, v37
	v_pk_add_f32 v[66:67], v[2:3], v[38:39] neg_lo:[0,1] neg_hi:[0,1]
	v_mov_b32_e32 v36, v71
	v_mov_b32_e32 v19, v66
	v_pk_add_f32 v[82:83], v[70:71], v[18:19] neg_lo:[0,1] neg_hi:[0,1]
	v_mov_b32_e32 v70, v39
	v_mov_b32_e32 v71, v66
	;; [unrolled: 1-line block ×3, first 2 shown]
	v_pk_add_f32 v[36:37], v[36:37], v[70:71] neg_lo:[0,1] neg_hi:[0,1]
	v_mov_b32_e32 v66, v69
	v_mov_b32_e32 v67, v38
	v_pk_add_f32 v[36:37], v[66:67], v[36:37] neg_lo:[0,1] neg_hi:[0,1]
	v_mov_b32_e32 v82, v80
	v_pk_add_f32 v[38:39], v[82:83], v[36:37]
	v_cmp_lt_f32_e64 s[4:5], |v33|, s4
	v_mov_b32_e32 v48, v39
	v_pk_add_f32 v[66:67], v[38:39], v[48:49]
	s_or_b64 vcc, vcc, s[4:5]
	v_pk_add_f32 v[68:69], v[2:3], v[66:67]
	v_mov_b32_e32 v37, v66
	v_mov_b32_e32 v39, v68
	v_pk_add_f32 v[70:71], v[38:39], v[80:81] neg_lo:[0,1] neg_hi:[0,1]
	s_nop 0
	v_sub_f32_e32 v2, v38, v70
	v_pk_add_f32 v[36:37], v[36:37], v[70:71] neg_lo:[0,1] neg_hi:[0,1]
	v_sub_f32_e32 v2, v80, v2
	v_add_f32_e32 v2, v36, v2
	v_add_f32_e32 v2, v2, v37
	;; [unrolled: 1-line block ×3, first 2 shown]
	v_cndmask_b32_e32 v2, v2, v33, vcc
	v_add_f32_e32 v2, v3, v2
	v_cvt_f16_f32_e32 v82, v2
	v_cvt_f32_f16_e32 v2, v82
	v_mov_b32_e32 v36, v82
.LBB428_364:
	s_or_b64 exec, exec, s[2:3]
	v_max_f32_e32 v3, v6, v6
	v_max_f32_e32 v33, v2, v2
	v_min_f32_e32 v19, v33, v3
	v_cmp_u_f16_e32 vcc, v82, v82
	v_max_f32_e32 v3, v33, v3
	s_movk_i32 s4, 0x1f8
	v_cndmask_b32_e32 v19, v19, v2, vcc
	v_cndmask_b32_e32 v3, v3, v2, vcc
	v_cndmask_b32_e64 v19, v19, v6, s[6:7]
	v_cndmask_b32_e64 v3, v3, v6, s[6:7]
	v_cmp_neq_f32_e32 vcc, v19, v3
	v_cmp_class_f32_e64 s[2:3], v19, s4
	s_or_b64 s[6:7], vcc, s[2:3]
	v_mov_b32_e32 v37, v36
	s_and_saveexec_b64 s[2:3], s[6:7]
	s_cbranch_execz .LBB428_366
; %bb.365:
	v_sub_f32_e32 v2, v19, v3
	s_mov_b32 s5, 0x3fb8aa3b
	v_mul_f32_e32 v6, 0x3fb8aa3b, v2
	v_fma_f32 v19, v2, s5, -v6
	v_rndne_f32_e32 v33, v6
	v_fmamk_f32 v19, v2, 0x32a5705f, v19
	v_sub_f32_e32 v6, v6, v33
	v_add_f32_e32 v6, v6, v19
	v_exp_f32_e32 v6, v6
	v_cvt_i32_f32_e32 v19, v33
	s_mov_b32 s5, 0xc2ce8ed0
	v_cmp_ngt_f32_e32 vcc, s5, v2
	s_mov_b32 s5, 0x42b17218
	v_ldexp_f32 v6, v6, v19
	v_cndmask_b32_e32 v6, 0, v6, vcc
	v_mov_b32_e32 v19, 0x7f800000
	v_cmp_nlt_f32_e32 vcc, s5, v2
	s_mov_b32 s5, 0x3f2aaaab
	s_mov_b32 s6, 0x7f800000
	v_cndmask_b32_e32 v33, v19, v6, vcc
	v_add_f32_e32 v2, 1.0, v33
	v_add_f32_e32 v6, -1.0, v2
	v_sub_f32_e32 v19, v6, v2
	v_add_f32_e32 v19, 1.0, v19
	v_sub_f32_e32 v6, v33, v6
	v_add_f32_e32 v6, v6, v19
	v_frexp_mant_f32_e32 v19, v2
	v_cvt_f64_f32_e32 v[38:39], v2
	v_frexp_exp_i32_f64_e32 v37, v[38:39]
	v_cmp_gt_f32_e32 vcc, s5, v19
	s_mov_b32 s5, 0x3f317218
	s_nop 0
	v_subbrev_co_u32_e32 v19, vcc, 0, v37, vcc
	v_sub_u32_e32 v37, 0, v19
	v_ldexp_f32 v2, v2, v37
	v_ldexp_f32 v6, v6, v37
	v_add_f32_e32 v37, -1.0, v2
	v_add_f32_e32 v39, 1.0, v2
	v_add_f32_e32 v38, 1.0, v37
	v_add_f32_e32 v48, -1.0, v39
	v_sub_f32_e32 v38, v2, v38
	v_sub_f32_e32 v2, v2, v48
	v_add_f32_e32 v2, v6, v2
	v_add_f32_e32 v38, v6, v38
	;; [unrolled: 1-line block ×3, first 2 shown]
	v_rcp_f32_e32 v48, v6
	v_sub_f32_e32 v39, v39, v6
	v_add_f32_e32 v2, v2, v39
	v_add_f32_e32 v39, v37, v38
	v_mul_f32_e32 v80, v39, v48
	v_mul_f32_e32 v66, v6, v80
	v_fma_f32 v68, v80, v6, -v66
	v_sub_f32_e32 v37, v37, v39
	v_fmac_f32_e32 v68, v80, v2
	v_add_f32_e32 v37, v38, v37
	v_add_f32_e32 v38, v66, v68
	v_sub_f32_e32 v67, v39, v38
	v_pk_add_f32 v[70:71], v[38:39], v[66:67] neg_lo:[0,1] neg_hi:[0,1]
	v_mov_b32_e32 v69, v38
	v_pk_add_f32 v[38:39], v[70:71], v[68:69] neg_lo:[0,1] neg_hi:[0,1]
	v_cmp_eq_f32_e32 vcc, s6, v33
	v_add_f32_e32 v37, v37, v39
	v_add_f32_e32 v37, v38, v37
	;; [unrolled: 1-line block ×3, first 2 shown]
	v_mul_f32_e32 v81, v48, v39
	v_mul_f32_e32 v66, v6, v81
	v_fma_f32 v68, v81, v6, -v66
	v_fmac_f32_e32 v68, v81, v2
	v_add_f32_e32 v38, v66, v68
	v_sub_f32_e32 v2, v67, v39
	v_sub_f32_e32 v67, v39, v38
	v_pk_add_f32 v[70:71], v[38:39], v[66:67] neg_lo:[0,1] neg_hi:[0,1]
	v_mov_b32_e32 v69, v38
	v_add_f32_e32 v2, v37, v2
	v_pk_add_f32 v[38:39], v[70:71], v[68:69] neg_lo:[0,1] neg_hi:[0,1]
	v_add_f32_e32 v6, v80, v81
	v_add_f32_e32 v2, v2, v39
	;; [unrolled: 1-line block ×4, first 2 shown]
	v_sub_f32_e32 v37, v6, v80
	v_mul_f32_e32 v2, v48, v2
	v_sub_f32_e32 v37, v81, v37
	v_add_f32_e32 v2, v37, v2
	v_add_f32_e32 v37, v6, v2
	v_cvt_f32_i32_e32 v66, v19
	v_mul_f32_e32 v38, v37, v37
	v_mov_b32_e32 v39, 0x3ecc95a3
	v_fmac_f32_e32 v39, 0x3e9b6dac, v38
	v_fmaak_f32 v39, v38, v39, 0x3f2aaada
	v_mul_f32_e32 v67, v37, v38
	v_mov_b32_e32 v38, 0x3f317218
	v_sub_f32_e32 v6, v37, v6
	v_pk_mul_f32 v[38:39], v[66:67], v[38:39]
	v_sub_f32_e32 v2, v2, v6
	v_fma_f32 v6, v66, s5, -v38
	v_ldexp_f32 v69, v37, 1
	v_fmamk_f32 v68, v66, 0xb102e308, v6
	v_pk_add_f32 v[66:67], v[38:39], v[68:69]
	v_ldexp_f32 v2, v2, 1
	v_sub_f32_e32 v6, v67, v69
	v_sub_f32_e32 v6, v39, v6
	v_add_f32_e32 v71, v2, v6
	v_mov_b32_e32 v70, v38
	v_pk_add_f32 v[38:39], v[66:67], v[38:39] neg_lo:[0,1] neg_hi:[0,1]
	v_pk_add_f32 v[80:81], v[66:67], v[70:71]
	v_mov_b32_e32 v69, v66
	v_mov_b32_e32 v39, v81
	v_pk_add_f32 v[82:83], v[68:69], v[38:39] neg_lo:[0,1] neg_hi:[0,1]
	v_pk_add_f32 v[38:39], v[68:69], v[38:39]
	s_mov_b32 s5, 0x33800000
	v_mov_b32_e32 v2, v39
	v_pk_add_f32 v[68:69], v[2:3], v[66:67] neg_lo:[0,1] neg_hi:[0,1]
	v_mov_b32_e32 v38, v81
	v_mov_b32_e32 v19, v68
	v_pk_add_f32 v[84:85], v[80:81], v[18:19] neg_lo:[0,1] neg_hi:[0,1]
	v_mov_b32_e32 v80, v67
	v_mov_b32_e32 v81, v68
	v_mov_b32_e32 v83, v39
	v_pk_add_f32 v[38:39], v[38:39], v[80:81] neg_lo:[0,1] neg_hi:[0,1]
	v_mov_b32_e32 v68, v71
	v_mov_b32_e32 v69, v66
	v_pk_add_f32 v[38:39], v[68:69], v[38:39] neg_lo:[0,1] neg_hi:[0,1]
	v_mov_b32_e32 v84, v82
	v_pk_add_f32 v[66:67], v[84:85], v[38:39]
	v_cmp_lt_f32_e64 s[6:7], |v33|, s5
	v_mov_b32_e32 v6, v67
	v_pk_add_f32 v[68:69], v[66:67], v[6:7]
	s_or_b64 vcc, vcc, s[6:7]
	v_pk_add_f32 v[70:71], v[2:3], v[68:69]
	v_mov_b32_e32 v39, v68
	v_mov_b32_e32 v67, v70
	v_pk_add_f32 v[80:81], v[66:67], v[82:83] neg_lo:[0,1] neg_hi:[0,1]
	s_nop 0
	v_sub_f32_e32 v2, v66, v80
	v_pk_add_f32 v[38:39], v[38:39], v[80:81] neg_lo:[0,1] neg_hi:[0,1]
	v_sub_f32_e32 v2, v82, v2
	v_add_f32_e32 v2, v38, v2
	v_add_f32_e32 v2, v2, v39
	;; [unrolled: 1-line block ×3, first 2 shown]
	v_cndmask_b32_e32 v2, v2, v33, vcc
	v_add_f32_e32 v2, v3, v2
	v_cvt_f16_f32_e32 v82, v2
	v_cvt_f32_f16_e32 v2, v82
	v_mov_b32_e32 v37, v82
.LBB428_366:
	s_or_b64 exec, exec, s[2:3]
	v_max_f32_e32 v3, v7, v7
	v_max_f32_e32 v19, v2, v2
	v_min_f32_e32 v6, v19, v3
	v_cmp_u_f16_e32 vcc, v82, v82
	v_max_f32_e32 v3, v19, v3
	v_mov_b32_e32 v38, v37
	v_cndmask_b32_e32 v6, v6, v2, vcc
	v_cndmask_b32_e32 v3, v3, v2, vcc
	v_cndmask_b32_e64 v6, v6, v7, s[8:9]
	v_cndmask_b32_e64 v3, v3, v7, s[8:9]
	v_cmp_neq_f32_e32 vcc, v6, v3
	v_cmp_class_f32_e64 s[2:3], v6, s4
	s_or_b64 s[4:5], vcc, s[2:3]
	s_and_saveexec_b64 s[2:3], s[4:5]
	s_cbranch_execz .LBB428_368
; %bb.367:
	v_sub_f32_e32 v2, v6, v3
	s_mov_b32 s4, 0x3fb8aa3b
	v_mul_f32_e32 v6, 0x3fb8aa3b, v2
	v_fma_f32 v7, v2, s4, -v6
	v_rndne_f32_e32 v19, v6
	v_fmamk_f32 v7, v2, 0x32a5705f, v7
	v_sub_f32_e32 v6, v6, v19
	v_add_f32_e32 v6, v6, v7
	v_exp_f32_e32 v6, v6
	v_cvt_i32_f32_e32 v7, v19
	s_mov_b32 s4, 0xc2ce8ed0
	v_cmp_ngt_f32_e32 vcc, s4, v2
	s_mov_b32 s4, 0x42b17218
	v_ldexp_f32 v6, v6, v7
	v_cndmask_b32_e32 v6, 0, v6, vcc
	v_mov_b32_e32 v7, 0x7f800000
	v_cmp_nlt_f32_e32 vcc, s4, v2
	s_mov_b32 s4, 0x3f2aaaab
	s_mov_b32 s5, 0x7f800000
	v_cndmask_b32_e32 v33, v7, v6, vcc
	v_add_f32_e32 v2, 1.0, v33
	v_add_f32_e32 v6, -1.0, v2
	v_sub_f32_e32 v7, v6, v2
	v_add_f32_e32 v7, 1.0, v7
	v_sub_f32_e32 v6, v33, v6
	v_add_f32_e32 v19, v6, v7
	v_frexp_mant_f32_e32 v38, v2
	v_cvt_f64_f32_e32 v[6:7], v2
	v_frexp_exp_i32_f64_e32 v6, v[6:7]
	v_cmp_gt_f32_e32 vcc, s4, v38
	s_mov_b32 s4, 0x3f317218
	s_nop 0
	v_subbrev_co_u32_e32 v48, vcc, 0, v6, vcc
	v_sub_u32_e32 v6, 0, v48
	v_ldexp_f32 v2, v2, v6
	v_ldexp_f32 v6, v19, v6
	v_add_f32_e32 v19, -1.0, v2
	v_add_f32_e32 v7, 1.0, v19
	v_sub_f32_e32 v7, v2, v7
	v_add_f32_e32 v38, v6, v7
	v_add_f32_e32 v7, 1.0, v2
	v_add_f32_e32 v39, -1.0, v7
	v_sub_f32_e32 v2, v2, v39
	v_add_f32_e32 v2, v6, v2
	v_add_f32_e32 v70, v7, v2
	v_rcp_f32_e32 v71, v70
	v_sub_f32_e32 v6, v7, v70
	v_add_f32_e32 v7, v19, v38
	v_add_f32_e32 v2, v2, v6
	v_sub_f32_e32 v6, v19, v7
	v_mul_f32_e32 v80, v7, v71
	v_add_f32_e32 v19, v38, v6
	v_mul_f32_e32 v38, v70, v80
	v_fma_f32 v66, v80, v70, -v38
	v_fmac_f32_e32 v66, v80, v2
	v_add_f32_e32 v6, v38, v66
	v_sub_f32_e32 v39, v7, v6
	v_pk_add_f32 v[68:69], v[6:7], v[38:39] neg_lo:[0,1] neg_hi:[0,1]
	v_mov_b32_e32 v67, v6
	v_pk_add_f32 v[6:7], v[68:69], v[66:67] neg_lo:[0,1] neg_hi:[0,1]
	v_cmp_eq_f32_e32 vcc, s5, v33
	v_add_f32_e32 v7, v19, v7
	v_add_f32_e32 v6, v6, v7
	;; [unrolled: 1-line block ×3, first 2 shown]
	v_mul_f32_e32 v19, v71, v7
	v_mul_f32_e32 v38, v70, v19
	v_fma_f32 v66, v19, v70, -v38
	v_fmac_f32_e32 v66, v19, v2
	v_sub_f32_e32 v2, v39, v7
	v_add_f32_e32 v2, v6, v2
	v_add_f32_e32 v6, v38, v66
	v_sub_f32_e32 v39, v7, v6
	v_pk_add_f32 v[68:69], v[6:7], v[38:39] neg_lo:[0,1] neg_hi:[0,1]
	v_mov_b32_e32 v67, v6
	v_pk_add_f32 v[6:7], v[68:69], v[66:67] neg_lo:[0,1] neg_hi:[0,1]
	v_cvt_f32_i32_e32 v38, v48
	v_add_f32_e32 v2, v2, v7
	v_add_f32_e32 v2, v6, v2
	;; [unrolled: 1-line block ×4, first 2 shown]
	v_sub_f32_e32 v7, v6, v80
	v_mul_f32_e32 v2, v71, v2
	v_sub_f32_e32 v7, v19, v7
	v_add_f32_e32 v2, v7, v2
	v_add_f32_e32 v19, v6, v2
	v_mul_f32_e32 v39, v19, v19
	v_mov_b32_e32 v7, 0x3ecc95a3
	v_fmac_f32_e32 v7, 0x3e9b6dac, v39
	v_sub_f32_e32 v6, v19, v6
	v_fmaak_f32 v7, v39, v7, 0x3f2aaada
	v_sub_f32_e32 v2, v2, v6
	v_mul_f32_e32 v39, v19, v39
	v_mov_b32_e32 v6, 0x3f317218
	v_pk_mul_f32 v[6:7], v[38:39], v[6:7]
	v_ldexp_f32 v67, v19, 1
	v_fma_f32 v19, v38, s4, -v6
	v_fmamk_f32 v66, v38, 0xb102e308, v19
	v_pk_add_f32 v[38:39], v[6:7], v[66:67]
	v_ldexp_f32 v2, v2, 1
	v_sub_f32_e32 v19, v39, v67
	v_sub_f32_e32 v19, v7, v19
	v_add_f32_e32 v69, v2, v19
	v_mov_b32_e32 v68, v6
	v_pk_add_f32 v[6:7], v[38:39], v[6:7] neg_lo:[0,1] neg_hi:[0,1]
	v_pk_add_f32 v[70:71], v[38:39], v[68:69]
	v_mov_b32_e32 v67, v38
	v_mov_b32_e32 v7, v71
	v_pk_add_f32 v[80:81], v[66:67], v[6:7] neg_lo:[0,1] neg_hi:[0,1]
	v_pk_add_f32 v[6:7], v[66:67], v[6:7]
	s_mov_b32 s4, 0x33800000
	v_mov_b32_e32 v2, v7
	v_pk_add_f32 v[66:67], v[2:3], v[38:39] neg_lo:[0,1] neg_hi:[0,1]
	v_mov_b32_e32 v6, v71
	v_mov_b32_e32 v19, v66
	v_pk_add_f32 v[82:83], v[70:71], v[18:19] neg_lo:[0,1] neg_hi:[0,1]
	v_mov_b32_e32 v70, v39
	v_mov_b32_e32 v71, v66
	;; [unrolled: 1-line block ×3, first 2 shown]
	v_pk_add_f32 v[6:7], v[6:7], v[70:71] neg_lo:[0,1] neg_hi:[0,1]
	v_mov_b32_e32 v66, v69
	v_mov_b32_e32 v67, v38
	v_pk_add_f32 v[6:7], v[66:67], v[6:7] neg_lo:[0,1] neg_hi:[0,1]
	v_mov_b32_e32 v82, v80
	v_pk_add_f32 v[38:39], v[82:83], v[6:7]
	v_cmp_lt_f32_e64 s[4:5], |v33|, s4
	v_mov_b32_e32 v48, v39
	v_pk_add_f32 v[66:67], v[38:39], v[48:49]
	s_or_b64 vcc, vcc, s[4:5]
	v_pk_add_f32 v[68:69], v[2:3], v[66:67]
	v_mov_b32_e32 v7, v66
	v_mov_b32_e32 v39, v68
	v_pk_add_f32 v[70:71], v[38:39], v[80:81] neg_lo:[0,1] neg_hi:[0,1]
	s_nop 0
	v_sub_f32_e32 v2, v38, v70
	v_pk_add_f32 v[6:7], v[6:7], v[70:71] neg_lo:[0,1] neg_hi:[0,1]
	v_sub_f32_e32 v2, v80, v2
	v_add_f32_e32 v2, v6, v2
	v_add_f32_e32 v2, v2, v7
	;; [unrolled: 1-line block ×3, first 2 shown]
	v_cndmask_b32_e32 v2, v2, v33, vcc
	v_add_f32_e32 v2, v3, v2
	v_cvt_f16_f32_e32 v82, v2
	v_cvt_f32_f16_e32 v2, v82
	v_mov_b32_e32 v38, v82
.LBB428_368:
	s_or_b64 exec, exec, s[2:3]
	v_max_f32_e32 v3, v24, v24
	v_max_f32_e32 v7, v2, v2
	v_min_f32_e32 v6, v7, v3
	v_cmp_u_f16_e32 vcc, v82, v82
	v_max_f32_e32 v3, v7, v3
	s_movk_i32 s4, 0x1f8
	v_cndmask_b32_e32 v6, v6, v2, vcc
	v_cndmask_b32_e32 v3, v3, v2, vcc
	v_cndmask_b32_e64 v6, v6, v24, s[10:11]
	v_cndmask_b32_e64 v3, v3, v24, s[10:11]
	v_cmp_neq_f32_e32 vcc, v6, v3
	v_cmp_class_f32_e64 s[2:3], v6, s4
	s_or_b64 s[6:7], vcc, s[2:3]
	v_mov_b32_e32 v39, v38
	s_and_saveexec_b64 s[2:3], s[6:7]
	s_cbranch_execz .LBB428_370
; %bb.369:
	v_sub_f32_e32 v2, v6, v3
	s_mov_b32 s5, 0x3fb8aa3b
	v_mul_f32_e32 v6, 0x3fb8aa3b, v2
	v_fma_f32 v7, v2, s5, -v6
	v_rndne_f32_e32 v19, v6
	v_fmamk_f32 v7, v2, 0x32a5705f, v7
	v_sub_f32_e32 v6, v6, v19
	v_add_f32_e32 v6, v6, v7
	v_exp_f32_e32 v6, v6
	v_cvt_i32_f32_e32 v7, v19
	s_mov_b32 s5, 0xc2ce8ed0
	v_cmp_ngt_f32_e32 vcc, s5, v2
	s_mov_b32 s5, 0x42b17218
	v_ldexp_f32 v6, v6, v7
	v_cndmask_b32_e32 v6, 0, v6, vcc
	v_mov_b32_e32 v7, 0x7f800000
	v_cmp_nlt_f32_e32 vcc, s5, v2
	s_mov_b32 s5, 0x3f2aaaab
	s_mov_b32 s6, 0x7f800000
	v_cndmask_b32_e32 v33, v7, v6, vcc
	v_add_f32_e32 v2, 1.0, v33
	v_add_f32_e32 v6, -1.0, v2
	v_sub_f32_e32 v7, v6, v2
	v_add_f32_e32 v7, 1.0, v7
	v_sub_f32_e32 v6, v33, v6
	v_add_f32_e32 v19, v6, v7
	v_frexp_mant_f32_e32 v24, v2
	v_cvt_f64_f32_e32 v[6:7], v2
	v_frexp_exp_i32_f64_e32 v6, v[6:7]
	v_cmp_gt_f32_e32 vcc, s5, v24
	s_mov_b32 s5, 0x3f317218
	s_nop 0
	v_subbrev_co_u32_e32 v24, vcc, 0, v6, vcc
	v_sub_u32_e32 v6, 0, v24
	v_ldexp_f32 v2, v2, v6
	v_ldexp_f32 v6, v19, v6
	v_add_f32_e32 v19, -1.0, v2
	v_add_f32_e32 v7, 1.0, v19
	v_sub_f32_e32 v7, v2, v7
	v_add_f32_e32 v39, v6, v7
	v_add_f32_e32 v7, 1.0, v2
	v_add_f32_e32 v48, -1.0, v7
	v_sub_f32_e32 v2, v2, v48
	v_add_f32_e32 v2, v6, v2
	v_add_f32_e32 v48, v7, v2
	v_rcp_f32_e32 v80, v48
	v_sub_f32_e32 v6, v7, v48
	v_add_f32_e32 v7, v19, v39
	v_add_f32_e32 v2, v2, v6
	v_sub_f32_e32 v6, v19, v7
	v_add_f32_e32 v19, v39, v6
	v_mul_f32_e32 v39, v7, v80
	v_mul_f32_e32 v66, v48, v39
	v_fma_f32 v68, v39, v48, -v66
	v_fmac_f32_e32 v68, v39, v2
	v_add_f32_e32 v6, v66, v68
	v_sub_f32_e32 v67, v7, v6
	v_pk_add_f32 v[70:71], v[6:7], v[66:67] neg_lo:[0,1] neg_hi:[0,1]
	v_mov_b32_e32 v69, v6
	v_pk_add_f32 v[6:7], v[70:71], v[68:69] neg_lo:[0,1] neg_hi:[0,1]
	v_cmp_eq_f32_e32 vcc, s6, v33
	v_add_f32_e32 v7, v19, v7
	v_add_f32_e32 v6, v6, v7
	v_add_f32_e32 v7, v67, v6
	v_mul_f32_e32 v19, v80, v7
	v_mul_f32_e32 v66, v48, v19
	v_fma_f32 v68, v19, v48, -v66
	v_fmac_f32_e32 v68, v19, v2
	v_sub_f32_e32 v2, v67, v7
	v_add_f32_e32 v2, v6, v2
	v_add_f32_e32 v6, v66, v68
	v_sub_f32_e32 v67, v7, v6
	v_pk_add_f32 v[70:71], v[6:7], v[66:67] neg_lo:[0,1] neg_hi:[0,1]
	v_mov_b32_e32 v69, v6
	v_pk_add_f32 v[6:7], v[70:71], v[68:69] neg_lo:[0,1] neg_hi:[0,1]
	v_cvt_f32_i32_e32 v66, v24
	v_add_f32_e32 v2, v2, v7
	v_add_f32_e32 v2, v6, v2
	;; [unrolled: 1-line block ×4, first 2 shown]
	v_sub_f32_e32 v7, v6, v39
	v_mul_f32_e32 v2, v80, v2
	v_sub_f32_e32 v7, v19, v7
	v_add_f32_e32 v2, v7, v2
	v_add_f32_e32 v19, v6, v2
	v_mul_f32_e32 v39, v19, v19
	v_mov_b32_e32 v7, 0x3ecc95a3
	v_fmac_f32_e32 v7, 0x3e9b6dac, v39
	v_sub_f32_e32 v6, v19, v6
	v_fmaak_f32 v7, v39, v7, 0x3f2aaada
	v_sub_f32_e32 v2, v2, v6
	v_mul_f32_e32 v67, v19, v39
	v_mov_b32_e32 v6, 0x3f317218
	v_pk_mul_f32 v[6:7], v[66:67], v[6:7]
	v_ldexp_f32 v69, v19, 1
	v_fma_f32 v19, v66, s5, -v6
	v_fmamk_f32 v68, v66, 0xb102e308, v19
	v_pk_add_f32 v[66:67], v[6:7], v[68:69]
	v_ldexp_f32 v2, v2, 1
	v_sub_f32_e32 v19, v67, v69
	v_sub_f32_e32 v19, v7, v19
	v_add_f32_e32 v71, v2, v19
	v_mov_b32_e32 v70, v6
	v_pk_add_f32 v[6:7], v[66:67], v[6:7] neg_lo:[0,1] neg_hi:[0,1]
	v_pk_add_f32 v[80:81], v[66:67], v[70:71]
	v_mov_b32_e32 v69, v66
	v_mov_b32_e32 v7, v81
	v_pk_add_f32 v[82:83], v[68:69], v[6:7] neg_lo:[0,1] neg_hi:[0,1]
	v_pk_add_f32 v[6:7], v[68:69], v[6:7]
	s_mov_b32 s5, 0x33800000
	v_mov_b32_e32 v2, v7
	v_pk_add_f32 v[68:69], v[2:3], v[66:67] neg_lo:[0,1] neg_hi:[0,1]
	v_mov_b32_e32 v6, v81
	v_mov_b32_e32 v19, v68
	v_pk_add_f32 v[84:85], v[80:81], v[18:19] neg_lo:[0,1] neg_hi:[0,1]
	v_mov_b32_e32 v80, v67
	v_mov_b32_e32 v81, v68
	;; [unrolled: 1-line block ×3, first 2 shown]
	v_pk_add_f32 v[6:7], v[6:7], v[80:81] neg_lo:[0,1] neg_hi:[0,1]
	v_mov_b32_e32 v68, v71
	v_mov_b32_e32 v69, v66
	v_pk_add_f32 v[6:7], v[68:69], v[6:7] neg_lo:[0,1] neg_hi:[0,1]
	v_mov_b32_e32 v84, v82
	v_pk_add_f32 v[66:67], v[84:85], v[6:7]
	v_cmp_lt_f32_e64 s[6:7], |v33|, s5
	v_mov_b32_e32 v24, v67
	v_pk_add_f32 v[68:69], v[66:67], v[24:25]
	s_or_b64 vcc, vcc, s[6:7]
	v_pk_add_f32 v[70:71], v[2:3], v[68:69]
	v_mov_b32_e32 v7, v68
	v_mov_b32_e32 v67, v70
	v_pk_add_f32 v[80:81], v[66:67], v[82:83] neg_lo:[0,1] neg_hi:[0,1]
	s_nop 0
	v_sub_f32_e32 v2, v66, v80
	v_pk_add_f32 v[6:7], v[6:7], v[80:81] neg_lo:[0,1] neg_hi:[0,1]
	v_sub_f32_e32 v2, v82, v2
	v_add_f32_e32 v2, v6, v2
	v_add_f32_e32 v2, v2, v7
	;; [unrolled: 1-line block ×3, first 2 shown]
	v_cndmask_b32_e32 v2, v2, v33, vcc
	v_add_f32_e32 v2, v3, v2
	v_cvt_f16_f32_e32 v82, v2
	v_cvt_f32_f16_e32 v2, v82
	v_mov_b32_e32 v39, v82
.LBB428_370:
	s_or_b64 exec, exec, s[2:3]
	v_max_f32_e32 v3, v25, v25
	v_max_f32_e32 v7, v2, v2
	v_min_f32_e32 v6, v7, v3
	v_cmp_u_f16_e32 vcc, v82, v82
	v_max_f32_e32 v3, v7, v3
	v_mov_b32_e32 v48, v39
	v_cndmask_b32_e32 v6, v6, v2, vcc
	v_cndmask_b32_e32 v3, v3, v2, vcc
	v_cndmask_b32_e64 v6, v6, v25, s[12:13]
	v_cndmask_b32_e64 v3, v3, v25, s[12:13]
	v_cmp_neq_f32_e32 vcc, v6, v3
	v_cmp_class_f32_e64 s[2:3], v6, s4
	s_or_b64 s[4:5], vcc, s[2:3]
	s_and_saveexec_b64 s[2:3], s[4:5]
	s_cbranch_execz .LBB428_372
; %bb.371:
	v_sub_f32_e32 v2, v6, v3
	s_mov_b32 s4, 0x3fb8aa3b
	v_mul_f32_e32 v6, 0x3fb8aa3b, v2
	v_fma_f32 v7, v2, s4, -v6
	v_rndne_f32_e32 v19, v6
	v_fmamk_f32 v7, v2, 0x32a5705f, v7
	v_sub_f32_e32 v6, v6, v19
	v_add_f32_e32 v6, v6, v7
	v_exp_f32_e32 v6, v6
	v_cvt_i32_f32_e32 v7, v19
	s_mov_b32 s4, 0xc2ce8ed0
	v_cmp_ngt_f32_e32 vcc, s4, v2
	s_mov_b32 s4, 0x42b17218
	v_ldexp_f32 v6, v6, v7
	v_cndmask_b32_e32 v6, 0, v6, vcc
	v_mov_b32_e32 v7, 0x7f800000
	v_cmp_nlt_f32_e32 vcc, s4, v2
	s_mov_b32 s4, 0x3f2aaaab
	s_mov_b32 s5, 0x7f800000
	v_cndmask_b32_e32 v33, v7, v6, vcc
	v_add_f32_e32 v2, 1.0, v33
	v_add_f32_e32 v6, -1.0, v2
	v_sub_f32_e32 v7, v6, v2
	v_add_f32_e32 v7, 1.0, v7
	v_sub_f32_e32 v6, v33, v6
	v_add_f32_e32 v19, v6, v7
	v_frexp_mant_f32_e32 v24, v2
	v_cvt_f64_f32_e32 v[6:7], v2
	v_frexp_exp_i32_f64_e32 v6, v[6:7]
	v_cmp_gt_f32_e32 vcc, s4, v24
	s_mov_b32 s4, 0x3f317218
	s_nop 0
	v_subbrev_co_u32_e32 v48, vcc, 0, v6, vcc
	v_sub_u32_e32 v6, 0, v48
	v_ldexp_f32 v2, v2, v6
	v_ldexp_f32 v6, v19, v6
	v_add_f32_e32 v19, -1.0, v2
	v_add_f32_e32 v7, 1.0, v19
	v_sub_f32_e32 v7, v2, v7
	v_add_f32_e32 v24, v6, v7
	v_add_f32_e32 v7, 1.0, v2
	v_add_f32_e32 v25, -1.0, v7
	v_sub_f32_e32 v2, v2, v25
	v_add_f32_e32 v2, v6, v2
	v_add_f32_e32 v70, v7, v2
	v_rcp_f32_e32 v71, v70
	v_sub_f32_e32 v6, v7, v70
	v_add_f32_e32 v7, v19, v24
	v_add_f32_e32 v2, v2, v6
	v_sub_f32_e32 v6, v19, v7
	v_mul_f32_e32 v80, v7, v71
	v_add_f32_e32 v19, v24, v6
	v_mul_f32_e32 v24, v70, v80
	v_fma_f32 v66, v80, v70, -v24
	v_fmac_f32_e32 v66, v80, v2
	v_add_f32_e32 v6, v24, v66
	v_sub_f32_e32 v25, v7, v6
	v_pk_add_f32 v[68:69], v[6:7], v[24:25] neg_lo:[0,1] neg_hi:[0,1]
	v_mov_b32_e32 v67, v6
	v_pk_add_f32 v[6:7], v[68:69], v[66:67] neg_lo:[0,1] neg_hi:[0,1]
	v_cmp_eq_f32_e32 vcc, s5, v33
	v_add_f32_e32 v7, v19, v7
	v_add_f32_e32 v6, v6, v7
	;; [unrolled: 1-line block ×3, first 2 shown]
	v_mul_f32_e32 v19, v71, v7
	v_mul_f32_e32 v24, v70, v19
	v_fma_f32 v66, v19, v70, -v24
	v_fmac_f32_e32 v66, v19, v2
	v_sub_f32_e32 v2, v25, v7
	v_add_f32_e32 v2, v6, v2
	v_add_f32_e32 v6, v24, v66
	v_sub_f32_e32 v25, v7, v6
	v_pk_add_f32 v[68:69], v[6:7], v[24:25] neg_lo:[0,1] neg_hi:[0,1]
	v_mov_b32_e32 v67, v6
	v_pk_add_f32 v[6:7], v[68:69], v[66:67] neg_lo:[0,1] neg_hi:[0,1]
	v_cvt_f32_i32_e32 v24, v48
	v_add_f32_e32 v2, v2, v7
	v_add_f32_e32 v2, v6, v2
	;; [unrolled: 1-line block ×4, first 2 shown]
	v_sub_f32_e32 v7, v6, v80
	v_mul_f32_e32 v2, v71, v2
	v_sub_f32_e32 v7, v19, v7
	v_add_f32_e32 v2, v7, v2
	v_add_f32_e32 v19, v6, v2
	v_mul_f32_e32 v25, v19, v19
	v_mov_b32_e32 v7, 0x3ecc95a3
	v_fmac_f32_e32 v7, 0x3e9b6dac, v25
	v_sub_f32_e32 v6, v19, v6
	v_fmaak_f32 v7, v25, v7, 0x3f2aaada
	v_sub_f32_e32 v2, v2, v6
	v_mul_f32_e32 v25, v19, v25
	v_mov_b32_e32 v6, 0x3f317218
	v_pk_mul_f32 v[6:7], v[24:25], v[6:7]
	v_ldexp_f32 v67, v19, 1
	v_fma_f32 v19, v24, s4, -v6
	v_fmamk_f32 v66, v24, 0xb102e308, v19
	v_pk_add_f32 v[24:25], v[6:7], v[66:67]
	v_ldexp_f32 v2, v2, 1
	v_sub_f32_e32 v19, v25, v67
	v_sub_f32_e32 v19, v7, v19
	v_add_f32_e32 v69, v2, v19
	v_mov_b32_e32 v68, v6
	v_pk_add_f32 v[6:7], v[24:25], v[6:7] neg_lo:[0,1] neg_hi:[0,1]
	v_pk_add_f32 v[70:71], v[24:25], v[68:69]
	v_mov_b32_e32 v67, v24
	v_mov_b32_e32 v7, v71
	v_pk_add_f32 v[80:81], v[66:67], v[6:7] neg_lo:[0,1] neg_hi:[0,1]
	v_pk_add_f32 v[6:7], v[66:67], v[6:7]
	s_mov_b32 s4, 0x33800000
	v_mov_b32_e32 v2, v7
	v_pk_add_f32 v[66:67], v[2:3], v[24:25] neg_lo:[0,1] neg_hi:[0,1]
	v_mov_b32_e32 v6, v71
	v_mov_b32_e32 v19, v66
	v_pk_add_f32 v[82:83], v[70:71], v[18:19] neg_lo:[0,1] neg_hi:[0,1]
	v_mov_b32_e32 v70, v25
	v_mov_b32_e32 v71, v66
	;; [unrolled: 1-line block ×3, first 2 shown]
	v_pk_add_f32 v[6:7], v[6:7], v[70:71] neg_lo:[0,1] neg_hi:[0,1]
	v_mov_b32_e32 v66, v69
	v_mov_b32_e32 v67, v24
	v_pk_add_f32 v[6:7], v[66:67], v[6:7] neg_lo:[0,1] neg_hi:[0,1]
	v_mov_b32_e32 v82, v80
	v_pk_add_f32 v[24:25], v[82:83], v[6:7]
	v_cmp_lt_f32_e64 s[4:5], |v33|, s4
	v_mov_b32_e32 v48, v25
	v_pk_add_f32 v[66:67], v[24:25], v[48:49]
	s_or_b64 vcc, vcc, s[4:5]
	v_pk_add_f32 v[68:69], v[2:3], v[66:67]
	v_mov_b32_e32 v7, v66
	v_mov_b32_e32 v25, v68
	v_pk_add_f32 v[70:71], v[24:25], v[80:81] neg_lo:[0,1] neg_hi:[0,1]
	s_nop 0
	v_sub_f32_e32 v2, v24, v70
	v_pk_add_f32 v[6:7], v[6:7], v[70:71] neg_lo:[0,1] neg_hi:[0,1]
	v_sub_f32_e32 v2, v80, v2
	v_add_f32_e32 v2, v6, v2
	v_add_f32_e32 v2, v2, v7
	;; [unrolled: 1-line block ×3, first 2 shown]
	v_cndmask_b32_e32 v2, v2, v33, vcc
	v_add_f32_e32 v2, v3, v2
	v_cvt_f16_f32_e32 v82, v2
	v_cvt_f32_f16_e32 v2, v82
	v_mov_b32_e32 v48, v82
.LBB428_372:
	s_or_b64 exec, exec, s[2:3]
	v_max_f32_e32 v3, v26, v26
	v_max_f32_e32 v7, v2, v2
	v_min_f32_e32 v6, v7, v3
	v_cmp_u_f16_e32 vcc, v82, v82
	v_max_f32_e32 v3, v7, v3
	s_movk_i32 s4, 0x1f8
	v_cndmask_b32_e32 v6, v6, v2, vcc
	v_cndmask_b32_e32 v3, v3, v2, vcc
	v_cndmask_b32_e64 v6, v6, v26, s[14:15]
	v_cndmask_b32_e64 v3, v3, v26, s[14:15]
	v_cmp_neq_f32_e32 vcc, v6, v3
	v_cmp_class_f32_e64 s[2:3], v6, s4
	s_or_b64 s[6:7], vcc, s[2:3]
	v_mov_b32_e32 v66, v48
	s_and_saveexec_b64 s[2:3], s[6:7]
	s_cbranch_execz .LBB428_374
; %bb.373:
	v_sub_f32_e32 v2, v6, v3
	s_mov_b32 s5, 0x3fb8aa3b
	v_mul_f32_e32 v6, 0x3fb8aa3b, v2
	v_fma_f32 v7, v2, s5, -v6
	v_rndne_f32_e32 v19, v6
	v_fmamk_f32 v7, v2, 0x32a5705f, v7
	v_sub_f32_e32 v6, v6, v19
	v_add_f32_e32 v6, v6, v7
	v_exp_f32_e32 v6, v6
	v_cvt_i32_f32_e32 v7, v19
	s_mov_b32 s5, 0xc2ce8ed0
	v_cmp_ngt_f32_e32 vcc, s5, v2
	s_mov_b32 s5, 0x42b17218
	v_ldexp_f32 v6, v6, v7
	v_cndmask_b32_e32 v6, 0, v6, vcc
	v_mov_b32_e32 v7, 0x7f800000
	v_cmp_nlt_f32_e32 vcc, s5, v2
	s_mov_b32 s5, 0x3f2aaaab
	s_mov_b32 s6, 0x7f800000
	v_cndmask_b32_e32 v33, v7, v6, vcc
	v_add_f32_e32 v2, 1.0, v33
	v_add_f32_e32 v6, -1.0, v2
	v_sub_f32_e32 v7, v6, v2
	v_add_f32_e32 v7, 1.0, v7
	v_sub_f32_e32 v6, v33, v6
	v_add_f32_e32 v19, v6, v7
	v_frexp_mant_f32_e32 v24, v2
	v_cvt_f64_f32_e32 v[6:7], v2
	v_frexp_exp_i32_f64_e32 v6, v[6:7]
	v_cmp_gt_f32_e32 vcc, s5, v24
	s_mov_b32 s5, 0x3f317218
	s_nop 0
	v_subbrev_co_u32_e32 v26, vcc, 0, v6, vcc
	v_sub_u32_e32 v6, 0, v26
	v_ldexp_f32 v2, v2, v6
	v_ldexp_f32 v6, v19, v6
	v_add_f32_e32 v19, -1.0, v2
	v_add_f32_e32 v7, 1.0, v19
	v_sub_f32_e32 v7, v2, v7
	v_add_f32_e32 v24, v6, v7
	v_add_f32_e32 v7, 1.0, v2
	v_add_f32_e32 v25, -1.0, v7
	v_sub_f32_e32 v2, v2, v25
	v_add_f32_e32 v2, v6, v2
	v_add_f32_e32 v70, v7, v2
	v_rcp_f32_e32 v71, v70
	v_sub_f32_e32 v6, v7, v70
	v_add_f32_e32 v7, v19, v24
	v_add_f32_e32 v2, v2, v6
	v_sub_f32_e32 v6, v19, v7
	v_mul_f32_e32 v80, v7, v71
	v_add_f32_e32 v19, v24, v6
	v_mul_f32_e32 v24, v70, v80
	v_fma_f32 v66, v80, v70, -v24
	v_fmac_f32_e32 v66, v80, v2
	v_add_f32_e32 v6, v24, v66
	v_sub_f32_e32 v25, v7, v6
	v_pk_add_f32 v[68:69], v[6:7], v[24:25] neg_lo:[0,1] neg_hi:[0,1]
	v_mov_b32_e32 v67, v6
	v_pk_add_f32 v[6:7], v[68:69], v[66:67] neg_lo:[0,1] neg_hi:[0,1]
	v_cmp_eq_f32_e32 vcc, s6, v33
	v_add_f32_e32 v7, v19, v7
	v_add_f32_e32 v6, v6, v7
	;; [unrolled: 1-line block ×3, first 2 shown]
	v_mul_f32_e32 v19, v71, v7
	v_mul_f32_e32 v24, v70, v19
	v_fma_f32 v66, v19, v70, -v24
	v_fmac_f32_e32 v66, v19, v2
	v_sub_f32_e32 v2, v25, v7
	v_add_f32_e32 v2, v6, v2
	v_add_f32_e32 v6, v24, v66
	v_sub_f32_e32 v25, v7, v6
	v_pk_add_f32 v[68:69], v[6:7], v[24:25] neg_lo:[0,1] neg_hi:[0,1]
	v_mov_b32_e32 v67, v6
	v_pk_add_f32 v[6:7], v[68:69], v[66:67] neg_lo:[0,1] neg_hi:[0,1]
	v_cvt_f32_i32_e32 v24, v26
	v_add_f32_e32 v2, v2, v7
	v_add_f32_e32 v2, v6, v2
	;; [unrolled: 1-line block ×4, first 2 shown]
	v_sub_f32_e32 v7, v6, v80
	v_mul_f32_e32 v2, v71, v2
	v_sub_f32_e32 v7, v19, v7
	v_add_f32_e32 v2, v7, v2
	v_add_f32_e32 v19, v6, v2
	v_mul_f32_e32 v25, v19, v19
	v_mov_b32_e32 v7, 0x3ecc95a3
	v_fmac_f32_e32 v7, 0x3e9b6dac, v25
	v_sub_f32_e32 v6, v19, v6
	v_fmaak_f32 v7, v25, v7, 0x3f2aaada
	v_sub_f32_e32 v2, v2, v6
	v_mul_f32_e32 v25, v19, v25
	v_mov_b32_e32 v6, 0x3f317218
	v_pk_mul_f32 v[6:7], v[24:25], v[6:7]
	v_ldexp_f32 v67, v19, 1
	v_fma_f32 v19, v24, s5, -v6
	v_fmamk_f32 v66, v24, 0xb102e308, v19
	v_pk_add_f32 v[24:25], v[6:7], v[66:67]
	v_ldexp_f32 v2, v2, 1
	v_sub_f32_e32 v19, v25, v67
	v_sub_f32_e32 v19, v7, v19
	v_add_f32_e32 v69, v2, v19
	v_mov_b32_e32 v68, v6
	v_pk_add_f32 v[6:7], v[24:25], v[6:7] neg_lo:[0,1] neg_hi:[0,1]
	v_pk_add_f32 v[70:71], v[24:25], v[68:69]
	v_mov_b32_e32 v67, v24
	v_mov_b32_e32 v7, v71
	v_pk_add_f32 v[80:81], v[66:67], v[6:7] neg_lo:[0,1] neg_hi:[0,1]
	v_pk_add_f32 v[6:7], v[66:67], v[6:7]
	s_mov_b32 s5, 0x33800000
	v_mov_b32_e32 v2, v7
	v_pk_add_f32 v[66:67], v[2:3], v[24:25] neg_lo:[0,1] neg_hi:[0,1]
	v_mov_b32_e32 v6, v71
	v_mov_b32_e32 v19, v66
	v_pk_add_f32 v[82:83], v[70:71], v[18:19] neg_lo:[0,1] neg_hi:[0,1]
	v_mov_b32_e32 v70, v25
	v_mov_b32_e32 v71, v66
	;; [unrolled: 1-line block ×3, first 2 shown]
	v_pk_add_f32 v[6:7], v[6:7], v[70:71] neg_lo:[0,1] neg_hi:[0,1]
	v_mov_b32_e32 v66, v69
	v_mov_b32_e32 v67, v24
	v_pk_add_f32 v[6:7], v[66:67], v[6:7] neg_lo:[0,1] neg_hi:[0,1]
	v_mov_b32_e32 v82, v80
	v_pk_add_f32 v[24:25], v[82:83], v[6:7]
	v_cmp_lt_f32_e64 s[6:7], |v33|, s5
	v_mov_b32_e32 v26, v25
	v_pk_add_f32 v[66:67], v[24:25], v[26:27]
	s_or_b64 vcc, vcc, s[6:7]
	v_pk_add_f32 v[68:69], v[2:3], v[66:67]
	v_mov_b32_e32 v7, v66
	v_mov_b32_e32 v25, v68
	v_pk_add_f32 v[70:71], v[24:25], v[80:81] neg_lo:[0,1] neg_hi:[0,1]
	s_nop 0
	v_sub_f32_e32 v2, v24, v70
	v_pk_add_f32 v[6:7], v[6:7], v[70:71] neg_lo:[0,1] neg_hi:[0,1]
	v_sub_f32_e32 v2, v80, v2
	v_add_f32_e32 v2, v6, v2
	v_add_f32_e32 v2, v2, v7
	;; [unrolled: 1-line block ×3, first 2 shown]
	v_cndmask_b32_e32 v2, v2, v33, vcc
	v_add_f32_e32 v2, v3, v2
	v_cvt_f16_f32_e32 v82, v2
	v_cvt_f32_f16_e32 v2, v82
	v_mov_b32_e32 v66, v82
.LBB428_374:
	s_or_b64 exec, exec, s[2:3]
	v_max_f32_e32 v3, v27, v27
	v_max_f32_e32 v7, v2, v2
	v_min_f32_e32 v6, v7, v3
	v_cmp_u_f16_e32 vcc, v82, v82
	v_max_f32_e32 v3, v7, v3
	v_mov_b32_e32 v67, v66
	v_cndmask_b32_e32 v6, v6, v2, vcc
	v_cndmask_b32_e32 v3, v3, v2, vcc
	v_cndmask_b32_e64 v6, v6, v27, s[16:17]
	v_cndmask_b32_e64 v3, v3, v27, s[16:17]
	v_cmp_neq_f32_e32 vcc, v6, v3
	v_cmp_class_f32_e64 s[2:3], v6, s4
	s_or_b64 s[4:5], vcc, s[2:3]
	s_and_saveexec_b64 s[2:3], s[4:5]
	s_cbranch_execz .LBB428_376
; %bb.375:
	v_sub_f32_e32 v2, v6, v3
	s_mov_b32 s4, 0x3fb8aa3b
	v_mul_f32_e32 v6, 0x3fb8aa3b, v2
	v_fma_f32 v7, v2, s4, -v6
	v_rndne_f32_e32 v19, v6
	v_fmamk_f32 v7, v2, 0x32a5705f, v7
	v_sub_f32_e32 v6, v6, v19
	v_add_f32_e32 v6, v6, v7
	v_exp_f32_e32 v6, v6
	v_cvt_i32_f32_e32 v7, v19
	s_mov_b32 s4, 0xc2ce8ed0
	v_cmp_ngt_f32_e32 vcc, s4, v2
	s_mov_b32 s4, 0x42b17218
	v_ldexp_f32 v6, v6, v7
	v_cndmask_b32_e32 v6, 0, v6, vcc
	v_mov_b32_e32 v7, 0x7f800000
	v_cmp_nlt_f32_e32 vcc, s4, v2
	s_mov_b32 s4, 0x3f2aaaab
	s_mov_b32 s5, 0x7f800000
	v_cndmask_b32_e32 v33, v7, v6, vcc
	v_add_f32_e32 v2, 1.0, v33
	v_add_f32_e32 v6, -1.0, v2
	v_sub_f32_e32 v7, v6, v2
	v_add_f32_e32 v7, 1.0, v7
	v_sub_f32_e32 v6, v33, v6
	v_add_f32_e32 v19, v6, v7
	v_frexp_mant_f32_e32 v24, v2
	v_cvt_f64_f32_e32 v[6:7], v2
	v_frexp_exp_i32_f64_e32 v6, v[6:7]
	v_cmp_gt_f32_e32 vcc, s4, v24
	s_mov_b32 s4, 0x3f317218
	s_nop 0
	v_subbrev_co_u32_e32 v67, vcc, 0, v6, vcc
	v_sub_u32_e32 v6, 0, v67
	v_ldexp_f32 v2, v2, v6
	v_ldexp_f32 v6, v19, v6
	v_add_f32_e32 v19, -1.0, v2
	v_add_f32_e32 v7, 1.0, v19
	v_sub_f32_e32 v7, v2, v7
	v_add_f32_e32 v24, v6, v7
	v_add_f32_e32 v7, 1.0, v2
	v_add_f32_e32 v25, -1.0, v7
	v_sub_f32_e32 v2, v2, v25
	v_add_f32_e32 v2, v6, v2
	v_add_f32_e32 v70, v7, v2
	v_rcp_f32_e32 v71, v70
	v_sub_f32_e32 v6, v7, v70
	v_add_f32_e32 v7, v19, v24
	v_add_f32_e32 v2, v2, v6
	v_sub_f32_e32 v6, v19, v7
	v_mul_f32_e32 v80, v7, v71
	v_add_f32_e32 v19, v24, v6
	v_mul_f32_e32 v24, v70, v80
	v_fma_f32 v26, v80, v70, -v24
	v_fmac_f32_e32 v26, v80, v2
	v_add_f32_e32 v6, v24, v26
	v_sub_f32_e32 v25, v7, v6
	v_pk_add_f32 v[68:69], v[6:7], v[24:25] neg_lo:[0,1] neg_hi:[0,1]
	v_mov_b32_e32 v27, v6
	v_pk_add_f32 v[6:7], v[68:69], v[26:27] neg_lo:[0,1] neg_hi:[0,1]
	v_cmp_eq_f32_e32 vcc, s5, v33
	v_add_f32_e32 v7, v19, v7
	v_add_f32_e32 v6, v6, v7
	;; [unrolled: 1-line block ×3, first 2 shown]
	v_mul_f32_e32 v19, v71, v7
	v_mul_f32_e32 v24, v70, v19
	v_fma_f32 v26, v19, v70, -v24
	v_fmac_f32_e32 v26, v19, v2
	v_sub_f32_e32 v2, v25, v7
	v_add_f32_e32 v2, v6, v2
	v_add_f32_e32 v6, v24, v26
	v_sub_f32_e32 v25, v7, v6
	v_pk_add_f32 v[68:69], v[6:7], v[24:25] neg_lo:[0,1] neg_hi:[0,1]
	v_mov_b32_e32 v27, v6
	v_pk_add_f32 v[6:7], v[68:69], v[26:27] neg_lo:[0,1] neg_hi:[0,1]
	v_cvt_f32_i32_e32 v24, v67
	v_add_f32_e32 v2, v2, v7
	v_add_f32_e32 v2, v6, v2
	;; [unrolled: 1-line block ×4, first 2 shown]
	v_sub_f32_e32 v7, v6, v80
	v_mul_f32_e32 v2, v71, v2
	v_sub_f32_e32 v7, v19, v7
	v_add_f32_e32 v2, v7, v2
	v_add_f32_e32 v19, v6, v2
	v_mul_f32_e32 v25, v19, v19
	v_mov_b32_e32 v7, 0x3ecc95a3
	v_fmac_f32_e32 v7, 0x3e9b6dac, v25
	v_sub_f32_e32 v6, v19, v6
	v_fmaak_f32 v7, v25, v7, 0x3f2aaada
	v_sub_f32_e32 v2, v2, v6
	v_mul_f32_e32 v25, v19, v25
	v_mov_b32_e32 v6, 0x3f317218
	v_pk_mul_f32 v[6:7], v[24:25], v[6:7]
	v_ldexp_f32 v27, v19, 1
	v_fma_f32 v19, v24, s4, -v6
	v_fmamk_f32 v26, v24, 0xb102e308, v19
	v_pk_add_f32 v[24:25], v[6:7], v[26:27]
	v_ldexp_f32 v2, v2, 1
	v_sub_f32_e32 v19, v25, v27
	v_sub_f32_e32 v19, v7, v19
	v_add_f32_e32 v69, v2, v19
	v_mov_b32_e32 v68, v6
	v_pk_add_f32 v[6:7], v[24:25], v[6:7] neg_lo:[0,1] neg_hi:[0,1]
	v_pk_add_f32 v[70:71], v[24:25], v[68:69]
	v_mov_b32_e32 v27, v24
	v_mov_b32_e32 v7, v71
	v_pk_add_f32 v[80:81], v[26:27], v[6:7] neg_lo:[0,1] neg_hi:[0,1]
	v_pk_add_f32 v[6:7], v[26:27], v[6:7]
	s_mov_b32 s4, 0x33800000
	v_mov_b32_e32 v2, v7
	v_pk_add_f32 v[26:27], v[2:3], v[24:25] neg_lo:[0,1] neg_hi:[0,1]
	v_mov_b32_e32 v6, v71
	v_mov_b32_e32 v19, v26
	v_pk_add_f32 v[82:83], v[70:71], v[18:19] neg_lo:[0,1] neg_hi:[0,1]
	v_mov_b32_e32 v70, v25
	v_mov_b32_e32 v71, v26
	;; [unrolled: 1-line block ×3, first 2 shown]
	v_pk_add_f32 v[6:7], v[6:7], v[70:71] neg_lo:[0,1] neg_hi:[0,1]
	v_mov_b32_e32 v26, v69
	v_mov_b32_e32 v27, v24
	v_pk_add_f32 v[6:7], v[26:27], v[6:7] neg_lo:[0,1] neg_hi:[0,1]
	v_mov_b32_e32 v82, v80
	v_pk_add_f32 v[24:25], v[82:83], v[6:7]
	v_cmp_lt_f32_e64 s[4:5], |v33|, s4
	v_mov_b32_e32 v26, v25
	v_pk_add_f32 v[26:27], v[24:25], v[26:27]
	s_or_b64 vcc, vcc, s[4:5]
	v_pk_add_f32 v[68:69], v[2:3], v[26:27]
	v_mov_b32_e32 v7, v26
	v_mov_b32_e32 v25, v68
	v_pk_add_f32 v[70:71], v[24:25], v[80:81] neg_lo:[0,1] neg_hi:[0,1]
	s_nop 0
	v_sub_f32_e32 v2, v24, v70
	v_pk_add_f32 v[6:7], v[6:7], v[70:71] neg_lo:[0,1] neg_hi:[0,1]
	v_sub_f32_e32 v2, v80, v2
	v_add_f32_e32 v2, v6, v2
	v_add_f32_e32 v2, v2, v7
	;; [unrolled: 1-line block ×3, first 2 shown]
	v_cndmask_b32_e32 v2, v2, v33, vcc
	v_add_f32_e32 v2, v3, v2
	v_cvt_f16_f32_e32 v82, v2
	v_cvt_f32_f16_e32 v2, v82
	v_mov_b32_e32 v67, v82
.LBB428_376:
	s_or_b64 exec, exec, s[2:3]
	v_max_f32_e32 v3, v49, v49
	v_max_f32_e32 v7, v2, v2
	v_min_f32_e32 v6, v7, v3
	v_cmp_u_f16_e32 vcc, v82, v82
	v_max_f32_e32 v3, v7, v3
	s_movk_i32 s4, 0x1f8
	v_cndmask_b32_e32 v6, v6, v2, vcc
	v_cndmask_b32_e32 v3, v3, v2, vcc
	v_cndmask_b32_e64 v6, v6, v49, s[18:19]
	v_cndmask_b32_e64 v3, v3, v49, s[18:19]
	v_cmp_neq_f32_e32 vcc, v6, v3
	v_cmp_class_f32_e64 s[2:3], v6, s4
	s_or_b64 s[6:7], vcc, s[2:3]
	v_mov_b32_e32 v49, v67
	s_and_saveexec_b64 s[2:3], s[6:7]
	s_cbranch_execz .LBB428_378
; %bb.377:
	v_sub_f32_e32 v2, v6, v3
	s_mov_b32 s5, 0x3fb8aa3b
	v_mul_f32_e32 v6, 0x3fb8aa3b, v2
	v_fma_f32 v7, v2, s5, -v6
	v_rndne_f32_e32 v19, v6
	v_fmamk_f32 v7, v2, 0x32a5705f, v7
	v_sub_f32_e32 v6, v6, v19
	v_add_f32_e32 v6, v6, v7
	v_exp_f32_e32 v6, v6
	v_cvt_i32_f32_e32 v7, v19
	s_mov_b32 s5, 0xc2ce8ed0
	v_cmp_ngt_f32_e32 vcc, s5, v2
	s_mov_b32 s5, 0x42b17218
	v_ldexp_f32 v6, v6, v7
	v_cndmask_b32_e32 v6, 0, v6, vcc
	v_mov_b32_e32 v7, 0x7f800000
	v_cmp_nlt_f32_e32 vcc, s5, v2
	s_mov_b32 s5, 0x3f2aaaab
	s_mov_b32 s6, 0x7f800000
	v_cndmask_b32_e32 v33, v7, v6, vcc
	v_add_f32_e32 v2, 1.0, v33
	v_add_f32_e32 v6, -1.0, v2
	v_sub_f32_e32 v7, v6, v2
	v_add_f32_e32 v7, 1.0, v7
	v_sub_f32_e32 v6, v33, v6
	v_add_f32_e32 v19, v6, v7
	v_frexp_mant_f32_e32 v24, v2
	v_cvt_f64_f32_e32 v[6:7], v2
	v_frexp_exp_i32_f64_e32 v6, v[6:7]
	v_cmp_gt_f32_e32 vcc, s5, v24
	s_mov_b32 s5, 0x3f317218
	s_nop 0
	v_subbrev_co_u32_e32 v49, vcc, 0, v6, vcc
	v_sub_u32_e32 v6, 0, v49
	v_ldexp_f32 v2, v2, v6
	v_ldexp_f32 v6, v19, v6
	v_add_f32_e32 v19, -1.0, v2
	v_add_f32_e32 v7, 1.0, v19
	v_sub_f32_e32 v7, v2, v7
	v_add_f32_e32 v24, v6, v7
	v_add_f32_e32 v7, 1.0, v2
	v_add_f32_e32 v25, -1.0, v7
	v_sub_f32_e32 v2, v2, v25
	v_add_f32_e32 v2, v6, v2
	v_add_f32_e32 v70, v7, v2
	v_rcp_f32_e32 v71, v70
	v_sub_f32_e32 v6, v7, v70
	v_add_f32_e32 v7, v19, v24
	v_add_f32_e32 v2, v2, v6
	v_sub_f32_e32 v6, v19, v7
	v_mul_f32_e32 v80, v7, v71
	v_add_f32_e32 v19, v24, v6
	v_mul_f32_e32 v24, v70, v80
	v_fma_f32 v26, v80, v70, -v24
	v_fmac_f32_e32 v26, v80, v2
	v_add_f32_e32 v6, v24, v26
	v_sub_f32_e32 v25, v7, v6
	v_pk_add_f32 v[68:69], v[6:7], v[24:25] neg_lo:[0,1] neg_hi:[0,1]
	v_mov_b32_e32 v27, v6
	v_pk_add_f32 v[6:7], v[68:69], v[26:27] neg_lo:[0,1] neg_hi:[0,1]
	v_cmp_eq_f32_e32 vcc, s6, v33
	v_add_f32_e32 v7, v19, v7
	v_add_f32_e32 v6, v6, v7
	;; [unrolled: 1-line block ×3, first 2 shown]
	v_mul_f32_e32 v19, v71, v7
	v_mul_f32_e32 v24, v70, v19
	v_fma_f32 v26, v19, v70, -v24
	v_fmac_f32_e32 v26, v19, v2
	v_sub_f32_e32 v2, v25, v7
	v_add_f32_e32 v2, v6, v2
	v_add_f32_e32 v6, v24, v26
	v_sub_f32_e32 v25, v7, v6
	v_pk_add_f32 v[68:69], v[6:7], v[24:25] neg_lo:[0,1] neg_hi:[0,1]
	v_mov_b32_e32 v27, v6
	v_pk_add_f32 v[6:7], v[68:69], v[26:27] neg_lo:[0,1] neg_hi:[0,1]
	v_cvt_f32_i32_e32 v24, v49
	v_add_f32_e32 v2, v2, v7
	v_add_f32_e32 v2, v6, v2
	v_add_f32_e32 v6, v80, v19
	v_add_f32_e32 v2, v25, v2
	v_sub_f32_e32 v7, v6, v80
	v_mul_f32_e32 v2, v71, v2
	v_sub_f32_e32 v7, v19, v7
	v_add_f32_e32 v2, v7, v2
	v_add_f32_e32 v19, v6, v2
	v_mul_f32_e32 v25, v19, v19
	v_mov_b32_e32 v7, 0x3ecc95a3
	v_fmac_f32_e32 v7, 0x3e9b6dac, v25
	v_sub_f32_e32 v6, v19, v6
	v_fmaak_f32 v7, v25, v7, 0x3f2aaada
	v_sub_f32_e32 v2, v2, v6
	v_mul_f32_e32 v25, v19, v25
	v_mov_b32_e32 v6, 0x3f317218
	v_pk_mul_f32 v[6:7], v[24:25], v[6:7]
	v_ldexp_f32 v27, v19, 1
	v_fma_f32 v19, v24, s5, -v6
	v_fmamk_f32 v26, v24, 0xb102e308, v19
	v_pk_add_f32 v[24:25], v[6:7], v[26:27]
	v_ldexp_f32 v2, v2, 1
	v_sub_f32_e32 v19, v25, v27
	v_sub_f32_e32 v19, v7, v19
	v_add_f32_e32 v69, v2, v19
	v_mov_b32_e32 v68, v6
	v_pk_add_f32 v[6:7], v[24:25], v[6:7] neg_lo:[0,1] neg_hi:[0,1]
	v_pk_add_f32 v[70:71], v[24:25], v[68:69]
	v_mov_b32_e32 v27, v24
	v_mov_b32_e32 v7, v71
	v_pk_add_f32 v[80:81], v[26:27], v[6:7] neg_lo:[0,1] neg_hi:[0,1]
	v_pk_add_f32 v[6:7], v[26:27], v[6:7]
	s_mov_b32 s5, 0x33800000
	v_mov_b32_e32 v2, v7
	v_pk_add_f32 v[26:27], v[2:3], v[24:25] neg_lo:[0,1] neg_hi:[0,1]
	v_mov_b32_e32 v6, v71
	v_mov_b32_e32 v19, v26
	v_pk_add_f32 v[82:83], v[70:71], v[18:19] neg_lo:[0,1] neg_hi:[0,1]
	v_mov_b32_e32 v70, v25
	v_mov_b32_e32 v71, v26
	;; [unrolled: 1-line block ×3, first 2 shown]
	v_pk_add_f32 v[6:7], v[6:7], v[70:71] neg_lo:[0,1] neg_hi:[0,1]
	v_mov_b32_e32 v26, v69
	v_mov_b32_e32 v27, v24
	v_pk_add_f32 v[6:7], v[26:27], v[6:7] neg_lo:[0,1] neg_hi:[0,1]
	v_mov_b32_e32 v82, v80
	v_pk_add_f32 v[24:25], v[82:83], v[6:7]
	v_cmp_lt_f32_e64 s[6:7], |v33|, s5
	v_mov_b32_e32 v26, v25
	v_pk_add_f32 v[26:27], v[24:25], v[26:27]
	s_or_b64 vcc, vcc, s[6:7]
	v_pk_add_f32 v[68:69], v[2:3], v[26:27]
	v_mov_b32_e32 v7, v26
	v_mov_b32_e32 v25, v68
	v_pk_add_f32 v[70:71], v[24:25], v[80:81] neg_lo:[0,1] neg_hi:[0,1]
	s_nop 0
	v_sub_f32_e32 v2, v24, v70
	v_pk_add_f32 v[6:7], v[6:7], v[70:71] neg_lo:[0,1] neg_hi:[0,1]
	v_sub_f32_e32 v2, v80, v2
	v_add_f32_e32 v2, v6, v2
	v_add_f32_e32 v2, v2, v7
	;; [unrolled: 1-line block ×3, first 2 shown]
	v_cndmask_b32_e32 v2, v2, v33, vcc
	v_add_f32_e32 v2, v3, v2
	v_cvt_f16_f32_e32 v82, v2
	v_cvt_f32_f16_e32 v2, v82
	v_mov_b32_e32 v49, v82
.LBB428_378:
	s_or_b64 exec, exec, s[2:3]
	v_max_f32_e32 v3, v20, v20
	v_max_f32_e32 v7, v2, v2
	v_min_f32_e32 v6, v7, v3
	v_cmp_u_f16_e32 vcc, v82, v82
	v_max_f32_e32 v3, v7, v3
	v_mov_b32_e32 v68, v49
	v_cndmask_b32_e32 v6, v6, v2, vcc
	v_cndmask_b32_e32 v3, v3, v2, vcc
	v_cndmask_b32_e64 v6, v6, v20, s[20:21]
	v_cndmask_b32_e64 v3, v3, v20, s[20:21]
	v_cmp_neq_f32_e32 vcc, v6, v3
	v_cmp_class_f32_e64 s[2:3], v6, s4
	s_or_b64 s[4:5], vcc, s[2:3]
	s_and_saveexec_b64 s[2:3], s[4:5]
	s_cbranch_execz .LBB428_380
; %bb.379:
	v_sub_f32_e32 v2, v6, v3
	s_mov_b32 s4, 0x3fb8aa3b
	v_mul_f32_e32 v6, 0x3fb8aa3b, v2
	v_fma_f32 v7, v2, s4, -v6
	v_rndne_f32_e32 v19, v6
	v_fmamk_f32 v7, v2, 0x32a5705f, v7
	v_sub_f32_e32 v6, v6, v19
	v_add_f32_e32 v6, v6, v7
	v_exp_f32_e32 v6, v6
	v_cvt_i32_f32_e32 v7, v19
	s_mov_b32 s4, 0xc2ce8ed0
	v_cmp_ngt_f32_e32 vcc, s4, v2
	s_mov_b32 s4, 0x42b17218
	v_ldexp_f32 v6, v6, v7
	v_cndmask_b32_e32 v6, 0, v6, vcc
	v_mov_b32_e32 v7, 0x7f800000
	v_cmp_nlt_f32_e32 vcc, s4, v2
	s_mov_b32 s4, 0x3f2aaaab
	s_mov_b32 s5, 0x7f800000
	v_cndmask_b32_e32 v33, v7, v6, vcc
	v_add_f32_e32 v2, 1.0, v33
	v_add_f32_e32 v6, -1.0, v2
	v_sub_f32_e32 v7, v6, v2
	v_add_f32_e32 v7, 1.0, v7
	v_sub_f32_e32 v6, v33, v6
	v_add_f32_e32 v19, v6, v7
	v_frexp_mant_f32_e32 v20, v2
	v_cvt_f64_f32_e32 v[6:7], v2
	v_frexp_exp_i32_f64_e32 v6, v[6:7]
	v_cmp_gt_f32_e32 vcc, s4, v20
	s_mov_b32 s4, 0x3f317218
	s_nop 0
	v_subbrev_co_u32_e32 v20, vcc, 0, v6, vcc
	v_sub_u32_e32 v6, 0, v20
	v_ldexp_f32 v2, v2, v6
	v_ldexp_f32 v6, v19, v6
	v_add_f32_e32 v19, -1.0, v2
	v_add_f32_e32 v7, 1.0, v19
	v_sub_f32_e32 v7, v2, v7
	v_add_f32_e32 v24, v6, v7
	v_add_f32_e32 v7, 1.0, v2
	v_add_f32_e32 v25, -1.0, v7
	v_sub_f32_e32 v2, v2, v25
	v_add_f32_e32 v2, v6, v2
	v_add_f32_e32 v70, v7, v2
	v_rcp_f32_e32 v71, v70
	v_sub_f32_e32 v6, v7, v70
	v_add_f32_e32 v7, v19, v24
	v_add_f32_e32 v2, v2, v6
	v_sub_f32_e32 v6, v19, v7
	v_mul_f32_e32 v80, v7, v71
	v_add_f32_e32 v19, v24, v6
	v_mul_f32_e32 v24, v70, v80
	v_fma_f32 v26, v80, v70, -v24
	v_fmac_f32_e32 v26, v80, v2
	v_add_f32_e32 v6, v24, v26
	v_sub_f32_e32 v25, v7, v6
	v_pk_add_f32 v[68:69], v[6:7], v[24:25] neg_lo:[0,1] neg_hi:[0,1]
	v_mov_b32_e32 v27, v6
	v_pk_add_f32 v[6:7], v[68:69], v[26:27] neg_lo:[0,1] neg_hi:[0,1]
	v_cmp_eq_f32_e32 vcc, s5, v33
	v_add_f32_e32 v7, v19, v7
	v_add_f32_e32 v6, v6, v7
	;; [unrolled: 1-line block ×3, first 2 shown]
	v_mul_f32_e32 v19, v71, v7
	v_mul_f32_e32 v24, v70, v19
	v_fma_f32 v26, v19, v70, -v24
	v_fmac_f32_e32 v26, v19, v2
	v_sub_f32_e32 v2, v25, v7
	v_add_f32_e32 v2, v6, v2
	v_add_f32_e32 v6, v24, v26
	v_sub_f32_e32 v25, v7, v6
	v_pk_add_f32 v[68:69], v[6:7], v[24:25] neg_lo:[0,1] neg_hi:[0,1]
	v_mov_b32_e32 v27, v6
	v_pk_add_f32 v[6:7], v[68:69], v[26:27] neg_lo:[0,1] neg_hi:[0,1]
	v_cvt_f32_i32_e32 v24, v20
	v_add_f32_e32 v2, v2, v7
	v_add_f32_e32 v2, v6, v2
	;; [unrolled: 1-line block ×4, first 2 shown]
	v_sub_f32_e32 v7, v6, v80
	v_mul_f32_e32 v2, v71, v2
	v_sub_f32_e32 v7, v19, v7
	v_add_f32_e32 v2, v7, v2
	v_add_f32_e32 v19, v6, v2
	v_mul_f32_e32 v25, v19, v19
	v_mov_b32_e32 v7, 0x3ecc95a3
	v_fmac_f32_e32 v7, 0x3e9b6dac, v25
	v_sub_f32_e32 v6, v19, v6
	v_fmaak_f32 v7, v25, v7, 0x3f2aaada
	v_sub_f32_e32 v2, v2, v6
	v_mul_f32_e32 v25, v19, v25
	v_mov_b32_e32 v6, 0x3f317218
	v_pk_mul_f32 v[6:7], v[24:25], v[6:7]
	v_ldexp_f32 v27, v19, 1
	v_fma_f32 v19, v24, s4, -v6
	v_fmamk_f32 v26, v24, 0xb102e308, v19
	v_pk_add_f32 v[24:25], v[6:7], v[26:27]
	v_ldexp_f32 v2, v2, 1
	v_sub_f32_e32 v19, v25, v27
	v_sub_f32_e32 v19, v7, v19
	v_add_f32_e32 v69, v2, v19
	v_mov_b32_e32 v68, v6
	v_pk_add_f32 v[6:7], v[24:25], v[6:7] neg_lo:[0,1] neg_hi:[0,1]
	v_pk_add_f32 v[70:71], v[24:25], v[68:69]
	v_mov_b32_e32 v27, v24
	v_mov_b32_e32 v7, v71
	v_pk_add_f32 v[80:81], v[26:27], v[6:7] neg_lo:[0,1] neg_hi:[0,1]
	v_pk_add_f32 v[6:7], v[26:27], v[6:7]
	s_mov_b32 s4, 0x33800000
	v_mov_b32_e32 v2, v7
	v_pk_add_f32 v[26:27], v[2:3], v[24:25] neg_lo:[0,1] neg_hi:[0,1]
	v_mov_b32_e32 v6, v71
	v_mov_b32_e32 v19, v26
	v_pk_add_f32 v[82:83], v[70:71], v[18:19] neg_lo:[0,1] neg_hi:[0,1]
	v_mov_b32_e32 v70, v25
	v_mov_b32_e32 v71, v26
	;; [unrolled: 1-line block ×3, first 2 shown]
	v_pk_add_f32 v[6:7], v[6:7], v[70:71] neg_lo:[0,1] neg_hi:[0,1]
	v_mov_b32_e32 v26, v69
	v_mov_b32_e32 v27, v24
	v_pk_add_f32 v[6:7], v[26:27], v[6:7] neg_lo:[0,1] neg_hi:[0,1]
	v_mov_b32_e32 v82, v80
	v_pk_add_f32 v[24:25], v[82:83], v[6:7]
	v_cmp_lt_f32_e64 s[4:5], |v33|, s4
	v_mov_b32_e32 v20, v25
	v_pk_add_f32 v[26:27], v[24:25], v[20:21]
	s_or_b64 vcc, vcc, s[4:5]
	v_pk_add_f32 v[68:69], v[2:3], v[26:27]
	v_mov_b32_e32 v7, v26
	v_mov_b32_e32 v25, v68
	v_pk_add_f32 v[70:71], v[24:25], v[80:81] neg_lo:[0,1] neg_hi:[0,1]
	s_nop 0
	v_sub_f32_e32 v2, v24, v70
	v_pk_add_f32 v[6:7], v[6:7], v[70:71] neg_lo:[0,1] neg_hi:[0,1]
	v_sub_f32_e32 v2, v80, v2
	v_add_f32_e32 v2, v6, v2
	v_add_f32_e32 v2, v2, v7
	;; [unrolled: 1-line block ×3, first 2 shown]
	v_cndmask_b32_e32 v2, v2, v33, vcc
	v_add_f32_e32 v2, v3, v2
	v_cvt_f16_f32_e32 v82, v2
	v_cvt_f32_f16_e32 v2, v82
	v_mov_b32_e32 v68, v82
.LBB428_380:
	s_or_b64 exec, exec, s[2:3]
	v_max_f32_e32 v3, v50, v50
	v_max_f32_e32 v7, v2, v2
	v_min_f32_e32 v6, v7, v3
	v_cmp_u_f16_e32 vcc, v82, v82
	v_max_f32_e32 v3, v7, v3
	s_movk_i32 s4, 0x1f8
	v_cndmask_b32_e32 v6, v6, v2, vcc
	v_cndmask_b32_e32 v3, v3, v2, vcc
	v_cndmask_b32_e64 v6, v6, v50, s[22:23]
	v_cndmask_b32_e64 v3, v3, v50, s[22:23]
	v_cmp_neq_f32_e32 vcc, v6, v3
	v_cmp_class_f32_e64 s[2:3], v6, s4
	s_or_b64 s[6:7], vcc, s[2:3]
	v_mov_b32_e32 v50, v68
	s_and_saveexec_b64 s[2:3], s[6:7]
	s_cbranch_execz .LBB428_382
; %bb.381:
	v_sub_f32_e32 v2, v6, v3
	s_mov_b32 s5, 0x3fb8aa3b
	v_mul_f32_e32 v6, 0x3fb8aa3b, v2
	v_fma_f32 v7, v2, s5, -v6
	v_rndne_f32_e32 v19, v6
	v_fmamk_f32 v7, v2, 0x32a5705f, v7
	v_sub_f32_e32 v6, v6, v19
	v_add_f32_e32 v6, v6, v7
	v_exp_f32_e32 v6, v6
	v_cvt_i32_f32_e32 v7, v19
	s_mov_b32 s5, 0xc2ce8ed0
	v_cmp_ngt_f32_e32 vcc, s5, v2
	s_mov_b32 s5, 0x42b17218
	v_ldexp_f32 v6, v6, v7
	v_cndmask_b32_e32 v6, 0, v6, vcc
	v_mov_b32_e32 v7, 0x7f800000
	v_cmp_nlt_f32_e32 vcc, s5, v2
	s_mov_b32 s5, 0x3f2aaaab
	s_mov_b32 s6, 0x7f800000
	v_cndmask_b32_e32 v33, v7, v6, vcc
	v_add_f32_e32 v2, 1.0, v33
	v_add_f32_e32 v6, -1.0, v2
	v_sub_f32_e32 v7, v6, v2
	v_add_f32_e32 v7, 1.0, v7
	v_sub_f32_e32 v6, v33, v6
	v_add_f32_e32 v19, v6, v7
	v_frexp_mant_f32_e32 v20, v2
	v_cvt_f64_f32_e32 v[6:7], v2
	v_frexp_exp_i32_f64_e32 v6, v[6:7]
	v_cmp_gt_f32_e32 vcc, s5, v20
	s_mov_b32 s5, 0x3f317218
	s_nop 0
	v_subbrev_co_u32_e32 v20, vcc, 0, v6, vcc
	v_sub_u32_e32 v6, 0, v20
	v_ldexp_f32 v2, v2, v6
	v_ldexp_f32 v6, v19, v6
	v_add_f32_e32 v19, -1.0, v2
	v_add_f32_e32 v7, 1.0, v19
	v_sub_f32_e32 v7, v2, v7
	v_add_f32_e32 v24, v6, v7
	v_add_f32_e32 v7, 1.0, v2
	v_add_f32_e32 v25, -1.0, v7
	v_sub_f32_e32 v2, v2, v25
	v_add_f32_e32 v2, v6, v2
	v_add_f32_e32 v50, v7, v2
	v_rcp_f32_e32 v69, v50
	v_sub_f32_e32 v6, v7, v50
	v_add_f32_e32 v7, v19, v24
	v_add_f32_e32 v2, v2, v6
	v_sub_f32_e32 v6, v19, v7
	v_mul_f32_e32 v80, v7, v69
	v_add_f32_e32 v19, v24, v6
	v_mul_f32_e32 v24, v50, v80
	v_fma_f32 v26, v80, v50, -v24
	v_fmac_f32_e32 v26, v80, v2
	v_add_f32_e32 v6, v24, v26
	v_sub_f32_e32 v25, v7, v6
	v_pk_add_f32 v[70:71], v[6:7], v[24:25] neg_lo:[0,1] neg_hi:[0,1]
	v_mov_b32_e32 v27, v6
	v_pk_add_f32 v[6:7], v[70:71], v[26:27] neg_lo:[0,1] neg_hi:[0,1]
	v_cmp_eq_f32_e32 vcc, s6, v33
	v_add_f32_e32 v7, v19, v7
	v_add_f32_e32 v6, v6, v7
	;; [unrolled: 1-line block ×3, first 2 shown]
	v_mul_f32_e32 v19, v69, v7
	v_mul_f32_e32 v24, v50, v19
	v_fma_f32 v26, v19, v50, -v24
	v_fmac_f32_e32 v26, v19, v2
	v_sub_f32_e32 v2, v25, v7
	v_add_f32_e32 v2, v6, v2
	v_add_f32_e32 v6, v24, v26
	v_sub_f32_e32 v25, v7, v6
	v_pk_add_f32 v[70:71], v[6:7], v[24:25] neg_lo:[0,1] neg_hi:[0,1]
	v_mov_b32_e32 v27, v6
	v_pk_add_f32 v[6:7], v[70:71], v[26:27] neg_lo:[0,1] neg_hi:[0,1]
	v_cvt_f32_i32_e32 v24, v20
	v_add_f32_e32 v2, v2, v7
	v_add_f32_e32 v2, v6, v2
	;; [unrolled: 1-line block ×4, first 2 shown]
	v_sub_f32_e32 v7, v6, v80
	v_mul_f32_e32 v2, v69, v2
	v_sub_f32_e32 v7, v19, v7
	v_add_f32_e32 v2, v7, v2
	v_add_f32_e32 v19, v6, v2
	v_mul_f32_e32 v25, v19, v19
	v_mov_b32_e32 v7, 0x3ecc95a3
	v_fmac_f32_e32 v7, 0x3e9b6dac, v25
	v_sub_f32_e32 v6, v19, v6
	v_fmaak_f32 v7, v25, v7, 0x3f2aaada
	v_sub_f32_e32 v2, v2, v6
	v_mul_f32_e32 v25, v19, v25
	v_mov_b32_e32 v6, 0x3f317218
	v_pk_mul_f32 v[6:7], v[24:25], v[6:7]
	v_ldexp_f32 v27, v19, 1
	v_fma_f32 v19, v24, s5, -v6
	v_fmamk_f32 v26, v24, 0xb102e308, v19
	v_pk_add_f32 v[24:25], v[6:7], v[26:27]
	v_ldexp_f32 v2, v2, 1
	v_sub_f32_e32 v19, v25, v27
	v_sub_f32_e32 v19, v7, v19
	v_add_f32_e32 v71, v2, v19
	v_mov_b32_e32 v70, v6
	v_pk_add_f32 v[6:7], v[24:25], v[6:7] neg_lo:[0,1] neg_hi:[0,1]
	v_pk_add_f32 v[80:81], v[24:25], v[70:71]
	v_mov_b32_e32 v27, v24
	v_mov_b32_e32 v7, v81
	v_pk_add_f32 v[82:83], v[26:27], v[6:7] neg_lo:[0,1] neg_hi:[0,1]
	v_pk_add_f32 v[6:7], v[26:27], v[6:7]
	s_mov_b32 s5, 0x33800000
	v_mov_b32_e32 v2, v7
	v_pk_add_f32 v[26:27], v[2:3], v[24:25] neg_lo:[0,1] neg_hi:[0,1]
	v_mov_b32_e32 v6, v81
	v_mov_b32_e32 v19, v26
	v_pk_add_f32 v[84:85], v[80:81], v[18:19] neg_lo:[0,1] neg_hi:[0,1]
	v_mov_b32_e32 v80, v25
	v_mov_b32_e32 v81, v26
	;; [unrolled: 1-line block ×3, first 2 shown]
	v_pk_add_f32 v[6:7], v[6:7], v[80:81] neg_lo:[0,1] neg_hi:[0,1]
	v_mov_b32_e32 v26, v71
	v_mov_b32_e32 v27, v24
	v_pk_add_f32 v[6:7], v[26:27], v[6:7] neg_lo:[0,1] neg_hi:[0,1]
	v_mov_b32_e32 v84, v82
	v_pk_add_f32 v[24:25], v[84:85], v[6:7]
	v_cmp_lt_f32_e64 s[6:7], |v33|, s5
	v_mov_b32_e32 v20, v25
	v_pk_add_f32 v[26:27], v[24:25], v[20:21]
	s_or_b64 vcc, vcc, s[6:7]
	v_pk_add_f32 v[70:71], v[2:3], v[26:27]
	v_mov_b32_e32 v7, v26
	v_mov_b32_e32 v25, v70
	v_pk_add_f32 v[80:81], v[24:25], v[82:83] neg_lo:[0,1] neg_hi:[0,1]
	s_nop 0
	v_sub_f32_e32 v2, v24, v80
	v_pk_add_f32 v[6:7], v[6:7], v[80:81] neg_lo:[0,1] neg_hi:[0,1]
	v_sub_f32_e32 v2, v82, v2
	v_add_f32_e32 v2, v6, v2
	v_add_f32_e32 v2, v2, v7
	;; [unrolled: 1-line block ×3, first 2 shown]
	v_cndmask_b32_e32 v2, v2, v33, vcc
	v_add_f32_e32 v2, v3, v2
	v_cvt_f16_f32_e32 v82, v2
	v_cvt_f32_f16_e32 v2, v82
	v_mov_b32_e32 v50, v82
.LBB428_382:
	s_or_b64 exec, exec, s[2:3]
	v_max_f32_e32 v3, v21, v21
	v_max_f32_e32 v7, v2, v2
	v_min_f32_e32 v6, v7, v3
	v_cmp_u_f16_e32 vcc, v82, v82
	v_max_f32_e32 v3, v7, v3
	v_mov_b32_e32 v69, v50
	v_cndmask_b32_e32 v6, v6, v2, vcc
	v_cndmask_b32_e32 v3, v3, v2, vcc
	v_cndmask_b32_e64 v6, v6, v21, s[24:25]
	v_cndmask_b32_e64 v3, v3, v21, s[24:25]
	v_cmp_neq_f32_e32 vcc, v6, v3
	v_cmp_class_f32_e64 s[2:3], v6, s4
	s_or_b64 s[4:5], vcc, s[2:3]
	s_and_saveexec_b64 s[2:3], s[4:5]
	s_cbranch_execz .LBB428_384
; %bb.383:
	v_sub_f32_e32 v2, v6, v3
	s_mov_b32 s4, 0x3fb8aa3b
	v_mul_f32_e32 v6, 0x3fb8aa3b, v2
	v_fma_f32 v7, v2, s4, -v6
	v_rndne_f32_e32 v19, v6
	v_fmamk_f32 v7, v2, 0x32a5705f, v7
	v_sub_f32_e32 v6, v6, v19
	v_add_f32_e32 v6, v6, v7
	v_exp_f32_e32 v6, v6
	v_cvt_i32_f32_e32 v7, v19
	s_mov_b32 s4, 0xc2ce8ed0
	v_cmp_ngt_f32_e32 vcc, s4, v2
	s_mov_b32 s4, 0x42b17218
	v_ldexp_f32 v6, v6, v7
	v_cndmask_b32_e32 v6, 0, v6, vcc
	v_mov_b32_e32 v7, 0x7f800000
	v_cmp_nlt_f32_e32 vcc, s4, v2
	s_mov_b32 s4, 0x3f2aaaab
	s_mov_b32 s5, 0x7f800000
	v_cndmask_b32_e32 v33, v7, v6, vcc
	v_add_f32_e32 v2, 1.0, v33
	v_add_f32_e32 v6, -1.0, v2
	v_sub_f32_e32 v7, v6, v2
	v_add_f32_e32 v7, 1.0, v7
	v_sub_f32_e32 v6, v33, v6
	v_add_f32_e32 v19, v6, v7
	v_frexp_mant_f32_e32 v20, v2
	v_cvt_f64_f32_e32 v[6:7], v2
	v_frexp_exp_i32_f64_e32 v6, v[6:7]
	v_cmp_gt_f32_e32 vcc, s4, v20
	s_mov_b32 s4, 0x3f317218
	s_nop 0
	v_subbrev_co_u32_e32 v69, vcc, 0, v6, vcc
	v_sub_u32_e32 v6, 0, v69
	v_ldexp_f32 v2, v2, v6
	v_ldexp_f32 v6, v19, v6
	v_add_f32_e32 v19, -1.0, v2
	v_add_f32_e32 v7, 1.0, v19
	v_sub_f32_e32 v7, v2, v7
	v_add_f32_e32 v20, v6, v7
	v_add_f32_e32 v7, 1.0, v2
	v_add_f32_e32 v21, -1.0, v7
	v_sub_f32_e32 v2, v2, v21
	v_add_f32_e32 v2, v6, v2
	v_add_f32_e32 v70, v7, v2
	v_rcp_f32_e32 v71, v70
	v_sub_f32_e32 v6, v7, v70
	v_add_f32_e32 v7, v19, v20
	v_add_f32_e32 v2, v2, v6
	v_sub_f32_e32 v6, v19, v7
	v_mul_f32_e32 v80, v7, v71
	v_add_f32_e32 v19, v20, v6
	v_mul_f32_e32 v20, v70, v80
	v_fma_f32 v24, v80, v70, -v20
	v_fmac_f32_e32 v24, v80, v2
	v_add_f32_e32 v6, v20, v24
	v_sub_f32_e32 v21, v7, v6
	v_pk_add_f32 v[26:27], v[6:7], v[20:21] neg_lo:[0,1] neg_hi:[0,1]
	v_mov_b32_e32 v25, v6
	v_pk_add_f32 v[6:7], v[26:27], v[24:25] neg_lo:[0,1] neg_hi:[0,1]
	v_cmp_eq_f32_e32 vcc, s5, v33
	v_add_f32_e32 v7, v19, v7
	v_add_f32_e32 v6, v6, v7
	;; [unrolled: 1-line block ×3, first 2 shown]
	v_mul_f32_e32 v19, v71, v7
	v_mul_f32_e32 v20, v70, v19
	v_fma_f32 v24, v19, v70, -v20
	v_fmac_f32_e32 v24, v19, v2
	v_sub_f32_e32 v2, v21, v7
	v_add_f32_e32 v2, v6, v2
	v_add_f32_e32 v6, v20, v24
	v_sub_f32_e32 v21, v7, v6
	v_pk_add_f32 v[26:27], v[6:7], v[20:21] neg_lo:[0,1] neg_hi:[0,1]
	v_mov_b32_e32 v25, v6
	v_pk_add_f32 v[6:7], v[26:27], v[24:25] neg_lo:[0,1] neg_hi:[0,1]
	v_cvt_f32_i32_e32 v20, v69
	v_add_f32_e32 v2, v2, v7
	v_add_f32_e32 v2, v6, v2
	;; [unrolled: 1-line block ×4, first 2 shown]
	v_sub_f32_e32 v7, v6, v80
	v_mul_f32_e32 v2, v71, v2
	v_sub_f32_e32 v7, v19, v7
	v_add_f32_e32 v2, v7, v2
	v_add_f32_e32 v19, v6, v2
	v_mul_f32_e32 v21, v19, v19
	v_mov_b32_e32 v7, 0x3ecc95a3
	v_fmac_f32_e32 v7, 0x3e9b6dac, v21
	v_sub_f32_e32 v6, v19, v6
	v_fmaak_f32 v7, v21, v7, 0x3f2aaada
	v_sub_f32_e32 v2, v2, v6
	v_mul_f32_e32 v21, v19, v21
	v_mov_b32_e32 v6, 0x3f317218
	v_pk_mul_f32 v[6:7], v[20:21], v[6:7]
	v_ldexp_f32 v25, v19, 1
	v_fma_f32 v19, v20, s4, -v6
	v_fmamk_f32 v24, v20, 0xb102e308, v19
	v_pk_add_f32 v[20:21], v[6:7], v[24:25]
	v_ldexp_f32 v2, v2, 1
	v_sub_f32_e32 v19, v21, v25
	v_sub_f32_e32 v19, v7, v19
	v_add_f32_e32 v27, v2, v19
	v_mov_b32_e32 v26, v6
	v_pk_add_f32 v[6:7], v[20:21], v[6:7] neg_lo:[0,1] neg_hi:[0,1]
	v_pk_add_f32 v[70:71], v[20:21], v[26:27]
	v_mov_b32_e32 v25, v20
	v_mov_b32_e32 v7, v71
	v_pk_add_f32 v[80:81], v[24:25], v[6:7] neg_lo:[0,1] neg_hi:[0,1]
	v_pk_add_f32 v[6:7], v[24:25], v[6:7]
	s_mov_b32 s4, 0x33800000
	v_mov_b32_e32 v2, v7
	v_pk_add_f32 v[24:25], v[2:3], v[20:21] neg_lo:[0,1] neg_hi:[0,1]
	v_mov_b32_e32 v6, v71
	v_mov_b32_e32 v19, v24
	v_pk_add_f32 v[82:83], v[70:71], v[18:19] neg_lo:[0,1] neg_hi:[0,1]
	v_mov_b32_e32 v70, v21
	v_mov_b32_e32 v71, v24
	;; [unrolled: 1-line block ×3, first 2 shown]
	v_pk_add_f32 v[6:7], v[6:7], v[70:71] neg_lo:[0,1] neg_hi:[0,1]
	v_mov_b32_e32 v24, v27
	v_mov_b32_e32 v25, v20
	v_pk_add_f32 v[6:7], v[24:25], v[6:7] neg_lo:[0,1] neg_hi:[0,1]
	v_mov_b32_e32 v82, v80
	v_pk_add_f32 v[20:21], v[82:83], v[6:7]
	v_cmp_lt_f32_e64 s[4:5], |v33|, s4
	v_mov_b32_e32 v24, v21
	v_pk_add_f32 v[24:25], v[20:21], v[24:25]
	s_or_b64 vcc, vcc, s[4:5]
	v_pk_add_f32 v[26:27], v[2:3], v[24:25]
	v_mov_b32_e32 v7, v24
	v_mov_b32_e32 v21, v26
	v_pk_add_f32 v[70:71], v[20:21], v[80:81] neg_lo:[0,1] neg_hi:[0,1]
	s_nop 0
	v_sub_f32_e32 v2, v20, v70
	v_pk_add_f32 v[6:7], v[6:7], v[70:71] neg_lo:[0,1] neg_hi:[0,1]
	v_sub_f32_e32 v2, v80, v2
	v_add_f32_e32 v2, v6, v2
	v_add_f32_e32 v2, v2, v7
	v_add_f32_e32 v2, v26, v2
	v_cndmask_b32_e32 v2, v2, v33, vcc
	v_add_f32_e32 v2, v3, v2
	v_cvt_f16_f32_e32 v82, v2
	v_cvt_f32_f16_e32 v2, v82
	v_mov_b32_e32 v69, v82
.LBB428_384:
	s_or_b64 exec, exec, s[2:3]
	v_max_f32_e32 v3, v51, v51
	v_max_f32_e32 v7, v2, v2
	v_min_f32_e32 v6, v7, v3
	v_cmp_u_f16_e32 vcc, v82, v82
	v_max_f32_e32 v3, v7, v3
	s_movk_i32 s4, 0x1f8
	v_cndmask_b32_e32 v6, v6, v2, vcc
	v_cndmask_b32_e32 v3, v3, v2, vcc
	v_cndmask_b32_e64 v6, v6, v51, s[26:27]
	v_cndmask_b32_e64 v3, v3, v51, s[26:27]
	v_cmp_neq_f32_e32 vcc, v6, v3
	v_cmp_class_f32_e64 s[2:3], v6, s4
	s_or_b64 s[6:7], vcc, s[2:3]
	v_mov_b32_e32 v51, v69
	s_and_saveexec_b64 s[2:3], s[6:7]
	s_cbranch_execz .LBB428_386
; %bb.385:
	v_sub_f32_e32 v2, v6, v3
	s_mov_b32 s5, 0x3fb8aa3b
	v_mul_f32_e32 v6, 0x3fb8aa3b, v2
	v_fma_f32 v7, v2, s5, -v6
	v_rndne_f32_e32 v19, v6
	v_fmamk_f32 v7, v2, 0x32a5705f, v7
	v_sub_f32_e32 v6, v6, v19
	v_add_f32_e32 v6, v6, v7
	v_exp_f32_e32 v6, v6
	v_cvt_i32_f32_e32 v7, v19
	s_mov_b32 s5, 0xc2ce8ed0
	v_cmp_ngt_f32_e32 vcc, s5, v2
	s_mov_b32 s5, 0x42b17218
	v_ldexp_f32 v6, v6, v7
	v_cndmask_b32_e32 v6, 0, v6, vcc
	v_mov_b32_e32 v7, 0x7f800000
	v_cmp_nlt_f32_e32 vcc, s5, v2
	s_mov_b32 s5, 0x3f2aaaab
	s_mov_b32 s6, 0x7f800000
	v_cndmask_b32_e32 v33, v7, v6, vcc
	v_add_f32_e32 v2, 1.0, v33
	v_add_f32_e32 v6, -1.0, v2
	v_sub_f32_e32 v7, v6, v2
	v_add_f32_e32 v7, 1.0, v7
	v_sub_f32_e32 v6, v33, v6
	v_add_f32_e32 v19, v6, v7
	v_frexp_mant_f32_e32 v20, v2
	v_cvt_f64_f32_e32 v[6:7], v2
	v_frexp_exp_i32_f64_e32 v6, v[6:7]
	v_cmp_gt_f32_e32 vcc, s5, v20
	s_mov_b32 s5, 0x3f317218
	s_nop 0
	v_subbrev_co_u32_e32 v51, vcc, 0, v6, vcc
	v_sub_u32_e32 v6, 0, v51
	v_ldexp_f32 v2, v2, v6
	v_ldexp_f32 v6, v19, v6
	v_add_f32_e32 v19, -1.0, v2
	v_add_f32_e32 v7, 1.0, v19
	v_sub_f32_e32 v7, v2, v7
	v_add_f32_e32 v20, v6, v7
	v_add_f32_e32 v7, 1.0, v2
	v_add_f32_e32 v21, -1.0, v7
	v_sub_f32_e32 v2, v2, v21
	v_add_f32_e32 v2, v6, v2
	v_add_f32_e32 v70, v7, v2
	v_rcp_f32_e32 v71, v70
	v_sub_f32_e32 v6, v7, v70
	v_add_f32_e32 v7, v19, v20
	v_add_f32_e32 v2, v2, v6
	v_sub_f32_e32 v6, v19, v7
	v_mul_f32_e32 v80, v7, v71
	v_add_f32_e32 v19, v20, v6
	v_mul_f32_e32 v20, v70, v80
	v_fma_f32 v24, v80, v70, -v20
	v_fmac_f32_e32 v24, v80, v2
	v_add_f32_e32 v6, v20, v24
	v_sub_f32_e32 v21, v7, v6
	v_pk_add_f32 v[26:27], v[6:7], v[20:21] neg_lo:[0,1] neg_hi:[0,1]
	v_mov_b32_e32 v25, v6
	v_pk_add_f32 v[6:7], v[26:27], v[24:25] neg_lo:[0,1] neg_hi:[0,1]
	v_cmp_eq_f32_e32 vcc, s6, v33
	v_add_f32_e32 v7, v19, v7
	v_add_f32_e32 v6, v6, v7
	;; [unrolled: 1-line block ×3, first 2 shown]
	v_mul_f32_e32 v19, v71, v7
	v_mul_f32_e32 v20, v70, v19
	v_fma_f32 v24, v19, v70, -v20
	v_fmac_f32_e32 v24, v19, v2
	v_sub_f32_e32 v2, v21, v7
	v_add_f32_e32 v2, v6, v2
	v_add_f32_e32 v6, v20, v24
	v_sub_f32_e32 v21, v7, v6
	v_pk_add_f32 v[26:27], v[6:7], v[20:21] neg_lo:[0,1] neg_hi:[0,1]
	v_mov_b32_e32 v25, v6
	v_pk_add_f32 v[6:7], v[26:27], v[24:25] neg_lo:[0,1] neg_hi:[0,1]
	v_cvt_f32_i32_e32 v20, v51
	v_add_f32_e32 v2, v2, v7
	v_add_f32_e32 v2, v6, v2
	;; [unrolled: 1-line block ×4, first 2 shown]
	v_sub_f32_e32 v7, v6, v80
	v_mul_f32_e32 v2, v71, v2
	v_sub_f32_e32 v7, v19, v7
	v_add_f32_e32 v2, v7, v2
	v_add_f32_e32 v19, v6, v2
	v_mul_f32_e32 v21, v19, v19
	v_mov_b32_e32 v7, 0x3ecc95a3
	v_fmac_f32_e32 v7, 0x3e9b6dac, v21
	v_sub_f32_e32 v6, v19, v6
	v_fmaak_f32 v7, v21, v7, 0x3f2aaada
	v_sub_f32_e32 v2, v2, v6
	v_mul_f32_e32 v21, v19, v21
	v_mov_b32_e32 v6, 0x3f317218
	v_pk_mul_f32 v[6:7], v[20:21], v[6:7]
	v_ldexp_f32 v25, v19, 1
	v_fma_f32 v19, v20, s5, -v6
	v_fmamk_f32 v24, v20, 0xb102e308, v19
	v_pk_add_f32 v[20:21], v[6:7], v[24:25]
	v_ldexp_f32 v2, v2, 1
	v_sub_f32_e32 v19, v21, v25
	v_sub_f32_e32 v19, v7, v19
	v_add_f32_e32 v27, v2, v19
	v_mov_b32_e32 v26, v6
	v_pk_add_f32 v[6:7], v[20:21], v[6:7] neg_lo:[0,1] neg_hi:[0,1]
	v_pk_add_f32 v[70:71], v[20:21], v[26:27]
	v_mov_b32_e32 v25, v20
	v_mov_b32_e32 v7, v71
	v_pk_add_f32 v[80:81], v[24:25], v[6:7] neg_lo:[0,1] neg_hi:[0,1]
	v_pk_add_f32 v[6:7], v[24:25], v[6:7]
	s_mov_b32 s5, 0x33800000
	v_mov_b32_e32 v2, v7
	v_pk_add_f32 v[24:25], v[2:3], v[20:21] neg_lo:[0,1] neg_hi:[0,1]
	v_mov_b32_e32 v6, v71
	v_mov_b32_e32 v19, v24
	v_pk_add_f32 v[82:83], v[70:71], v[18:19] neg_lo:[0,1] neg_hi:[0,1]
	v_mov_b32_e32 v70, v21
	v_mov_b32_e32 v71, v24
	;; [unrolled: 1-line block ×3, first 2 shown]
	v_pk_add_f32 v[6:7], v[6:7], v[70:71] neg_lo:[0,1] neg_hi:[0,1]
	v_mov_b32_e32 v24, v27
	v_mov_b32_e32 v25, v20
	v_pk_add_f32 v[6:7], v[24:25], v[6:7] neg_lo:[0,1] neg_hi:[0,1]
	v_mov_b32_e32 v82, v80
	v_pk_add_f32 v[20:21], v[82:83], v[6:7]
	v_cmp_lt_f32_e64 s[6:7], |v33|, s5
	v_mov_b32_e32 v24, v21
	v_pk_add_f32 v[24:25], v[20:21], v[24:25]
	s_or_b64 vcc, vcc, s[6:7]
	v_pk_add_f32 v[26:27], v[2:3], v[24:25]
	v_mov_b32_e32 v7, v24
	v_mov_b32_e32 v21, v26
	v_pk_add_f32 v[70:71], v[20:21], v[80:81] neg_lo:[0,1] neg_hi:[0,1]
	s_nop 0
	v_sub_f32_e32 v2, v20, v70
	v_pk_add_f32 v[6:7], v[6:7], v[70:71] neg_lo:[0,1] neg_hi:[0,1]
	v_sub_f32_e32 v2, v80, v2
	v_add_f32_e32 v2, v6, v2
	v_add_f32_e32 v2, v2, v7
	;; [unrolled: 1-line block ×3, first 2 shown]
	v_cndmask_b32_e32 v2, v2, v33, vcc
	v_add_f32_e32 v2, v3, v2
	v_cvt_f16_f32_e32 v82, v2
	v_cvt_f32_f16_e32 v2, v82
	v_mov_b32_e32 v51, v82
.LBB428_386:
	s_or_b64 exec, exec, s[2:3]
	v_max_f32_e32 v3, v22, v22
	v_max_f32_e32 v7, v2, v2
	v_min_f32_e32 v6, v7, v3
	v_cmp_u_f16_e32 vcc, v82, v82
	v_max_f32_e32 v3, v7, v3
	v_mov_b32_e32 v70, v51
	v_cndmask_b32_e32 v6, v6, v2, vcc
	v_cndmask_b32_e32 v3, v3, v2, vcc
	v_cndmask_b32_e64 v6, v6, v22, s[28:29]
	v_cndmask_b32_e64 v3, v3, v22, s[28:29]
	v_cmp_neq_f32_e32 vcc, v6, v3
	v_cmp_class_f32_e64 s[2:3], v6, s4
	s_or_b64 s[4:5], vcc, s[2:3]
	s_and_saveexec_b64 s[2:3], s[4:5]
	s_cbranch_execz .LBB428_388
; %bb.387:
	v_sub_f32_e32 v2, v6, v3
	s_mov_b32 s4, 0x3fb8aa3b
	v_mul_f32_e32 v6, 0x3fb8aa3b, v2
	v_fma_f32 v7, v2, s4, -v6
	v_rndne_f32_e32 v19, v6
	v_fmamk_f32 v7, v2, 0x32a5705f, v7
	v_sub_f32_e32 v6, v6, v19
	v_add_f32_e32 v6, v6, v7
	v_exp_f32_e32 v6, v6
	v_cvt_i32_f32_e32 v7, v19
	s_mov_b32 s4, 0xc2ce8ed0
	v_cmp_ngt_f32_e32 vcc, s4, v2
	s_mov_b32 s4, 0x42b17218
	v_ldexp_f32 v6, v6, v7
	v_cndmask_b32_e32 v6, 0, v6, vcc
	v_mov_b32_e32 v7, 0x7f800000
	v_cmp_nlt_f32_e32 vcc, s4, v2
	s_mov_b32 s4, 0x3f2aaaab
	s_mov_b32 s5, 0x7f800000
	v_cndmask_b32_e32 v33, v7, v6, vcc
	v_add_f32_e32 v2, 1.0, v33
	v_add_f32_e32 v6, -1.0, v2
	v_sub_f32_e32 v7, v6, v2
	v_add_f32_e32 v7, 1.0, v7
	v_sub_f32_e32 v6, v33, v6
	v_add_f32_e32 v19, v6, v7
	v_frexp_mant_f32_e32 v20, v2
	v_cvt_f64_f32_e32 v[6:7], v2
	v_frexp_exp_i32_f64_e32 v6, v[6:7]
	v_cmp_gt_f32_e32 vcc, s4, v20
	s_mov_b32 s4, 0x3f317218
	s_nop 0
	v_subbrev_co_u32_e32 v22, vcc, 0, v6, vcc
	v_sub_u32_e32 v6, 0, v22
	v_ldexp_f32 v2, v2, v6
	v_ldexp_f32 v6, v19, v6
	v_add_f32_e32 v19, -1.0, v2
	v_add_f32_e32 v7, 1.0, v19
	v_sub_f32_e32 v7, v2, v7
	v_add_f32_e32 v20, v6, v7
	v_add_f32_e32 v7, 1.0, v2
	v_add_f32_e32 v21, -1.0, v7
	v_sub_f32_e32 v2, v2, v21
	v_add_f32_e32 v2, v6, v2
	v_add_f32_e32 v70, v7, v2
	v_rcp_f32_e32 v71, v70
	v_sub_f32_e32 v6, v7, v70
	v_add_f32_e32 v7, v19, v20
	v_add_f32_e32 v2, v2, v6
	v_sub_f32_e32 v6, v19, v7
	v_mul_f32_e32 v80, v7, v71
	v_add_f32_e32 v19, v20, v6
	v_mul_f32_e32 v20, v70, v80
	v_fma_f32 v24, v80, v70, -v20
	v_fmac_f32_e32 v24, v80, v2
	v_add_f32_e32 v6, v20, v24
	v_sub_f32_e32 v21, v7, v6
	v_pk_add_f32 v[26:27], v[6:7], v[20:21] neg_lo:[0,1] neg_hi:[0,1]
	v_mov_b32_e32 v25, v6
	v_pk_add_f32 v[6:7], v[26:27], v[24:25] neg_lo:[0,1] neg_hi:[0,1]
	v_cmp_eq_f32_e32 vcc, s5, v33
	v_add_f32_e32 v7, v19, v7
	v_add_f32_e32 v6, v6, v7
	;; [unrolled: 1-line block ×3, first 2 shown]
	v_mul_f32_e32 v19, v71, v7
	v_mul_f32_e32 v20, v70, v19
	v_fma_f32 v24, v19, v70, -v20
	v_fmac_f32_e32 v24, v19, v2
	v_sub_f32_e32 v2, v21, v7
	v_add_f32_e32 v2, v6, v2
	v_add_f32_e32 v6, v20, v24
	v_sub_f32_e32 v21, v7, v6
	v_pk_add_f32 v[26:27], v[6:7], v[20:21] neg_lo:[0,1] neg_hi:[0,1]
	v_mov_b32_e32 v25, v6
	v_pk_add_f32 v[6:7], v[26:27], v[24:25] neg_lo:[0,1] neg_hi:[0,1]
	v_cvt_f32_i32_e32 v20, v22
	v_add_f32_e32 v2, v2, v7
	v_add_f32_e32 v2, v6, v2
	;; [unrolled: 1-line block ×4, first 2 shown]
	v_sub_f32_e32 v7, v6, v80
	v_mul_f32_e32 v2, v71, v2
	v_sub_f32_e32 v7, v19, v7
	v_add_f32_e32 v2, v7, v2
	v_add_f32_e32 v19, v6, v2
	v_mul_f32_e32 v21, v19, v19
	v_mov_b32_e32 v7, 0x3ecc95a3
	v_fmac_f32_e32 v7, 0x3e9b6dac, v21
	v_sub_f32_e32 v6, v19, v6
	v_fmaak_f32 v7, v21, v7, 0x3f2aaada
	v_sub_f32_e32 v2, v2, v6
	v_mul_f32_e32 v21, v19, v21
	v_mov_b32_e32 v6, 0x3f317218
	v_pk_mul_f32 v[6:7], v[20:21], v[6:7]
	v_ldexp_f32 v25, v19, 1
	v_fma_f32 v19, v20, s4, -v6
	v_fmamk_f32 v24, v20, 0xb102e308, v19
	v_pk_add_f32 v[20:21], v[6:7], v[24:25]
	v_ldexp_f32 v2, v2, 1
	v_sub_f32_e32 v19, v21, v25
	v_sub_f32_e32 v19, v7, v19
	v_add_f32_e32 v27, v2, v19
	v_mov_b32_e32 v26, v6
	v_pk_add_f32 v[6:7], v[20:21], v[6:7] neg_lo:[0,1] neg_hi:[0,1]
	v_pk_add_f32 v[70:71], v[20:21], v[26:27]
	v_mov_b32_e32 v25, v20
	v_mov_b32_e32 v7, v71
	v_pk_add_f32 v[80:81], v[24:25], v[6:7] neg_lo:[0,1] neg_hi:[0,1]
	v_pk_add_f32 v[6:7], v[24:25], v[6:7]
	s_mov_b32 s4, 0x33800000
	v_mov_b32_e32 v2, v7
	v_pk_add_f32 v[24:25], v[2:3], v[20:21] neg_lo:[0,1] neg_hi:[0,1]
	v_mov_b32_e32 v6, v71
	v_mov_b32_e32 v19, v24
	v_pk_add_f32 v[82:83], v[70:71], v[18:19] neg_lo:[0,1] neg_hi:[0,1]
	v_mov_b32_e32 v70, v21
	v_mov_b32_e32 v71, v24
	v_mov_b32_e32 v81, v7
	v_pk_add_f32 v[6:7], v[6:7], v[70:71] neg_lo:[0,1] neg_hi:[0,1]
	v_mov_b32_e32 v24, v27
	v_mov_b32_e32 v25, v20
	v_pk_add_f32 v[6:7], v[24:25], v[6:7] neg_lo:[0,1] neg_hi:[0,1]
	v_mov_b32_e32 v82, v80
	v_pk_add_f32 v[20:21], v[82:83], v[6:7]
	v_cmp_lt_f32_e64 s[4:5], |v33|, s4
	v_mov_b32_e32 v22, v21
	v_pk_add_f32 v[24:25], v[20:21], v[22:23]
	s_or_b64 vcc, vcc, s[4:5]
	v_pk_add_f32 v[26:27], v[2:3], v[24:25]
	v_mov_b32_e32 v7, v24
	v_mov_b32_e32 v21, v26
	v_pk_add_f32 v[70:71], v[20:21], v[80:81] neg_lo:[0,1] neg_hi:[0,1]
	s_nop 0
	v_sub_f32_e32 v2, v20, v70
	v_pk_add_f32 v[6:7], v[6:7], v[70:71] neg_lo:[0,1] neg_hi:[0,1]
	v_sub_f32_e32 v2, v80, v2
	v_add_f32_e32 v2, v6, v2
	v_add_f32_e32 v2, v2, v7
	;; [unrolled: 1-line block ×3, first 2 shown]
	v_cndmask_b32_e32 v2, v2, v33, vcc
	v_add_f32_e32 v2, v3, v2
	v_cvt_f16_f32_e32 v82, v2
	v_cvt_f32_f16_e32 v2, v82
	v_mov_b32_e32 v70, v82
.LBB428_388:
	s_or_b64 exec, exec, s[2:3]
	v_max_f32_e32 v3, v53, v53
	v_max_f32_e32 v7, v2, v2
	v_min_f32_e32 v6, v7, v3
	v_cmp_u_f16_e32 vcc, v82, v82
	v_max_f32_e32 v3, v7, v3
	s_movk_i32 s4, 0x1f8
	v_cndmask_b32_e32 v6, v6, v2, vcc
	v_cndmask_b32_e32 v3, v3, v2, vcc
	v_cndmask_b32_e64 v6, v6, v53, s[30:31]
	v_cndmask_b32_e64 v3, v3, v53, s[30:31]
	v_cmp_neq_f32_e32 vcc, v6, v3
	v_cmp_class_f32_e64 s[2:3], v6, s4
	s_or_b64 s[6:7], vcc, s[2:3]
	v_mov_b32_e32 v53, v70
	s_and_saveexec_b64 s[2:3], s[6:7]
	s_cbranch_execz .LBB428_390
; %bb.389:
	v_sub_f32_e32 v2, v6, v3
	s_mov_b32 s5, 0x3fb8aa3b
	v_mul_f32_e32 v6, 0x3fb8aa3b, v2
	v_fma_f32 v7, v2, s5, -v6
	v_rndne_f32_e32 v19, v6
	v_fmamk_f32 v7, v2, 0x32a5705f, v7
	v_sub_f32_e32 v6, v6, v19
	v_add_f32_e32 v6, v6, v7
	v_exp_f32_e32 v6, v6
	v_cvt_i32_f32_e32 v7, v19
	s_mov_b32 s5, 0xc2ce8ed0
	v_cmp_ngt_f32_e32 vcc, s5, v2
	s_mov_b32 s5, 0x42b17218
	v_ldexp_f32 v6, v6, v7
	v_cndmask_b32_e32 v6, 0, v6, vcc
	v_mov_b32_e32 v7, 0x7f800000
	v_cmp_nlt_f32_e32 vcc, s5, v2
	s_mov_b32 s5, 0x3f2aaaab
	s_mov_b32 s6, 0x7f800000
	v_cndmask_b32_e32 v33, v7, v6, vcc
	v_add_f32_e32 v2, 1.0, v33
	v_add_f32_e32 v6, -1.0, v2
	v_sub_f32_e32 v7, v6, v2
	v_add_f32_e32 v7, 1.0, v7
	v_sub_f32_e32 v6, v33, v6
	v_add_f32_e32 v19, v6, v7
	v_frexp_mant_f32_e32 v20, v2
	v_cvt_f64_f32_e32 v[6:7], v2
	v_frexp_exp_i32_f64_e32 v6, v[6:7]
	v_cmp_gt_f32_e32 vcc, s5, v20
	s_mov_b32 s5, 0x3f317218
	s_nop 0
	v_subbrev_co_u32_e32 v22, vcc, 0, v6, vcc
	v_sub_u32_e32 v6, 0, v22
	v_ldexp_f32 v2, v2, v6
	v_ldexp_f32 v6, v19, v6
	v_add_f32_e32 v19, -1.0, v2
	v_add_f32_e32 v7, 1.0, v19
	v_sub_f32_e32 v7, v2, v7
	v_add_f32_e32 v20, v6, v7
	v_add_f32_e32 v7, 1.0, v2
	v_add_f32_e32 v21, -1.0, v7
	v_sub_f32_e32 v2, v2, v21
	v_add_f32_e32 v2, v6, v2
	v_add_f32_e32 v53, v7, v2
	v_rcp_f32_e32 v71, v53
	v_sub_f32_e32 v6, v7, v53
	v_add_f32_e32 v7, v19, v20
	v_add_f32_e32 v2, v2, v6
	v_sub_f32_e32 v6, v19, v7
	v_mul_f32_e32 v80, v7, v71
	v_add_f32_e32 v19, v20, v6
	v_mul_f32_e32 v20, v53, v80
	v_fma_f32 v24, v80, v53, -v20
	v_fmac_f32_e32 v24, v80, v2
	v_add_f32_e32 v6, v20, v24
	v_sub_f32_e32 v21, v7, v6
	v_pk_add_f32 v[26:27], v[6:7], v[20:21] neg_lo:[0,1] neg_hi:[0,1]
	v_mov_b32_e32 v25, v6
	v_pk_add_f32 v[6:7], v[26:27], v[24:25] neg_lo:[0,1] neg_hi:[0,1]
	v_cmp_eq_f32_e32 vcc, s6, v33
	v_add_f32_e32 v7, v19, v7
	v_add_f32_e32 v6, v6, v7
	;; [unrolled: 1-line block ×3, first 2 shown]
	v_mul_f32_e32 v19, v71, v7
	v_mul_f32_e32 v20, v53, v19
	v_fma_f32 v24, v19, v53, -v20
	v_fmac_f32_e32 v24, v19, v2
	v_sub_f32_e32 v2, v21, v7
	v_add_f32_e32 v2, v6, v2
	v_add_f32_e32 v6, v20, v24
	v_sub_f32_e32 v21, v7, v6
	v_pk_add_f32 v[26:27], v[6:7], v[20:21] neg_lo:[0,1] neg_hi:[0,1]
	v_mov_b32_e32 v25, v6
	v_pk_add_f32 v[6:7], v[26:27], v[24:25] neg_lo:[0,1] neg_hi:[0,1]
	v_cvt_f32_i32_e32 v20, v22
	v_add_f32_e32 v2, v2, v7
	v_add_f32_e32 v2, v6, v2
	;; [unrolled: 1-line block ×4, first 2 shown]
	v_sub_f32_e32 v7, v6, v80
	v_mul_f32_e32 v2, v71, v2
	v_sub_f32_e32 v7, v19, v7
	v_add_f32_e32 v2, v7, v2
	v_add_f32_e32 v19, v6, v2
	v_mul_f32_e32 v21, v19, v19
	v_mov_b32_e32 v7, 0x3ecc95a3
	v_fmac_f32_e32 v7, 0x3e9b6dac, v21
	v_sub_f32_e32 v6, v19, v6
	v_fmaak_f32 v7, v21, v7, 0x3f2aaada
	v_sub_f32_e32 v2, v2, v6
	v_mul_f32_e32 v21, v19, v21
	v_mov_b32_e32 v6, 0x3f317218
	v_pk_mul_f32 v[6:7], v[20:21], v[6:7]
	v_ldexp_f32 v25, v19, 1
	v_fma_f32 v19, v20, s5, -v6
	v_fmamk_f32 v24, v20, 0xb102e308, v19
	v_pk_add_f32 v[20:21], v[6:7], v[24:25]
	v_ldexp_f32 v2, v2, 1
	v_sub_f32_e32 v19, v21, v25
	v_sub_f32_e32 v19, v7, v19
	v_add_f32_e32 v27, v2, v19
	v_mov_b32_e32 v26, v6
	v_pk_add_f32 v[6:7], v[20:21], v[6:7] neg_lo:[0,1] neg_hi:[0,1]
	v_pk_add_f32 v[80:81], v[20:21], v[26:27]
	v_mov_b32_e32 v25, v20
	v_mov_b32_e32 v7, v81
	v_pk_add_f32 v[82:83], v[24:25], v[6:7] neg_lo:[0,1] neg_hi:[0,1]
	v_pk_add_f32 v[6:7], v[24:25], v[6:7]
	s_mov_b32 s5, 0x33800000
	v_mov_b32_e32 v2, v7
	v_pk_add_f32 v[24:25], v[2:3], v[20:21] neg_lo:[0,1] neg_hi:[0,1]
	v_mov_b32_e32 v6, v81
	v_mov_b32_e32 v19, v24
	v_pk_add_f32 v[84:85], v[80:81], v[18:19] neg_lo:[0,1] neg_hi:[0,1]
	v_mov_b32_e32 v80, v21
	v_mov_b32_e32 v81, v24
	;; [unrolled: 1-line block ×3, first 2 shown]
	v_pk_add_f32 v[6:7], v[6:7], v[80:81] neg_lo:[0,1] neg_hi:[0,1]
	v_mov_b32_e32 v24, v27
	v_mov_b32_e32 v25, v20
	v_pk_add_f32 v[6:7], v[24:25], v[6:7] neg_lo:[0,1] neg_hi:[0,1]
	v_mov_b32_e32 v84, v82
	v_pk_add_f32 v[20:21], v[84:85], v[6:7]
	v_cmp_lt_f32_e64 s[6:7], |v33|, s5
	v_mov_b32_e32 v22, v21
	v_pk_add_f32 v[24:25], v[20:21], v[22:23]
	s_or_b64 vcc, vcc, s[6:7]
	v_pk_add_f32 v[26:27], v[2:3], v[24:25]
	v_mov_b32_e32 v7, v24
	v_mov_b32_e32 v21, v26
	v_pk_add_f32 v[80:81], v[20:21], v[82:83] neg_lo:[0,1] neg_hi:[0,1]
	s_nop 0
	v_sub_f32_e32 v2, v20, v80
	v_pk_add_f32 v[6:7], v[6:7], v[80:81] neg_lo:[0,1] neg_hi:[0,1]
	v_sub_f32_e32 v2, v82, v2
	v_add_f32_e32 v2, v6, v2
	v_add_f32_e32 v2, v2, v7
	;; [unrolled: 1-line block ×3, first 2 shown]
	v_cndmask_b32_e32 v2, v2, v33, vcc
	v_add_f32_e32 v2, v3, v2
	v_cvt_f16_f32_e32 v82, v2
	v_cvt_f32_f16_e32 v2, v82
	v_mov_b32_e32 v53, v82
.LBB428_390:
	s_or_b64 exec, exec, s[2:3]
	v_max_f32_e32 v3, v23, v23
	v_max_f32_e32 v7, v2, v2
	v_min_f32_e32 v6, v7, v3
	v_cmp_u_f16_e32 vcc, v82, v82
	v_max_f32_e32 v3, v7, v3
	v_mov_b32_e32 v71, v53
	v_cndmask_b32_e32 v6, v6, v2, vcc
	v_cndmask_b32_e32 v3, v3, v2, vcc
	v_cndmask_b32_e64 v6, v6, v23, s[34:35]
	v_cndmask_b32_e64 v3, v3, v23, s[34:35]
	v_cmp_neq_f32_e32 vcc, v6, v3
	v_cmp_class_f32_e64 s[2:3], v6, s4
	s_or_b64 s[4:5], vcc, s[2:3]
	s_and_saveexec_b64 s[2:3], s[4:5]
	s_cbranch_execz .LBB428_392
; %bb.391:
	v_sub_f32_e32 v2, v6, v3
	s_mov_b32 s4, 0x3fb8aa3b
	v_mul_f32_e32 v6, 0x3fb8aa3b, v2
	v_fma_f32 v7, v2, s4, -v6
	v_rndne_f32_e32 v19, v6
	v_fmamk_f32 v7, v2, 0x32a5705f, v7
	v_sub_f32_e32 v6, v6, v19
	v_add_f32_e32 v6, v6, v7
	v_exp_f32_e32 v6, v6
	v_cvt_i32_f32_e32 v7, v19
	s_mov_b32 s4, 0xc2ce8ed0
	v_cmp_ngt_f32_e32 vcc, s4, v2
	s_mov_b32 s4, 0x42b17218
	v_ldexp_f32 v6, v6, v7
	v_cndmask_b32_e32 v6, 0, v6, vcc
	v_mov_b32_e32 v7, 0x7f800000
	v_cmp_nlt_f32_e32 vcc, s4, v2
	s_mov_b32 s4, 0x3f2aaaab
	s_mov_b32 s5, 0x7f800000
	v_cndmask_b32_e32 v33, v7, v6, vcc
	v_add_f32_e32 v2, 1.0, v33
	v_add_f32_e32 v6, -1.0, v2
	v_sub_f32_e32 v7, v6, v2
	v_add_f32_e32 v7, 1.0, v7
	v_sub_f32_e32 v6, v33, v6
	v_add_f32_e32 v19, v6, v7
	v_frexp_mant_f32_e32 v20, v2
	v_cvt_f64_f32_e32 v[6:7], v2
	v_frexp_exp_i32_f64_e32 v6, v[6:7]
	v_cmp_gt_f32_e32 vcc, s4, v20
	s_mov_b32 s4, 0x3f317218
	s_nop 0
	v_subbrev_co_u32_e32 v26, vcc, 0, v6, vcc
	v_sub_u32_e32 v6, 0, v26
	v_ldexp_f32 v2, v2, v6
	v_ldexp_f32 v6, v19, v6
	v_add_f32_e32 v19, -1.0, v2
	v_add_f32_e32 v7, 1.0, v19
	v_sub_f32_e32 v7, v2, v7
	v_add_f32_e32 v20, v6, v7
	v_add_f32_e32 v7, 1.0, v2
	v_add_f32_e32 v21, -1.0, v7
	v_sub_f32_e32 v2, v2, v21
	v_add_f32_e32 v2, v6, v2
	v_add_f32_e32 v27, v7, v2
	v_rcp_f32_e32 v71, v27
	v_sub_f32_e32 v6, v7, v27
	v_add_f32_e32 v7, v19, v20
	v_add_f32_e32 v2, v2, v6
	v_sub_f32_e32 v6, v19, v7
	v_mul_f32_e32 v80, v7, v71
	v_add_f32_e32 v19, v20, v6
	v_mul_f32_e32 v20, v27, v80
	v_fma_f32 v22, v80, v27, -v20
	v_fmac_f32_e32 v22, v80, v2
	v_add_f32_e32 v6, v20, v22
	v_sub_f32_e32 v21, v7, v6
	v_pk_add_f32 v[24:25], v[6:7], v[20:21] neg_lo:[0,1] neg_hi:[0,1]
	v_mov_b32_e32 v23, v6
	v_pk_add_f32 v[6:7], v[24:25], v[22:23] neg_lo:[0,1] neg_hi:[0,1]
	v_cmp_eq_f32_e32 vcc, s5, v33
	v_add_f32_e32 v7, v19, v7
	v_add_f32_e32 v6, v6, v7
	;; [unrolled: 1-line block ×3, first 2 shown]
	v_mul_f32_e32 v19, v71, v7
	v_mul_f32_e32 v20, v27, v19
	v_fma_f32 v22, v19, v27, -v20
	v_fmac_f32_e32 v22, v19, v2
	v_sub_f32_e32 v2, v21, v7
	v_add_f32_e32 v2, v6, v2
	v_add_f32_e32 v6, v20, v22
	v_sub_f32_e32 v21, v7, v6
	v_pk_add_f32 v[24:25], v[6:7], v[20:21] neg_lo:[0,1] neg_hi:[0,1]
	v_mov_b32_e32 v23, v6
	v_pk_add_f32 v[6:7], v[24:25], v[22:23] neg_lo:[0,1] neg_hi:[0,1]
	v_cvt_f32_i32_e32 v20, v26
	v_add_f32_e32 v2, v2, v7
	v_add_f32_e32 v2, v6, v2
	;; [unrolled: 1-line block ×4, first 2 shown]
	v_sub_f32_e32 v7, v6, v80
	v_mul_f32_e32 v2, v71, v2
	v_sub_f32_e32 v7, v19, v7
	v_add_f32_e32 v2, v7, v2
	v_add_f32_e32 v19, v6, v2
	v_mul_f32_e32 v21, v19, v19
	v_mov_b32_e32 v7, 0x3ecc95a3
	v_fmac_f32_e32 v7, 0x3e9b6dac, v21
	v_sub_f32_e32 v6, v19, v6
	v_fmaak_f32 v7, v21, v7, 0x3f2aaada
	v_sub_f32_e32 v2, v2, v6
	v_mul_f32_e32 v21, v19, v21
	v_mov_b32_e32 v6, 0x3f317218
	v_pk_mul_f32 v[6:7], v[20:21], v[6:7]
	v_ldexp_f32 v23, v19, 1
	v_fma_f32 v19, v20, s4, -v6
	v_fmamk_f32 v22, v20, 0xb102e308, v19
	v_pk_add_f32 v[20:21], v[6:7], v[22:23]
	v_ldexp_f32 v2, v2, 1
	v_sub_f32_e32 v19, v21, v23
	v_sub_f32_e32 v19, v7, v19
	v_add_f32_e32 v25, v2, v19
	v_mov_b32_e32 v24, v6
	v_pk_add_f32 v[6:7], v[20:21], v[6:7] neg_lo:[0,1] neg_hi:[0,1]
	v_pk_add_f32 v[26:27], v[20:21], v[24:25]
	v_mov_b32_e32 v23, v20
	v_mov_b32_e32 v7, v27
	v_pk_add_f32 v[80:81], v[22:23], v[6:7] neg_lo:[0,1] neg_hi:[0,1]
	v_pk_add_f32 v[6:7], v[22:23], v[6:7]
	s_mov_b32 s4, 0x33800000
	v_mov_b32_e32 v2, v7
	v_pk_add_f32 v[22:23], v[2:3], v[20:21] neg_lo:[0,1] neg_hi:[0,1]
	v_mov_b32_e32 v6, v27
	v_mov_b32_e32 v19, v22
	v_pk_add_f32 v[82:83], v[26:27], v[18:19] neg_lo:[0,1] neg_hi:[0,1]
	v_mov_b32_e32 v26, v21
	v_mov_b32_e32 v27, v22
	;; [unrolled: 1-line block ×3, first 2 shown]
	v_pk_add_f32 v[6:7], v[6:7], v[26:27] neg_lo:[0,1] neg_hi:[0,1]
	v_mov_b32_e32 v22, v25
	v_mov_b32_e32 v23, v20
	v_pk_add_f32 v[6:7], v[22:23], v[6:7] neg_lo:[0,1] neg_hi:[0,1]
	v_mov_b32_e32 v82, v80
	v_pk_add_f32 v[20:21], v[82:83], v[6:7]
	v_cmp_lt_f32_e64 s[4:5], |v33|, s4
	v_mov_b32_e32 v22, v21
	v_pk_add_f32 v[22:23], v[20:21], v[22:23]
	s_or_b64 vcc, vcc, s[4:5]
	v_pk_add_f32 v[24:25], v[2:3], v[22:23]
	v_mov_b32_e32 v7, v22
	v_mov_b32_e32 v21, v24
	v_pk_add_f32 v[26:27], v[20:21], v[80:81] neg_lo:[0,1] neg_hi:[0,1]
	s_nop 0
	v_sub_f32_e32 v2, v20, v26
	v_pk_add_f32 v[6:7], v[6:7], v[26:27] neg_lo:[0,1] neg_hi:[0,1]
	v_sub_f32_e32 v2, v80, v2
	v_add_f32_e32 v2, v6, v2
	v_add_f32_e32 v2, v2, v7
	;; [unrolled: 1-line block ×3, first 2 shown]
	v_cndmask_b32_e32 v2, v2, v33, vcc
	v_add_f32_e32 v2, v3, v2
	v_cvt_f16_f32_e32 v82, v2
	v_cvt_f32_f16_e32 v2, v82
	v_mov_b32_e32 v71, v82
.LBB428_392:
	s_or_b64 exec, exec, s[2:3]
	v_max_f32_e32 v3, v54, v54
	v_max_f32_e32 v7, v2, v2
	v_min_f32_e32 v6, v7, v3
	v_cmp_u_f16_e32 vcc, v82, v82
	v_max_f32_e32 v3, v7, v3
	s_movk_i32 s4, 0x1f8
	v_cndmask_b32_e32 v6, v6, v2, vcc
	v_cndmask_b32_e32 v3, v3, v2, vcc
	v_cndmask_b32_e64 v6, v6, v54, s[36:37]
	v_cndmask_b32_e64 v3, v3, v54, s[36:37]
	v_cmp_neq_f32_e32 vcc, v6, v3
	v_cmp_class_f32_e64 s[2:3], v6, s4
	s_or_b64 s[6:7], vcc, s[2:3]
	v_mov_b32_e32 v54, v71
	s_and_saveexec_b64 s[2:3], s[6:7]
	s_cbranch_execz .LBB428_394
; %bb.393:
	v_sub_f32_e32 v2, v6, v3
	s_mov_b32 s5, 0x3fb8aa3b
	v_mul_f32_e32 v6, 0x3fb8aa3b, v2
	v_fma_f32 v7, v2, s5, -v6
	v_rndne_f32_e32 v19, v6
	v_fmamk_f32 v7, v2, 0x32a5705f, v7
	v_sub_f32_e32 v6, v6, v19
	v_add_f32_e32 v6, v6, v7
	v_exp_f32_e32 v6, v6
	v_cvt_i32_f32_e32 v7, v19
	s_mov_b32 s5, 0xc2ce8ed0
	v_cmp_ngt_f32_e32 vcc, s5, v2
	s_mov_b32 s5, 0x42b17218
	v_ldexp_f32 v6, v6, v7
	v_cndmask_b32_e32 v6, 0, v6, vcc
	v_mov_b32_e32 v7, 0x7f800000
	v_cmp_nlt_f32_e32 vcc, s5, v2
	s_mov_b32 s5, 0x3f2aaaab
	s_mov_b32 s6, 0x7f800000
	v_cndmask_b32_e32 v33, v7, v6, vcc
	v_add_f32_e32 v2, 1.0, v33
	v_add_f32_e32 v6, -1.0, v2
	v_sub_f32_e32 v7, v6, v2
	v_add_f32_e32 v7, 1.0, v7
	v_sub_f32_e32 v6, v33, v6
	v_add_f32_e32 v19, v6, v7
	v_frexp_mant_f32_e32 v20, v2
	v_cvt_f64_f32_e32 v[6:7], v2
	v_frexp_exp_i32_f64_e32 v6, v[6:7]
	v_cmp_gt_f32_e32 vcc, s5, v20
	s_mov_b32 s5, 0x3f317218
	s_nop 0
	v_subbrev_co_u32_e32 v26, vcc, 0, v6, vcc
	v_sub_u32_e32 v6, 0, v26
	v_ldexp_f32 v2, v2, v6
	v_ldexp_f32 v6, v19, v6
	v_add_f32_e32 v19, -1.0, v2
	v_add_f32_e32 v7, 1.0, v19
	v_sub_f32_e32 v7, v2, v7
	v_add_f32_e32 v20, v6, v7
	v_add_f32_e32 v7, 1.0, v2
	v_add_f32_e32 v21, -1.0, v7
	v_sub_f32_e32 v2, v2, v21
	v_add_f32_e32 v2, v6, v2
	v_add_f32_e32 v27, v7, v2
	v_rcp_f32_e32 v54, v27
	v_sub_f32_e32 v6, v7, v27
	v_add_f32_e32 v7, v19, v20
	v_add_f32_e32 v2, v2, v6
	v_sub_f32_e32 v6, v19, v7
	v_mul_f32_e32 v80, v7, v54
	v_add_f32_e32 v19, v20, v6
	v_mul_f32_e32 v20, v27, v80
	v_fma_f32 v22, v80, v27, -v20
	v_fmac_f32_e32 v22, v80, v2
	v_add_f32_e32 v6, v20, v22
	v_sub_f32_e32 v21, v7, v6
	v_pk_add_f32 v[24:25], v[6:7], v[20:21] neg_lo:[0,1] neg_hi:[0,1]
	v_mov_b32_e32 v23, v6
	v_pk_add_f32 v[6:7], v[24:25], v[22:23] neg_lo:[0,1] neg_hi:[0,1]
	v_cmp_eq_f32_e32 vcc, s6, v33
	v_add_f32_e32 v7, v19, v7
	v_add_f32_e32 v6, v6, v7
	;; [unrolled: 1-line block ×3, first 2 shown]
	v_mul_f32_e32 v19, v54, v7
	v_mul_f32_e32 v20, v27, v19
	v_fma_f32 v22, v19, v27, -v20
	v_fmac_f32_e32 v22, v19, v2
	v_sub_f32_e32 v2, v21, v7
	v_add_f32_e32 v2, v6, v2
	v_add_f32_e32 v6, v20, v22
	v_sub_f32_e32 v21, v7, v6
	v_pk_add_f32 v[24:25], v[6:7], v[20:21] neg_lo:[0,1] neg_hi:[0,1]
	v_mov_b32_e32 v23, v6
	v_pk_add_f32 v[6:7], v[24:25], v[22:23] neg_lo:[0,1] neg_hi:[0,1]
	v_cvt_f32_i32_e32 v20, v26
	v_add_f32_e32 v2, v2, v7
	v_add_f32_e32 v2, v6, v2
	;; [unrolled: 1-line block ×4, first 2 shown]
	v_sub_f32_e32 v7, v6, v80
	v_mul_f32_e32 v2, v54, v2
	v_sub_f32_e32 v7, v19, v7
	v_add_f32_e32 v2, v7, v2
	v_add_f32_e32 v19, v6, v2
	v_mul_f32_e32 v21, v19, v19
	v_mov_b32_e32 v7, 0x3ecc95a3
	v_fmac_f32_e32 v7, 0x3e9b6dac, v21
	v_sub_f32_e32 v6, v19, v6
	v_fmaak_f32 v7, v21, v7, 0x3f2aaada
	v_sub_f32_e32 v2, v2, v6
	v_mul_f32_e32 v21, v19, v21
	v_mov_b32_e32 v6, 0x3f317218
	v_pk_mul_f32 v[6:7], v[20:21], v[6:7]
	v_ldexp_f32 v23, v19, 1
	v_fma_f32 v19, v20, s5, -v6
	v_fmamk_f32 v22, v20, 0xb102e308, v19
	v_pk_add_f32 v[20:21], v[6:7], v[22:23]
	v_ldexp_f32 v2, v2, 1
	v_sub_f32_e32 v19, v21, v23
	v_sub_f32_e32 v19, v7, v19
	v_add_f32_e32 v25, v2, v19
	v_mov_b32_e32 v24, v6
	v_pk_add_f32 v[6:7], v[20:21], v[6:7] neg_lo:[0,1] neg_hi:[0,1]
	v_pk_add_f32 v[26:27], v[20:21], v[24:25]
	v_mov_b32_e32 v23, v20
	v_mov_b32_e32 v7, v27
	v_pk_add_f32 v[80:81], v[22:23], v[6:7] neg_lo:[0,1] neg_hi:[0,1]
	v_pk_add_f32 v[6:7], v[22:23], v[6:7]
	s_mov_b32 s5, 0x33800000
	v_mov_b32_e32 v2, v7
	v_pk_add_f32 v[22:23], v[2:3], v[20:21] neg_lo:[0,1] neg_hi:[0,1]
	v_mov_b32_e32 v6, v27
	v_mov_b32_e32 v19, v22
	v_pk_add_f32 v[82:83], v[26:27], v[18:19] neg_lo:[0,1] neg_hi:[0,1]
	v_mov_b32_e32 v26, v21
	v_mov_b32_e32 v27, v22
	;; [unrolled: 1-line block ×3, first 2 shown]
	v_pk_add_f32 v[6:7], v[6:7], v[26:27] neg_lo:[0,1] neg_hi:[0,1]
	v_mov_b32_e32 v22, v25
	v_mov_b32_e32 v23, v20
	v_pk_add_f32 v[6:7], v[22:23], v[6:7] neg_lo:[0,1] neg_hi:[0,1]
	v_mov_b32_e32 v82, v80
	v_pk_add_f32 v[20:21], v[82:83], v[6:7]
	v_cmp_lt_f32_e64 s[6:7], |v33|, s5
	v_mov_b32_e32 v22, v21
	v_pk_add_f32 v[22:23], v[20:21], v[22:23]
	s_or_b64 vcc, vcc, s[6:7]
	v_pk_add_f32 v[24:25], v[2:3], v[22:23]
	v_mov_b32_e32 v7, v22
	v_mov_b32_e32 v21, v24
	v_pk_add_f32 v[26:27], v[20:21], v[80:81] neg_lo:[0,1] neg_hi:[0,1]
	s_nop 0
	v_sub_f32_e32 v2, v20, v26
	v_pk_add_f32 v[6:7], v[6:7], v[26:27] neg_lo:[0,1] neg_hi:[0,1]
	v_sub_f32_e32 v2, v80, v2
	v_add_f32_e32 v2, v6, v2
	v_add_f32_e32 v2, v2, v7
	;; [unrolled: 1-line block ×3, first 2 shown]
	v_cndmask_b32_e32 v2, v2, v33, vcc
	v_add_f32_e32 v2, v3, v2
	v_cvt_f16_f32_e32 v82, v2
	v_cvt_f32_f16_e32 v2, v82
	v_mov_b32_e32 v54, v82
.LBB428_394:
	s_or_b64 exec, exec, s[2:3]
	v_max_f32_e32 v3, v16, v16
	v_max_f32_e32 v7, v2, v2
	v_min_f32_e32 v6, v7, v3
	v_cmp_u_f16_e32 vcc, v82, v82
	v_max_f32_e32 v3, v7, v3
	v_mov_b32_e32 v80, v54
	v_cndmask_b32_e32 v6, v6, v2, vcc
	v_cndmask_b32_e32 v3, v3, v2, vcc
	v_cndmask_b32_e64 v6, v6, v16, s[38:39]
	v_cndmask_b32_e64 v3, v3, v16, s[38:39]
	v_cmp_neq_f32_e32 vcc, v6, v3
	v_cmp_class_f32_e64 s[2:3], v6, s4
	s_or_b64 s[4:5], vcc, s[2:3]
	s_and_saveexec_b64 s[2:3], s[4:5]
	s_cbranch_execz .LBB428_396
; %bb.395:
	v_sub_f32_e32 v2, v6, v3
	s_mov_b32 s4, 0x3fb8aa3b
	v_mul_f32_e32 v6, 0x3fb8aa3b, v2
	v_fma_f32 v7, v2, s4, -v6
	v_rndne_f32_e32 v16, v6
	v_fmamk_f32 v7, v2, 0x32a5705f, v7
	v_sub_f32_e32 v6, v6, v16
	v_add_f32_e32 v6, v6, v7
	v_exp_f32_e32 v6, v6
	v_cvt_i32_f32_e32 v7, v16
	s_mov_b32 s4, 0xc2ce8ed0
	v_cmp_ngt_f32_e32 vcc, s4, v2
	s_mov_b32 s4, 0x42b17218
	v_ldexp_f32 v6, v6, v7
	v_cndmask_b32_e32 v6, 0, v6, vcc
	v_mov_b32_e32 v7, 0x7f800000
	v_cmp_nlt_f32_e32 vcc, s4, v2
	s_mov_b32 s4, 0x3f2aaaab
	s_mov_b32 s5, 0x7f800000
	v_cndmask_b32_e32 v33, v7, v6, vcc
	v_add_f32_e32 v2, 1.0, v33
	v_add_f32_e32 v6, -1.0, v2
	v_sub_f32_e32 v7, v6, v2
	v_add_f32_e32 v7, 1.0, v7
	v_sub_f32_e32 v6, v33, v6
	v_add_f32_e32 v16, v6, v7
	v_frexp_mant_f32_e32 v19, v2
	v_cvt_f64_f32_e32 v[6:7], v2
	v_frexp_exp_i32_f64_e32 v6, v[6:7]
	v_cmp_gt_f32_e32 vcc, s4, v19
	s_mov_b32 s4, 0x3f317218
	s_nop 0
	v_subbrev_co_u32_e32 v19, vcc, 0, v6, vcc
	v_sub_u32_e32 v6, 0, v19
	v_ldexp_f32 v2, v2, v6
	v_ldexp_f32 v6, v16, v6
	v_add_f32_e32 v16, -1.0, v2
	v_add_f32_e32 v7, 1.0, v16
	v_sub_f32_e32 v7, v2, v7
	v_add_f32_e32 v20, v6, v7
	v_add_f32_e32 v7, 1.0, v2
	v_add_f32_e32 v21, -1.0, v7
	v_sub_f32_e32 v2, v2, v21
	v_add_f32_e32 v2, v6, v2
	v_add_f32_e32 v26, v7, v2
	v_rcp_f32_e32 v27, v26
	v_sub_f32_e32 v6, v7, v26
	v_add_f32_e32 v7, v16, v20
	v_add_f32_e32 v2, v2, v6
	v_sub_f32_e32 v6, v16, v7
	v_mul_f32_e32 v80, v7, v27
	v_add_f32_e32 v16, v20, v6
	v_mul_f32_e32 v20, v26, v80
	v_fma_f32 v22, v80, v26, -v20
	v_fmac_f32_e32 v22, v80, v2
	v_add_f32_e32 v6, v20, v22
	v_sub_f32_e32 v21, v7, v6
	v_pk_add_f32 v[24:25], v[6:7], v[20:21] neg_lo:[0,1] neg_hi:[0,1]
	v_mov_b32_e32 v23, v6
	v_pk_add_f32 v[6:7], v[24:25], v[22:23] neg_lo:[0,1] neg_hi:[0,1]
	v_cmp_eq_f32_e32 vcc, s5, v33
	v_add_f32_e32 v7, v16, v7
	v_add_f32_e32 v6, v6, v7
	;; [unrolled: 1-line block ×3, first 2 shown]
	v_mul_f32_e32 v16, v27, v7
	v_mul_f32_e32 v20, v26, v16
	v_fma_f32 v22, v16, v26, -v20
	v_fmac_f32_e32 v22, v16, v2
	v_sub_f32_e32 v2, v21, v7
	v_add_f32_e32 v2, v6, v2
	v_add_f32_e32 v6, v20, v22
	v_sub_f32_e32 v21, v7, v6
	v_pk_add_f32 v[24:25], v[6:7], v[20:21] neg_lo:[0,1] neg_hi:[0,1]
	v_mov_b32_e32 v23, v6
	v_pk_add_f32 v[6:7], v[24:25], v[22:23] neg_lo:[0,1] neg_hi:[0,1]
	v_cvt_f32_i32_e32 v20, v19
	v_add_f32_e32 v2, v2, v7
	v_add_f32_e32 v2, v6, v2
	;; [unrolled: 1-line block ×4, first 2 shown]
	v_sub_f32_e32 v7, v6, v80
	v_mul_f32_e32 v2, v27, v2
	v_sub_f32_e32 v7, v16, v7
	v_add_f32_e32 v2, v7, v2
	v_add_f32_e32 v16, v6, v2
	v_mul_f32_e32 v21, v16, v16
	v_mov_b32_e32 v7, 0x3ecc95a3
	v_fmac_f32_e32 v7, 0x3e9b6dac, v21
	v_sub_f32_e32 v6, v16, v6
	v_fmaak_f32 v7, v21, v7, 0x3f2aaada
	v_sub_f32_e32 v2, v2, v6
	v_mul_f32_e32 v21, v16, v21
	v_mov_b32_e32 v6, 0x3f317218
	v_pk_mul_f32 v[6:7], v[20:21], v[6:7]
	v_ldexp_f32 v23, v16, 1
	v_fma_f32 v16, v20, s4, -v6
	v_fmamk_f32 v22, v20, 0xb102e308, v16
	v_pk_add_f32 v[20:21], v[6:7], v[22:23]
	v_ldexp_f32 v2, v2, 1
	v_sub_f32_e32 v16, v21, v23
	v_sub_f32_e32 v16, v7, v16
	v_add_f32_e32 v25, v2, v16
	v_mov_b32_e32 v24, v6
	v_pk_add_f32 v[6:7], v[20:21], v[6:7] neg_lo:[0,1] neg_hi:[0,1]
	v_pk_add_f32 v[26:27], v[20:21], v[24:25]
	v_mov_b32_e32 v23, v20
	v_mov_b32_e32 v7, v27
	v_pk_add_f32 v[80:81], v[22:23], v[6:7] neg_lo:[0,1] neg_hi:[0,1]
	v_pk_add_f32 v[6:7], v[22:23], v[6:7]
	s_mov_b32 s4, 0x33800000
	v_mov_b32_e32 v2, v7
	v_pk_add_f32 v[22:23], v[2:3], v[20:21] neg_lo:[0,1] neg_hi:[0,1]
	v_mov_b32_e32 v6, v27
	v_mov_b32_e32 v19, v22
	v_pk_add_f32 v[82:83], v[26:27], v[18:19] neg_lo:[0,1] neg_hi:[0,1]
	v_mov_b32_e32 v26, v21
	v_mov_b32_e32 v27, v22
	;; [unrolled: 1-line block ×3, first 2 shown]
	v_pk_add_f32 v[6:7], v[6:7], v[26:27] neg_lo:[0,1] neg_hi:[0,1]
	v_mov_b32_e32 v22, v25
	v_mov_b32_e32 v23, v20
	v_pk_add_f32 v[6:7], v[22:23], v[6:7] neg_lo:[0,1] neg_hi:[0,1]
	v_mov_b32_e32 v82, v80
	v_pk_add_f32 v[20:21], v[82:83], v[6:7]
	v_cmp_lt_f32_e64 s[4:5], |v33|, s4
	v_mov_b32_e32 v16, v21
	v_pk_add_f32 v[22:23], v[20:21], v[16:17]
	s_or_b64 vcc, vcc, s[4:5]
	v_pk_add_f32 v[24:25], v[2:3], v[22:23]
	v_mov_b32_e32 v7, v22
	v_mov_b32_e32 v21, v24
	v_pk_add_f32 v[26:27], v[20:21], v[80:81] neg_lo:[0,1] neg_hi:[0,1]
	s_nop 0
	v_sub_f32_e32 v2, v20, v26
	v_pk_add_f32 v[6:7], v[6:7], v[26:27] neg_lo:[0,1] neg_hi:[0,1]
	v_sub_f32_e32 v2, v80, v2
	v_add_f32_e32 v2, v6, v2
	v_add_f32_e32 v2, v2, v7
	;; [unrolled: 1-line block ×3, first 2 shown]
	v_cndmask_b32_e32 v2, v2, v33, vcc
	v_add_f32_e32 v2, v3, v2
	v_cvt_f16_f32_e32 v82, v2
	v_cvt_f32_f16_e32 v2, v82
	v_mov_b32_e32 v80, v82
.LBB428_396:
	s_or_b64 exec, exec, s[2:3]
	v_max_f32_e32 v3, v55, v55
	v_max_f32_e32 v7, v2, v2
	v_min_f32_e32 v6, v7, v3
	v_cmp_u_f16_e32 vcc, v82, v82
	v_max_f32_e32 v3, v7, v3
	s_movk_i32 s4, 0x1f8
	v_cndmask_b32_e32 v6, v6, v2, vcc
	v_cndmask_b32_e32 v3, v3, v2, vcc
	v_cndmask_b32_e64 v6, v6, v55, s[40:41]
	v_cndmask_b32_e64 v3, v3, v55, s[40:41]
	v_cmp_neq_f32_e32 vcc, v6, v3
	v_cmp_class_f32_e64 s[2:3], v6, s4
	s_or_b64 s[6:7], vcc, s[2:3]
	v_mov_b32_e32 v55, v80
	s_and_saveexec_b64 s[2:3], s[6:7]
	s_cbranch_execz .LBB428_398
; %bb.397:
	v_sub_f32_e32 v2, v6, v3
	s_mov_b32 s5, 0x3fb8aa3b
	v_mul_f32_e32 v6, 0x3fb8aa3b, v2
	v_fma_f32 v7, v2, s5, -v6
	v_rndne_f32_e32 v16, v6
	v_fmamk_f32 v7, v2, 0x32a5705f, v7
	v_sub_f32_e32 v6, v6, v16
	v_add_f32_e32 v6, v6, v7
	v_exp_f32_e32 v6, v6
	v_cvt_i32_f32_e32 v7, v16
	s_mov_b32 s5, 0xc2ce8ed0
	v_cmp_ngt_f32_e32 vcc, s5, v2
	s_mov_b32 s5, 0x42b17218
	v_ldexp_f32 v6, v6, v7
	v_cndmask_b32_e32 v6, 0, v6, vcc
	v_mov_b32_e32 v7, 0x7f800000
	v_cmp_nlt_f32_e32 vcc, s5, v2
	s_mov_b32 s5, 0x3f2aaaab
	s_mov_b32 s6, 0x7f800000
	v_cndmask_b32_e32 v33, v7, v6, vcc
	v_add_f32_e32 v2, 1.0, v33
	v_add_f32_e32 v6, -1.0, v2
	v_sub_f32_e32 v7, v6, v2
	v_add_f32_e32 v7, 1.0, v7
	v_sub_f32_e32 v6, v33, v6
	v_add_f32_e32 v16, v6, v7
	v_frexp_mant_f32_e32 v19, v2
	v_cvt_f64_f32_e32 v[6:7], v2
	v_frexp_exp_i32_f64_e32 v6, v[6:7]
	v_cmp_gt_f32_e32 vcc, s5, v19
	s_mov_b32 s5, 0x3f317218
	s_nop 0
	v_subbrev_co_u32_e32 v19, vcc, 0, v6, vcc
	v_sub_u32_e32 v6, 0, v19
	v_ldexp_f32 v2, v2, v6
	v_ldexp_f32 v6, v16, v6
	v_add_f32_e32 v16, -1.0, v2
	v_add_f32_e32 v7, 1.0, v16
	v_sub_f32_e32 v7, v2, v7
	v_add_f32_e32 v20, v6, v7
	v_add_f32_e32 v7, 1.0, v2
	v_add_f32_e32 v21, -1.0, v7
	v_sub_f32_e32 v2, v2, v21
	v_add_f32_e32 v2, v6, v2
	v_add_f32_e32 v26, v7, v2
	v_rcp_f32_e32 v27, v26
	v_sub_f32_e32 v6, v7, v26
	v_add_f32_e32 v7, v16, v20
	v_add_f32_e32 v2, v2, v6
	v_sub_f32_e32 v6, v16, v7
	v_mul_f32_e32 v55, v7, v27
	v_add_f32_e32 v16, v20, v6
	v_mul_f32_e32 v20, v26, v55
	v_fma_f32 v22, v55, v26, -v20
	v_fmac_f32_e32 v22, v55, v2
	v_add_f32_e32 v6, v20, v22
	v_sub_f32_e32 v21, v7, v6
	v_pk_add_f32 v[24:25], v[6:7], v[20:21] neg_lo:[0,1] neg_hi:[0,1]
	v_mov_b32_e32 v23, v6
	v_pk_add_f32 v[6:7], v[24:25], v[22:23] neg_lo:[0,1] neg_hi:[0,1]
	v_cmp_eq_f32_e32 vcc, s6, v33
	v_add_f32_e32 v7, v16, v7
	v_add_f32_e32 v6, v6, v7
	;; [unrolled: 1-line block ×3, first 2 shown]
	v_mul_f32_e32 v16, v27, v7
	v_mul_f32_e32 v20, v26, v16
	v_fma_f32 v22, v16, v26, -v20
	v_fmac_f32_e32 v22, v16, v2
	v_sub_f32_e32 v2, v21, v7
	v_add_f32_e32 v2, v6, v2
	v_add_f32_e32 v6, v20, v22
	v_sub_f32_e32 v21, v7, v6
	v_pk_add_f32 v[24:25], v[6:7], v[20:21] neg_lo:[0,1] neg_hi:[0,1]
	v_mov_b32_e32 v23, v6
	v_pk_add_f32 v[6:7], v[24:25], v[22:23] neg_lo:[0,1] neg_hi:[0,1]
	v_cvt_f32_i32_e32 v20, v19
	v_add_f32_e32 v2, v2, v7
	v_add_f32_e32 v2, v6, v2
	;; [unrolled: 1-line block ×4, first 2 shown]
	v_sub_f32_e32 v7, v6, v55
	v_mul_f32_e32 v2, v27, v2
	v_sub_f32_e32 v7, v16, v7
	v_add_f32_e32 v2, v7, v2
	v_add_f32_e32 v16, v6, v2
	v_mul_f32_e32 v21, v16, v16
	v_mov_b32_e32 v7, 0x3ecc95a3
	v_fmac_f32_e32 v7, 0x3e9b6dac, v21
	v_sub_f32_e32 v6, v16, v6
	v_fmaak_f32 v7, v21, v7, 0x3f2aaada
	v_sub_f32_e32 v2, v2, v6
	v_mul_f32_e32 v21, v16, v21
	v_mov_b32_e32 v6, 0x3f317218
	v_pk_mul_f32 v[6:7], v[20:21], v[6:7]
	v_ldexp_f32 v23, v16, 1
	v_fma_f32 v16, v20, s5, -v6
	v_fmamk_f32 v22, v20, 0xb102e308, v16
	v_pk_add_f32 v[20:21], v[6:7], v[22:23]
	v_ldexp_f32 v2, v2, 1
	v_sub_f32_e32 v16, v21, v23
	v_sub_f32_e32 v16, v7, v16
	v_add_f32_e32 v25, v2, v16
	v_mov_b32_e32 v24, v6
	v_pk_add_f32 v[6:7], v[20:21], v[6:7] neg_lo:[0,1] neg_hi:[0,1]
	v_pk_add_f32 v[26:27], v[20:21], v[24:25]
	v_mov_b32_e32 v23, v20
	v_mov_b32_e32 v7, v27
	v_pk_add_f32 v[82:83], v[22:23], v[6:7] neg_lo:[0,1] neg_hi:[0,1]
	v_pk_add_f32 v[6:7], v[22:23], v[6:7]
	s_mov_b32 s5, 0x33800000
	v_mov_b32_e32 v2, v7
	v_pk_add_f32 v[22:23], v[2:3], v[20:21] neg_lo:[0,1] neg_hi:[0,1]
	v_mov_b32_e32 v6, v27
	v_mov_b32_e32 v19, v22
	v_pk_add_f32 v[84:85], v[26:27], v[18:19] neg_lo:[0,1] neg_hi:[0,1]
	v_mov_b32_e32 v26, v21
	v_mov_b32_e32 v27, v22
	;; [unrolled: 1-line block ×3, first 2 shown]
	v_pk_add_f32 v[6:7], v[6:7], v[26:27] neg_lo:[0,1] neg_hi:[0,1]
	v_mov_b32_e32 v22, v25
	v_mov_b32_e32 v23, v20
	v_pk_add_f32 v[6:7], v[22:23], v[6:7] neg_lo:[0,1] neg_hi:[0,1]
	v_mov_b32_e32 v84, v82
	v_pk_add_f32 v[20:21], v[84:85], v[6:7]
	v_cmp_lt_f32_e64 s[6:7], |v33|, s5
	v_mov_b32_e32 v16, v21
	v_pk_add_f32 v[22:23], v[20:21], v[16:17]
	s_or_b64 vcc, vcc, s[6:7]
	v_pk_add_f32 v[24:25], v[2:3], v[22:23]
	v_mov_b32_e32 v7, v22
	v_mov_b32_e32 v21, v24
	v_pk_add_f32 v[26:27], v[20:21], v[82:83] neg_lo:[0,1] neg_hi:[0,1]
	s_nop 0
	v_sub_f32_e32 v2, v20, v26
	v_pk_add_f32 v[6:7], v[6:7], v[26:27] neg_lo:[0,1] neg_hi:[0,1]
	v_sub_f32_e32 v2, v82, v2
	v_add_f32_e32 v2, v6, v2
	v_add_f32_e32 v2, v2, v7
	;; [unrolled: 1-line block ×3, first 2 shown]
	v_cndmask_b32_e32 v2, v2, v33, vcc
	v_add_f32_e32 v2, v3, v2
	v_cvt_f16_f32_e32 v82, v2
	v_cvt_f32_f16_e32 v2, v82
	v_mov_b32_e32 v55, v82
.LBB428_398:
	s_or_b64 exec, exec, s[2:3]
	v_max_f32_e32 v3, v17, v17
	v_max_f32_e32 v7, v2, v2
	v_min_f32_e32 v6, v7, v3
	v_cmp_u_f16_e32 vcc, v82, v82
	v_max_f32_e32 v3, v7, v3
	v_mov_b32_e32 v81, v55
	v_cndmask_b32_e32 v6, v6, v2, vcc
	v_cndmask_b32_e32 v3, v3, v2, vcc
	v_cndmask_b32_e64 v6, v6, v17, s[42:43]
	v_cndmask_b32_e64 v3, v3, v17, s[42:43]
	v_cmp_neq_f32_e32 vcc, v6, v3
	v_cmp_class_f32_e64 s[2:3], v6, s4
	s_or_b64 s[4:5], vcc, s[2:3]
	s_and_saveexec_b64 s[2:3], s[4:5]
	s_cbranch_execz .LBB428_400
; %bb.399:
	v_sub_f32_e32 v2, v6, v3
	s_mov_b32 s4, 0x3fb8aa3b
	v_mul_f32_e32 v6, 0x3fb8aa3b, v2
	v_fma_f32 v7, v2, s4, -v6
	v_rndne_f32_e32 v16, v6
	v_fmamk_f32 v7, v2, 0x32a5705f, v7
	v_sub_f32_e32 v6, v6, v16
	v_add_f32_e32 v6, v6, v7
	v_exp_f32_e32 v6, v6
	v_cvt_i32_f32_e32 v7, v16
	s_mov_b32 s4, 0xc2ce8ed0
	v_cmp_ngt_f32_e32 vcc, s4, v2
	s_mov_b32 s4, 0x42b17218
	v_ldexp_f32 v6, v6, v7
	v_cndmask_b32_e32 v6, 0, v6, vcc
	v_mov_b32_e32 v7, 0x7f800000
	v_cmp_nlt_f32_e32 vcc, s4, v2
	s_mov_b32 s4, 0x3f2aaaab
	s_mov_b32 s5, 0x7f800000
	v_cndmask_b32_e32 v33, v7, v6, vcc
	v_add_f32_e32 v2, 1.0, v33
	v_add_f32_e32 v6, -1.0, v2
	v_sub_f32_e32 v7, v6, v2
	v_add_f32_e32 v7, 1.0, v7
	v_sub_f32_e32 v6, v33, v6
	v_add_f32_e32 v16, v6, v7
	v_frexp_mant_f32_e32 v17, v2
	v_cvt_f64_f32_e32 v[6:7], v2
	v_frexp_exp_i32_f64_e32 v6, v[6:7]
	v_cmp_gt_f32_e32 vcc, s4, v17
	s_mov_b32 s4, 0x3f317218
	s_nop 0
	v_subbrev_co_u32_e32 v19, vcc, 0, v6, vcc
	v_sub_u32_e32 v6, 0, v19
	v_ldexp_f32 v2, v2, v6
	v_ldexp_f32 v6, v16, v6
	v_add_f32_e32 v16, -1.0, v2
	v_add_f32_e32 v7, 1.0, v16
	v_sub_f32_e32 v7, v2, v7
	v_add_f32_e32 v17, v6, v7
	v_add_f32_e32 v7, 1.0, v2
	v_add_f32_e32 v20, -1.0, v7
	v_sub_f32_e32 v2, v2, v20
	v_add_f32_e32 v2, v6, v2
	v_add_f32_e32 v24, v7, v2
	v_rcp_f32_e32 v25, v24
	v_sub_f32_e32 v6, v7, v24
	v_add_f32_e32 v7, v16, v17
	v_add_f32_e32 v2, v2, v6
	v_mul_f32_e32 v27, v7, v25
	v_sub_f32_e32 v6, v16, v7
	v_mul_f32_e32 v16, v24, v27
	v_fma_f32 v20, v27, v24, -v16
	v_fmac_f32_e32 v20, v27, v2
	v_add_f32_e32 v26, v17, v6
	v_add_f32_e32 v6, v16, v20
	v_sub_f32_e32 v17, v7, v6
	v_pk_add_f32 v[22:23], v[6:7], v[16:17] neg_lo:[0,1] neg_hi:[0,1]
	v_mov_b32_e32 v21, v6
	v_pk_add_f32 v[6:7], v[22:23], v[20:21] neg_lo:[0,1] neg_hi:[0,1]
	v_cmp_eq_f32_e32 vcc, s5, v33
	v_add_f32_e32 v7, v26, v7
	v_add_f32_e32 v6, v6, v7
	;; [unrolled: 1-line block ×3, first 2 shown]
	v_mul_f32_e32 v26, v25, v7
	v_mul_f32_e32 v16, v24, v26
	v_fma_f32 v20, v26, v24, -v16
	v_fmac_f32_e32 v20, v26, v2
	v_sub_f32_e32 v2, v17, v7
	v_add_f32_e32 v2, v6, v2
	v_add_f32_e32 v6, v16, v20
	v_sub_f32_e32 v17, v7, v6
	v_pk_add_f32 v[22:23], v[6:7], v[16:17] neg_lo:[0,1] neg_hi:[0,1]
	v_mov_b32_e32 v21, v6
	v_pk_add_f32 v[6:7], v[22:23], v[20:21] neg_lo:[0,1] neg_hi:[0,1]
	v_cvt_f32_i32_e32 v16, v19
	v_add_f32_e32 v2, v2, v7
	v_add_f32_e32 v2, v6, v2
	;; [unrolled: 1-line block ×4, first 2 shown]
	v_sub_f32_e32 v7, v6, v27
	v_mul_f32_e32 v2, v25, v2
	v_sub_f32_e32 v7, v26, v7
	v_add_f32_e32 v2, v7, v2
	v_add_f32_e32 v17, v6, v2
	v_mul_f32_e32 v20, v17, v17
	v_mov_b32_e32 v7, 0x3ecc95a3
	v_fmac_f32_e32 v7, 0x3e9b6dac, v20
	v_sub_f32_e32 v6, v17, v6
	v_fmaak_f32 v7, v20, v7, 0x3f2aaada
	v_sub_f32_e32 v2, v2, v6
	v_ldexp_f32 v21, v17, 1
	v_mul_f32_e32 v17, v17, v20
	v_mov_b32_e32 v6, 0x3f317218
	v_pk_mul_f32 v[6:7], v[16:17], v[6:7]
	v_ldexp_f32 v2, v2, 1
	v_fma_f32 v17, v16, s4, -v6
	v_fmamk_f32 v20, v16, 0xb102e308, v17
	v_pk_add_f32 v[16:17], v[6:7], v[20:21]
	v_mov_b32_e32 v22, v6
	v_sub_f32_e32 v19, v17, v21
	v_sub_f32_e32 v19, v7, v19
	v_add_f32_e32 v23, v2, v19
	v_pk_add_f32 v[6:7], v[16:17], v[6:7] neg_lo:[0,1] neg_hi:[0,1]
	v_pk_add_f32 v[24:25], v[16:17], v[22:23]
	v_mov_b32_e32 v21, v16
	v_mov_b32_e32 v7, v25
	v_pk_add_f32 v[26:27], v[20:21], v[6:7] neg_lo:[0,1] neg_hi:[0,1]
	v_pk_add_f32 v[6:7], v[20:21], v[6:7]
	s_mov_b32 s4, 0x33800000
	v_mov_b32_e32 v2, v7
	v_pk_add_f32 v[20:21], v[2:3], v[16:17] neg_lo:[0,1] neg_hi:[0,1]
	v_mov_b32_e32 v6, v25
	v_mov_b32_e32 v19, v20
	v_pk_add_f32 v[82:83], v[24:25], v[18:19] neg_lo:[0,1] neg_hi:[0,1]
	v_mov_b32_e32 v24, v17
	v_mov_b32_e32 v25, v20
	;; [unrolled: 1-line block ×3, first 2 shown]
	v_pk_add_f32 v[6:7], v[6:7], v[24:25] neg_lo:[0,1] neg_hi:[0,1]
	v_mov_b32_e32 v20, v23
	v_mov_b32_e32 v21, v16
	v_pk_add_f32 v[6:7], v[20:21], v[6:7] neg_lo:[0,1] neg_hi:[0,1]
	v_mov_b32_e32 v82, v26
	v_pk_add_f32 v[16:17], v[82:83], v[6:7]
	v_cmp_lt_f32_e64 s[4:5], |v33|, s4
	v_mov_b32_e32 v20, v17
	v_pk_add_f32 v[20:21], v[16:17], v[20:21]
	s_or_b64 vcc, vcc, s[4:5]
	v_pk_add_f32 v[22:23], v[2:3], v[20:21]
	v_mov_b32_e32 v7, v20
	v_mov_b32_e32 v17, v22
	v_pk_add_f32 v[24:25], v[16:17], v[26:27] neg_lo:[0,1] neg_hi:[0,1]
	s_nop 0
	v_sub_f32_e32 v2, v16, v24
	v_pk_add_f32 v[6:7], v[6:7], v[24:25] neg_lo:[0,1] neg_hi:[0,1]
	v_sub_f32_e32 v2, v26, v2
	v_add_f32_e32 v2, v6, v2
	v_add_f32_e32 v2, v2, v7
	;; [unrolled: 1-line block ×3, first 2 shown]
	v_cndmask_b32_e32 v2, v2, v33, vcc
	v_add_f32_e32 v2, v3, v2
	v_cvt_f16_f32_e32 v82, v2
	v_cvt_f32_f16_e32 v2, v82
	v_mov_b32_e32 v81, v82
.LBB428_400:
	s_or_b64 exec, exec, s[2:3]
	v_max_f32_e32 v3, v64, v64
	v_max_f32_e32 v7, v2, v2
	v_min_f32_e32 v6, v7, v3
	v_cmp_u_f16_e32 vcc, v82, v82
	v_max_f32_e32 v3, v7, v3
	s_movk_i32 s4, 0x1f8
	v_cndmask_b32_e32 v6, v6, v2, vcc
	v_cndmask_b32_e32 v3, v3, v2, vcc
	v_cndmask_b32_e64 v6, v6, v64, s[44:45]
	v_cndmask_b32_e64 v3, v3, v64, s[44:45]
	v_cmp_neq_f32_e32 vcc, v6, v3
	v_cmp_class_f32_e64 s[2:3], v6, s4
	s_or_b64 s[6:7], vcc, s[2:3]
	v_mov_b32_e32 v64, v81
	s_and_saveexec_b64 s[2:3], s[6:7]
	s_cbranch_execz .LBB428_402
; %bb.401:
	v_sub_f32_e32 v2, v6, v3
	s_mov_b32 s5, 0x3fb8aa3b
	v_mul_f32_e32 v6, 0x3fb8aa3b, v2
	v_fma_f32 v7, v2, s5, -v6
	v_rndne_f32_e32 v16, v6
	v_fmamk_f32 v7, v2, 0x32a5705f, v7
	v_sub_f32_e32 v6, v6, v16
	v_add_f32_e32 v6, v6, v7
	v_exp_f32_e32 v6, v6
	v_cvt_i32_f32_e32 v7, v16
	s_mov_b32 s5, 0xc2ce8ed0
	v_cmp_ngt_f32_e32 vcc, s5, v2
	s_mov_b32 s5, 0x42b17218
	v_ldexp_f32 v6, v6, v7
	v_cndmask_b32_e32 v6, 0, v6, vcc
	v_mov_b32_e32 v7, 0x7f800000
	v_cmp_nlt_f32_e32 vcc, s5, v2
	s_mov_b32 s5, 0x3f2aaaab
	s_mov_b32 s6, 0x7f800000
	v_cndmask_b32_e32 v33, v7, v6, vcc
	v_add_f32_e32 v2, 1.0, v33
	v_add_f32_e32 v6, -1.0, v2
	v_sub_f32_e32 v7, v6, v2
	v_add_f32_e32 v7, 1.0, v7
	v_sub_f32_e32 v6, v33, v6
	v_add_f32_e32 v16, v6, v7
	v_frexp_mant_f32_e32 v17, v2
	v_cvt_f64_f32_e32 v[6:7], v2
	v_frexp_exp_i32_f64_e32 v6, v[6:7]
	v_cmp_gt_f32_e32 vcc, s5, v17
	s_mov_b32 s5, 0x3f317218
	s_nop 0
	v_subbrev_co_u32_e32 v19, vcc, 0, v6, vcc
	v_sub_u32_e32 v6, 0, v19
	v_ldexp_f32 v2, v2, v6
	v_ldexp_f32 v6, v16, v6
	v_add_f32_e32 v16, -1.0, v2
	v_add_f32_e32 v7, 1.0, v16
	v_sub_f32_e32 v7, v2, v7
	v_add_f32_e32 v17, v6, v7
	v_add_f32_e32 v7, 1.0, v2
	v_add_f32_e32 v20, -1.0, v7
	v_sub_f32_e32 v2, v2, v20
	v_add_f32_e32 v2, v6, v2
	v_add_f32_e32 v24, v7, v2
	v_rcp_f32_e32 v25, v24
	v_sub_f32_e32 v6, v7, v24
	v_add_f32_e32 v7, v16, v17
	v_add_f32_e32 v2, v2, v6
	v_mul_f32_e32 v27, v7, v25
	v_sub_f32_e32 v6, v16, v7
	v_mul_f32_e32 v16, v24, v27
	v_fma_f32 v20, v27, v24, -v16
	v_fmac_f32_e32 v20, v27, v2
	v_add_f32_e32 v26, v17, v6
	v_add_f32_e32 v6, v16, v20
	v_sub_f32_e32 v17, v7, v6
	v_pk_add_f32 v[22:23], v[6:7], v[16:17] neg_lo:[0,1] neg_hi:[0,1]
	v_mov_b32_e32 v21, v6
	v_pk_add_f32 v[6:7], v[22:23], v[20:21] neg_lo:[0,1] neg_hi:[0,1]
	v_cmp_eq_f32_e32 vcc, s6, v33
	v_add_f32_e32 v7, v26, v7
	v_add_f32_e32 v6, v6, v7
	;; [unrolled: 1-line block ×3, first 2 shown]
	v_mul_f32_e32 v26, v25, v7
	v_mul_f32_e32 v16, v24, v26
	v_fma_f32 v20, v26, v24, -v16
	v_fmac_f32_e32 v20, v26, v2
	v_sub_f32_e32 v2, v17, v7
	v_add_f32_e32 v2, v6, v2
	v_add_f32_e32 v6, v16, v20
	v_sub_f32_e32 v17, v7, v6
	v_pk_add_f32 v[22:23], v[6:7], v[16:17] neg_lo:[0,1] neg_hi:[0,1]
	v_mov_b32_e32 v21, v6
	v_pk_add_f32 v[6:7], v[22:23], v[20:21] neg_lo:[0,1] neg_hi:[0,1]
	v_cvt_f32_i32_e32 v16, v19
	v_add_f32_e32 v2, v2, v7
	v_add_f32_e32 v2, v6, v2
	;; [unrolled: 1-line block ×4, first 2 shown]
	v_sub_f32_e32 v7, v6, v27
	v_mul_f32_e32 v2, v25, v2
	v_sub_f32_e32 v7, v26, v7
	v_add_f32_e32 v2, v7, v2
	v_add_f32_e32 v17, v6, v2
	v_mul_f32_e32 v20, v17, v17
	v_mov_b32_e32 v7, 0x3ecc95a3
	v_fmac_f32_e32 v7, 0x3e9b6dac, v20
	v_sub_f32_e32 v6, v17, v6
	v_fmaak_f32 v7, v20, v7, 0x3f2aaada
	v_sub_f32_e32 v2, v2, v6
	v_ldexp_f32 v21, v17, 1
	v_mul_f32_e32 v17, v17, v20
	v_mov_b32_e32 v6, 0x3f317218
	v_pk_mul_f32 v[6:7], v[16:17], v[6:7]
	v_ldexp_f32 v2, v2, 1
	v_fma_f32 v17, v16, s5, -v6
	v_fmamk_f32 v20, v16, 0xb102e308, v17
	v_pk_add_f32 v[16:17], v[6:7], v[20:21]
	v_mov_b32_e32 v22, v6
	v_sub_f32_e32 v19, v17, v21
	v_sub_f32_e32 v19, v7, v19
	v_add_f32_e32 v23, v2, v19
	v_pk_add_f32 v[6:7], v[16:17], v[6:7] neg_lo:[0,1] neg_hi:[0,1]
	v_pk_add_f32 v[24:25], v[16:17], v[22:23]
	v_mov_b32_e32 v21, v16
	v_mov_b32_e32 v7, v25
	v_pk_add_f32 v[26:27], v[20:21], v[6:7] neg_lo:[0,1] neg_hi:[0,1]
	v_pk_add_f32 v[6:7], v[20:21], v[6:7]
	s_mov_b32 s5, 0x33800000
	v_mov_b32_e32 v2, v7
	v_pk_add_f32 v[20:21], v[2:3], v[16:17] neg_lo:[0,1] neg_hi:[0,1]
	v_mov_b32_e32 v6, v25
	v_mov_b32_e32 v19, v20
	v_pk_add_f32 v[82:83], v[24:25], v[18:19] neg_lo:[0,1] neg_hi:[0,1]
	v_mov_b32_e32 v24, v17
	v_mov_b32_e32 v25, v20
	;; [unrolled: 1-line block ×3, first 2 shown]
	v_pk_add_f32 v[6:7], v[6:7], v[24:25] neg_lo:[0,1] neg_hi:[0,1]
	v_mov_b32_e32 v20, v23
	v_mov_b32_e32 v21, v16
	v_pk_add_f32 v[6:7], v[20:21], v[6:7] neg_lo:[0,1] neg_hi:[0,1]
	v_mov_b32_e32 v82, v26
	v_pk_add_f32 v[16:17], v[82:83], v[6:7]
	v_cmp_lt_f32_e64 s[6:7], |v33|, s5
	v_mov_b32_e32 v20, v17
	v_pk_add_f32 v[20:21], v[16:17], v[20:21]
	s_or_b64 vcc, vcc, s[6:7]
	v_pk_add_f32 v[22:23], v[2:3], v[20:21]
	v_mov_b32_e32 v7, v20
	v_mov_b32_e32 v17, v22
	v_pk_add_f32 v[24:25], v[16:17], v[26:27] neg_lo:[0,1] neg_hi:[0,1]
	s_nop 0
	v_sub_f32_e32 v2, v16, v24
	v_pk_add_f32 v[6:7], v[6:7], v[24:25] neg_lo:[0,1] neg_hi:[0,1]
	v_sub_f32_e32 v2, v26, v2
	v_add_f32_e32 v2, v6, v2
	v_add_f32_e32 v2, v2, v7
	;; [unrolled: 1-line block ×3, first 2 shown]
	v_cndmask_b32_e32 v2, v2, v33, vcc
	v_add_f32_e32 v2, v3, v2
	v_cvt_f16_f32_e32 v82, v2
	v_cvt_f32_f16_e32 v2, v82
	v_mov_b32_e32 v64, v82
.LBB428_402:
	s_or_b64 exec, exec, s[2:3]
	v_max_f32_e32 v3, v18, v18
	v_max_f32_e32 v7, v2, v2
	v_min_f32_e32 v6, v7, v3
	v_cmp_u_f16_e32 vcc, v82, v82
	v_max_f32_e32 v3, v7, v3
	v_mov_b32_e32 v83, v64
	v_cndmask_b32_e32 v6, v6, v2, vcc
	v_cndmask_b32_e32 v3, v3, v2, vcc
	v_cndmask_b32_e64 v6, v6, v18, s[46:47]
	v_cndmask_b32_e64 v3, v3, v18, s[46:47]
	v_cmp_neq_f32_e32 vcc, v6, v3
	v_cmp_class_f32_e64 s[2:3], v6, s4
	s_or_b64 s[4:5], vcc, s[2:3]
	s_and_saveexec_b64 s[2:3], s[4:5]
	s_cbranch_execz .LBB428_404
; %bb.403:
	v_sub_f32_e32 v2, v6, v3
	s_mov_b32 s4, 0x3fb8aa3b
	v_mul_f32_e32 v6, 0x3fb8aa3b, v2
	v_fma_f32 v7, v2, s4, -v6
	v_rndne_f32_e32 v16, v6
	v_fmamk_f32 v7, v2, 0x32a5705f, v7
	v_sub_f32_e32 v6, v6, v16
	v_add_f32_e32 v6, v6, v7
	v_exp_f32_e32 v6, v6
	v_cvt_i32_f32_e32 v7, v16
	s_mov_b32 s4, 0xc2ce8ed0
	v_cmp_ngt_f32_e32 vcc, s4, v2
	s_mov_b32 s4, 0x42b17218
	v_ldexp_f32 v6, v6, v7
	v_cndmask_b32_e32 v6, 0, v6, vcc
	v_mov_b32_e32 v7, 0x7f800000
	v_cmp_nlt_f32_e32 vcc, s4, v2
	s_mov_b32 s4, 0x3f2aaaab
	s_mov_b32 s5, 0x7f800000
	v_cndmask_b32_e32 v33, v7, v6, vcc
	v_add_f32_e32 v2, 1.0, v33
	v_add_f32_e32 v6, -1.0, v2
	v_sub_f32_e32 v7, v6, v2
	v_add_f32_e32 v7, 1.0, v7
	v_sub_f32_e32 v6, v33, v6
	v_add_f32_e32 v16, v6, v7
	v_frexp_mant_f32_e32 v17, v2
	v_cvt_f64_f32_e32 v[6:7], v2
	v_frexp_exp_i32_f64_e32 v6, v[6:7]
	v_cmp_gt_f32_e32 vcc, s4, v17
	s_mov_b32 s4, 0x3f317218
	s_nop 0
	v_subbrev_co_u32_e32 v22, vcc, 0, v6, vcc
	v_sub_u32_e32 v6, 0, v22
	v_ldexp_f32 v2, v2, v6
	v_ldexp_f32 v6, v16, v6
	v_add_f32_e32 v16, -1.0, v2
	v_add_f32_e32 v7, 1.0, v16
	v_sub_f32_e32 v7, v2, v7
	v_add_f32_e32 v17, v6, v7
	v_add_f32_e32 v7, 1.0, v2
	v_add_f32_e32 v18, -1.0, v7
	v_sub_f32_e32 v2, v2, v18
	v_add_f32_e32 v2, v6, v2
	v_add_f32_e32 v23, v7, v2
	v_rcp_f32_e32 v24, v23
	v_sub_f32_e32 v6, v7, v23
	v_add_f32_e32 v7, v16, v17
	v_add_f32_e32 v2, v2, v6
	v_mul_f32_e32 v26, v7, v24
	v_sub_f32_e32 v6, v16, v7
	v_mul_f32_e32 v16, v23, v26
	v_fma_f32 v18, v26, v23, -v16
	v_fmac_f32_e32 v18, v26, v2
	v_add_f32_e32 v25, v17, v6
	v_add_f32_e32 v6, v16, v18
	v_sub_f32_e32 v17, v7, v6
	v_pk_add_f32 v[20:21], v[6:7], v[16:17] neg_lo:[0,1] neg_hi:[0,1]
	v_mov_b32_e32 v19, v6
	v_pk_add_f32 v[6:7], v[20:21], v[18:19] neg_lo:[0,1] neg_hi:[0,1]
	v_cmp_eq_f32_e32 vcc, s5, v33
	v_add_f32_e32 v7, v25, v7
	v_add_f32_e32 v6, v6, v7
	;; [unrolled: 1-line block ×3, first 2 shown]
	v_mul_f32_e32 v25, v24, v7
	v_mul_f32_e32 v16, v23, v25
	v_fma_f32 v18, v25, v23, -v16
	v_fmac_f32_e32 v18, v25, v2
	v_sub_f32_e32 v2, v17, v7
	v_add_f32_e32 v2, v6, v2
	v_add_f32_e32 v6, v16, v18
	v_sub_f32_e32 v17, v7, v6
	v_pk_add_f32 v[20:21], v[6:7], v[16:17] neg_lo:[0,1] neg_hi:[0,1]
	v_mov_b32_e32 v19, v6
	v_pk_add_f32 v[6:7], v[20:21], v[18:19] neg_lo:[0,1] neg_hi:[0,1]
	v_cvt_f32_i32_e32 v16, v22
	v_add_f32_e32 v2, v2, v7
	v_add_f32_e32 v2, v6, v2
	;; [unrolled: 1-line block ×4, first 2 shown]
	v_sub_f32_e32 v7, v6, v26
	v_mul_f32_e32 v2, v24, v2
	v_sub_f32_e32 v7, v25, v7
	v_add_f32_e32 v2, v7, v2
	v_add_f32_e32 v17, v6, v2
	v_mul_f32_e32 v18, v17, v17
	v_mov_b32_e32 v7, 0x3ecc95a3
	v_fmac_f32_e32 v7, 0x3e9b6dac, v18
	v_sub_f32_e32 v6, v17, v6
	v_fmaak_f32 v7, v18, v7, 0x3f2aaada
	v_sub_f32_e32 v2, v2, v6
	v_ldexp_f32 v19, v17, 1
	v_mul_f32_e32 v17, v17, v18
	v_mov_b32_e32 v6, 0x3f317218
	v_pk_mul_f32 v[6:7], v[16:17], v[6:7]
	v_ldexp_f32 v2, v2, 1
	v_fma_f32 v17, v16, s4, -v6
	v_fmamk_f32 v18, v16, 0xb102e308, v17
	v_pk_add_f32 v[16:17], v[6:7], v[18:19]
	v_mov_b32_e32 v20, v6
	v_sub_f32_e32 v19, v17, v19
	v_sub_f32_e32 v19, v7, v19
	v_add_f32_e32 v21, v2, v19
	v_pk_add_f32 v[6:7], v[16:17], v[6:7] neg_lo:[0,1] neg_hi:[0,1]
	v_pk_add_f32 v[22:23], v[16:17], v[20:21]
	v_mov_b32_e32 v19, v16
	v_mov_b32_e32 v7, v23
	v_pk_add_f32 v[24:25], v[18:19], v[6:7] neg_lo:[0,1] neg_hi:[0,1]
	v_pk_add_f32 v[6:7], v[18:19], v[6:7]
	s_mov_b32 s4, 0x33800000
	v_mov_b32_e32 v2, v7
	v_pk_add_f32 v[18:19], v[2:3], v[16:17] neg_lo:[0,1] neg_hi:[0,1]
	v_mov_b32_e32 v6, v23
	v_mov_b32_e32 v19, v18
	v_pk_add_f32 v[26:27], v[22:23], v[18:19] neg_lo:[0,1] neg_hi:[0,1]
	v_mov_b32_e32 v22, v17
	v_mov_b32_e32 v23, v18
	;; [unrolled: 1-line block ×3, first 2 shown]
	v_pk_add_f32 v[6:7], v[6:7], v[22:23] neg_lo:[0,1] neg_hi:[0,1]
	v_mov_b32_e32 v18, v21
	v_mov_b32_e32 v19, v16
	v_pk_add_f32 v[6:7], v[18:19], v[6:7] neg_lo:[0,1] neg_hi:[0,1]
	v_mov_b32_e32 v26, v24
	v_pk_add_f32 v[16:17], v[26:27], v[6:7]
	v_cmp_lt_f32_e64 s[4:5], |v33|, s4
	v_mov_b32_e32 v18, v17
	v_pk_add_f32 v[18:19], v[16:17], v[18:19]
	s_or_b64 vcc, vcc, s[4:5]
	v_pk_add_f32 v[20:21], v[2:3], v[18:19]
	v_mov_b32_e32 v7, v18
	v_mov_b32_e32 v17, v20
	v_pk_add_f32 v[22:23], v[16:17], v[24:25] neg_lo:[0,1] neg_hi:[0,1]
	s_nop 0
	v_sub_f32_e32 v2, v16, v22
	v_pk_add_f32 v[6:7], v[6:7], v[22:23] neg_lo:[0,1] neg_hi:[0,1]
	v_sub_f32_e32 v2, v24, v2
	v_add_f32_e32 v2, v6, v2
	v_add_f32_e32 v2, v2, v7
	;; [unrolled: 1-line block ×3, first 2 shown]
	v_cndmask_b32_e32 v2, v2, v33, vcc
	v_add_f32_e32 v2, v3, v2
	v_cvt_f16_f32_e32 v82, v2
	v_cvt_f32_f16_e32 v2, v82
	v_mov_b32_e32 v83, v82
.LBB428_404:
	s_or_b64 exec, exec, s[2:3]
	v_max_f32_e32 v6, v65, v65
	v_max_f32_e32 v7, v2, v2
	v_min_f32_e32 v3, v7, v6
	v_cmp_u_f16_e32 vcc, v82, v82
	v_max_f32_e32 v6, v7, v6
	s_movk_i32 s2, 0x1f8
	v_cndmask_b32_e32 v3, v3, v2, vcc
	v_cndmask_b32_e32 v2, v6, v2, vcc
	v_cndmask_b32_e64 v3, v3, v65, s[48:49]
	v_cndmask_b32_e64 v2, v2, v65, s[48:49]
	v_cmp_neq_f32_e32 vcc, v3, v2
	v_cmp_class_f32_e64 s[2:3], v3, s2
	s_or_b64 s[4:5], vcc, s[2:3]
	v_mov_b32_e32 v65, v83
	s_and_saveexec_b64 s[2:3], s[4:5]
	s_cbranch_execz .LBB428_406
; %bb.405:
	v_sub_f32_e32 v3, v3, v2
	s_mov_b32 s4, 0x3fb8aa3b
	v_mul_f32_e32 v6, 0x3fb8aa3b, v3
	v_fma_f32 v7, v3, s4, -v6
	v_rndne_f32_e32 v16, v6
	v_fmamk_f32 v7, v3, 0x32a5705f, v7
	v_sub_f32_e32 v6, v6, v16
	v_add_f32_e32 v6, v6, v7
	v_exp_f32_e32 v6, v6
	v_cvt_i32_f32_e32 v7, v16
	s_mov_b32 s4, 0xc2ce8ed0
	v_cmp_ngt_f32_e32 vcc, s4, v3
	s_mov_b32 s4, 0x42b17218
	v_ldexp_f32 v6, v6, v7
	v_cndmask_b32_e32 v6, 0, v6, vcc
	v_mov_b32_e32 v7, 0x7f800000
	v_cmp_nlt_f32_e32 vcc, s4, v3
	s_mov_b32 s4, 0x3f2aaaab
	s_mov_b32 s5, 0x7f800000
	v_cndmask_b32_e32 v33, v7, v6, vcc
	v_add_f32_e32 v3, 1.0, v33
	v_add_f32_e32 v6, -1.0, v3
	v_sub_f32_e32 v7, v6, v3
	v_add_f32_e32 v7, 1.0, v7
	v_sub_f32_e32 v6, v33, v6
	v_add_f32_e32 v16, v6, v7
	v_frexp_mant_f32_e32 v17, v3
	v_cvt_f64_f32_e32 v[6:7], v3
	v_frexp_exp_i32_f64_e32 v6, v[6:7]
	v_cmp_gt_f32_e32 vcc, s4, v17
	s_mov_b32 s4, 0x3f317218
	s_nop 0
	v_subbrev_co_u32_e32 v22, vcc, 0, v6, vcc
	v_sub_u32_e32 v6, 0, v22
	v_ldexp_f32 v3, v3, v6
	v_ldexp_f32 v6, v16, v6
	v_add_f32_e32 v16, -1.0, v3
	v_add_f32_e32 v7, 1.0, v16
	v_sub_f32_e32 v7, v3, v7
	v_add_f32_e32 v17, v6, v7
	v_add_f32_e32 v7, 1.0, v3
	v_add_f32_e32 v18, -1.0, v7
	v_sub_f32_e32 v3, v3, v18
	v_add_f32_e32 v3, v6, v3
	v_add_f32_e32 v23, v7, v3
	v_rcp_f32_e32 v24, v23
	v_sub_f32_e32 v6, v7, v23
	v_add_f32_e32 v7, v16, v17
	v_add_f32_e32 v3, v3, v6
	v_mul_f32_e32 v26, v7, v24
	v_sub_f32_e32 v6, v16, v7
	v_mul_f32_e32 v16, v23, v26
	v_fma_f32 v18, v26, v23, -v16
	v_fmac_f32_e32 v18, v26, v3
	v_add_f32_e32 v25, v17, v6
	v_add_f32_e32 v6, v16, v18
	v_sub_f32_e32 v17, v7, v6
	v_pk_add_f32 v[20:21], v[6:7], v[16:17] neg_lo:[0,1] neg_hi:[0,1]
	v_mov_b32_e32 v19, v6
	v_pk_add_f32 v[6:7], v[20:21], v[18:19] neg_lo:[0,1] neg_hi:[0,1]
	v_cmp_eq_f32_e32 vcc, s5, v33
	v_add_f32_e32 v7, v25, v7
	v_add_f32_e32 v6, v6, v7
	;; [unrolled: 1-line block ×3, first 2 shown]
	v_mul_f32_e32 v25, v24, v7
	v_mul_f32_e32 v16, v23, v25
	v_fma_f32 v18, v25, v23, -v16
	v_fmac_f32_e32 v18, v25, v3
	v_sub_f32_e32 v3, v17, v7
	v_add_f32_e32 v3, v6, v3
	v_add_f32_e32 v6, v16, v18
	v_sub_f32_e32 v17, v7, v6
	v_pk_add_f32 v[20:21], v[6:7], v[16:17] neg_lo:[0,1] neg_hi:[0,1]
	v_mov_b32_e32 v19, v6
	v_pk_add_f32 v[6:7], v[20:21], v[18:19] neg_lo:[0,1] neg_hi:[0,1]
	v_cvt_f32_i32_e32 v16, v22
	v_add_f32_e32 v3, v3, v7
	v_add_f32_e32 v3, v6, v3
	;; [unrolled: 1-line block ×4, first 2 shown]
	v_sub_f32_e32 v7, v6, v26
	v_mul_f32_e32 v3, v24, v3
	v_sub_f32_e32 v7, v25, v7
	v_add_f32_e32 v3, v7, v3
	v_add_f32_e32 v17, v6, v3
	v_mul_f32_e32 v18, v17, v17
	v_mov_b32_e32 v7, 0x3ecc95a3
	v_fmac_f32_e32 v7, 0x3e9b6dac, v18
	v_sub_f32_e32 v6, v17, v6
	v_fmaak_f32 v7, v18, v7, 0x3f2aaada
	v_sub_f32_e32 v3, v3, v6
	v_ldexp_f32 v19, v17, 1
	v_mul_f32_e32 v17, v17, v18
	v_mov_b32_e32 v6, 0x3f317218
	v_pk_mul_f32 v[6:7], v[16:17], v[6:7]
	v_ldexp_f32 v3, v3, 1
	v_fma_f32 v17, v16, s4, -v6
	v_fmamk_f32 v18, v16, 0xb102e308, v17
	v_pk_add_f32 v[16:17], v[6:7], v[18:19]
	v_mov_b32_e32 v20, v6
	v_sub_f32_e32 v19, v17, v19
	v_sub_f32_e32 v19, v7, v19
	v_add_f32_e32 v21, v3, v19
	v_pk_add_f32 v[6:7], v[16:17], v[6:7] neg_lo:[0,1] neg_hi:[0,1]
	v_pk_add_f32 v[22:23], v[16:17], v[20:21]
	v_mov_b32_e32 v19, v16
	v_mov_b32_e32 v7, v23
	v_pk_add_f32 v[24:25], v[18:19], v[6:7] neg_lo:[0,1] neg_hi:[0,1]
	v_pk_add_f32 v[6:7], v[18:19], v[6:7]
	v_mov_b32_e32 v20, v21
	v_mov_b32_e32 v18, v7
	v_pk_add_f32 v[26:27], v[18:19], v[16:17] neg_lo:[0,1] neg_hi:[0,1]
	v_mov_b32_e32 v6, v23
	v_mov_b32_e32 v3, v26
	v_pk_add_f32 v[84:85], v[22:23], v[2:3] neg_lo:[0,1] neg_hi:[0,1]
	v_mov_b32_e32 v22, v17
	v_mov_b32_e32 v23, v26
	;; [unrolled: 1-line block ×3, first 2 shown]
	v_pk_add_f32 v[6:7], v[6:7], v[22:23] neg_lo:[0,1] neg_hi:[0,1]
	v_mov_b32_e32 v21, v16
	v_pk_add_f32 v[6:7], v[20:21], v[6:7] neg_lo:[0,1] neg_hi:[0,1]
	v_mov_b32_e32 v84, v24
	v_pk_add_f32 v[16:17], v[84:85], v[6:7]
	s_mov_b32 s4, 0x33800000
	v_mov_b32_e32 v20, v17
	v_pk_add_f32 v[20:21], v[16:17], v[20:21]
	v_cmp_lt_f32_e64 s[4:5], |v33|, s4
	v_pk_add_f32 v[18:19], v[18:19], v[20:21]
	v_mov_b32_e32 v7, v20
	v_mov_b32_e32 v17, v18
	v_pk_add_f32 v[22:23], v[16:17], v[24:25] neg_lo:[0,1] neg_hi:[0,1]
	s_or_b64 vcc, vcc, s[4:5]
	v_sub_f32_e32 v3, v16, v22
	v_pk_add_f32 v[6:7], v[6:7], v[22:23] neg_lo:[0,1] neg_hi:[0,1]
	v_sub_f32_e32 v3, v24, v3
	v_add_f32_e32 v3, v6, v3
	v_add_f32_e32 v3, v3, v7
	;; [unrolled: 1-line block ×3, first 2 shown]
	v_cndmask_b32_e32 v3, v3, v33, vcc
	v_add_f32_e32 v2, v2, v3
	v_cvt_f16_f32_e32 v65, v2
.LBB428_406:
	s_or_b64 exec, exec, s[2:3]
	s_movk_i32 s2, 0xff
	v_cmp_eq_u32_e32 vcc, s2, v32
	s_and_saveexec_b64 s[2:3], vcc
	s_cbranch_execz .LBB428_408
; %bb.407:
	s_mov_b32 s4, 0x20000
	v_or_b32_sdwa v2, v65, s4 dst_sel:DWORD dst_unused:UNUSED_PAD src0_sel:WORD_0 src1_sel:DWORD
	flat_store_dword v[28:29], v2 offset:256 sc1
.LBB428_408:
	s_or_b64 exec, exec, s[2:3]
.LBB428_409:
	v_lshl_add_u64 v[2:3], v[12:13], 1, v[14:15]
	v_lshl_add_u64 v[2:3], v[34:35], 1, v[2:3]
	s_waitcnt lgkmcnt(0)
	s_barrier
	s_and_saveexec_b64 s[2:3], s[0:1]
	s_xor_b64 s[0:1], exec, s[2:3]
	s_cbranch_execz .LBB428_411
; %bb.410:
	s_mov_b32 s2, 0x5040100
	v_perm_b32 v7, v66, v48, s2
	v_perm_b32 v6, v39, v38, s2
	v_perm_b32 v5, v37, v36, s2
	v_perm_b32 v4, v31, v30, s2
	ds_write_b128 v1, v[4:7]
	v_perm_b32 v7, v53, v70, s2
	v_perm_b32 v6, v51, v69, s2
	v_perm_b32 v5, v50, v68, s2
	v_perm_b32 v4, v49, v67, s2
	ds_write_b128 v1, v[4:7] offset:16
	v_perm_b32 v7, v65, v83, s2
	v_perm_b32 v6, v64, v81, s2
	;; [unrolled: 1-line block ×4, first 2 shown]
	ds_write_b128 v1, v[4:7] offset:32
	v_mov_b32_e32 v1, 0
	s_waitcnt lgkmcnt(0)
	s_barrier
	ds_read_u16 v4, v0
	ds_read_u16 v5, v0 offset:512
	ds_read_u16 v6, v0 offset:1024
	;; [unrolled: 1-line block ×23, first 2 shown]
	v_lshl_add_u64 v[0:1], v[2:3], 0, v[0:1]
	s_movk_i32 s2, 0x1000
	v_add_co_u32_e32 v2, vcc, s2, v0
	s_waitcnt lgkmcnt(0)
	flat_store_short v[0:1], v4
	flat_store_short v[0:1], v5 offset:512
	flat_store_short v[0:1], v6 offset:1024
	;; [unrolled: 1-line block ×7, first 2 shown]
	v_addc_co_u32_e32 v3, vcc, 0, v1, vcc
	v_add_co_u32_e32 v0, vcc, 0x2000, v0
	flat_store_short v[2:3], v12
	flat_store_short v[2:3], v13 offset:512
	flat_store_short v[2:3], v14 offset:1024
	;; [unrolled: 1-line block ×7, first 2 shown]
	v_addc_co_u32_e32 v1, vcc, 0, v1, vcc
                                        ; implicit-def: $vgpr2_vgpr3_vgpr4_vgpr5
	flat_store_short v[0:1], v20
	flat_store_short v[0:1], v21 offset:512
	flat_store_short v[0:1], v22 offset:1024
	;; [unrolled: 1-line block ×7, first 2 shown]
                                        ; implicit-def: $vgpr6_vgpr7_vgpr8_vgpr9
                                        ; implicit-def: $vgpr32
                                        ; implicit-def: $vgpr10_vgpr11
                                        ; implicit-def: $vgpr1
                                        ; implicit-def: $vgpr30
                                        ; implicit-def: $vgpr31
                                        ; implicit-def: $vgpr36
                                        ; implicit-def: $vgpr37
                                        ; implicit-def: $vgpr38
                                        ; implicit-def: $vgpr39
                                        ; implicit-def: $vgpr48
                                        ; implicit-def: $vgpr66
                                        ; implicit-def: $vgpr67
                                        ; implicit-def: $vgpr49
                                        ; implicit-def: $vgpr68
                                        ; implicit-def: $vgpr50
                                        ; implicit-def: $vgpr69
                                        ; implicit-def: $vgpr51
                                        ; implicit-def: $vgpr70
                                        ; implicit-def: $vgpr53
                                        ; implicit-def: $vgpr71
                                        ; implicit-def: $vgpr54
                                        ; implicit-def: $vgpr80
                                        ; implicit-def: $vgpr55
                                        ; implicit-def: $vgpr81
                                        ; implicit-def: $vgpr64
                                        ; implicit-def: $vgpr83
                                        ; implicit-def: $vgpr65
                                        ; implicit-def: $vgpr2_vgpr3
                                        ; implicit-def: $vgpr52
                                        ; implicit-def: $vgpr0
.LBB428_411:
	s_andn2_saveexec_b64 s[2:3], s[0:1]
	s_cbranch_execz .LBB428_552
; %bb.412:
	s_mov_b32 s0, 0x5040100
	v_perm_b32 v15, v66, v48, s0
	v_perm_b32 v14, v39, v38, s0
	;; [unrolled: 1-line block ×4, first 2 shown]
	ds_write_b128 v1, v[12:15]
	v_perm_b32 v15, v53, v70, s0
	v_perm_b32 v14, v51, v69, s0
	;; [unrolled: 1-line block ×4, first 2 shown]
	ds_write_b128 v1, v[12:15] offset:16
	v_perm_b32 v15, v65, v83, s0
	v_perm_b32 v14, v64, v81, s0
	;; [unrolled: 1-line block ×4, first 2 shown]
	ds_write_b128 v1, v[12:15] offset:32
	s_waitcnt lgkmcnt(0)
	s_barrier
	ds_read_u16 v7, v0
	ds_read_u16 v6, v0 offset:512
	ds_read_u16 v13, v0 offset:1024
	;; [unrolled: 1-line block ×23, first 2 shown]
	v_mov_b32_e32 v1, 0
	v_lshl_add_u64 v[2:3], v[2:3], 0, v[0:1]
	v_cmp_lt_u32_e32 vcc, v32, v10
	s_and_saveexec_b64 s[0:1], vcc
	s_cbranch_execz .LBB428_414
; %bb.413:
	s_waitcnt lgkmcnt(0)
	flat_store_short v[2:3], v7
.LBB428_414:
	s_or_b64 exec, exec, s[0:1]
	v_add_u32_e32 v0, 0x100, v32
	v_cmp_lt_u32_e32 vcc, v0, v10
	s_and_saveexec_b64 s[0:1], vcc
	s_cbranch_execz .LBB428_416
; %bb.415:
	s_waitcnt lgkmcnt(0)
	flat_store_short v[2:3], v6 offset:512
.LBB428_416:
	s_or_b64 exec, exec, s[0:1]
	v_add_u32_e32 v0, 0x200, v32
	v_cmp_lt_u32_e32 vcc, v0, v10
	s_and_saveexec_b64 s[0:1], vcc
	s_cbranch_execz .LBB428_418
; %bb.417:
	s_waitcnt lgkmcnt(0)
	flat_store_short v[2:3], v13 offset:1024
.LBB428_418:
	;; [unrolled: 9-line block ×3, first 2 shown]
	s_or_b64 exec, exec, s[0:1]
	v_or_b32_e32 v0, 0x400, v32
	v_cmp_lt_u32_e32 vcc, v0, v10
	s_and_saveexec_b64 s[0:1], vcc
	s_cbranch_execz .LBB428_422
; %bb.421:
	s_waitcnt lgkmcnt(0)
	flat_store_short v[2:3], v12 offset:2048
.LBB428_422:
	s_or_b64 exec, exec, s[0:1]
	v_add_u32_e32 v0, 0x500, v32
	v_cmp_lt_u32_e32 vcc, v0, v10
	s_and_saveexec_b64 s[0:1], vcc
	s_cbranch_execz .LBB428_424
; %bb.423:
	s_waitcnt lgkmcnt(0)
	flat_store_short v[2:3], v15 offset:2560
.LBB428_424:
	s_or_b64 exec, exec, s[0:1]
	v_add_u32_e32 v0, 0x600, v32
	;; [unrolled: 9-line block ×3, first 2 shown]
	v_cmp_lt_u32_e32 vcc, v0, v10
	s_and_saveexec_b64 s[0:1], vcc
	s_cbranch_execz .LBB428_428
; %bb.427:
	s_waitcnt lgkmcnt(0)
	flat_store_short v[2:3], v21 offset:3584
.LBB428_428:
	s_or_b64 exec, exec, s[0:1]
	v_or_b32_e32 v0, 0x800, v32
	v_cmp_lt_u32_e32 vcc, v0, v10
	s_and_saveexec_b64 s[0:1], vcc
	s_cbranch_execz .LBB428_430
; %bb.429:
	v_add_co_u32_e32 v36, vcc, 0x1000, v2
	s_nop 1
	v_addc_co_u32_e32 v37, vcc, 0, v3, vcc
	s_waitcnt lgkmcnt(0)
	flat_store_short v[36:37], v22
.LBB428_430:
	s_or_b64 exec, exec, s[0:1]
	v_add_u32_e32 v0, 0x900, v32
	v_cmp_lt_u32_e32 vcc, v0, v10
	s_and_saveexec_b64 s[0:1], vcc
	s_cbranch_execz .LBB428_432
; %bb.431:
	v_add_co_u32_e32 v36, vcc, 0x1000, v2
	s_nop 1
	v_addc_co_u32_e32 v37, vcc, 0, v3, vcc
	s_waitcnt lgkmcnt(0)
	flat_store_short v[36:37], v29 offset:512
.LBB428_432:
	s_or_b64 exec, exec, s[0:1]
	v_add_u32_e32 v0, 0xa00, v32
	v_cmp_lt_u32_e32 vcc, v0, v10
	s_and_saveexec_b64 s[0:1], vcc
	s_cbranch_execz .LBB428_434
; %bb.433:
	v_add_co_u32_e32 v36, vcc, 0x1000, v2
	s_nop 1
	v_addc_co_u32_e32 v37, vcc, 0, v3, vcc
	s_waitcnt lgkmcnt(0)
	flat_store_short v[36:37], v26 offset:1024
.LBB428_434:
	s_or_b64 exec, exec, s[0:1]
	v_add_u32_e32 v0, 0xb00, v32
	v_cmp_lt_u32_e32 vcc, v0, v10
	s_and_saveexec_b64 s[0:1], vcc
	s_cbranch_execz .LBB428_436
; %bb.435:
	v_add_co_u32_e32 v36, vcc, 0x1000, v2
	s_nop 1
	v_addc_co_u32_e32 v37, vcc, 0, v3, vcc
	s_waitcnt lgkmcnt(0)
	flat_store_short v[36:37], v25 offset:1536
.LBB428_436:
	s_or_b64 exec, exec, s[0:1]
	v_or_b32_e32 v0, 0xc00, v32
	v_cmp_lt_u32_e32 vcc, v0, v10
	s_and_saveexec_b64 s[0:1], vcc
	s_cbranch_execz .LBB428_438
; %bb.437:
	v_add_co_u32_e32 v36, vcc, 0x1000, v2
	s_nop 1
	v_addc_co_u32_e32 v37, vcc, 0, v3, vcc
	s_waitcnt lgkmcnt(0)
	flat_store_short v[36:37], v24 offset:2048
.LBB428_438:
	s_or_b64 exec, exec, s[0:1]
	v_add_u32_e32 v0, 0xd00, v32
	v_cmp_lt_u32_e32 vcc, v0, v10
	s_and_saveexec_b64 s[0:1], vcc
	s_cbranch_execz .LBB428_440
; %bb.439:
	v_add_co_u32_e32 v36, vcc, 0x1000, v2
	s_nop 1
	v_addc_co_u32_e32 v37, vcc, 0, v3, vcc
	s_waitcnt lgkmcnt(0)
	flat_store_short v[36:37], v19 offset:2560
.LBB428_440:
	s_or_b64 exec, exec, s[0:1]
	v_add_u32_e32 v0, 0xe00, v32
	;; [unrolled: 12-line block ×3, first 2 shown]
	v_cmp_lt_u32_e32 vcc, v0, v10
	s_and_saveexec_b64 s[0:1], vcc
	s_cbranch_execz .LBB428_444
; %bb.443:
	v_add_co_u32_e32 v36, vcc, 0x1000, v2
	s_nop 1
	v_addc_co_u32_e32 v37, vcc, 0, v3, vcc
	s_waitcnt lgkmcnt(0)
	flat_store_short v[36:37], v16 offset:3584
.LBB428_444:
	s_or_b64 exec, exec, s[0:1]
	v_or_b32_e32 v0, 0x1000, v32
	v_cmp_lt_u32_e32 vcc, v0, v10
	s_and_saveexec_b64 s[0:1], vcc
	s_cbranch_execz .LBB428_446
; %bb.445:
	v_add_co_u32_e32 v36, vcc, 0x2000, v2
	s_nop 1
	v_addc_co_u32_e32 v37, vcc, 0, v3, vcc
	s_waitcnt lgkmcnt(0)
	flat_store_short v[36:37], v28
.LBB428_446:
	s_or_b64 exec, exec, s[0:1]
	v_add_u32_e32 v0, 0x1100, v32
	v_cmp_lt_u32_e32 vcc, v0, v10
	s_and_saveexec_b64 s[0:1], vcc
	s_cbranch_execz .LBB428_448
; %bb.447:
	v_add_co_u32_e32 v36, vcc, 0x2000, v2
	s_nop 1
	v_addc_co_u32_e32 v37, vcc, 0, v3, vcc
	s_waitcnt lgkmcnt(0)
	flat_store_short v[36:37], v34 offset:512
.LBB428_448:
	s_or_b64 exec, exec, s[0:1]
	v_add_u32_e32 v0, 0x1200, v32
	v_cmp_lt_u32_e32 vcc, v0, v10
	s_and_saveexec_b64 s[0:1], vcc
	s_cbranch_execz .LBB428_450
; %bb.449:
	v_add_co_u32_e32 v36, vcc, 0x2000, v2
	s_nop 1
	v_addc_co_u32_e32 v37, vcc, 0, v3, vcc
	s_waitcnt lgkmcnt(0)
	flat_store_short v[36:37], v30 offset:1024
.LBB428_450:
	;; [unrolled: 12-line block ×3, first 2 shown]
	s_or_b64 exec, exec, s[0:1]
	v_or_b32_e32 v0, 0x1400, v32
	v_cmp_lt_u32_e32 vcc, v0, v10
	s_and_saveexec_b64 s[0:1], vcc
	s_cbranch_execz .LBB428_454
; %bb.453:
	v_add_co_u32_e32 v36, vcc, 0x2000, v2
	s_nop 1
	v_addc_co_u32_e32 v37, vcc, 0, v3, vcc
	s_waitcnt lgkmcnt(0)
	flat_store_short v[36:37], v18 offset:2048
.LBB428_454:
	s_or_b64 exec, exec, s[0:1]
	v_add_u32_e32 v0, 0x1500, v32
	v_cmp_lt_u32_e32 vcc, v0, v10
	s_and_saveexec_b64 s[0:1], vcc
	s_cbranch_execz .LBB428_456
; %bb.455:
	v_add_co_u32_e32 v36, vcc, 0x2000, v2
	s_nop 1
	v_addc_co_u32_e32 v37, vcc, 0, v3, vcc
	s_waitcnt lgkmcnt(0)
	flat_store_short v[36:37], v17 offset:2560
.LBB428_456:
	s_or_b64 exec, exec, s[0:1]
	v_add_u32_e32 v0, 0x1600, v32
	;; [unrolled: 12-line block ×3, first 2 shown]
	v_cmp_lt_u32_e32 vcc, v0, v10
	s_and_saveexec_b64 s[0:1], vcc
	s_cbranch_execz .LBB428_460
; %bb.459:
	v_add_co_u32_e32 v2, vcc, 0x2000, v2
	s_nop 1
	v_addc_co_u32_e32 v3, vcc, 0, v3, vcc
	s_waitcnt lgkmcnt(0)
	flat_store_short v[2:3], v35 offset:3584
.LBB428_460:
	s_or_b64 exec, exec, s[0:1]
	v_cmp_lt_u64_e32 vcc, 1, v[8:9]
	s_and_saveexec_b64 s[4:5], vcc
	s_cbranch_execz .LBB428_551
; %bb.461:
	s_add_u32 s0, 0, 0xaaaa0000
	s_addc_u32 s1, 0, 42
	s_add_i32 s1, s1, 0xaaaaa80
	s_mul_hi_u32 s9, s0, 0xffffffe8
	s_sub_i32 s9, s9, s0
	s_mul_i32 s10, s1, 0xffffffe8
	s_mul_i32 s6, s0, 0xffffffe8
	s_add_i32 s9, s9, s10
	s_mul_hi_u32 s7, s1, s6
	s_mul_i32 s8, s1, s6
	s_mul_i32 s11, s0, s9
	s_mul_hi_u32 s6, s0, s6
	s_mul_hi_u32 s10, s0, s9
	s_add_u32 s6, s6, s11
	s_addc_u32 s10, 0, s10
	s_add_u32 s6, s6, s8
	s_mul_hi_u32 s11, s1, s9
	s_addc_u32 s6, s10, s7
	s_addc_u32 s7, s11, 0
	s_mul_i32 s8, s1, s9
	s_add_u32 s6, s6, s8
	v_mov_b32_e32 v2, s6
	s_addc_u32 s7, 0, s7
	v_add_co_u32_e32 v36, vcc, s0, v2
	s_cmp_lg_u64 vcc, 0
	v_mov_b32_e32 v33, v1
	v_lshl_add_u64 v[0:1], v[10:11], 0, -1
	s_addc_u32 s6, s1, s7
	v_mad_u64_u32 v[2:3], s[0:1], v0, s6, 0
	v_mul_hi_u32 v8, v0, v36
	v_mov_b32_e32 v9, 0
	v_lshl_add_u64 v[2:3], v[8:9], 0, v[2:3]
	v_mad_u64_u32 v[36:37], s[0:1], v1, v36, 0
	v_add_co_u32_e32 v2, vcc, v2, v36
	v_mad_u64_u32 v[10:11], s[0:1], v1, s6, 0
	s_nop 0
	v_addc_co_u32_e32 v8, vcc, v3, v37, vcc
	s_nop 1
	v_addc_co_u32_e32 v11, vcc, 0, v11, vcc
	v_lshl_add_u64 v[2:3], v[8:9], 0, v[10:11]
	v_mad_u64_u32 v[8:9], s[0:1], v2, 24, 0
	v_mov_b32_e32 v10, v9
	v_mad_u64_u32 v[10:11], s[0:1], v3, 24, v[10:11]
	v_sub_co_u32_e32 v36, vcc, v0, v8
	v_cmp_lt_u32_e64 s[0:1], 23, v36
	s_nop 0
	v_subb_co_u32_e32 v37, vcc, v1, v10, vcc
	v_subrev_co_u32_e32 v8, vcc, 24, v36
	v_lshl_add_u64 v[10:11], v[2:3], 0, 1
	s_nop 0
	v_subbrev_co_u32_e32 v9, vcc, 0, v37, vcc
	v_cmp_lt_u32_e32 vcc, 23, v8
	s_nop 1
	v_cndmask_b32_e64 v8, 0, -1, vcc
	v_cmp_eq_u32_e32 vcc, 0, v9
	s_nop 1
	v_cndmask_b32_e32 v38, -1, v8, vcc
	v_lshl_add_u64 v[8:9], v[2:3], 0, 2
	v_cmp_ne_u32_e32 vcc, 0, v38
	s_nop 1
	v_cndmask_b32_e32 v9, v11, v9, vcc
	v_cndmask_b32_e64 v11, 0, -1, s[0:1]
	v_cmp_eq_u32_e64 s[0:1], 0, v37
	v_cndmask_b32_e32 v8, v10, v8, vcc
	s_nop 0
	v_cndmask_b32_e64 v11, -1, v11, s[0:1]
	v_cmp_ne_u32_e64 s[0:1], 0, v11
	s_nop 1
	v_cndmask_b32_e64 v3, v3, v9, s[0:1]
	v_cndmask_b32_e64 v2, v2, v8, s[0:1]
	v_cmp_eq_u64_e32 vcc, v[2:3], v[32:33]
	s_and_b64 exec, exec, vcc
	s_cbranch_execz .LBB428_551
; %bb.462:
	v_mul_hi_u32_u24_e32 v2, 24, v32
	v_sub_co_u32_e32 v0, vcc, v0, v52
	s_mov_b64 s[0:1], 0
	s_nop 0
	v_subb_co_u32_e32 v1, vcc, v1, v2, vcc
	v_cmp_lt_i64_e32 vcc, 11, v[0:1]
	s_mov_b64 s[12:13], 0
	s_mov_b64 s[10:11], 0
	;; [unrolled: 1-line block ×3, first 2 shown]
	s_and_saveexec_b64 s[6:7], vcc
	s_xor_b64 s[6:7], exec, s[6:7]
	s_cbranch_execnz .LBB428_468
; %bb.463:
	s_andn2_saveexec_b64 s[6:7], s[6:7]
	s_cbranch_execnz .LBB428_513
.LBB428_464:
	s_or_b64 exec, exec, s[6:7]
	s_and_saveexec_b64 s[6:7], s[12:13]
	s_cbranch_execnz .LBB428_530
.LBB428_465:
	s_or_b64 exec, exec, s[6:7]
	s_and_saveexec_b64 s[6:7], s[10:11]
	s_cbranch_execnz .LBB428_531
.LBB428_466:
	s_or_b64 exec, exec, s[6:7]
	s_and_saveexec_b64 s[6:7], s[8:9]
	s_xor_b64 s[6:7], exec, s[6:7]
	s_cbranch_execnz .LBB428_532
.LBB428_467:
	s_or_b64 exec, exec, s[6:7]
	s_and_b64 exec, exec, s[0:1]
	s_cbranch_execnz .LBB428_533
	s_branch .LBB428_551
.LBB428_468:
	v_cmp_lt_i64_e32 vcc, 17, v[0:1]
	s_and_saveexec_b64 s[14:15], vcc
	s_xor_b64 s[14:15], exec, s[14:15]
	s_cbranch_execz .LBB428_490
; %bb.469:
	v_cmp_lt_i64_e32 vcc, 20, v[0:1]
                                        ; implicit-def: $vgpr16
	s_and_saveexec_b64 s[16:17], vcc
	s_xor_b64 s[16:17], exec, s[16:17]
	s_cbranch_execz .LBB428_479
; %bb.470:
	v_cmp_lt_i64_e32 vcc, 21, v[0:1]
	s_mov_b64 s[18:19], 0
                                        ; implicit-def: $vgpr16
	s_and_saveexec_b64 s[8:9], vcc
	s_xor_b64 s[8:9], exec, s[8:9]
	s_cbranch_execz .LBB428_476
; %bb.471:
	v_cmp_lt_i64_e32 vcc, 22, v[0:1]
	s_and_saveexec_b64 s[18:19], vcc
	s_xor_b64 s[18:19], exec, s[18:19]
	s_cbranch_execz .LBB428_473
; %bb.472:
	s_waitcnt lgkmcnt(0)
	flat_store_short v[4:5], v35
                                        ; implicit-def: $vgpr31
.LBB428_473:
	s_or_saveexec_b64 s[18:19], s[18:19]
	s_mov_b64 s[20:21], 0
	s_xor_b64 exec, exec, s[18:19]
; %bb.474:
	s_mov_b64 s[20:21], exec
; %bb.475:
	s_or_b64 exec, exec, s[18:19]
	s_and_b64 s[18:19], s[20:21], exec
	s_waitcnt lgkmcnt(0)
	v_mov_b32_e32 v16, v31
                                        ; implicit-def: $vgpr17
.LBB428_476:
	s_andn2_saveexec_b64 s[8:9], s[8:9]
; %bb.477:
	s_mov_b64 s[10:11], exec
                                        ; implicit-def: $vgpr16
; %bb.478:
	s_or_b64 exec, exec, s[8:9]
	s_and_b64 s[8:9], s[18:19], exec
	s_and_b64 s[10:11], s[10:11], exec
                                        ; implicit-def: $vgpr30
                                        ; implicit-def: $vgpr18
                                        ; implicit-def: $vgpr27
.LBB428_479:
	s_andn2_saveexec_b64 s[16:17], s[16:17]
	s_cbranch_execz .LBB428_489
; %bb.480:
	v_cmp_lt_i64_e32 vcc, 18, v[0:1]
	s_mov_b64 s[18:19], 0
	s_and_saveexec_b64 s[12:13], vcc
	s_xor_b64 s[12:13], exec, s[12:13]
	s_cbranch_execz .LBB428_486
; %bb.481:
	v_cmp_lt_i64_e32 vcc, 19, v[0:1]
	s_and_saveexec_b64 s[20:21], vcc
	s_xor_b64 s[20:21], exec, s[20:21]
; %bb.482:
	s_mov_b64 s[18:19], exec
                                        ; implicit-def: $vgpr27
; %bb.483:
	s_andn2_saveexec_b64 s[20:21], s[20:21]
	s_cbranch_execz .LBB428_485
; %bb.484:
	s_waitcnt lgkmcnt(0)
	flat_store_short v[4:5], v27
                                        ; implicit-def: $vgpr18
.LBB428_485:
	s_or_b64 exec, exec, s[20:21]
	s_and_b64 s[18:19], s[18:19], exec
                                        ; implicit-def: $vgpr30
.LBB428_486:
	s_andn2_saveexec_b64 s[12:13], s[12:13]
	s_cbranch_execz .LBB428_488
; %bb.487:
	s_waitcnt lgkmcnt(0)
	flat_store_short v[4:5], v30
                                        ; implicit-def: $vgpr18
.LBB428_488:
	s_or_b64 exec, exec, s[12:13]
	s_and_b64 s[12:13], s[18:19], exec
                                        ; implicit-def: $vgpr16
                                        ; implicit-def: $vgpr17
.LBB428_489:
	s_or_b64 exec, exec, s[16:17]
	s_and_b64 s[8:9], s[8:9], exec
	s_and_b64 s[10:11], s[10:11], exec
	;; [unrolled: 1-line block ×3, first 2 shown]
                                        ; implicit-def: $vgpr24
                                        ; implicit-def: $vgpr19
                                        ; implicit-def: $vgpr20
                                        ; implicit-def: $vgpr28
                                        ; implicit-def: $vgpr34
.LBB428_490:
	s_andn2_saveexec_b64 s[14:15], s[14:15]
	s_cbranch_execz .LBB428_512
; %bb.491:
	v_cmp_lt_i64_e32 vcc, 14, v[0:1]
	s_mov_b64 s[16:17], s[8:9]
	s_and_saveexec_b64 s[18:19], vcc
	s_xor_b64 s[18:19], exec, s[18:19]
	s_cbranch_execz .LBB428_501
; %bb.492:
	v_cmp_lt_i64_e32 vcc, 15, v[0:1]
	s_and_saveexec_b64 s[16:17], vcc
	s_xor_b64 s[16:17], exec, s[16:17]
	s_cbranch_execz .LBB428_498
; %bb.493:
	v_cmp_lt_i64_e32 vcc, 16, v[0:1]
	s_and_saveexec_b64 s[20:21], vcc
	s_xor_b64 s[20:21], exec, s[20:21]
	s_cbranch_execz .LBB428_495
; %bb.494:
	s_waitcnt lgkmcnt(0)
	flat_store_short v[4:5], v34
                                        ; implicit-def: $vgpr28
.LBB428_495:
	s_andn2_saveexec_b64 s[20:21], s[20:21]
	s_cbranch_execz .LBB428_497
; %bb.496:
	s_waitcnt lgkmcnt(0)
	flat_store_short v[4:5], v28
.LBB428_497:
	s_or_b64 exec, exec, s[20:21]
                                        ; implicit-def: $vgpr16
.LBB428_498:
	s_or_saveexec_b64 s[16:17], s[16:17]
	s_mov_b64 s[20:21], s[8:9]
	s_xor_b64 exec, exec, s[16:17]
; %bb.499:
	s_or_b64 s[20:21], s[8:9], exec
; %bb.500:
	s_or_b64 exec, exec, s[16:17]
	s_andn2_b64 s[16:17], s[8:9], exec
	s_and_b64 s[20:21], s[20:21], exec
	s_or_b64 s[16:17], s[16:17], s[20:21]
                                        ; implicit-def: $vgpr24
                                        ; implicit-def: $vgpr19
                                        ; implicit-def: $vgpr20
.LBB428_501:
	s_or_saveexec_b64 s[18:19], s[18:19]
	s_mov_b64 s[20:21], s[10:11]
                                        ; implicit-def: $vgpr17
	s_xor_b64 exec, exec, s[18:19]
	s_cbranch_execz .LBB428_511
; %bb.502:
	v_cmp_lt_i64_e32 vcc, 12, v[0:1]
	s_mov_b64 s[22:23], s[10:11]
	s_mov_b64 s[24:25], s[16:17]
                                        ; implicit-def: $vgpr16
                                        ; implicit-def: $vgpr17
	s_and_saveexec_b64 s[20:21], vcc
	s_xor_b64 s[20:21], exec, s[20:21]
	s_cbranch_execz .LBB428_508
; %bb.503:
	v_cmp_lt_i64_e32 vcc, 13, v[0:1]
	s_mov_b64 s[22:23], s[16:17]
	s_and_saveexec_b64 s[24:25], vcc
	s_xor_b64 s[24:25], exec, s[24:25]
; %bb.504:
	s_or_b64 s[22:23], s[16:17], exec
                                        ; implicit-def: $vgpr19
; %bb.505:
	s_or_saveexec_b64 s[24:25], s[24:25]
	s_mov_b64 s[26:27], s[10:11]
	s_xor_b64 exec, exec, s[24:25]
; %bb.506:
	s_or_b64 s[26:27], s[10:11], exec
                                        ; implicit-def: $vgpr20
; %bb.507:
	s_or_b64 exec, exec, s[24:25]
	s_andn2_b64 s[24:25], s[16:17], exec
	s_and_b64 s[22:23], s[22:23], exec
	s_or_b64 s[24:25], s[24:25], s[22:23]
	s_andn2_b64 s[22:23], s[10:11], exec
	s_and_b64 s[26:27], s[26:27], exec
	s_or_b64 s[22:23], s[22:23], s[26:27]
	s_waitcnt lgkmcnt(0)
	v_mov_b32_e32 v16, v20
	v_mov_b32_e32 v17, v19
                                        ; implicit-def: $vgpr24
.LBB428_508:
	s_andn2_saveexec_b64 s[20:21], s[20:21]
	s_cbranch_execz .LBB428_510
; %bb.509:
	s_or_b64 s[22:23], s[22:23], exec
                                        ; implicit-def: $vgpr16
	s_waitcnt lgkmcnt(0)
	v_mov_b32_e32 v17, v24
.LBB428_510:
	s_or_b64 exec, exec, s[20:21]
	s_andn2_b64 s[16:17], s[16:17], exec
	s_and_b64 s[20:21], s[24:25], exec
	s_or_b64 s[16:17], s[16:17], s[20:21]
	s_andn2_b64 s[20:21], s[10:11], exec
	s_and_b64 s[22:23], s[22:23], exec
	s_or_b64 s[20:21], s[20:21], s[22:23]
.LBB428_511:
	s_or_b64 exec, exec, s[18:19]
	s_andn2_b64 s[8:9], s[8:9], exec
	s_and_b64 s[16:17], s[16:17], exec
	s_or_b64 s[8:9], s[8:9], s[16:17]
	s_andn2_b64 s[10:11], s[10:11], exec
	s_and_b64 s[16:17], s[20:21], exec
	s_or_b64 s[10:11], s[10:11], s[16:17]
                                        ; implicit-def: $vgpr18
.LBB428_512:
	s_or_b64 exec, exec, s[14:15]
	s_and_b64 s[8:9], s[8:9], exec
	s_and_b64 s[10:11], s[10:11], exec
	;; [unrolled: 1-line block ×3, first 2 shown]
                                        ; implicit-def: $vgpr23
                                        ; implicit-def: $vgpr21
                                        ; implicit-def: $vgpr22
                                        ; implicit-def: $vgpr29
                                        ; implicit-def: $vgpr26
                                        ; implicit-def: $vgpr25
	s_andn2_saveexec_b64 s[6:7], s[6:7]
	s_cbranch_execz .LBB428_464
.LBB428_513:
	v_cmp_lt_i64_e32 vcc, 5, v[0:1]
	s_mov_b64 s[16:17], -1
	s_mov_b64 s[14:15], s[12:13]
	s_mov_b64 s[18:19], s[10:11]
	s_mov_b64 s[20:21], s[8:9]
                                        ; implicit-def: $vgpr16
                                        ; implicit-def: $vgpr17
                                        ; implicit-def: $vgpr18
	s_and_saveexec_b64 s[0:1], vcc
	s_cbranch_execz .LBB428_529
; %bb.514:
	v_cmp_lt_i64_e32 vcc, 8, v[0:1]
	s_mov_b64 s[14:15], s[12:13]
                                        ; implicit-def: $vgpr18
	s_and_saveexec_b64 s[16:17], vcc
	s_xor_b64 s[16:17], exec, s[16:17]
	s_cbranch_execz .LBB428_524
; %bb.515:
	v_cmp_lt_i64_e32 vcc, 9, v[0:1]
	s_and_saveexec_b64 s[14:15], vcc
	s_xor_b64 s[14:15], exec, s[14:15]
	s_cbranch_execz .LBB428_521
; %bb.516:
	v_cmp_lt_i64_e32 vcc, 10, v[0:1]
	s_and_saveexec_b64 s[18:19], vcc
	s_xor_b64 s[18:19], exec, s[18:19]
; %bb.517:
                                        ; implicit-def: $vgpr26
; %bb.518:
	s_andn2_saveexec_b64 s[18:19], s[18:19]
	s_cbranch_execz .LBB428_520
; %bb.519:
	s_waitcnt lgkmcnt(0)
	v_mov_b32_e32 v25, v26
.LBB428_520:
	s_or_b64 exec, exec, s[18:19]
                                        ; implicit-def: $vgpr29
.LBB428_521:
	s_andn2_saveexec_b64 s[14:15], s[14:15]
	s_cbranch_execz .LBB428_523
; %bb.522:
	s_waitcnt lgkmcnt(0)
	v_mov_b32_e32 v25, v29
.LBB428_523:
	s_or_b64 exec, exec, s[14:15]
	s_or_b64 s[14:15], s[12:13], exec
	s_waitcnt lgkmcnt(0)
	v_mov_b32_e32 v18, v25
                                        ; implicit-def: $vgpr23
                                        ; implicit-def: $vgpr21
                                        ; implicit-def: $vgpr22
.LBB428_524:
	s_or_saveexec_b64 s[16:17], s[16:17]
	s_mov_b64 s[18:19], s[10:11]
	s_mov_b64 s[22:23], s[8:9]
                                        ; implicit-def: $vgpr16
                                        ; implicit-def: $vgpr17
	s_xor_b64 exec, exec, s[16:17]
	s_cbranch_execz .LBB428_528
; %bb.525:
	v_cmp_lt_i64_e32 vcc, 6, v[0:1]
	s_mov_b64 s[22:23], -1
	s_mov_b64 s[20:21], s[14:15]
	s_mov_b64 s[18:19], s[10:11]
	s_and_saveexec_b64 s[24:25], vcc
; %bb.526:
	v_cmp_lt_i64_e32 vcc, 7, v[0:1]
	s_andn2_b64 s[20:21], s[14:15], exec
	s_and_b64 s[26:27], vcc, exec
	s_xor_b64 s[22:23], exec, -1
	s_or_b64 s[18:19], s[10:11], exec
	s_or_b64 s[20:21], s[20:21], s[26:27]
                                        ; implicit-def: $vgpr23
; %bb.527:
	s_or_b64 exec, exec, s[24:25]
	s_andn2_b64 s[24:25], s[8:9], exec
	s_and_b64 s[22:23], s[22:23], exec
	s_or_b64 s[22:23], s[24:25], s[22:23]
	s_andn2_b64 s[24:25], s[10:11], exec
	s_and_b64 s[18:19], s[18:19], exec
	s_andn2_b64 s[14:15], s[14:15], exec
	s_and_b64 s[20:21], s[20:21], exec
	s_or_b64 s[18:19], s[24:25], s[18:19]
	s_or_b64 s[14:15], s[14:15], s[20:21]
	s_waitcnt lgkmcnt(0)
	v_mov_b32_e32 v16, v23
	v_mov_b32_e32 v17, v21
	;; [unrolled: 1-line block ×3, first 2 shown]
.LBB428_528:
	s_or_b64 exec, exec, s[16:17]
	s_andn2_b64 s[20:21], s[8:9], exec
	s_and_b64 s[22:23], s[22:23], exec
	s_or_b64 s[20:21], s[20:21], s[22:23]
	s_andn2_b64 s[22:23], s[10:11], exec
	s_and_b64 s[18:19], s[18:19], exec
	s_or_b64 s[18:19], s[22:23], s[18:19]
	s_andn2_b64 s[22:23], s[12:13], exec
	s_and_b64 s[14:15], s[14:15], exec
	s_xor_b64 s[16:17], exec, -1
	s_or_b64 s[14:15], s[22:23], s[14:15]
.LBB428_529:
	s_or_b64 exec, exec, s[0:1]
	s_and_b64 s[0:1], s[16:17], exec
	s_andn2_b64 s[8:9], s[8:9], exec
	s_and_b64 s[16:17], s[20:21], exec
	s_or_b64 s[8:9], s[8:9], s[16:17]
	s_andn2_b64 s[10:11], s[10:11], exec
	s_and_b64 s[16:17], s[18:19], exec
	s_andn2_b64 s[12:13], s[12:13], exec
	s_and_b64 s[14:15], s[14:15], exec
	s_or_b64 s[10:11], s[10:11], s[16:17]
	s_or_b64 s[12:13], s[12:13], s[14:15]
	s_or_b64 exec, exec, s[6:7]
	s_and_saveexec_b64 s[6:7], s[12:13]
	s_cbranch_execz .LBB428_465
.LBB428_530:
	s_andn2_b64 s[10:11], s[10:11], exec
	s_waitcnt lgkmcnt(0)
	flat_store_short v[4:5], v18
                                        ; implicit-def: $vgpr16
                                        ; implicit-def: $vgpr17
	s_or_b64 exec, exec, s[6:7]
	s_and_saveexec_b64 s[6:7], s[10:11]
	s_cbranch_execz .LBB428_466
.LBB428_531:
	s_waitcnt lgkmcnt(0)
	flat_store_short v[4:5], v17
                                        ; implicit-def: $vgpr16
	s_or_b64 exec, exec, s[6:7]
	s_and_saveexec_b64 s[6:7], s[8:9]
	s_xor_b64 s[6:7], exec, s[6:7]
	s_cbranch_execz .LBB428_467
.LBB428_532:
	s_waitcnt lgkmcnt(0)
	flat_store_short v[4:5], v16
	s_or_b64 exec, exec, s[6:7]
	s_and_b64 exec, exec, s[0:1]
	s_cbranch_execz .LBB428_551
.LBB428_533:
	v_cmp_lt_i64_e32 vcc, 2, v[0:1]
	s_and_saveexec_b64 s[0:1], vcc
	s_xor_b64 s[0:1], exec, s[0:1]
	s_cbranch_execz .LBB428_543
; %bb.534:
	v_cmp_lt_i64_e32 vcc, 3, v[0:1]
	s_and_saveexec_b64 s[6:7], vcc
	s_xor_b64 s[6:7], exec, s[6:7]
	s_cbranch_execz .LBB428_540
; %bb.535:
	;; [unrolled: 5-line block ×3, first 2 shown]
	s_waitcnt lgkmcnt(0)
	flat_store_short v[4:5], v15
                                        ; implicit-def: $vgpr4_vgpr5
                                        ; implicit-def: $vgpr12
.LBB428_537:
	s_andn2_saveexec_b64 s[8:9], s[8:9]
	s_cbranch_execz .LBB428_539
; %bb.538:
	s_waitcnt lgkmcnt(0)
	flat_store_short v[4:5], v12
.LBB428_539:
	s_or_b64 exec, exec, s[8:9]
                                        ; implicit-def: $vgpr4_vgpr5
                                        ; implicit-def: $vgpr14
.LBB428_540:
	s_andn2_saveexec_b64 s[6:7], s[6:7]
	s_cbranch_execz .LBB428_542
; %bb.541:
	s_waitcnt lgkmcnt(0)
	flat_store_short v[4:5], v14
.LBB428_542:
	s_or_b64 exec, exec, s[6:7]
                                        ; implicit-def: $vgpr0_vgpr1
                                        ; implicit-def: $vgpr4_vgpr5
                                        ; implicit-def: $vgpr13
                                        ; implicit-def: $vgpr6
                                        ; implicit-def: $vgpr7
.LBB428_543:
	s_andn2_saveexec_b64 s[0:1], s[0:1]
	s_cbranch_execz .LBB428_551
; %bb.544:
	v_cmp_lt_i64_e32 vcc, 1, v[0:1]
	s_and_saveexec_b64 s[0:1], vcc
	s_xor_b64 s[0:1], exec, s[0:1]
	s_cbranch_execz .LBB428_546
; %bb.545:
	s_waitcnt lgkmcnt(0)
	flat_store_short v[4:5], v13
                                        ; implicit-def: $vgpr4_vgpr5
                                        ; implicit-def: $vgpr6
                                        ; implicit-def: $vgpr0_vgpr1
                                        ; implicit-def: $vgpr7
.LBB428_546:
	s_andn2_saveexec_b64 s[0:1], s[0:1]
	s_cbranch_execz .LBB428_551
; %bb.547:
	v_cmp_ne_u64_e32 vcc, 1, v[0:1]
	s_and_saveexec_b64 s[0:1], vcc
	s_xor_b64 s[0:1], exec, s[0:1]
	s_cbranch_execz .LBB428_549
; %bb.548:
	s_waitcnt lgkmcnt(0)
	flat_store_short v[4:5], v7
                                        ; implicit-def: $vgpr4_vgpr5
                                        ; implicit-def: $vgpr6
.LBB428_549:
	s_andn2_saveexec_b64 s[0:1], s[0:1]
	s_cbranch_execz .LBB428_551
; %bb.550:
	s_waitcnt lgkmcnt(0)
	flat_store_short v[4:5], v6
.LBB428_551:
	s_or_b64 exec, exec, s[4:5]
.LBB428_552:
	s_or_b64 exec, exec, s[2:3]
	v_readlane_b32 s30, v40, 0
	v_readlane_b32 s31, v40, 1
	s_or_saveexec_b64 s[0:1], -1
	scratch_load_dword v40, off, s32        ; 4-byte Folded Reload
	s_mov_b64 exec, s[0:1]
	s_waitcnt vmcnt(0) lgkmcnt(0)
	s_setpc_b64 s[30:31]
.Lfunc_end428:
	.size	_ZZZN7rocprim17ROCPRIM_400000_NS6detail9scan_implILNS1_25lookback_scan_determinismE0ELb0ELb0ENS0_14default_configEPKN3c104HalfEPS6_S6_ZZZN2at6native31launch_logcumsumexp_cuda_kernelERKNSA_10TensorBaseESE_lENKUlvE_clEvENKUlvE3_clEvEUlS6_S6_E_S6_EEDaPvRmT3_T4_T5_mT6_P12ihipStream_tbENKUlT_T0_E_clISt17integral_constantIbLb0EESU_IbLb1EEEEDaSQ_SR_ENKUlSQ_E_clINS1_13target_configIS4_NS1_20scan_config_selectorIS6_EENS1_11comp_targetILNS1_3genE5ELNS1_11target_archE942ELNS1_3gpuE9ELNS1_3repE0EEELNS0_4arch9wavefront6targetE1EEEEEDaSQ_, .Lfunc_end428-_ZZZN7rocprim17ROCPRIM_400000_NS6detail9scan_implILNS1_25lookback_scan_determinismE0ELb0ELb0ENS0_14default_configEPKN3c104HalfEPS6_S6_ZZZN2at6native31launch_logcumsumexp_cuda_kernelERKNSA_10TensorBaseESE_lENKUlvE_clEvENKUlvE3_clEvEUlS6_S6_E_S6_EEDaPvRmT3_T4_T5_mT6_P12ihipStream_tbENKUlT_T0_E_clISt17integral_constantIbLb0EESU_IbLb1EEEEDaSQ_SR_ENKUlSQ_E_clINS1_13target_configIS4_NS1_20scan_config_selectorIS6_EENS1_11comp_targetILNS1_3genE5ELNS1_11target_archE942ELNS1_3gpuE9ELNS1_3repE0EEELNS0_4arch9wavefront6targetE1EEEEEDaSQ_
                                        ; -- End function
	.section	.AMDGPU.csdata,"",@progbits
; Function info:
; codeLenInByte = 116016
; NumSgprs: 80
; NumVgprs: 168
; NumAgprs: 0
; TotalNumVgprs: 168
; ScratchSize: 8
; MemoryBound: 0
	.section	.text._ZN7rocprim17ROCPRIM_400000_NS6detail17trampoline_kernelINS0_14default_configENS1_20scan_config_selectorIN3c104HalfEEEZZNS1_9scan_implILNS1_25lookback_scan_determinismE0ELb0ELb0ES3_PKS6_PS6_S6_ZZZN2at6native31launch_logcumsumexp_cuda_kernelERKNSD_10TensorBaseESH_lENKUlvE_clEvENKUlvE3_clEvEUlS6_S6_E_S6_EEDaPvRmT3_T4_T5_mT6_P12ihipStream_tbENKUlT_T0_E_clISt17integral_constantIbLb0EESX_IbLb1EEEEDaST_SU_EUlST_E_NS1_11comp_targetILNS1_3genE5ELNS1_11target_archE942ELNS1_3gpuE9ELNS1_3repE0EEENS1_30default_config_static_selectorELNS0_4arch9wavefront6targetE1EEEvT1_,"axG",@progbits,_ZN7rocprim17ROCPRIM_400000_NS6detail17trampoline_kernelINS0_14default_configENS1_20scan_config_selectorIN3c104HalfEEEZZNS1_9scan_implILNS1_25lookback_scan_determinismE0ELb0ELb0ES3_PKS6_PS6_S6_ZZZN2at6native31launch_logcumsumexp_cuda_kernelERKNSD_10TensorBaseESH_lENKUlvE_clEvENKUlvE3_clEvEUlS6_S6_E_S6_EEDaPvRmT3_T4_T5_mT6_P12ihipStream_tbENKUlT_T0_E_clISt17integral_constantIbLb0EESX_IbLb1EEEEDaST_SU_EUlST_E_NS1_11comp_targetILNS1_3genE5ELNS1_11target_archE942ELNS1_3gpuE9ELNS1_3repE0EEENS1_30default_config_static_selectorELNS0_4arch9wavefront6targetE1EEEvT1_,comdat
	.globl	_ZN7rocprim17ROCPRIM_400000_NS6detail17trampoline_kernelINS0_14default_configENS1_20scan_config_selectorIN3c104HalfEEEZZNS1_9scan_implILNS1_25lookback_scan_determinismE0ELb0ELb0ES3_PKS6_PS6_S6_ZZZN2at6native31launch_logcumsumexp_cuda_kernelERKNSD_10TensorBaseESH_lENKUlvE_clEvENKUlvE3_clEvEUlS6_S6_E_S6_EEDaPvRmT3_T4_T5_mT6_P12ihipStream_tbENKUlT_T0_E_clISt17integral_constantIbLb0EESX_IbLb1EEEEDaST_SU_EUlST_E_NS1_11comp_targetILNS1_3genE5ELNS1_11target_archE942ELNS1_3gpuE9ELNS1_3repE0EEENS1_30default_config_static_selectorELNS0_4arch9wavefront6targetE1EEEvT1_ ; -- Begin function _ZN7rocprim17ROCPRIM_400000_NS6detail17trampoline_kernelINS0_14default_configENS1_20scan_config_selectorIN3c104HalfEEEZZNS1_9scan_implILNS1_25lookback_scan_determinismE0ELb0ELb0ES3_PKS6_PS6_S6_ZZZN2at6native31launch_logcumsumexp_cuda_kernelERKNSD_10TensorBaseESH_lENKUlvE_clEvENKUlvE3_clEvEUlS6_S6_E_S6_EEDaPvRmT3_T4_T5_mT6_P12ihipStream_tbENKUlT_T0_E_clISt17integral_constantIbLb0EESX_IbLb1EEEEDaST_SU_EUlST_E_NS1_11comp_targetILNS1_3genE5ELNS1_11target_archE942ELNS1_3gpuE9ELNS1_3repE0EEENS1_30default_config_static_selectorELNS0_4arch9wavefront6targetE1EEEvT1_
	.p2align	8
	.type	_ZN7rocprim17ROCPRIM_400000_NS6detail17trampoline_kernelINS0_14default_configENS1_20scan_config_selectorIN3c104HalfEEEZZNS1_9scan_implILNS1_25lookback_scan_determinismE0ELb0ELb0ES3_PKS6_PS6_S6_ZZZN2at6native31launch_logcumsumexp_cuda_kernelERKNSD_10TensorBaseESH_lENKUlvE_clEvENKUlvE3_clEvEUlS6_S6_E_S6_EEDaPvRmT3_T4_T5_mT6_P12ihipStream_tbENKUlT_T0_E_clISt17integral_constantIbLb0EESX_IbLb1EEEEDaST_SU_EUlST_E_NS1_11comp_targetILNS1_3genE5ELNS1_11target_archE942ELNS1_3gpuE9ELNS1_3repE0EEENS1_30default_config_static_selectorELNS0_4arch9wavefront6targetE1EEEvT1_,@function
_ZN7rocprim17ROCPRIM_400000_NS6detail17trampoline_kernelINS0_14default_configENS1_20scan_config_selectorIN3c104HalfEEEZZNS1_9scan_implILNS1_25lookback_scan_determinismE0ELb0ELb0ES3_PKS6_PS6_S6_ZZZN2at6native31launch_logcumsumexp_cuda_kernelERKNSD_10TensorBaseESH_lENKUlvE_clEvENKUlvE3_clEvEUlS6_S6_E_S6_EEDaPvRmT3_T4_T5_mT6_P12ihipStream_tbENKUlT_T0_E_clISt17integral_constantIbLb0EESX_IbLb1EEEEDaST_SU_EUlST_E_NS1_11comp_targetILNS1_3genE5ELNS1_11target_archE942ELNS1_3gpuE9ELNS1_3repE0EEENS1_30default_config_static_selectorELNS0_4arch9wavefront6targetE1EEEvT1_: ; @_ZN7rocprim17ROCPRIM_400000_NS6detail17trampoline_kernelINS0_14default_configENS1_20scan_config_selectorIN3c104HalfEEEZZNS1_9scan_implILNS1_25lookback_scan_determinismE0ELb0ELb0ES3_PKS6_PS6_S6_ZZZN2at6native31launch_logcumsumexp_cuda_kernelERKNSD_10TensorBaseESH_lENKUlvE_clEvENKUlvE3_clEvEUlS6_S6_E_S6_EEDaPvRmT3_T4_T5_mT6_P12ihipStream_tbENKUlT_T0_E_clISt17integral_constantIbLb0EESX_IbLb1EEEEDaST_SU_EUlST_E_NS1_11comp_targetILNS1_3genE5ELNS1_11target_archE942ELNS1_3gpuE9ELNS1_3repE0EEENS1_30default_config_static_selectorELNS0_4arch9wavefront6targetE1EEEvT1_
; %bb.0:
	s_load_dwordx8 s[4:11], s[0:1], 0x0
	s_load_dwordx8 s[12:19], s[0:1], 0x20
	s_mov_b64 s[2:3], src_private_base
	v_mov_b32_e32 v31, v0
	v_mov_b32_e32 v0, 0
	s_waitcnt lgkmcnt(0)
	v_mov_b64_e32 v[2:3], s[4:5]
	v_mov_b64_e32 v[6:7], s[8:9]
	v_mov_b64_e32 v[4:5], s[6:7]
	v_mov_b64_e32 v[8:9], s[10:11]
	s_load_dwordx8 s[4:11], s[0:1], 0x40
	scratch_store_dwordx4 off, v[2:5], off
	scratch_store_dwordx4 off, v[6:9], off offset:16
	v_mov_b32_e32 v1, s3
	v_mov_b64_e32 v[2:3], s[12:13]
	v_mov_b64_e32 v[4:5], s[14:15]
	scratch_store_dwordx4 off, v[2:5], off offset:32
	s_movk_i32 s32, 0x70
	s_nop 0
	v_mov_b64_e32 v[2:3], s[16:17]
	v_mov_b64_e32 v[4:5], s[18:19]
	scratch_store_dwordx4 off, v[2:5], off offset:48
	s_waitcnt lgkmcnt(0)
	s_nop 0
	v_mov_b64_e32 v[2:3], s[4:5]
	v_mov_b64_e32 v[4:5], s[6:7]
	scratch_store_dwordx4 off, v[2:5], off offset:64
	s_nop 1
	v_mov_b64_e32 v[2:3], s[8:9]
	v_mov_b64_e32 v[4:5], s[10:11]
	s_add_u32 s8, s0, 0x60
	s_addc_u32 s9, s1, 0
	scratch_store_dwordx4 off, v[2:5], off offset:80
	s_getpc_b64 s[0:1]
	s_add_u32 s0, s0, _ZZZN7rocprim17ROCPRIM_400000_NS6detail9scan_implILNS1_25lookback_scan_determinismE0ELb0ELb0ENS0_14default_configEPKN3c104HalfEPS6_S6_ZZZN2at6native31launch_logcumsumexp_cuda_kernelERKNSA_10TensorBaseESE_lENKUlvE_clEvENKUlvE3_clEvEUlS6_S6_E_S6_EEDaPvRmT3_T4_T5_mT6_P12ihipStream_tbENKUlT_T0_E_clISt17integral_constantIbLb0EESU_IbLb1EEEEDaSQ_SR_ENKUlSQ_E_clINS1_13target_configIS4_NS1_20scan_config_selectorIS6_EENS1_11comp_targetILNS1_3genE5ELNS1_11target_archE942ELNS1_3gpuE9ELNS1_3repE0EEELNS0_4arch9wavefront6targetE1EEEEEDaSQ_@rel32@lo+4
	s_addc_u32 s1, s1, _ZZZN7rocprim17ROCPRIM_400000_NS6detail9scan_implILNS1_25lookback_scan_determinismE0ELb0ELb0ENS0_14default_configEPKN3c104HalfEPS6_S6_ZZZN2at6native31launch_logcumsumexp_cuda_kernelERKNSA_10TensorBaseESE_lENKUlvE_clEvENKUlvE3_clEvEUlS6_S6_E_S6_EEDaPvRmT3_T4_T5_mT6_P12ihipStream_tbENKUlT_T0_E_clISt17integral_constantIbLb0EESU_IbLb1EEEEDaSQ_SR_ENKUlSQ_E_clINS1_13target_configIS4_NS1_20scan_config_selectorIS6_EENS1_11comp_targetILNS1_3genE5ELNS1_11target_archE942ELNS1_3gpuE9ELNS1_3repE0EEELNS0_4arch9wavefront6targetE1EEEEEDaSQ_@rel32@hi+12
	s_swappc_b64 s[30:31], s[0:1]
	s_endpgm
	.section	.rodata,"a",@progbits
	.p2align	6, 0x0
	.amdhsa_kernel _ZN7rocprim17ROCPRIM_400000_NS6detail17trampoline_kernelINS0_14default_configENS1_20scan_config_selectorIN3c104HalfEEEZZNS1_9scan_implILNS1_25lookback_scan_determinismE0ELb0ELb0ES3_PKS6_PS6_S6_ZZZN2at6native31launch_logcumsumexp_cuda_kernelERKNSD_10TensorBaseESH_lENKUlvE_clEvENKUlvE3_clEvEUlS6_S6_E_S6_EEDaPvRmT3_T4_T5_mT6_P12ihipStream_tbENKUlT_T0_E_clISt17integral_constantIbLb0EESX_IbLb1EEEEDaST_SU_EUlST_E_NS1_11comp_targetILNS1_3genE5ELNS1_11target_archE942ELNS1_3gpuE9ELNS1_3repE0EEENS1_30default_config_static_selectorELNS0_4arch9wavefront6targetE1EEEvT1_
		.amdhsa_group_segment_fixed_size 12288
		.amdhsa_private_segment_fixed_size 120
		.amdhsa_kernarg_size 352
		.amdhsa_user_sgpr_count 2
		.amdhsa_user_sgpr_dispatch_ptr 0
		.amdhsa_user_sgpr_queue_ptr 0
		.amdhsa_user_sgpr_kernarg_segment_ptr 1
		.amdhsa_user_sgpr_dispatch_id 0
		.amdhsa_user_sgpr_kernarg_preload_length 0
		.amdhsa_user_sgpr_kernarg_preload_offset 0
		.amdhsa_user_sgpr_private_segment_size 0
		.amdhsa_uses_dynamic_stack 0
		.amdhsa_enable_private_segment 1
		.amdhsa_system_sgpr_workgroup_id_x 1
		.amdhsa_system_sgpr_workgroup_id_y 0
		.amdhsa_system_sgpr_workgroup_id_z 0
		.amdhsa_system_sgpr_workgroup_info 0
		.amdhsa_system_vgpr_workitem_id 0
		.amdhsa_next_free_vgpr 168
		.amdhsa_next_free_sgpr 74
		.amdhsa_accum_offset 168
		.amdhsa_reserve_vcc 1
		.amdhsa_float_round_mode_32 0
		.amdhsa_float_round_mode_16_64 0
		.amdhsa_float_denorm_mode_32 3
		.amdhsa_float_denorm_mode_16_64 3
		.amdhsa_dx10_clamp 1
		.amdhsa_ieee_mode 1
		.amdhsa_fp16_overflow 0
		.amdhsa_tg_split 0
		.amdhsa_exception_fp_ieee_invalid_op 0
		.amdhsa_exception_fp_denorm_src 0
		.amdhsa_exception_fp_ieee_div_zero 0
		.amdhsa_exception_fp_ieee_overflow 0
		.amdhsa_exception_fp_ieee_underflow 0
		.amdhsa_exception_fp_ieee_inexact 0
		.amdhsa_exception_int_div_zero 0
	.end_amdhsa_kernel
	.section	.text._ZN7rocprim17ROCPRIM_400000_NS6detail17trampoline_kernelINS0_14default_configENS1_20scan_config_selectorIN3c104HalfEEEZZNS1_9scan_implILNS1_25lookback_scan_determinismE0ELb0ELb0ES3_PKS6_PS6_S6_ZZZN2at6native31launch_logcumsumexp_cuda_kernelERKNSD_10TensorBaseESH_lENKUlvE_clEvENKUlvE3_clEvEUlS6_S6_E_S6_EEDaPvRmT3_T4_T5_mT6_P12ihipStream_tbENKUlT_T0_E_clISt17integral_constantIbLb0EESX_IbLb1EEEEDaST_SU_EUlST_E_NS1_11comp_targetILNS1_3genE5ELNS1_11target_archE942ELNS1_3gpuE9ELNS1_3repE0EEENS1_30default_config_static_selectorELNS0_4arch9wavefront6targetE1EEEvT1_,"axG",@progbits,_ZN7rocprim17ROCPRIM_400000_NS6detail17trampoline_kernelINS0_14default_configENS1_20scan_config_selectorIN3c104HalfEEEZZNS1_9scan_implILNS1_25lookback_scan_determinismE0ELb0ELb0ES3_PKS6_PS6_S6_ZZZN2at6native31launch_logcumsumexp_cuda_kernelERKNSD_10TensorBaseESH_lENKUlvE_clEvENKUlvE3_clEvEUlS6_S6_E_S6_EEDaPvRmT3_T4_T5_mT6_P12ihipStream_tbENKUlT_T0_E_clISt17integral_constantIbLb0EESX_IbLb1EEEEDaST_SU_EUlST_E_NS1_11comp_targetILNS1_3genE5ELNS1_11target_archE942ELNS1_3gpuE9ELNS1_3repE0EEENS1_30default_config_static_selectorELNS0_4arch9wavefront6targetE1EEEvT1_,comdat
.Lfunc_end429:
	.size	_ZN7rocprim17ROCPRIM_400000_NS6detail17trampoline_kernelINS0_14default_configENS1_20scan_config_selectorIN3c104HalfEEEZZNS1_9scan_implILNS1_25lookback_scan_determinismE0ELb0ELb0ES3_PKS6_PS6_S6_ZZZN2at6native31launch_logcumsumexp_cuda_kernelERKNSD_10TensorBaseESH_lENKUlvE_clEvENKUlvE3_clEvEUlS6_S6_E_S6_EEDaPvRmT3_T4_T5_mT6_P12ihipStream_tbENKUlT_T0_E_clISt17integral_constantIbLb0EESX_IbLb1EEEEDaST_SU_EUlST_E_NS1_11comp_targetILNS1_3genE5ELNS1_11target_archE942ELNS1_3gpuE9ELNS1_3repE0EEENS1_30default_config_static_selectorELNS0_4arch9wavefront6targetE1EEEvT1_, .Lfunc_end429-_ZN7rocprim17ROCPRIM_400000_NS6detail17trampoline_kernelINS0_14default_configENS1_20scan_config_selectorIN3c104HalfEEEZZNS1_9scan_implILNS1_25lookback_scan_determinismE0ELb0ELb0ES3_PKS6_PS6_S6_ZZZN2at6native31launch_logcumsumexp_cuda_kernelERKNSD_10TensorBaseESH_lENKUlvE_clEvENKUlvE3_clEvEUlS6_S6_E_S6_EEDaPvRmT3_T4_T5_mT6_P12ihipStream_tbENKUlT_T0_E_clISt17integral_constantIbLb0EESX_IbLb1EEEEDaST_SU_EUlST_E_NS1_11comp_targetILNS1_3genE5ELNS1_11target_archE942ELNS1_3gpuE9ELNS1_3repE0EEENS1_30default_config_static_selectorELNS0_4arch9wavefront6targetE1EEEvT1_
                                        ; -- End function
	.section	.AMDGPU.csdata,"",@progbits
; Kernel info:
; codeLenInByte = 200
; NumSgprs: 80
; NumVgprs: 168
; NumAgprs: 0
; TotalNumVgprs: 168
; ScratchSize: 120
; MemoryBound: 0
; FloatMode: 240
; IeeeMode: 1
; LDSByteSize: 12288 bytes/workgroup (compile time only)
; SGPRBlocks: 9
; VGPRBlocks: 20
; NumSGPRsForWavesPerEU: 80
; NumVGPRsForWavesPerEU: 168
; AccumOffset: 168
; Occupancy: 3
; WaveLimiterHint : 1
; COMPUTE_PGM_RSRC2:SCRATCH_EN: 1
; COMPUTE_PGM_RSRC2:USER_SGPR: 2
; COMPUTE_PGM_RSRC2:TRAP_HANDLER: 0
; COMPUTE_PGM_RSRC2:TGID_X_EN: 1
; COMPUTE_PGM_RSRC2:TGID_Y_EN: 0
; COMPUTE_PGM_RSRC2:TGID_Z_EN: 0
; COMPUTE_PGM_RSRC2:TIDIG_COMP_CNT: 0
; COMPUTE_PGM_RSRC3_GFX90A:ACCUM_OFFSET: 41
; COMPUTE_PGM_RSRC3_GFX90A:TG_SPLIT: 0
	.section	.text._ZN7rocprim17ROCPRIM_400000_NS6detail17trampoline_kernelINS0_14default_configENS1_20scan_config_selectorIN3c104HalfEEEZZNS1_9scan_implILNS1_25lookback_scan_determinismE0ELb0ELb0ES3_PKS6_PS6_S6_ZZZN2at6native31launch_logcumsumexp_cuda_kernelERKNSD_10TensorBaseESH_lENKUlvE_clEvENKUlvE3_clEvEUlS6_S6_E_S6_EEDaPvRmT3_T4_T5_mT6_P12ihipStream_tbENKUlT_T0_E_clISt17integral_constantIbLb0EESX_IbLb1EEEEDaST_SU_EUlST_E_NS1_11comp_targetILNS1_3genE4ELNS1_11target_archE910ELNS1_3gpuE8ELNS1_3repE0EEENS1_30default_config_static_selectorELNS0_4arch9wavefront6targetE1EEEvT1_,"axG",@progbits,_ZN7rocprim17ROCPRIM_400000_NS6detail17trampoline_kernelINS0_14default_configENS1_20scan_config_selectorIN3c104HalfEEEZZNS1_9scan_implILNS1_25lookback_scan_determinismE0ELb0ELb0ES3_PKS6_PS6_S6_ZZZN2at6native31launch_logcumsumexp_cuda_kernelERKNSD_10TensorBaseESH_lENKUlvE_clEvENKUlvE3_clEvEUlS6_S6_E_S6_EEDaPvRmT3_T4_T5_mT6_P12ihipStream_tbENKUlT_T0_E_clISt17integral_constantIbLb0EESX_IbLb1EEEEDaST_SU_EUlST_E_NS1_11comp_targetILNS1_3genE4ELNS1_11target_archE910ELNS1_3gpuE8ELNS1_3repE0EEENS1_30default_config_static_selectorELNS0_4arch9wavefront6targetE1EEEvT1_,comdat
	.globl	_ZN7rocprim17ROCPRIM_400000_NS6detail17trampoline_kernelINS0_14default_configENS1_20scan_config_selectorIN3c104HalfEEEZZNS1_9scan_implILNS1_25lookback_scan_determinismE0ELb0ELb0ES3_PKS6_PS6_S6_ZZZN2at6native31launch_logcumsumexp_cuda_kernelERKNSD_10TensorBaseESH_lENKUlvE_clEvENKUlvE3_clEvEUlS6_S6_E_S6_EEDaPvRmT3_T4_T5_mT6_P12ihipStream_tbENKUlT_T0_E_clISt17integral_constantIbLb0EESX_IbLb1EEEEDaST_SU_EUlST_E_NS1_11comp_targetILNS1_3genE4ELNS1_11target_archE910ELNS1_3gpuE8ELNS1_3repE0EEENS1_30default_config_static_selectorELNS0_4arch9wavefront6targetE1EEEvT1_ ; -- Begin function _ZN7rocprim17ROCPRIM_400000_NS6detail17trampoline_kernelINS0_14default_configENS1_20scan_config_selectorIN3c104HalfEEEZZNS1_9scan_implILNS1_25lookback_scan_determinismE0ELb0ELb0ES3_PKS6_PS6_S6_ZZZN2at6native31launch_logcumsumexp_cuda_kernelERKNSD_10TensorBaseESH_lENKUlvE_clEvENKUlvE3_clEvEUlS6_S6_E_S6_EEDaPvRmT3_T4_T5_mT6_P12ihipStream_tbENKUlT_T0_E_clISt17integral_constantIbLb0EESX_IbLb1EEEEDaST_SU_EUlST_E_NS1_11comp_targetILNS1_3genE4ELNS1_11target_archE910ELNS1_3gpuE8ELNS1_3repE0EEENS1_30default_config_static_selectorELNS0_4arch9wavefront6targetE1EEEvT1_
	.p2align	8
	.type	_ZN7rocprim17ROCPRIM_400000_NS6detail17trampoline_kernelINS0_14default_configENS1_20scan_config_selectorIN3c104HalfEEEZZNS1_9scan_implILNS1_25lookback_scan_determinismE0ELb0ELb0ES3_PKS6_PS6_S6_ZZZN2at6native31launch_logcumsumexp_cuda_kernelERKNSD_10TensorBaseESH_lENKUlvE_clEvENKUlvE3_clEvEUlS6_S6_E_S6_EEDaPvRmT3_T4_T5_mT6_P12ihipStream_tbENKUlT_T0_E_clISt17integral_constantIbLb0EESX_IbLb1EEEEDaST_SU_EUlST_E_NS1_11comp_targetILNS1_3genE4ELNS1_11target_archE910ELNS1_3gpuE8ELNS1_3repE0EEENS1_30default_config_static_selectorELNS0_4arch9wavefront6targetE1EEEvT1_,@function
_ZN7rocprim17ROCPRIM_400000_NS6detail17trampoline_kernelINS0_14default_configENS1_20scan_config_selectorIN3c104HalfEEEZZNS1_9scan_implILNS1_25lookback_scan_determinismE0ELb0ELb0ES3_PKS6_PS6_S6_ZZZN2at6native31launch_logcumsumexp_cuda_kernelERKNSD_10TensorBaseESH_lENKUlvE_clEvENKUlvE3_clEvEUlS6_S6_E_S6_EEDaPvRmT3_T4_T5_mT6_P12ihipStream_tbENKUlT_T0_E_clISt17integral_constantIbLb0EESX_IbLb1EEEEDaST_SU_EUlST_E_NS1_11comp_targetILNS1_3genE4ELNS1_11target_archE910ELNS1_3gpuE8ELNS1_3repE0EEENS1_30default_config_static_selectorELNS0_4arch9wavefront6targetE1EEEvT1_: ; @_ZN7rocprim17ROCPRIM_400000_NS6detail17trampoline_kernelINS0_14default_configENS1_20scan_config_selectorIN3c104HalfEEEZZNS1_9scan_implILNS1_25lookback_scan_determinismE0ELb0ELb0ES3_PKS6_PS6_S6_ZZZN2at6native31launch_logcumsumexp_cuda_kernelERKNSD_10TensorBaseESH_lENKUlvE_clEvENKUlvE3_clEvEUlS6_S6_E_S6_EEDaPvRmT3_T4_T5_mT6_P12ihipStream_tbENKUlT_T0_E_clISt17integral_constantIbLb0EESX_IbLb1EEEEDaST_SU_EUlST_E_NS1_11comp_targetILNS1_3genE4ELNS1_11target_archE910ELNS1_3gpuE8ELNS1_3repE0EEENS1_30default_config_static_selectorELNS0_4arch9wavefront6targetE1EEEvT1_
; %bb.0:
	.section	.rodata,"a",@progbits
	.p2align	6, 0x0
	.amdhsa_kernel _ZN7rocprim17ROCPRIM_400000_NS6detail17trampoline_kernelINS0_14default_configENS1_20scan_config_selectorIN3c104HalfEEEZZNS1_9scan_implILNS1_25lookback_scan_determinismE0ELb0ELb0ES3_PKS6_PS6_S6_ZZZN2at6native31launch_logcumsumexp_cuda_kernelERKNSD_10TensorBaseESH_lENKUlvE_clEvENKUlvE3_clEvEUlS6_S6_E_S6_EEDaPvRmT3_T4_T5_mT6_P12ihipStream_tbENKUlT_T0_E_clISt17integral_constantIbLb0EESX_IbLb1EEEEDaST_SU_EUlST_E_NS1_11comp_targetILNS1_3genE4ELNS1_11target_archE910ELNS1_3gpuE8ELNS1_3repE0EEENS1_30default_config_static_selectorELNS0_4arch9wavefront6targetE1EEEvT1_
		.amdhsa_group_segment_fixed_size 0
		.amdhsa_private_segment_fixed_size 0
		.amdhsa_kernarg_size 96
		.amdhsa_user_sgpr_count 2
		.amdhsa_user_sgpr_dispatch_ptr 0
		.amdhsa_user_sgpr_queue_ptr 0
		.amdhsa_user_sgpr_kernarg_segment_ptr 1
		.amdhsa_user_sgpr_dispatch_id 0
		.amdhsa_user_sgpr_kernarg_preload_length 0
		.amdhsa_user_sgpr_kernarg_preload_offset 0
		.amdhsa_user_sgpr_private_segment_size 0
		.amdhsa_uses_dynamic_stack 0
		.amdhsa_enable_private_segment 0
		.amdhsa_system_sgpr_workgroup_id_x 1
		.amdhsa_system_sgpr_workgroup_id_y 0
		.amdhsa_system_sgpr_workgroup_id_z 0
		.amdhsa_system_sgpr_workgroup_info 0
		.amdhsa_system_vgpr_workitem_id 0
		.amdhsa_next_free_vgpr 1
		.amdhsa_next_free_sgpr 0
		.amdhsa_accum_offset 4
		.amdhsa_reserve_vcc 0
		.amdhsa_float_round_mode_32 0
		.amdhsa_float_round_mode_16_64 0
		.amdhsa_float_denorm_mode_32 3
		.amdhsa_float_denorm_mode_16_64 3
		.amdhsa_dx10_clamp 1
		.amdhsa_ieee_mode 1
		.amdhsa_fp16_overflow 0
		.amdhsa_tg_split 0
		.amdhsa_exception_fp_ieee_invalid_op 0
		.amdhsa_exception_fp_denorm_src 0
		.amdhsa_exception_fp_ieee_div_zero 0
		.amdhsa_exception_fp_ieee_overflow 0
		.amdhsa_exception_fp_ieee_underflow 0
		.amdhsa_exception_fp_ieee_inexact 0
		.amdhsa_exception_int_div_zero 0
	.end_amdhsa_kernel
	.section	.text._ZN7rocprim17ROCPRIM_400000_NS6detail17trampoline_kernelINS0_14default_configENS1_20scan_config_selectorIN3c104HalfEEEZZNS1_9scan_implILNS1_25lookback_scan_determinismE0ELb0ELb0ES3_PKS6_PS6_S6_ZZZN2at6native31launch_logcumsumexp_cuda_kernelERKNSD_10TensorBaseESH_lENKUlvE_clEvENKUlvE3_clEvEUlS6_S6_E_S6_EEDaPvRmT3_T4_T5_mT6_P12ihipStream_tbENKUlT_T0_E_clISt17integral_constantIbLb0EESX_IbLb1EEEEDaST_SU_EUlST_E_NS1_11comp_targetILNS1_3genE4ELNS1_11target_archE910ELNS1_3gpuE8ELNS1_3repE0EEENS1_30default_config_static_selectorELNS0_4arch9wavefront6targetE1EEEvT1_,"axG",@progbits,_ZN7rocprim17ROCPRIM_400000_NS6detail17trampoline_kernelINS0_14default_configENS1_20scan_config_selectorIN3c104HalfEEEZZNS1_9scan_implILNS1_25lookback_scan_determinismE0ELb0ELb0ES3_PKS6_PS6_S6_ZZZN2at6native31launch_logcumsumexp_cuda_kernelERKNSD_10TensorBaseESH_lENKUlvE_clEvENKUlvE3_clEvEUlS6_S6_E_S6_EEDaPvRmT3_T4_T5_mT6_P12ihipStream_tbENKUlT_T0_E_clISt17integral_constantIbLb0EESX_IbLb1EEEEDaST_SU_EUlST_E_NS1_11comp_targetILNS1_3genE4ELNS1_11target_archE910ELNS1_3gpuE8ELNS1_3repE0EEENS1_30default_config_static_selectorELNS0_4arch9wavefront6targetE1EEEvT1_,comdat
.Lfunc_end430:
	.size	_ZN7rocprim17ROCPRIM_400000_NS6detail17trampoline_kernelINS0_14default_configENS1_20scan_config_selectorIN3c104HalfEEEZZNS1_9scan_implILNS1_25lookback_scan_determinismE0ELb0ELb0ES3_PKS6_PS6_S6_ZZZN2at6native31launch_logcumsumexp_cuda_kernelERKNSD_10TensorBaseESH_lENKUlvE_clEvENKUlvE3_clEvEUlS6_S6_E_S6_EEDaPvRmT3_T4_T5_mT6_P12ihipStream_tbENKUlT_T0_E_clISt17integral_constantIbLb0EESX_IbLb1EEEEDaST_SU_EUlST_E_NS1_11comp_targetILNS1_3genE4ELNS1_11target_archE910ELNS1_3gpuE8ELNS1_3repE0EEENS1_30default_config_static_selectorELNS0_4arch9wavefront6targetE1EEEvT1_, .Lfunc_end430-_ZN7rocprim17ROCPRIM_400000_NS6detail17trampoline_kernelINS0_14default_configENS1_20scan_config_selectorIN3c104HalfEEEZZNS1_9scan_implILNS1_25lookback_scan_determinismE0ELb0ELb0ES3_PKS6_PS6_S6_ZZZN2at6native31launch_logcumsumexp_cuda_kernelERKNSD_10TensorBaseESH_lENKUlvE_clEvENKUlvE3_clEvEUlS6_S6_E_S6_EEDaPvRmT3_T4_T5_mT6_P12ihipStream_tbENKUlT_T0_E_clISt17integral_constantIbLb0EESX_IbLb1EEEEDaST_SU_EUlST_E_NS1_11comp_targetILNS1_3genE4ELNS1_11target_archE910ELNS1_3gpuE8ELNS1_3repE0EEENS1_30default_config_static_selectorELNS0_4arch9wavefront6targetE1EEEvT1_
                                        ; -- End function
	.section	.AMDGPU.csdata,"",@progbits
; Kernel info:
; codeLenInByte = 0
; NumSgprs: 6
; NumVgprs: 0
; NumAgprs: 0
; TotalNumVgprs: 0
; ScratchSize: 0
; MemoryBound: 0
; FloatMode: 240
; IeeeMode: 1
; LDSByteSize: 0 bytes/workgroup (compile time only)
; SGPRBlocks: 0
; VGPRBlocks: 0
; NumSGPRsForWavesPerEU: 6
; NumVGPRsForWavesPerEU: 1
; AccumOffset: 4
; Occupancy: 8
; WaveLimiterHint : 0
; COMPUTE_PGM_RSRC2:SCRATCH_EN: 0
; COMPUTE_PGM_RSRC2:USER_SGPR: 2
; COMPUTE_PGM_RSRC2:TRAP_HANDLER: 0
; COMPUTE_PGM_RSRC2:TGID_X_EN: 1
; COMPUTE_PGM_RSRC2:TGID_Y_EN: 0
; COMPUTE_PGM_RSRC2:TGID_Z_EN: 0
; COMPUTE_PGM_RSRC2:TIDIG_COMP_CNT: 0
; COMPUTE_PGM_RSRC3_GFX90A:ACCUM_OFFSET: 0
; COMPUTE_PGM_RSRC3_GFX90A:TG_SPLIT: 0
	.section	.text._ZN7rocprim17ROCPRIM_400000_NS6detail17trampoline_kernelINS0_14default_configENS1_20scan_config_selectorIN3c104HalfEEEZZNS1_9scan_implILNS1_25lookback_scan_determinismE0ELb0ELb0ES3_PKS6_PS6_S6_ZZZN2at6native31launch_logcumsumexp_cuda_kernelERKNSD_10TensorBaseESH_lENKUlvE_clEvENKUlvE3_clEvEUlS6_S6_E_S6_EEDaPvRmT3_T4_T5_mT6_P12ihipStream_tbENKUlT_T0_E_clISt17integral_constantIbLb0EESX_IbLb1EEEEDaST_SU_EUlST_E_NS1_11comp_targetILNS1_3genE3ELNS1_11target_archE908ELNS1_3gpuE7ELNS1_3repE0EEENS1_30default_config_static_selectorELNS0_4arch9wavefront6targetE1EEEvT1_,"axG",@progbits,_ZN7rocprim17ROCPRIM_400000_NS6detail17trampoline_kernelINS0_14default_configENS1_20scan_config_selectorIN3c104HalfEEEZZNS1_9scan_implILNS1_25lookback_scan_determinismE0ELb0ELb0ES3_PKS6_PS6_S6_ZZZN2at6native31launch_logcumsumexp_cuda_kernelERKNSD_10TensorBaseESH_lENKUlvE_clEvENKUlvE3_clEvEUlS6_S6_E_S6_EEDaPvRmT3_T4_T5_mT6_P12ihipStream_tbENKUlT_T0_E_clISt17integral_constantIbLb0EESX_IbLb1EEEEDaST_SU_EUlST_E_NS1_11comp_targetILNS1_3genE3ELNS1_11target_archE908ELNS1_3gpuE7ELNS1_3repE0EEENS1_30default_config_static_selectorELNS0_4arch9wavefront6targetE1EEEvT1_,comdat
	.globl	_ZN7rocprim17ROCPRIM_400000_NS6detail17trampoline_kernelINS0_14default_configENS1_20scan_config_selectorIN3c104HalfEEEZZNS1_9scan_implILNS1_25lookback_scan_determinismE0ELb0ELb0ES3_PKS6_PS6_S6_ZZZN2at6native31launch_logcumsumexp_cuda_kernelERKNSD_10TensorBaseESH_lENKUlvE_clEvENKUlvE3_clEvEUlS6_S6_E_S6_EEDaPvRmT3_T4_T5_mT6_P12ihipStream_tbENKUlT_T0_E_clISt17integral_constantIbLb0EESX_IbLb1EEEEDaST_SU_EUlST_E_NS1_11comp_targetILNS1_3genE3ELNS1_11target_archE908ELNS1_3gpuE7ELNS1_3repE0EEENS1_30default_config_static_selectorELNS0_4arch9wavefront6targetE1EEEvT1_ ; -- Begin function _ZN7rocprim17ROCPRIM_400000_NS6detail17trampoline_kernelINS0_14default_configENS1_20scan_config_selectorIN3c104HalfEEEZZNS1_9scan_implILNS1_25lookback_scan_determinismE0ELb0ELb0ES3_PKS6_PS6_S6_ZZZN2at6native31launch_logcumsumexp_cuda_kernelERKNSD_10TensorBaseESH_lENKUlvE_clEvENKUlvE3_clEvEUlS6_S6_E_S6_EEDaPvRmT3_T4_T5_mT6_P12ihipStream_tbENKUlT_T0_E_clISt17integral_constantIbLb0EESX_IbLb1EEEEDaST_SU_EUlST_E_NS1_11comp_targetILNS1_3genE3ELNS1_11target_archE908ELNS1_3gpuE7ELNS1_3repE0EEENS1_30default_config_static_selectorELNS0_4arch9wavefront6targetE1EEEvT1_
	.p2align	8
	.type	_ZN7rocprim17ROCPRIM_400000_NS6detail17trampoline_kernelINS0_14default_configENS1_20scan_config_selectorIN3c104HalfEEEZZNS1_9scan_implILNS1_25lookback_scan_determinismE0ELb0ELb0ES3_PKS6_PS6_S6_ZZZN2at6native31launch_logcumsumexp_cuda_kernelERKNSD_10TensorBaseESH_lENKUlvE_clEvENKUlvE3_clEvEUlS6_S6_E_S6_EEDaPvRmT3_T4_T5_mT6_P12ihipStream_tbENKUlT_T0_E_clISt17integral_constantIbLb0EESX_IbLb1EEEEDaST_SU_EUlST_E_NS1_11comp_targetILNS1_3genE3ELNS1_11target_archE908ELNS1_3gpuE7ELNS1_3repE0EEENS1_30default_config_static_selectorELNS0_4arch9wavefront6targetE1EEEvT1_,@function
_ZN7rocprim17ROCPRIM_400000_NS6detail17trampoline_kernelINS0_14default_configENS1_20scan_config_selectorIN3c104HalfEEEZZNS1_9scan_implILNS1_25lookback_scan_determinismE0ELb0ELb0ES3_PKS6_PS6_S6_ZZZN2at6native31launch_logcumsumexp_cuda_kernelERKNSD_10TensorBaseESH_lENKUlvE_clEvENKUlvE3_clEvEUlS6_S6_E_S6_EEDaPvRmT3_T4_T5_mT6_P12ihipStream_tbENKUlT_T0_E_clISt17integral_constantIbLb0EESX_IbLb1EEEEDaST_SU_EUlST_E_NS1_11comp_targetILNS1_3genE3ELNS1_11target_archE908ELNS1_3gpuE7ELNS1_3repE0EEENS1_30default_config_static_selectorELNS0_4arch9wavefront6targetE1EEEvT1_: ; @_ZN7rocprim17ROCPRIM_400000_NS6detail17trampoline_kernelINS0_14default_configENS1_20scan_config_selectorIN3c104HalfEEEZZNS1_9scan_implILNS1_25lookback_scan_determinismE0ELb0ELb0ES3_PKS6_PS6_S6_ZZZN2at6native31launch_logcumsumexp_cuda_kernelERKNSD_10TensorBaseESH_lENKUlvE_clEvENKUlvE3_clEvEUlS6_S6_E_S6_EEDaPvRmT3_T4_T5_mT6_P12ihipStream_tbENKUlT_T0_E_clISt17integral_constantIbLb0EESX_IbLb1EEEEDaST_SU_EUlST_E_NS1_11comp_targetILNS1_3genE3ELNS1_11target_archE908ELNS1_3gpuE7ELNS1_3repE0EEENS1_30default_config_static_selectorELNS0_4arch9wavefront6targetE1EEEvT1_
; %bb.0:
	.section	.rodata,"a",@progbits
	.p2align	6, 0x0
	.amdhsa_kernel _ZN7rocprim17ROCPRIM_400000_NS6detail17trampoline_kernelINS0_14default_configENS1_20scan_config_selectorIN3c104HalfEEEZZNS1_9scan_implILNS1_25lookback_scan_determinismE0ELb0ELb0ES3_PKS6_PS6_S6_ZZZN2at6native31launch_logcumsumexp_cuda_kernelERKNSD_10TensorBaseESH_lENKUlvE_clEvENKUlvE3_clEvEUlS6_S6_E_S6_EEDaPvRmT3_T4_T5_mT6_P12ihipStream_tbENKUlT_T0_E_clISt17integral_constantIbLb0EESX_IbLb1EEEEDaST_SU_EUlST_E_NS1_11comp_targetILNS1_3genE3ELNS1_11target_archE908ELNS1_3gpuE7ELNS1_3repE0EEENS1_30default_config_static_selectorELNS0_4arch9wavefront6targetE1EEEvT1_
		.amdhsa_group_segment_fixed_size 0
		.amdhsa_private_segment_fixed_size 0
		.amdhsa_kernarg_size 96
		.amdhsa_user_sgpr_count 2
		.amdhsa_user_sgpr_dispatch_ptr 0
		.amdhsa_user_sgpr_queue_ptr 0
		.amdhsa_user_sgpr_kernarg_segment_ptr 1
		.amdhsa_user_sgpr_dispatch_id 0
		.amdhsa_user_sgpr_kernarg_preload_length 0
		.amdhsa_user_sgpr_kernarg_preload_offset 0
		.amdhsa_user_sgpr_private_segment_size 0
		.amdhsa_uses_dynamic_stack 0
		.amdhsa_enable_private_segment 0
		.amdhsa_system_sgpr_workgroup_id_x 1
		.amdhsa_system_sgpr_workgroup_id_y 0
		.amdhsa_system_sgpr_workgroup_id_z 0
		.amdhsa_system_sgpr_workgroup_info 0
		.amdhsa_system_vgpr_workitem_id 0
		.amdhsa_next_free_vgpr 1
		.amdhsa_next_free_sgpr 0
		.amdhsa_accum_offset 4
		.amdhsa_reserve_vcc 0
		.amdhsa_float_round_mode_32 0
		.amdhsa_float_round_mode_16_64 0
		.amdhsa_float_denorm_mode_32 3
		.amdhsa_float_denorm_mode_16_64 3
		.amdhsa_dx10_clamp 1
		.amdhsa_ieee_mode 1
		.amdhsa_fp16_overflow 0
		.amdhsa_tg_split 0
		.amdhsa_exception_fp_ieee_invalid_op 0
		.amdhsa_exception_fp_denorm_src 0
		.amdhsa_exception_fp_ieee_div_zero 0
		.amdhsa_exception_fp_ieee_overflow 0
		.amdhsa_exception_fp_ieee_underflow 0
		.amdhsa_exception_fp_ieee_inexact 0
		.amdhsa_exception_int_div_zero 0
	.end_amdhsa_kernel
	.section	.text._ZN7rocprim17ROCPRIM_400000_NS6detail17trampoline_kernelINS0_14default_configENS1_20scan_config_selectorIN3c104HalfEEEZZNS1_9scan_implILNS1_25lookback_scan_determinismE0ELb0ELb0ES3_PKS6_PS6_S6_ZZZN2at6native31launch_logcumsumexp_cuda_kernelERKNSD_10TensorBaseESH_lENKUlvE_clEvENKUlvE3_clEvEUlS6_S6_E_S6_EEDaPvRmT3_T4_T5_mT6_P12ihipStream_tbENKUlT_T0_E_clISt17integral_constantIbLb0EESX_IbLb1EEEEDaST_SU_EUlST_E_NS1_11comp_targetILNS1_3genE3ELNS1_11target_archE908ELNS1_3gpuE7ELNS1_3repE0EEENS1_30default_config_static_selectorELNS0_4arch9wavefront6targetE1EEEvT1_,"axG",@progbits,_ZN7rocprim17ROCPRIM_400000_NS6detail17trampoline_kernelINS0_14default_configENS1_20scan_config_selectorIN3c104HalfEEEZZNS1_9scan_implILNS1_25lookback_scan_determinismE0ELb0ELb0ES3_PKS6_PS6_S6_ZZZN2at6native31launch_logcumsumexp_cuda_kernelERKNSD_10TensorBaseESH_lENKUlvE_clEvENKUlvE3_clEvEUlS6_S6_E_S6_EEDaPvRmT3_T4_T5_mT6_P12ihipStream_tbENKUlT_T0_E_clISt17integral_constantIbLb0EESX_IbLb1EEEEDaST_SU_EUlST_E_NS1_11comp_targetILNS1_3genE3ELNS1_11target_archE908ELNS1_3gpuE7ELNS1_3repE0EEENS1_30default_config_static_selectorELNS0_4arch9wavefront6targetE1EEEvT1_,comdat
.Lfunc_end431:
	.size	_ZN7rocprim17ROCPRIM_400000_NS6detail17trampoline_kernelINS0_14default_configENS1_20scan_config_selectorIN3c104HalfEEEZZNS1_9scan_implILNS1_25lookback_scan_determinismE0ELb0ELb0ES3_PKS6_PS6_S6_ZZZN2at6native31launch_logcumsumexp_cuda_kernelERKNSD_10TensorBaseESH_lENKUlvE_clEvENKUlvE3_clEvEUlS6_S6_E_S6_EEDaPvRmT3_T4_T5_mT6_P12ihipStream_tbENKUlT_T0_E_clISt17integral_constantIbLb0EESX_IbLb1EEEEDaST_SU_EUlST_E_NS1_11comp_targetILNS1_3genE3ELNS1_11target_archE908ELNS1_3gpuE7ELNS1_3repE0EEENS1_30default_config_static_selectorELNS0_4arch9wavefront6targetE1EEEvT1_, .Lfunc_end431-_ZN7rocprim17ROCPRIM_400000_NS6detail17trampoline_kernelINS0_14default_configENS1_20scan_config_selectorIN3c104HalfEEEZZNS1_9scan_implILNS1_25lookback_scan_determinismE0ELb0ELb0ES3_PKS6_PS6_S6_ZZZN2at6native31launch_logcumsumexp_cuda_kernelERKNSD_10TensorBaseESH_lENKUlvE_clEvENKUlvE3_clEvEUlS6_S6_E_S6_EEDaPvRmT3_T4_T5_mT6_P12ihipStream_tbENKUlT_T0_E_clISt17integral_constantIbLb0EESX_IbLb1EEEEDaST_SU_EUlST_E_NS1_11comp_targetILNS1_3genE3ELNS1_11target_archE908ELNS1_3gpuE7ELNS1_3repE0EEENS1_30default_config_static_selectorELNS0_4arch9wavefront6targetE1EEEvT1_
                                        ; -- End function
	.section	.AMDGPU.csdata,"",@progbits
; Kernel info:
; codeLenInByte = 0
; NumSgprs: 6
; NumVgprs: 0
; NumAgprs: 0
; TotalNumVgprs: 0
; ScratchSize: 0
; MemoryBound: 0
; FloatMode: 240
; IeeeMode: 1
; LDSByteSize: 0 bytes/workgroup (compile time only)
; SGPRBlocks: 0
; VGPRBlocks: 0
; NumSGPRsForWavesPerEU: 6
; NumVGPRsForWavesPerEU: 1
; AccumOffset: 4
; Occupancy: 8
; WaveLimiterHint : 0
; COMPUTE_PGM_RSRC2:SCRATCH_EN: 0
; COMPUTE_PGM_RSRC2:USER_SGPR: 2
; COMPUTE_PGM_RSRC2:TRAP_HANDLER: 0
; COMPUTE_PGM_RSRC2:TGID_X_EN: 1
; COMPUTE_PGM_RSRC2:TGID_Y_EN: 0
; COMPUTE_PGM_RSRC2:TGID_Z_EN: 0
; COMPUTE_PGM_RSRC2:TIDIG_COMP_CNT: 0
; COMPUTE_PGM_RSRC3_GFX90A:ACCUM_OFFSET: 0
; COMPUTE_PGM_RSRC3_GFX90A:TG_SPLIT: 0
	.section	.text._ZN7rocprim17ROCPRIM_400000_NS6detail17trampoline_kernelINS0_14default_configENS1_20scan_config_selectorIN3c104HalfEEEZZNS1_9scan_implILNS1_25lookback_scan_determinismE0ELb0ELb0ES3_PKS6_PS6_S6_ZZZN2at6native31launch_logcumsumexp_cuda_kernelERKNSD_10TensorBaseESH_lENKUlvE_clEvENKUlvE3_clEvEUlS6_S6_E_S6_EEDaPvRmT3_T4_T5_mT6_P12ihipStream_tbENKUlT_T0_E_clISt17integral_constantIbLb0EESX_IbLb1EEEEDaST_SU_EUlST_E_NS1_11comp_targetILNS1_3genE2ELNS1_11target_archE906ELNS1_3gpuE6ELNS1_3repE0EEENS1_30default_config_static_selectorELNS0_4arch9wavefront6targetE1EEEvT1_,"axG",@progbits,_ZN7rocprim17ROCPRIM_400000_NS6detail17trampoline_kernelINS0_14default_configENS1_20scan_config_selectorIN3c104HalfEEEZZNS1_9scan_implILNS1_25lookback_scan_determinismE0ELb0ELb0ES3_PKS6_PS6_S6_ZZZN2at6native31launch_logcumsumexp_cuda_kernelERKNSD_10TensorBaseESH_lENKUlvE_clEvENKUlvE3_clEvEUlS6_S6_E_S6_EEDaPvRmT3_T4_T5_mT6_P12ihipStream_tbENKUlT_T0_E_clISt17integral_constantIbLb0EESX_IbLb1EEEEDaST_SU_EUlST_E_NS1_11comp_targetILNS1_3genE2ELNS1_11target_archE906ELNS1_3gpuE6ELNS1_3repE0EEENS1_30default_config_static_selectorELNS0_4arch9wavefront6targetE1EEEvT1_,comdat
	.globl	_ZN7rocprim17ROCPRIM_400000_NS6detail17trampoline_kernelINS0_14default_configENS1_20scan_config_selectorIN3c104HalfEEEZZNS1_9scan_implILNS1_25lookback_scan_determinismE0ELb0ELb0ES3_PKS6_PS6_S6_ZZZN2at6native31launch_logcumsumexp_cuda_kernelERKNSD_10TensorBaseESH_lENKUlvE_clEvENKUlvE3_clEvEUlS6_S6_E_S6_EEDaPvRmT3_T4_T5_mT6_P12ihipStream_tbENKUlT_T0_E_clISt17integral_constantIbLb0EESX_IbLb1EEEEDaST_SU_EUlST_E_NS1_11comp_targetILNS1_3genE2ELNS1_11target_archE906ELNS1_3gpuE6ELNS1_3repE0EEENS1_30default_config_static_selectorELNS0_4arch9wavefront6targetE1EEEvT1_ ; -- Begin function _ZN7rocprim17ROCPRIM_400000_NS6detail17trampoline_kernelINS0_14default_configENS1_20scan_config_selectorIN3c104HalfEEEZZNS1_9scan_implILNS1_25lookback_scan_determinismE0ELb0ELb0ES3_PKS6_PS6_S6_ZZZN2at6native31launch_logcumsumexp_cuda_kernelERKNSD_10TensorBaseESH_lENKUlvE_clEvENKUlvE3_clEvEUlS6_S6_E_S6_EEDaPvRmT3_T4_T5_mT6_P12ihipStream_tbENKUlT_T0_E_clISt17integral_constantIbLb0EESX_IbLb1EEEEDaST_SU_EUlST_E_NS1_11comp_targetILNS1_3genE2ELNS1_11target_archE906ELNS1_3gpuE6ELNS1_3repE0EEENS1_30default_config_static_selectorELNS0_4arch9wavefront6targetE1EEEvT1_
	.p2align	8
	.type	_ZN7rocprim17ROCPRIM_400000_NS6detail17trampoline_kernelINS0_14default_configENS1_20scan_config_selectorIN3c104HalfEEEZZNS1_9scan_implILNS1_25lookback_scan_determinismE0ELb0ELb0ES3_PKS6_PS6_S6_ZZZN2at6native31launch_logcumsumexp_cuda_kernelERKNSD_10TensorBaseESH_lENKUlvE_clEvENKUlvE3_clEvEUlS6_S6_E_S6_EEDaPvRmT3_T4_T5_mT6_P12ihipStream_tbENKUlT_T0_E_clISt17integral_constantIbLb0EESX_IbLb1EEEEDaST_SU_EUlST_E_NS1_11comp_targetILNS1_3genE2ELNS1_11target_archE906ELNS1_3gpuE6ELNS1_3repE0EEENS1_30default_config_static_selectorELNS0_4arch9wavefront6targetE1EEEvT1_,@function
_ZN7rocprim17ROCPRIM_400000_NS6detail17trampoline_kernelINS0_14default_configENS1_20scan_config_selectorIN3c104HalfEEEZZNS1_9scan_implILNS1_25lookback_scan_determinismE0ELb0ELb0ES3_PKS6_PS6_S6_ZZZN2at6native31launch_logcumsumexp_cuda_kernelERKNSD_10TensorBaseESH_lENKUlvE_clEvENKUlvE3_clEvEUlS6_S6_E_S6_EEDaPvRmT3_T4_T5_mT6_P12ihipStream_tbENKUlT_T0_E_clISt17integral_constantIbLb0EESX_IbLb1EEEEDaST_SU_EUlST_E_NS1_11comp_targetILNS1_3genE2ELNS1_11target_archE906ELNS1_3gpuE6ELNS1_3repE0EEENS1_30default_config_static_selectorELNS0_4arch9wavefront6targetE1EEEvT1_: ; @_ZN7rocprim17ROCPRIM_400000_NS6detail17trampoline_kernelINS0_14default_configENS1_20scan_config_selectorIN3c104HalfEEEZZNS1_9scan_implILNS1_25lookback_scan_determinismE0ELb0ELb0ES3_PKS6_PS6_S6_ZZZN2at6native31launch_logcumsumexp_cuda_kernelERKNSD_10TensorBaseESH_lENKUlvE_clEvENKUlvE3_clEvEUlS6_S6_E_S6_EEDaPvRmT3_T4_T5_mT6_P12ihipStream_tbENKUlT_T0_E_clISt17integral_constantIbLb0EESX_IbLb1EEEEDaST_SU_EUlST_E_NS1_11comp_targetILNS1_3genE2ELNS1_11target_archE906ELNS1_3gpuE6ELNS1_3repE0EEENS1_30default_config_static_selectorELNS0_4arch9wavefront6targetE1EEEvT1_
; %bb.0:
	.section	.rodata,"a",@progbits
	.p2align	6, 0x0
	.amdhsa_kernel _ZN7rocprim17ROCPRIM_400000_NS6detail17trampoline_kernelINS0_14default_configENS1_20scan_config_selectorIN3c104HalfEEEZZNS1_9scan_implILNS1_25lookback_scan_determinismE0ELb0ELb0ES3_PKS6_PS6_S6_ZZZN2at6native31launch_logcumsumexp_cuda_kernelERKNSD_10TensorBaseESH_lENKUlvE_clEvENKUlvE3_clEvEUlS6_S6_E_S6_EEDaPvRmT3_T4_T5_mT6_P12ihipStream_tbENKUlT_T0_E_clISt17integral_constantIbLb0EESX_IbLb1EEEEDaST_SU_EUlST_E_NS1_11comp_targetILNS1_3genE2ELNS1_11target_archE906ELNS1_3gpuE6ELNS1_3repE0EEENS1_30default_config_static_selectorELNS0_4arch9wavefront6targetE1EEEvT1_
		.amdhsa_group_segment_fixed_size 0
		.amdhsa_private_segment_fixed_size 0
		.amdhsa_kernarg_size 96
		.amdhsa_user_sgpr_count 2
		.amdhsa_user_sgpr_dispatch_ptr 0
		.amdhsa_user_sgpr_queue_ptr 0
		.amdhsa_user_sgpr_kernarg_segment_ptr 1
		.amdhsa_user_sgpr_dispatch_id 0
		.amdhsa_user_sgpr_kernarg_preload_length 0
		.amdhsa_user_sgpr_kernarg_preload_offset 0
		.amdhsa_user_sgpr_private_segment_size 0
		.amdhsa_uses_dynamic_stack 0
		.amdhsa_enable_private_segment 0
		.amdhsa_system_sgpr_workgroup_id_x 1
		.amdhsa_system_sgpr_workgroup_id_y 0
		.amdhsa_system_sgpr_workgroup_id_z 0
		.amdhsa_system_sgpr_workgroup_info 0
		.amdhsa_system_vgpr_workitem_id 0
		.amdhsa_next_free_vgpr 1
		.amdhsa_next_free_sgpr 0
		.amdhsa_accum_offset 4
		.amdhsa_reserve_vcc 0
		.amdhsa_float_round_mode_32 0
		.amdhsa_float_round_mode_16_64 0
		.amdhsa_float_denorm_mode_32 3
		.amdhsa_float_denorm_mode_16_64 3
		.amdhsa_dx10_clamp 1
		.amdhsa_ieee_mode 1
		.amdhsa_fp16_overflow 0
		.amdhsa_tg_split 0
		.amdhsa_exception_fp_ieee_invalid_op 0
		.amdhsa_exception_fp_denorm_src 0
		.amdhsa_exception_fp_ieee_div_zero 0
		.amdhsa_exception_fp_ieee_overflow 0
		.amdhsa_exception_fp_ieee_underflow 0
		.amdhsa_exception_fp_ieee_inexact 0
		.amdhsa_exception_int_div_zero 0
	.end_amdhsa_kernel
	.section	.text._ZN7rocprim17ROCPRIM_400000_NS6detail17trampoline_kernelINS0_14default_configENS1_20scan_config_selectorIN3c104HalfEEEZZNS1_9scan_implILNS1_25lookback_scan_determinismE0ELb0ELb0ES3_PKS6_PS6_S6_ZZZN2at6native31launch_logcumsumexp_cuda_kernelERKNSD_10TensorBaseESH_lENKUlvE_clEvENKUlvE3_clEvEUlS6_S6_E_S6_EEDaPvRmT3_T4_T5_mT6_P12ihipStream_tbENKUlT_T0_E_clISt17integral_constantIbLb0EESX_IbLb1EEEEDaST_SU_EUlST_E_NS1_11comp_targetILNS1_3genE2ELNS1_11target_archE906ELNS1_3gpuE6ELNS1_3repE0EEENS1_30default_config_static_selectorELNS0_4arch9wavefront6targetE1EEEvT1_,"axG",@progbits,_ZN7rocprim17ROCPRIM_400000_NS6detail17trampoline_kernelINS0_14default_configENS1_20scan_config_selectorIN3c104HalfEEEZZNS1_9scan_implILNS1_25lookback_scan_determinismE0ELb0ELb0ES3_PKS6_PS6_S6_ZZZN2at6native31launch_logcumsumexp_cuda_kernelERKNSD_10TensorBaseESH_lENKUlvE_clEvENKUlvE3_clEvEUlS6_S6_E_S6_EEDaPvRmT3_T4_T5_mT6_P12ihipStream_tbENKUlT_T0_E_clISt17integral_constantIbLb0EESX_IbLb1EEEEDaST_SU_EUlST_E_NS1_11comp_targetILNS1_3genE2ELNS1_11target_archE906ELNS1_3gpuE6ELNS1_3repE0EEENS1_30default_config_static_selectorELNS0_4arch9wavefront6targetE1EEEvT1_,comdat
.Lfunc_end432:
	.size	_ZN7rocprim17ROCPRIM_400000_NS6detail17trampoline_kernelINS0_14default_configENS1_20scan_config_selectorIN3c104HalfEEEZZNS1_9scan_implILNS1_25lookback_scan_determinismE0ELb0ELb0ES3_PKS6_PS6_S6_ZZZN2at6native31launch_logcumsumexp_cuda_kernelERKNSD_10TensorBaseESH_lENKUlvE_clEvENKUlvE3_clEvEUlS6_S6_E_S6_EEDaPvRmT3_T4_T5_mT6_P12ihipStream_tbENKUlT_T0_E_clISt17integral_constantIbLb0EESX_IbLb1EEEEDaST_SU_EUlST_E_NS1_11comp_targetILNS1_3genE2ELNS1_11target_archE906ELNS1_3gpuE6ELNS1_3repE0EEENS1_30default_config_static_selectorELNS0_4arch9wavefront6targetE1EEEvT1_, .Lfunc_end432-_ZN7rocprim17ROCPRIM_400000_NS6detail17trampoline_kernelINS0_14default_configENS1_20scan_config_selectorIN3c104HalfEEEZZNS1_9scan_implILNS1_25lookback_scan_determinismE0ELb0ELb0ES3_PKS6_PS6_S6_ZZZN2at6native31launch_logcumsumexp_cuda_kernelERKNSD_10TensorBaseESH_lENKUlvE_clEvENKUlvE3_clEvEUlS6_S6_E_S6_EEDaPvRmT3_T4_T5_mT6_P12ihipStream_tbENKUlT_T0_E_clISt17integral_constantIbLb0EESX_IbLb1EEEEDaST_SU_EUlST_E_NS1_11comp_targetILNS1_3genE2ELNS1_11target_archE906ELNS1_3gpuE6ELNS1_3repE0EEENS1_30default_config_static_selectorELNS0_4arch9wavefront6targetE1EEEvT1_
                                        ; -- End function
	.section	.AMDGPU.csdata,"",@progbits
; Kernel info:
; codeLenInByte = 0
; NumSgprs: 6
; NumVgprs: 0
; NumAgprs: 0
; TotalNumVgprs: 0
; ScratchSize: 0
; MemoryBound: 0
; FloatMode: 240
; IeeeMode: 1
; LDSByteSize: 0 bytes/workgroup (compile time only)
; SGPRBlocks: 0
; VGPRBlocks: 0
; NumSGPRsForWavesPerEU: 6
; NumVGPRsForWavesPerEU: 1
; AccumOffset: 4
; Occupancy: 8
; WaveLimiterHint : 0
; COMPUTE_PGM_RSRC2:SCRATCH_EN: 0
; COMPUTE_PGM_RSRC2:USER_SGPR: 2
; COMPUTE_PGM_RSRC2:TRAP_HANDLER: 0
; COMPUTE_PGM_RSRC2:TGID_X_EN: 1
; COMPUTE_PGM_RSRC2:TGID_Y_EN: 0
; COMPUTE_PGM_RSRC2:TGID_Z_EN: 0
; COMPUTE_PGM_RSRC2:TIDIG_COMP_CNT: 0
; COMPUTE_PGM_RSRC3_GFX90A:ACCUM_OFFSET: 0
; COMPUTE_PGM_RSRC3_GFX90A:TG_SPLIT: 0
	.section	.text._ZN7rocprim17ROCPRIM_400000_NS6detail17trampoline_kernelINS0_14default_configENS1_20scan_config_selectorIN3c104HalfEEEZZNS1_9scan_implILNS1_25lookback_scan_determinismE0ELb0ELb0ES3_PKS6_PS6_S6_ZZZN2at6native31launch_logcumsumexp_cuda_kernelERKNSD_10TensorBaseESH_lENKUlvE_clEvENKUlvE3_clEvEUlS6_S6_E_S6_EEDaPvRmT3_T4_T5_mT6_P12ihipStream_tbENKUlT_T0_E_clISt17integral_constantIbLb0EESX_IbLb1EEEEDaST_SU_EUlST_E_NS1_11comp_targetILNS1_3genE10ELNS1_11target_archE1201ELNS1_3gpuE5ELNS1_3repE0EEENS1_30default_config_static_selectorELNS0_4arch9wavefront6targetE1EEEvT1_,"axG",@progbits,_ZN7rocprim17ROCPRIM_400000_NS6detail17trampoline_kernelINS0_14default_configENS1_20scan_config_selectorIN3c104HalfEEEZZNS1_9scan_implILNS1_25lookback_scan_determinismE0ELb0ELb0ES3_PKS6_PS6_S6_ZZZN2at6native31launch_logcumsumexp_cuda_kernelERKNSD_10TensorBaseESH_lENKUlvE_clEvENKUlvE3_clEvEUlS6_S6_E_S6_EEDaPvRmT3_T4_T5_mT6_P12ihipStream_tbENKUlT_T0_E_clISt17integral_constantIbLb0EESX_IbLb1EEEEDaST_SU_EUlST_E_NS1_11comp_targetILNS1_3genE10ELNS1_11target_archE1201ELNS1_3gpuE5ELNS1_3repE0EEENS1_30default_config_static_selectorELNS0_4arch9wavefront6targetE1EEEvT1_,comdat
	.globl	_ZN7rocprim17ROCPRIM_400000_NS6detail17trampoline_kernelINS0_14default_configENS1_20scan_config_selectorIN3c104HalfEEEZZNS1_9scan_implILNS1_25lookback_scan_determinismE0ELb0ELb0ES3_PKS6_PS6_S6_ZZZN2at6native31launch_logcumsumexp_cuda_kernelERKNSD_10TensorBaseESH_lENKUlvE_clEvENKUlvE3_clEvEUlS6_S6_E_S6_EEDaPvRmT3_T4_T5_mT6_P12ihipStream_tbENKUlT_T0_E_clISt17integral_constantIbLb0EESX_IbLb1EEEEDaST_SU_EUlST_E_NS1_11comp_targetILNS1_3genE10ELNS1_11target_archE1201ELNS1_3gpuE5ELNS1_3repE0EEENS1_30default_config_static_selectorELNS0_4arch9wavefront6targetE1EEEvT1_ ; -- Begin function _ZN7rocprim17ROCPRIM_400000_NS6detail17trampoline_kernelINS0_14default_configENS1_20scan_config_selectorIN3c104HalfEEEZZNS1_9scan_implILNS1_25lookback_scan_determinismE0ELb0ELb0ES3_PKS6_PS6_S6_ZZZN2at6native31launch_logcumsumexp_cuda_kernelERKNSD_10TensorBaseESH_lENKUlvE_clEvENKUlvE3_clEvEUlS6_S6_E_S6_EEDaPvRmT3_T4_T5_mT6_P12ihipStream_tbENKUlT_T0_E_clISt17integral_constantIbLb0EESX_IbLb1EEEEDaST_SU_EUlST_E_NS1_11comp_targetILNS1_3genE10ELNS1_11target_archE1201ELNS1_3gpuE5ELNS1_3repE0EEENS1_30default_config_static_selectorELNS0_4arch9wavefront6targetE1EEEvT1_
	.p2align	8
	.type	_ZN7rocprim17ROCPRIM_400000_NS6detail17trampoline_kernelINS0_14default_configENS1_20scan_config_selectorIN3c104HalfEEEZZNS1_9scan_implILNS1_25lookback_scan_determinismE0ELb0ELb0ES3_PKS6_PS6_S6_ZZZN2at6native31launch_logcumsumexp_cuda_kernelERKNSD_10TensorBaseESH_lENKUlvE_clEvENKUlvE3_clEvEUlS6_S6_E_S6_EEDaPvRmT3_T4_T5_mT6_P12ihipStream_tbENKUlT_T0_E_clISt17integral_constantIbLb0EESX_IbLb1EEEEDaST_SU_EUlST_E_NS1_11comp_targetILNS1_3genE10ELNS1_11target_archE1201ELNS1_3gpuE5ELNS1_3repE0EEENS1_30default_config_static_selectorELNS0_4arch9wavefront6targetE1EEEvT1_,@function
_ZN7rocprim17ROCPRIM_400000_NS6detail17trampoline_kernelINS0_14default_configENS1_20scan_config_selectorIN3c104HalfEEEZZNS1_9scan_implILNS1_25lookback_scan_determinismE0ELb0ELb0ES3_PKS6_PS6_S6_ZZZN2at6native31launch_logcumsumexp_cuda_kernelERKNSD_10TensorBaseESH_lENKUlvE_clEvENKUlvE3_clEvEUlS6_S6_E_S6_EEDaPvRmT3_T4_T5_mT6_P12ihipStream_tbENKUlT_T0_E_clISt17integral_constantIbLb0EESX_IbLb1EEEEDaST_SU_EUlST_E_NS1_11comp_targetILNS1_3genE10ELNS1_11target_archE1201ELNS1_3gpuE5ELNS1_3repE0EEENS1_30default_config_static_selectorELNS0_4arch9wavefront6targetE1EEEvT1_: ; @_ZN7rocprim17ROCPRIM_400000_NS6detail17trampoline_kernelINS0_14default_configENS1_20scan_config_selectorIN3c104HalfEEEZZNS1_9scan_implILNS1_25lookback_scan_determinismE0ELb0ELb0ES3_PKS6_PS6_S6_ZZZN2at6native31launch_logcumsumexp_cuda_kernelERKNSD_10TensorBaseESH_lENKUlvE_clEvENKUlvE3_clEvEUlS6_S6_E_S6_EEDaPvRmT3_T4_T5_mT6_P12ihipStream_tbENKUlT_T0_E_clISt17integral_constantIbLb0EESX_IbLb1EEEEDaST_SU_EUlST_E_NS1_11comp_targetILNS1_3genE10ELNS1_11target_archE1201ELNS1_3gpuE5ELNS1_3repE0EEENS1_30default_config_static_selectorELNS0_4arch9wavefront6targetE1EEEvT1_
; %bb.0:
	.section	.rodata,"a",@progbits
	.p2align	6, 0x0
	.amdhsa_kernel _ZN7rocprim17ROCPRIM_400000_NS6detail17trampoline_kernelINS0_14default_configENS1_20scan_config_selectorIN3c104HalfEEEZZNS1_9scan_implILNS1_25lookback_scan_determinismE0ELb0ELb0ES3_PKS6_PS6_S6_ZZZN2at6native31launch_logcumsumexp_cuda_kernelERKNSD_10TensorBaseESH_lENKUlvE_clEvENKUlvE3_clEvEUlS6_S6_E_S6_EEDaPvRmT3_T4_T5_mT6_P12ihipStream_tbENKUlT_T0_E_clISt17integral_constantIbLb0EESX_IbLb1EEEEDaST_SU_EUlST_E_NS1_11comp_targetILNS1_3genE10ELNS1_11target_archE1201ELNS1_3gpuE5ELNS1_3repE0EEENS1_30default_config_static_selectorELNS0_4arch9wavefront6targetE1EEEvT1_
		.amdhsa_group_segment_fixed_size 0
		.amdhsa_private_segment_fixed_size 0
		.amdhsa_kernarg_size 96
		.amdhsa_user_sgpr_count 2
		.amdhsa_user_sgpr_dispatch_ptr 0
		.amdhsa_user_sgpr_queue_ptr 0
		.amdhsa_user_sgpr_kernarg_segment_ptr 1
		.amdhsa_user_sgpr_dispatch_id 0
		.amdhsa_user_sgpr_kernarg_preload_length 0
		.amdhsa_user_sgpr_kernarg_preload_offset 0
		.amdhsa_user_sgpr_private_segment_size 0
		.amdhsa_uses_dynamic_stack 0
		.amdhsa_enable_private_segment 0
		.amdhsa_system_sgpr_workgroup_id_x 1
		.amdhsa_system_sgpr_workgroup_id_y 0
		.amdhsa_system_sgpr_workgroup_id_z 0
		.amdhsa_system_sgpr_workgroup_info 0
		.amdhsa_system_vgpr_workitem_id 0
		.amdhsa_next_free_vgpr 1
		.amdhsa_next_free_sgpr 0
		.amdhsa_accum_offset 4
		.amdhsa_reserve_vcc 0
		.amdhsa_float_round_mode_32 0
		.amdhsa_float_round_mode_16_64 0
		.amdhsa_float_denorm_mode_32 3
		.amdhsa_float_denorm_mode_16_64 3
		.amdhsa_dx10_clamp 1
		.amdhsa_ieee_mode 1
		.amdhsa_fp16_overflow 0
		.amdhsa_tg_split 0
		.amdhsa_exception_fp_ieee_invalid_op 0
		.amdhsa_exception_fp_denorm_src 0
		.amdhsa_exception_fp_ieee_div_zero 0
		.amdhsa_exception_fp_ieee_overflow 0
		.amdhsa_exception_fp_ieee_underflow 0
		.amdhsa_exception_fp_ieee_inexact 0
		.amdhsa_exception_int_div_zero 0
	.end_amdhsa_kernel
	.section	.text._ZN7rocprim17ROCPRIM_400000_NS6detail17trampoline_kernelINS0_14default_configENS1_20scan_config_selectorIN3c104HalfEEEZZNS1_9scan_implILNS1_25lookback_scan_determinismE0ELb0ELb0ES3_PKS6_PS6_S6_ZZZN2at6native31launch_logcumsumexp_cuda_kernelERKNSD_10TensorBaseESH_lENKUlvE_clEvENKUlvE3_clEvEUlS6_S6_E_S6_EEDaPvRmT3_T4_T5_mT6_P12ihipStream_tbENKUlT_T0_E_clISt17integral_constantIbLb0EESX_IbLb1EEEEDaST_SU_EUlST_E_NS1_11comp_targetILNS1_3genE10ELNS1_11target_archE1201ELNS1_3gpuE5ELNS1_3repE0EEENS1_30default_config_static_selectorELNS0_4arch9wavefront6targetE1EEEvT1_,"axG",@progbits,_ZN7rocprim17ROCPRIM_400000_NS6detail17trampoline_kernelINS0_14default_configENS1_20scan_config_selectorIN3c104HalfEEEZZNS1_9scan_implILNS1_25lookback_scan_determinismE0ELb0ELb0ES3_PKS6_PS6_S6_ZZZN2at6native31launch_logcumsumexp_cuda_kernelERKNSD_10TensorBaseESH_lENKUlvE_clEvENKUlvE3_clEvEUlS6_S6_E_S6_EEDaPvRmT3_T4_T5_mT6_P12ihipStream_tbENKUlT_T0_E_clISt17integral_constantIbLb0EESX_IbLb1EEEEDaST_SU_EUlST_E_NS1_11comp_targetILNS1_3genE10ELNS1_11target_archE1201ELNS1_3gpuE5ELNS1_3repE0EEENS1_30default_config_static_selectorELNS0_4arch9wavefront6targetE1EEEvT1_,comdat
.Lfunc_end433:
	.size	_ZN7rocprim17ROCPRIM_400000_NS6detail17trampoline_kernelINS0_14default_configENS1_20scan_config_selectorIN3c104HalfEEEZZNS1_9scan_implILNS1_25lookback_scan_determinismE0ELb0ELb0ES3_PKS6_PS6_S6_ZZZN2at6native31launch_logcumsumexp_cuda_kernelERKNSD_10TensorBaseESH_lENKUlvE_clEvENKUlvE3_clEvEUlS6_S6_E_S6_EEDaPvRmT3_T4_T5_mT6_P12ihipStream_tbENKUlT_T0_E_clISt17integral_constantIbLb0EESX_IbLb1EEEEDaST_SU_EUlST_E_NS1_11comp_targetILNS1_3genE10ELNS1_11target_archE1201ELNS1_3gpuE5ELNS1_3repE0EEENS1_30default_config_static_selectorELNS0_4arch9wavefront6targetE1EEEvT1_, .Lfunc_end433-_ZN7rocprim17ROCPRIM_400000_NS6detail17trampoline_kernelINS0_14default_configENS1_20scan_config_selectorIN3c104HalfEEEZZNS1_9scan_implILNS1_25lookback_scan_determinismE0ELb0ELb0ES3_PKS6_PS6_S6_ZZZN2at6native31launch_logcumsumexp_cuda_kernelERKNSD_10TensorBaseESH_lENKUlvE_clEvENKUlvE3_clEvEUlS6_S6_E_S6_EEDaPvRmT3_T4_T5_mT6_P12ihipStream_tbENKUlT_T0_E_clISt17integral_constantIbLb0EESX_IbLb1EEEEDaST_SU_EUlST_E_NS1_11comp_targetILNS1_3genE10ELNS1_11target_archE1201ELNS1_3gpuE5ELNS1_3repE0EEENS1_30default_config_static_selectorELNS0_4arch9wavefront6targetE1EEEvT1_
                                        ; -- End function
	.section	.AMDGPU.csdata,"",@progbits
; Kernel info:
; codeLenInByte = 0
; NumSgprs: 6
; NumVgprs: 0
; NumAgprs: 0
; TotalNumVgprs: 0
; ScratchSize: 0
; MemoryBound: 0
; FloatMode: 240
; IeeeMode: 1
; LDSByteSize: 0 bytes/workgroup (compile time only)
; SGPRBlocks: 0
; VGPRBlocks: 0
; NumSGPRsForWavesPerEU: 6
; NumVGPRsForWavesPerEU: 1
; AccumOffset: 4
; Occupancy: 8
; WaveLimiterHint : 0
; COMPUTE_PGM_RSRC2:SCRATCH_EN: 0
; COMPUTE_PGM_RSRC2:USER_SGPR: 2
; COMPUTE_PGM_RSRC2:TRAP_HANDLER: 0
; COMPUTE_PGM_RSRC2:TGID_X_EN: 1
; COMPUTE_PGM_RSRC2:TGID_Y_EN: 0
; COMPUTE_PGM_RSRC2:TGID_Z_EN: 0
; COMPUTE_PGM_RSRC2:TIDIG_COMP_CNT: 0
; COMPUTE_PGM_RSRC3_GFX90A:ACCUM_OFFSET: 0
; COMPUTE_PGM_RSRC3_GFX90A:TG_SPLIT: 0
	.section	.text._ZN7rocprim17ROCPRIM_400000_NS6detail17trampoline_kernelINS0_14default_configENS1_20scan_config_selectorIN3c104HalfEEEZZNS1_9scan_implILNS1_25lookback_scan_determinismE0ELb0ELb0ES3_PKS6_PS6_S6_ZZZN2at6native31launch_logcumsumexp_cuda_kernelERKNSD_10TensorBaseESH_lENKUlvE_clEvENKUlvE3_clEvEUlS6_S6_E_S6_EEDaPvRmT3_T4_T5_mT6_P12ihipStream_tbENKUlT_T0_E_clISt17integral_constantIbLb0EESX_IbLb1EEEEDaST_SU_EUlST_E_NS1_11comp_targetILNS1_3genE10ELNS1_11target_archE1200ELNS1_3gpuE4ELNS1_3repE0EEENS1_30default_config_static_selectorELNS0_4arch9wavefront6targetE1EEEvT1_,"axG",@progbits,_ZN7rocprim17ROCPRIM_400000_NS6detail17trampoline_kernelINS0_14default_configENS1_20scan_config_selectorIN3c104HalfEEEZZNS1_9scan_implILNS1_25lookback_scan_determinismE0ELb0ELb0ES3_PKS6_PS6_S6_ZZZN2at6native31launch_logcumsumexp_cuda_kernelERKNSD_10TensorBaseESH_lENKUlvE_clEvENKUlvE3_clEvEUlS6_S6_E_S6_EEDaPvRmT3_T4_T5_mT6_P12ihipStream_tbENKUlT_T0_E_clISt17integral_constantIbLb0EESX_IbLb1EEEEDaST_SU_EUlST_E_NS1_11comp_targetILNS1_3genE10ELNS1_11target_archE1200ELNS1_3gpuE4ELNS1_3repE0EEENS1_30default_config_static_selectorELNS0_4arch9wavefront6targetE1EEEvT1_,comdat
	.globl	_ZN7rocprim17ROCPRIM_400000_NS6detail17trampoline_kernelINS0_14default_configENS1_20scan_config_selectorIN3c104HalfEEEZZNS1_9scan_implILNS1_25lookback_scan_determinismE0ELb0ELb0ES3_PKS6_PS6_S6_ZZZN2at6native31launch_logcumsumexp_cuda_kernelERKNSD_10TensorBaseESH_lENKUlvE_clEvENKUlvE3_clEvEUlS6_S6_E_S6_EEDaPvRmT3_T4_T5_mT6_P12ihipStream_tbENKUlT_T0_E_clISt17integral_constantIbLb0EESX_IbLb1EEEEDaST_SU_EUlST_E_NS1_11comp_targetILNS1_3genE10ELNS1_11target_archE1200ELNS1_3gpuE4ELNS1_3repE0EEENS1_30default_config_static_selectorELNS0_4arch9wavefront6targetE1EEEvT1_ ; -- Begin function _ZN7rocprim17ROCPRIM_400000_NS6detail17trampoline_kernelINS0_14default_configENS1_20scan_config_selectorIN3c104HalfEEEZZNS1_9scan_implILNS1_25lookback_scan_determinismE0ELb0ELb0ES3_PKS6_PS6_S6_ZZZN2at6native31launch_logcumsumexp_cuda_kernelERKNSD_10TensorBaseESH_lENKUlvE_clEvENKUlvE3_clEvEUlS6_S6_E_S6_EEDaPvRmT3_T4_T5_mT6_P12ihipStream_tbENKUlT_T0_E_clISt17integral_constantIbLb0EESX_IbLb1EEEEDaST_SU_EUlST_E_NS1_11comp_targetILNS1_3genE10ELNS1_11target_archE1200ELNS1_3gpuE4ELNS1_3repE0EEENS1_30default_config_static_selectorELNS0_4arch9wavefront6targetE1EEEvT1_
	.p2align	8
	.type	_ZN7rocprim17ROCPRIM_400000_NS6detail17trampoline_kernelINS0_14default_configENS1_20scan_config_selectorIN3c104HalfEEEZZNS1_9scan_implILNS1_25lookback_scan_determinismE0ELb0ELb0ES3_PKS6_PS6_S6_ZZZN2at6native31launch_logcumsumexp_cuda_kernelERKNSD_10TensorBaseESH_lENKUlvE_clEvENKUlvE3_clEvEUlS6_S6_E_S6_EEDaPvRmT3_T4_T5_mT6_P12ihipStream_tbENKUlT_T0_E_clISt17integral_constantIbLb0EESX_IbLb1EEEEDaST_SU_EUlST_E_NS1_11comp_targetILNS1_3genE10ELNS1_11target_archE1200ELNS1_3gpuE4ELNS1_3repE0EEENS1_30default_config_static_selectorELNS0_4arch9wavefront6targetE1EEEvT1_,@function
_ZN7rocprim17ROCPRIM_400000_NS6detail17trampoline_kernelINS0_14default_configENS1_20scan_config_selectorIN3c104HalfEEEZZNS1_9scan_implILNS1_25lookback_scan_determinismE0ELb0ELb0ES3_PKS6_PS6_S6_ZZZN2at6native31launch_logcumsumexp_cuda_kernelERKNSD_10TensorBaseESH_lENKUlvE_clEvENKUlvE3_clEvEUlS6_S6_E_S6_EEDaPvRmT3_T4_T5_mT6_P12ihipStream_tbENKUlT_T0_E_clISt17integral_constantIbLb0EESX_IbLb1EEEEDaST_SU_EUlST_E_NS1_11comp_targetILNS1_3genE10ELNS1_11target_archE1200ELNS1_3gpuE4ELNS1_3repE0EEENS1_30default_config_static_selectorELNS0_4arch9wavefront6targetE1EEEvT1_: ; @_ZN7rocprim17ROCPRIM_400000_NS6detail17trampoline_kernelINS0_14default_configENS1_20scan_config_selectorIN3c104HalfEEEZZNS1_9scan_implILNS1_25lookback_scan_determinismE0ELb0ELb0ES3_PKS6_PS6_S6_ZZZN2at6native31launch_logcumsumexp_cuda_kernelERKNSD_10TensorBaseESH_lENKUlvE_clEvENKUlvE3_clEvEUlS6_S6_E_S6_EEDaPvRmT3_T4_T5_mT6_P12ihipStream_tbENKUlT_T0_E_clISt17integral_constantIbLb0EESX_IbLb1EEEEDaST_SU_EUlST_E_NS1_11comp_targetILNS1_3genE10ELNS1_11target_archE1200ELNS1_3gpuE4ELNS1_3repE0EEENS1_30default_config_static_selectorELNS0_4arch9wavefront6targetE1EEEvT1_
; %bb.0:
	.section	.rodata,"a",@progbits
	.p2align	6, 0x0
	.amdhsa_kernel _ZN7rocprim17ROCPRIM_400000_NS6detail17trampoline_kernelINS0_14default_configENS1_20scan_config_selectorIN3c104HalfEEEZZNS1_9scan_implILNS1_25lookback_scan_determinismE0ELb0ELb0ES3_PKS6_PS6_S6_ZZZN2at6native31launch_logcumsumexp_cuda_kernelERKNSD_10TensorBaseESH_lENKUlvE_clEvENKUlvE3_clEvEUlS6_S6_E_S6_EEDaPvRmT3_T4_T5_mT6_P12ihipStream_tbENKUlT_T0_E_clISt17integral_constantIbLb0EESX_IbLb1EEEEDaST_SU_EUlST_E_NS1_11comp_targetILNS1_3genE10ELNS1_11target_archE1200ELNS1_3gpuE4ELNS1_3repE0EEENS1_30default_config_static_selectorELNS0_4arch9wavefront6targetE1EEEvT1_
		.amdhsa_group_segment_fixed_size 0
		.amdhsa_private_segment_fixed_size 0
		.amdhsa_kernarg_size 96
		.amdhsa_user_sgpr_count 2
		.amdhsa_user_sgpr_dispatch_ptr 0
		.amdhsa_user_sgpr_queue_ptr 0
		.amdhsa_user_sgpr_kernarg_segment_ptr 1
		.amdhsa_user_sgpr_dispatch_id 0
		.amdhsa_user_sgpr_kernarg_preload_length 0
		.amdhsa_user_sgpr_kernarg_preload_offset 0
		.amdhsa_user_sgpr_private_segment_size 0
		.amdhsa_uses_dynamic_stack 0
		.amdhsa_enable_private_segment 0
		.amdhsa_system_sgpr_workgroup_id_x 1
		.amdhsa_system_sgpr_workgroup_id_y 0
		.amdhsa_system_sgpr_workgroup_id_z 0
		.amdhsa_system_sgpr_workgroup_info 0
		.amdhsa_system_vgpr_workitem_id 0
		.amdhsa_next_free_vgpr 1
		.amdhsa_next_free_sgpr 0
		.amdhsa_accum_offset 4
		.amdhsa_reserve_vcc 0
		.amdhsa_float_round_mode_32 0
		.amdhsa_float_round_mode_16_64 0
		.amdhsa_float_denorm_mode_32 3
		.amdhsa_float_denorm_mode_16_64 3
		.amdhsa_dx10_clamp 1
		.amdhsa_ieee_mode 1
		.amdhsa_fp16_overflow 0
		.amdhsa_tg_split 0
		.amdhsa_exception_fp_ieee_invalid_op 0
		.amdhsa_exception_fp_denorm_src 0
		.amdhsa_exception_fp_ieee_div_zero 0
		.amdhsa_exception_fp_ieee_overflow 0
		.amdhsa_exception_fp_ieee_underflow 0
		.amdhsa_exception_fp_ieee_inexact 0
		.amdhsa_exception_int_div_zero 0
	.end_amdhsa_kernel
	.section	.text._ZN7rocprim17ROCPRIM_400000_NS6detail17trampoline_kernelINS0_14default_configENS1_20scan_config_selectorIN3c104HalfEEEZZNS1_9scan_implILNS1_25lookback_scan_determinismE0ELb0ELb0ES3_PKS6_PS6_S6_ZZZN2at6native31launch_logcumsumexp_cuda_kernelERKNSD_10TensorBaseESH_lENKUlvE_clEvENKUlvE3_clEvEUlS6_S6_E_S6_EEDaPvRmT3_T4_T5_mT6_P12ihipStream_tbENKUlT_T0_E_clISt17integral_constantIbLb0EESX_IbLb1EEEEDaST_SU_EUlST_E_NS1_11comp_targetILNS1_3genE10ELNS1_11target_archE1200ELNS1_3gpuE4ELNS1_3repE0EEENS1_30default_config_static_selectorELNS0_4arch9wavefront6targetE1EEEvT1_,"axG",@progbits,_ZN7rocprim17ROCPRIM_400000_NS6detail17trampoline_kernelINS0_14default_configENS1_20scan_config_selectorIN3c104HalfEEEZZNS1_9scan_implILNS1_25lookback_scan_determinismE0ELb0ELb0ES3_PKS6_PS6_S6_ZZZN2at6native31launch_logcumsumexp_cuda_kernelERKNSD_10TensorBaseESH_lENKUlvE_clEvENKUlvE3_clEvEUlS6_S6_E_S6_EEDaPvRmT3_T4_T5_mT6_P12ihipStream_tbENKUlT_T0_E_clISt17integral_constantIbLb0EESX_IbLb1EEEEDaST_SU_EUlST_E_NS1_11comp_targetILNS1_3genE10ELNS1_11target_archE1200ELNS1_3gpuE4ELNS1_3repE0EEENS1_30default_config_static_selectorELNS0_4arch9wavefront6targetE1EEEvT1_,comdat
.Lfunc_end434:
	.size	_ZN7rocprim17ROCPRIM_400000_NS6detail17trampoline_kernelINS0_14default_configENS1_20scan_config_selectorIN3c104HalfEEEZZNS1_9scan_implILNS1_25lookback_scan_determinismE0ELb0ELb0ES3_PKS6_PS6_S6_ZZZN2at6native31launch_logcumsumexp_cuda_kernelERKNSD_10TensorBaseESH_lENKUlvE_clEvENKUlvE3_clEvEUlS6_S6_E_S6_EEDaPvRmT3_T4_T5_mT6_P12ihipStream_tbENKUlT_T0_E_clISt17integral_constantIbLb0EESX_IbLb1EEEEDaST_SU_EUlST_E_NS1_11comp_targetILNS1_3genE10ELNS1_11target_archE1200ELNS1_3gpuE4ELNS1_3repE0EEENS1_30default_config_static_selectorELNS0_4arch9wavefront6targetE1EEEvT1_, .Lfunc_end434-_ZN7rocprim17ROCPRIM_400000_NS6detail17trampoline_kernelINS0_14default_configENS1_20scan_config_selectorIN3c104HalfEEEZZNS1_9scan_implILNS1_25lookback_scan_determinismE0ELb0ELb0ES3_PKS6_PS6_S6_ZZZN2at6native31launch_logcumsumexp_cuda_kernelERKNSD_10TensorBaseESH_lENKUlvE_clEvENKUlvE3_clEvEUlS6_S6_E_S6_EEDaPvRmT3_T4_T5_mT6_P12ihipStream_tbENKUlT_T0_E_clISt17integral_constantIbLb0EESX_IbLb1EEEEDaST_SU_EUlST_E_NS1_11comp_targetILNS1_3genE10ELNS1_11target_archE1200ELNS1_3gpuE4ELNS1_3repE0EEENS1_30default_config_static_selectorELNS0_4arch9wavefront6targetE1EEEvT1_
                                        ; -- End function
	.section	.AMDGPU.csdata,"",@progbits
; Kernel info:
; codeLenInByte = 0
; NumSgprs: 6
; NumVgprs: 0
; NumAgprs: 0
; TotalNumVgprs: 0
; ScratchSize: 0
; MemoryBound: 0
; FloatMode: 240
; IeeeMode: 1
; LDSByteSize: 0 bytes/workgroup (compile time only)
; SGPRBlocks: 0
; VGPRBlocks: 0
; NumSGPRsForWavesPerEU: 6
; NumVGPRsForWavesPerEU: 1
; AccumOffset: 4
; Occupancy: 8
; WaveLimiterHint : 0
; COMPUTE_PGM_RSRC2:SCRATCH_EN: 0
; COMPUTE_PGM_RSRC2:USER_SGPR: 2
; COMPUTE_PGM_RSRC2:TRAP_HANDLER: 0
; COMPUTE_PGM_RSRC2:TGID_X_EN: 1
; COMPUTE_PGM_RSRC2:TGID_Y_EN: 0
; COMPUTE_PGM_RSRC2:TGID_Z_EN: 0
; COMPUTE_PGM_RSRC2:TIDIG_COMP_CNT: 0
; COMPUTE_PGM_RSRC3_GFX90A:ACCUM_OFFSET: 0
; COMPUTE_PGM_RSRC3_GFX90A:TG_SPLIT: 0
	.section	.text._ZN7rocprim17ROCPRIM_400000_NS6detail17trampoline_kernelINS0_14default_configENS1_20scan_config_selectorIN3c104HalfEEEZZNS1_9scan_implILNS1_25lookback_scan_determinismE0ELb0ELb0ES3_PKS6_PS6_S6_ZZZN2at6native31launch_logcumsumexp_cuda_kernelERKNSD_10TensorBaseESH_lENKUlvE_clEvENKUlvE3_clEvEUlS6_S6_E_S6_EEDaPvRmT3_T4_T5_mT6_P12ihipStream_tbENKUlT_T0_E_clISt17integral_constantIbLb0EESX_IbLb1EEEEDaST_SU_EUlST_E_NS1_11comp_targetILNS1_3genE9ELNS1_11target_archE1100ELNS1_3gpuE3ELNS1_3repE0EEENS1_30default_config_static_selectorELNS0_4arch9wavefront6targetE1EEEvT1_,"axG",@progbits,_ZN7rocprim17ROCPRIM_400000_NS6detail17trampoline_kernelINS0_14default_configENS1_20scan_config_selectorIN3c104HalfEEEZZNS1_9scan_implILNS1_25lookback_scan_determinismE0ELb0ELb0ES3_PKS6_PS6_S6_ZZZN2at6native31launch_logcumsumexp_cuda_kernelERKNSD_10TensorBaseESH_lENKUlvE_clEvENKUlvE3_clEvEUlS6_S6_E_S6_EEDaPvRmT3_T4_T5_mT6_P12ihipStream_tbENKUlT_T0_E_clISt17integral_constantIbLb0EESX_IbLb1EEEEDaST_SU_EUlST_E_NS1_11comp_targetILNS1_3genE9ELNS1_11target_archE1100ELNS1_3gpuE3ELNS1_3repE0EEENS1_30default_config_static_selectorELNS0_4arch9wavefront6targetE1EEEvT1_,comdat
	.globl	_ZN7rocprim17ROCPRIM_400000_NS6detail17trampoline_kernelINS0_14default_configENS1_20scan_config_selectorIN3c104HalfEEEZZNS1_9scan_implILNS1_25lookback_scan_determinismE0ELb0ELb0ES3_PKS6_PS6_S6_ZZZN2at6native31launch_logcumsumexp_cuda_kernelERKNSD_10TensorBaseESH_lENKUlvE_clEvENKUlvE3_clEvEUlS6_S6_E_S6_EEDaPvRmT3_T4_T5_mT6_P12ihipStream_tbENKUlT_T0_E_clISt17integral_constantIbLb0EESX_IbLb1EEEEDaST_SU_EUlST_E_NS1_11comp_targetILNS1_3genE9ELNS1_11target_archE1100ELNS1_3gpuE3ELNS1_3repE0EEENS1_30default_config_static_selectorELNS0_4arch9wavefront6targetE1EEEvT1_ ; -- Begin function _ZN7rocprim17ROCPRIM_400000_NS6detail17trampoline_kernelINS0_14default_configENS1_20scan_config_selectorIN3c104HalfEEEZZNS1_9scan_implILNS1_25lookback_scan_determinismE0ELb0ELb0ES3_PKS6_PS6_S6_ZZZN2at6native31launch_logcumsumexp_cuda_kernelERKNSD_10TensorBaseESH_lENKUlvE_clEvENKUlvE3_clEvEUlS6_S6_E_S6_EEDaPvRmT3_T4_T5_mT6_P12ihipStream_tbENKUlT_T0_E_clISt17integral_constantIbLb0EESX_IbLb1EEEEDaST_SU_EUlST_E_NS1_11comp_targetILNS1_3genE9ELNS1_11target_archE1100ELNS1_3gpuE3ELNS1_3repE0EEENS1_30default_config_static_selectorELNS0_4arch9wavefront6targetE1EEEvT1_
	.p2align	8
	.type	_ZN7rocprim17ROCPRIM_400000_NS6detail17trampoline_kernelINS0_14default_configENS1_20scan_config_selectorIN3c104HalfEEEZZNS1_9scan_implILNS1_25lookback_scan_determinismE0ELb0ELb0ES3_PKS6_PS6_S6_ZZZN2at6native31launch_logcumsumexp_cuda_kernelERKNSD_10TensorBaseESH_lENKUlvE_clEvENKUlvE3_clEvEUlS6_S6_E_S6_EEDaPvRmT3_T4_T5_mT6_P12ihipStream_tbENKUlT_T0_E_clISt17integral_constantIbLb0EESX_IbLb1EEEEDaST_SU_EUlST_E_NS1_11comp_targetILNS1_3genE9ELNS1_11target_archE1100ELNS1_3gpuE3ELNS1_3repE0EEENS1_30default_config_static_selectorELNS0_4arch9wavefront6targetE1EEEvT1_,@function
_ZN7rocprim17ROCPRIM_400000_NS6detail17trampoline_kernelINS0_14default_configENS1_20scan_config_selectorIN3c104HalfEEEZZNS1_9scan_implILNS1_25lookback_scan_determinismE0ELb0ELb0ES3_PKS6_PS6_S6_ZZZN2at6native31launch_logcumsumexp_cuda_kernelERKNSD_10TensorBaseESH_lENKUlvE_clEvENKUlvE3_clEvEUlS6_S6_E_S6_EEDaPvRmT3_T4_T5_mT6_P12ihipStream_tbENKUlT_T0_E_clISt17integral_constantIbLb0EESX_IbLb1EEEEDaST_SU_EUlST_E_NS1_11comp_targetILNS1_3genE9ELNS1_11target_archE1100ELNS1_3gpuE3ELNS1_3repE0EEENS1_30default_config_static_selectorELNS0_4arch9wavefront6targetE1EEEvT1_: ; @_ZN7rocprim17ROCPRIM_400000_NS6detail17trampoline_kernelINS0_14default_configENS1_20scan_config_selectorIN3c104HalfEEEZZNS1_9scan_implILNS1_25lookback_scan_determinismE0ELb0ELb0ES3_PKS6_PS6_S6_ZZZN2at6native31launch_logcumsumexp_cuda_kernelERKNSD_10TensorBaseESH_lENKUlvE_clEvENKUlvE3_clEvEUlS6_S6_E_S6_EEDaPvRmT3_T4_T5_mT6_P12ihipStream_tbENKUlT_T0_E_clISt17integral_constantIbLb0EESX_IbLb1EEEEDaST_SU_EUlST_E_NS1_11comp_targetILNS1_3genE9ELNS1_11target_archE1100ELNS1_3gpuE3ELNS1_3repE0EEENS1_30default_config_static_selectorELNS0_4arch9wavefront6targetE1EEEvT1_
; %bb.0:
	.section	.rodata,"a",@progbits
	.p2align	6, 0x0
	.amdhsa_kernel _ZN7rocprim17ROCPRIM_400000_NS6detail17trampoline_kernelINS0_14default_configENS1_20scan_config_selectorIN3c104HalfEEEZZNS1_9scan_implILNS1_25lookback_scan_determinismE0ELb0ELb0ES3_PKS6_PS6_S6_ZZZN2at6native31launch_logcumsumexp_cuda_kernelERKNSD_10TensorBaseESH_lENKUlvE_clEvENKUlvE3_clEvEUlS6_S6_E_S6_EEDaPvRmT3_T4_T5_mT6_P12ihipStream_tbENKUlT_T0_E_clISt17integral_constantIbLb0EESX_IbLb1EEEEDaST_SU_EUlST_E_NS1_11comp_targetILNS1_3genE9ELNS1_11target_archE1100ELNS1_3gpuE3ELNS1_3repE0EEENS1_30default_config_static_selectorELNS0_4arch9wavefront6targetE1EEEvT1_
		.amdhsa_group_segment_fixed_size 0
		.amdhsa_private_segment_fixed_size 0
		.amdhsa_kernarg_size 96
		.amdhsa_user_sgpr_count 2
		.amdhsa_user_sgpr_dispatch_ptr 0
		.amdhsa_user_sgpr_queue_ptr 0
		.amdhsa_user_sgpr_kernarg_segment_ptr 1
		.amdhsa_user_sgpr_dispatch_id 0
		.amdhsa_user_sgpr_kernarg_preload_length 0
		.amdhsa_user_sgpr_kernarg_preload_offset 0
		.amdhsa_user_sgpr_private_segment_size 0
		.amdhsa_uses_dynamic_stack 0
		.amdhsa_enable_private_segment 0
		.amdhsa_system_sgpr_workgroup_id_x 1
		.amdhsa_system_sgpr_workgroup_id_y 0
		.amdhsa_system_sgpr_workgroup_id_z 0
		.amdhsa_system_sgpr_workgroup_info 0
		.amdhsa_system_vgpr_workitem_id 0
		.amdhsa_next_free_vgpr 1
		.amdhsa_next_free_sgpr 0
		.amdhsa_accum_offset 4
		.amdhsa_reserve_vcc 0
		.amdhsa_float_round_mode_32 0
		.amdhsa_float_round_mode_16_64 0
		.amdhsa_float_denorm_mode_32 3
		.amdhsa_float_denorm_mode_16_64 3
		.amdhsa_dx10_clamp 1
		.amdhsa_ieee_mode 1
		.amdhsa_fp16_overflow 0
		.amdhsa_tg_split 0
		.amdhsa_exception_fp_ieee_invalid_op 0
		.amdhsa_exception_fp_denorm_src 0
		.amdhsa_exception_fp_ieee_div_zero 0
		.amdhsa_exception_fp_ieee_overflow 0
		.amdhsa_exception_fp_ieee_underflow 0
		.amdhsa_exception_fp_ieee_inexact 0
		.amdhsa_exception_int_div_zero 0
	.end_amdhsa_kernel
	.section	.text._ZN7rocprim17ROCPRIM_400000_NS6detail17trampoline_kernelINS0_14default_configENS1_20scan_config_selectorIN3c104HalfEEEZZNS1_9scan_implILNS1_25lookback_scan_determinismE0ELb0ELb0ES3_PKS6_PS6_S6_ZZZN2at6native31launch_logcumsumexp_cuda_kernelERKNSD_10TensorBaseESH_lENKUlvE_clEvENKUlvE3_clEvEUlS6_S6_E_S6_EEDaPvRmT3_T4_T5_mT6_P12ihipStream_tbENKUlT_T0_E_clISt17integral_constantIbLb0EESX_IbLb1EEEEDaST_SU_EUlST_E_NS1_11comp_targetILNS1_3genE9ELNS1_11target_archE1100ELNS1_3gpuE3ELNS1_3repE0EEENS1_30default_config_static_selectorELNS0_4arch9wavefront6targetE1EEEvT1_,"axG",@progbits,_ZN7rocprim17ROCPRIM_400000_NS6detail17trampoline_kernelINS0_14default_configENS1_20scan_config_selectorIN3c104HalfEEEZZNS1_9scan_implILNS1_25lookback_scan_determinismE0ELb0ELb0ES3_PKS6_PS6_S6_ZZZN2at6native31launch_logcumsumexp_cuda_kernelERKNSD_10TensorBaseESH_lENKUlvE_clEvENKUlvE3_clEvEUlS6_S6_E_S6_EEDaPvRmT3_T4_T5_mT6_P12ihipStream_tbENKUlT_T0_E_clISt17integral_constantIbLb0EESX_IbLb1EEEEDaST_SU_EUlST_E_NS1_11comp_targetILNS1_3genE9ELNS1_11target_archE1100ELNS1_3gpuE3ELNS1_3repE0EEENS1_30default_config_static_selectorELNS0_4arch9wavefront6targetE1EEEvT1_,comdat
.Lfunc_end435:
	.size	_ZN7rocprim17ROCPRIM_400000_NS6detail17trampoline_kernelINS0_14default_configENS1_20scan_config_selectorIN3c104HalfEEEZZNS1_9scan_implILNS1_25lookback_scan_determinismE0ELb0ELb0ES3_PKS6_PS6_S6_ZZZN2at6native31launch_logcumsumexp_cuda_kernelERKNSD_10TensorBaseESH_lENKUlvE_clEvENKUlvE3_clEvEUlS6_S6_E_S6_EEDaPvRmT3_T4_T5_mT6_P12ihipStream_tbENKUlT_T0_E_clISt17integral_constantIbLb0EESX_IbLb1EEEEDaST_SU_EUlST_E_NS1_11comp_targetILNS1_3genE9ELNS1_11target_archE1100ELNS1_3gpuE3ELNS1_3repE0EEENS1_30default_config_static_selectorELNS0_4arch9wavefront6targetE1EEEvT1_, .Lfunc_end435-_ZN7rocprim17ROCPRIM_400000_NS6detail17trampoline_kernelINS0_14default_configENS1_20scan_config_selectorIN3c104HalfEEEZZNS1_9scan_implILNS1_25lookback_scan_determinismE0ELb0ELb0ES3_PKS6_PS6_S6_ZZZN2at6native31launch_logcumsumexp_cuda_kernelERKNSD_10TensorBaseESH_lENKUlvE_clEvENKUlvE3_clEvEUlS6_S6_E_S6_EEDaPvRmT3_T4_T5_mT6_P12ihipStream_tbENKUlT_T0_E_clISt17integral_constantIbLb0EESX_IbLb1EEEEDaST_SU_EUlST_E_NS1_11comp_targetILNS1_3genE9ELNS1_11target_archE1100ELNS1_3gpuE3ELNS1_3repE0EEENS1_30default_config_static_selectorELNS0_4arch9wavefront6targetE1EEEvT1_
                                        ; -- End function
	.section	.AMDGPU.csdata,"",@progbits
; Kernel info:
; codeLenInByte = 0
; NumSgprs: 6
; NumVgprs: 0
; NumAgprs: 0
; TotalNumVgprs: 0
; ScratchSize: 0
; MemoryBound: 0
; FloatMode: 240
; IeeeMode: 1
; LDSByteSize: 0 bytes/workgroup (compile time only)
; SGPRBlocks: 0
; VGPRBlocks: 0
; NumSGPRsForWavesPerEU: 6
; NumVGPRsForWavesPerEU: 1
; AccumOffset: 4
; Occupancy: 8
; WaveLimiterHint : 0
; COMPUTE_PGM_RSRC2:SCRATCH_EN: 0
; COMPUTE_PGM_RSRC2:USER_SGPR: 2
; COMPUTE_PGM_RSRC2:TRAP_HANDLER: 0
; COMPUTE_PGM_RSRC2:TGID_X_EN: 1
; COMPUTE_PGM_RSRC2:TGID_Y_EN: 0
; COMPUTE_PGM_RSRC2:TGID_Z_EN: 0
; COMPUTE_PGM_RSRC2:TIDIG_COMP_CNT: 0
; COMPUTE_PGM_RSRC3_GFX90A:ACCUM_OFFSET: 0
; COMPUTE_PGM_RSRC3_GFX90A:TG_SPLIT: 0
	.section	.text._ZN7rocprim17ROCPRIM_400000_NS6detail17trampoline_kernelINS0_14default_configENS1_20scan_config_selectorIN3c104HalfEEEZZNS1_9scan_implILNS1_25lookback_scan_determinismE0ELb0ELb0ES3_PKS6_PS6_S6_ZZZN2at6native31launch_logcumsumexp_cuda_kernelERKNSD_10TensorBaseESH_lENKUlvE_clEvENKUlvE3_clEvEUlS6_S6_E_S6_EEDaPvRmT3_T4_T5_mT6_P12ihipStream_tbENKUlT_T0_E_clISt17integral_constantIbLb0EESX_IbLb1EEEEDaST_SU_EUlST_E_NS1_11comp_targetILNS1_3genE8ELNS1_11target_archE1030ELNS1_3gpuE2ELNS1_3repE0EEENS1_30default_config_static_selectorELNS0_4arch9wavefront6targetE1EEEvT1_,"axG",@progbits,_ZN7rocprim17ROCPRIM_400000_NS6detail17trampoline_kernelINS0_14default_configENS1_20scan_config_selectorIN3c104HalfEEEZZNS1_9scan_implILNS1_25lookback_scan_determinismE0ELb0ELb0ES3_PKS6_PS6_S6_ZZZN2at6native31launch_logcumsumexp_cuda_kernelERKNSD_10TensorBaseESH_lENKUlvE_clEvENKUlvE3_clEvEUlS6_S6_E_S6_EEDaPvRmT3_T4_T5_mT6_P12ihipStream_tbENKUlT_T0_E_clISt17integral_constantIbLb0EESX_IbLb1EEEEDaST_SU_EUlST_E_NS1_11comp_targetILNS1_3genE8ELNS1_11target_archE1030ELNS1_3gpuE2ELNS1_3repE0EEENS1_30default_config_static_selectorELNS0_4arch9wavefront6targetE1EEEvT1_,comdat
	.globl	_ZN7rocprim17ROCPRIM_400000_NS6detail17trampoline_kernelINS0_14default_configENS1_20scan_config_selectorIN3c104HalfEEEZZNS1_9scan_implILNS1_25lookback_scan_determinismE0ELb0ELb0ES3_PKS6_PS6_S6_ZZZN2at6native31launch_logcumsumexp_cuda_kernelERKNSD_10TensorBaseESH_lENKUlvE_clEvENKUlvE3_clEvEUlS6_S6_E_S6_EEDaPvRmT3_T4_T5_mT6_P12ihipStream_tbENKUlT_T0_E_clISt17integral_constantIbLb0EESX_IbLb1EEEEDaST_SU_EUlST_E_NS1_11comp_targetILNS1_3genE8ELNS1_11target_archE1030ELNS1_3gpuE2ELNS1_3repE0EEENS1_30default_config_static_selectorELNS0_4arch9wavefront6targetE1EEEvT1_ ; -- Begin function _ZN7rocprim17ROCPRIM_400000_NS6detail17trampoline_kernelINS0_14default_configENS1_20scan_config_selectorIN3c104HalfEEEZZNS1_9scan_implILNS1_25lookback_scan_determinismE0ELb0ELb0ES3_PKS6_PS6_S6_ZZZN2at6native31launch_logcumsumexp_cuda_kernelERKNSD_10TensorBaseESH_lENKUlvE_clEvENKUlvE3_clEvEUlS6_S6_E_S6_EEDaPvRmT3_T4_T5_mT6_P12ihipStream_tbENKUlT_T0_E_clISt17integral_constantIbLb0EESX_IbLb1EEEEDaST_SU_EUlST_E_NS1_11comp_targetILNS1_3genE8ELNS1_11target_archE1030ELNS1_3gpuE2ELNS1_3repE0EEENS1_30default_config_static_selectorELNS0_4arch9wavefront6targetE1EEEvT1_
	.p2align	8
	.type	_ZN7rocprim17ROCPRIM_400000_NS6detail17trampoline_kernelINS0_14default_configENS1_20scan_config_selectorIN3c104HalfEEEZZNS1_9scan_implILNS1_25lookback_scan_determinismE0ELb0ELb0ES3_PKS6_PS6_S6_ZZZN2at6native31launch_logcumsumexp_cuda_kernelERKNSD_10TensorBaseESH_lENKUlvE_clEvENKUlvE3_clEvEUlS6_S6_E_S6_EEDaPvRmT3_T4_T5_mT6_P12ihipStream_tbENKUlT_T0_E_clISt17integral_constantIbLb0EESX_IbLb1EEEEDaST_SU_EUlST_E_NS1_11comp_targetILNS1_3genE8ELNS1_11target_archE1030ELNS1_3gpuE2ELNS1_3repE0EEENS1_30default_config_static_selectorELNS0_4arch9wavefront6targetE1EEEvT1_,@function
_ZN7rocprim17ROCPRIM_400000_NS6detail17trampoline_kernelINS0_14default_configENS1_20scan_config_selectorIN3c104HalfEEEZZNS1_9scan_implILNS1_25lookback_scan_determinismE0ELb0ELb0ES3_PKS6_PS6_S6_ZZZN2at6native31launch_logcumsumexp_cuda_kernelERKNSD_10TensorBaseESH_lENKUlvE_clEvENKUlvE3_clEvEUlS6_S6_E_S6_EEDaPvRmT3_T4_T5_mT6_P12ihipStream_tbENKUlT_T0_E_clISt17integral_constantIbLb0EESX_IbLb1EEEEDaST_SU_EUlST_E_NS1_11comp_targetILNS1_3genE8ELNS1_11target_archE1030ELNS1_3gpuE2ELNS1_3repE0EEENS1_30default_config_static_selectorELNS0_4arch9wavefront6targetE1EEEvT1_: ; @_ZN7rocprim17ROCPRIM_400000_NS6detail17trampoline_kernelINS0_14default_configENS1_20scan_config_selectorIN3c104HalfEEEZZNS1_9scan_implILNS1_25lookback_scan_determinismE0ELb0ELb0ES3_PKS6_PS6_S6_ZZZN2at6native31launch_logcumsumexp_cuda_kernelERKNSD_10TensorBaseESH_lENKUlvE_clEvENKUlvE3_clEvEUlS6_S6_E_S6_EEDaPvRmT3_T4_T5_mT6_P12ihipStream_tbENKUlT_T0_E_clISt17integral_constantIbLb0EESX_IbLb1EEEEDaST_SU_EUlST_E_NS1_11comp_targetILNS1_3genE8ELNS1_11target_archE1030ELNS1_3gpuE2ELNS1_3repE0EEENS1_30default_config_static_selectorELNS0_4arch9wavefront6targetE1EEEvT1_
; %bb.0:
	.section	.rodata,"a",@progbits
	.p2align	6, 0x0
	.amdhsa_kernel _ZN7rocprim17ROCPRIM_400000_NS6detail17trampoline_kernelINS0_14default_configENS1_20scan_config_selectorIN3c104HalfEEEZZNS1_9scan_implILNS1_25lookback_scan_determinismE0ELb0ELb0ES3_PKS6_PS6_S6_ZZZN2at6native31launch_logcumsumexp_cuda_kernelERKNSD_10TensorBaseESH_lENKUlvE_clEvENKUlvE3_clEvEUlS6_S6_E_S6_EEDaPvRmT3_T4_T5_mT6_P12ihipStream_tbENKUlT_T0_E_clISt17integral_constantIbLb0EESX_IbLb1EEEEDaST_SU_EUlST_E_NS1_11comp_targetILNS1_3genE8ELNS1_11target_archE1030ELNS1_3gpuE2ELNS1_3repE0EEENS1_30default_config_static_selectorELNS0_4arch9wavefront6targetE1EEEvT1_
		.amdhsa_group_segment_fixed_size 0
		.amdhsa_private_segment_fixed_size 0
		.amdhsa_kernarg_size 96
		.amdhsa_user_sgpr_count 2
		.amdhsa_user_sgpr_dispatch_ptr 0
		.amdhsa_user_sgpr_queue_ptr 0
		.amdhsa_user_sgpr_kernarg_segment_ptr 1
		.amdhsa_user_sgpr_dispatch_id 0
		.amdhsa_user_sgpr_kernarg_preload_length 0
		.amdhsa_user_sgpr_kernarg_preload_offset 0
		.amdhsa_user_sgpr_private_segment_size 0
		.amdhsa_uses_dynamic_stack 0
		.amdhsa_enable_private_segment 0
		.amdhsa_system_sgpr_workgroup_id_x 1
		.amdhsa_system_sgpr_workgroup_id_y 0
		.amdhsa_system_sgpr_workgroup_id_z 0
		.amdhsa_system_sgpr_workgroup_info 0
		.amdhsa_system_vgpr_workitem_id 0
		.amdhsa_next_free_vgpr 1
		.amdhsa_next_free_sgpr 0
		.amdhsa_accum_offset 4
		.amdhsa_reserve_vcc 0
		.amdhsa_float_round_mode_32 0
		.amdhsa_float_round_mode_16_64 0
		.amdhsa_float_denorm_mode_32 3
		.amdhsa_float_denorm_mode_16_64 3
		.amdhsa_dx10_clamp 1
		.amdhsa_ieee_mode 1
		.amdhsa_fp16_overflow 0
		.amdhsa_tg_split 0
		.amdhsa_exception_fp_ieee_invalid_op 0
		.amdhsa_exception_fp_denorm_src 0
		.amdhsa_exception_fp_ieee_div_zero 0
		.amdhsa_exception_fp_ieee_overflow 0
		.amdhsa_exception_fp_ieee_underflow 0
		.amdhsa_exception_fp_ieee_inexact 0
		.amdhsa_exception_int_div_zero 0
	.end_amdhsa_kernel
	.section	.text._ZN7rocprim17ROCPRIM_400000_NS6detail17trampoline_kernelINS0_14default_configENS1_20scan_config_selectorIN3c104HalfEEEZZNS1_9scan_implILNS1_25lookback_scan_determinismE0ELb0ELb0ES3_PKS6_PS6_S6_ZZZN2at6native31launch_logcumsumexp_cuda_kernelERKNSD_10TensorBaseESH_lENKUlvE_clEvENKUlvE3_clEvEUlS6_S6_E_S6_EEDaPvRmT3_T4_T5_mT6_P12ihipStream_tbENKUlT_T0_E_clISt17integral_constantIbLb0EESX_IbLb1EEEEDaST_SU_EUlST_E_NS1_11comp_targetILNS1_3genE8ELNS1_11target_archE1030ELNS1_3gpuE2ELNS1_3repE0EEENS1_30default_config_static_selectorELNS0_4arch9wavefront6targetE1EEEvT1_,"axG",@progbits,_ZN7rocprim17ROCPRIM_400000_NS6detail17trampoline_kernelINS0_14default_configENS1_20scan_config_selectorIN3c104HalfEEEZZNS1_9scan_implILNS1_25lookback_scan_determinismE0ELb0ELb0ES3_PKS6_PS6_S6_ZZZN2at6native31launch_logcumsumexp_cuda_kernelERKNSD_10TensorBaseESH_lENKUlvE_clEvENKUlvE3_clEvEUlS6_S6_E_S6_EEDaPvRmT3_T4_T5_mT6_P12ihipStream_tbENKUlT_T0_E_clISt17integral_constantIbLb0EESX_IbLb1EEEEDaST_SU_EUlST_E_NS1_11comp_targetILNS1_3genE8ELNS1_11target_archE1030ELNS1_3gpuE2ELNS1_3repE0EEENS1_30default_config_static_selectorELNS0_4arch9wavefront6targetE1EEEvT1_,comdat
.Lfunc_end436:
	.size	_ZN7rocprim17ROCPRIM_400000_NS6detail17trampoline_kernelINS0_14default_configENS1_20scan_config_selectorIN3c104HalfEEEZZNS1_9scan_implILNS1_25lookback_scan_determinismE0ELb0ELb0ES3_PKS6_PS6_S6_ZZZN2at6native31launch_logcumsumexp_cuda_kernelERKNSD_10TensorBaseESH_lENKUlvE_clEvENKUlvE3_clEvEUlS6_S6_E_S6_EEDaPvRmT3_T4_T5_mT6_P12ihipStream_tbENKUlT_T0_E_clISt17integral_constantIbLb0EESX_IbLb1EEEEDaST_SU_EUlST_E_NS1_11comp_targetILNS1_3genE8ELNS1_11target_archE1030ELNS1_3gpuE2ELNS1_3repE0EEENS1_30default_config_static_selectorELNS0_4arch9wavefront6targetE1EEEvT1_, .Lfunc_end436-_ZN7rocprim17ROCPRIM_400000_NS6detail17trampoline_kernelINS0_14default_configENS1_20scan_config_selectorIN3c104HalfEEEZZNS1_9scan_implILNS1_25lookback_scan_determinismE0ELb0ELb0ES3_PKS6_PS6_S6_ZZZN2at6native31launch_logcumsumexp_cuda_kernelERKNSD_10TensorBaseESH_lENKUlvE_clEvENKUlvE3_clEvEUlS6_S6_E_S6_EEDaPvRmT3_T4_T5_mT6_P12ihipStream_tbENKUlT_T0_E_clISt17integral_constantIbLb0EESX_IbLb1EEEEDaST_SU_EUlST_E_NS1_11comp_targetILNS1_3genE8ELNS1_11target_archE1030ELNS1_3gpuE2ELNS1_3repE0EEENS1_30default_config_static_selectorELNS0_4arch9wavefront6targetE1EEEvT1_
                                        ; -- End function
	.section	.AMDGPU.csdata,"",@progbits
; Kernel info:
; codeLenInByte = 0
; NumSgprs: 6
; NumVgprs: 0
; NumAgprs: 0
; TotalNumVgprs: 0
; ScratchSize: 0
; MemoryBound: 0
; FloatMode: 240
; IeeeMode: 1
; LDSByteSize: 0 bytes/workgroup (compile time only)
; SGPRBlocks: 0
; VGPRBlocks: 0
; NumSGPRsForWavesPerEU: 6
; NumVGPRsForWavesPerEU: 1
; AccumOffset: 4
; Occupancy: 8
; WaveLimiterHint : 0
; COMPUTE_PGM_RSRC2:SCRATCH_EN: 0
; COMPUTE_PGM_RSRC2:USER_SGPR: 2
; COMPUTE_PGM_RSRC2:TRAP_HANDLER: 0
; COMPUTE_PGM_RSRC2:TGID_X_EN: 1
; COMPUTE_PGM_RSRC2:TGID_Y_EN: 0
; COMPUTE_PGM_RSRC2:TGID_Z_EN: 0
; COMPUTE_PGM_RSRC2:TIDIG_COMP_CNT: 0
; COMPUTE_PGM_RSRC3_GFX90A:ACCUM_OFFSET: 0
; COMPUTE_PGM_RSRC3_GFX90A:TG_SPLIT: 0
	.section	.text._ZN7rocprim17ROCPRIM_400000_NS6detail17trampoline_kernelINS0_14default_configENS1_20scan_config_selectorIN3c104HalfEEEZZNS1_9scan_implILNS1_25lookback_scan_determinismE0ELb0ELb0ES3_PKS6_PS6_S6_ZZZN2at6native31launch_logcumsumexp_cuda_kernelERKNSD_10TensorBaseESH_lENKUlvE_clEvENKUlvE3_clEvEUlS6_S6_E_S6_EEDaPvRmT3_T4_T5_mT6_P12ihipStream_tbENKUlT_T0_E_clISt17integral_constantIbLb0EESX_IbLb1EEEEDaST_SU_EUlST_E0_NS1_11comp_targetILNS1_3genE0ELNS1_11target_archE4294967295ELNS1_3gpuE0ELNS1_3repE0EEENS1_30default_config_static_selectorELNS0_4arch9wavefront6targetE1EEEvT1_,"axG",@progbits,_ZN7rocprim17ROCPRIM_400000_NS6detail17trampoline_kernelINS0_14default_configENS1_20scan_config_selectorIN3c104HalfEEEZZNS1_9scan_implILNS1_25lookback_scan_determinismE0ELb0ELb0ES3_PKS6_PS6_S6_ZZZN2at6native31launch_logcumsumexp_cuda_kernelERKNSD_10TensorBaseESH_lENKUlvE_clEvENKUlvE3_clEvEUlS6_S6_E_S6_EEDaPvRmT3_T4_T5_mT6_P12ihipStream_tbENKUlT_T0_E_clISt17integral_constantIbLb0EESX_IbLb1EEEEDaST_SU_EUlST_E0_NS1_11comp_targetILNS1_3genE0ELNS1_11target_archE4294967295ELNS1_3gpuE0ELNS1_3repE0EEENS1_30default_config_static_selectorELNS0_4arch9wavefront6targetE1EEEvT1_,comdat
	.globl	_ZN7rocprim17ROCPRIM_400000_NS6detail17trampoline_kernelINS0_14default_configENS1_20scan_config_selectorIN3c104HalfEEEZZNS1_9scan_implILNS1_25lookback_scan_determinismE0ELb0ELb0ES3_PKS6_PS6_S6_ZZZN2at6native31launch_logcumsumexp_cuda_kernelERKNSD_10TensorBaseESH_lENKUlvE_clEvENKUlvE3_clEvEUlS6_S6_E_S6_EEDaPvRmT3_T4_T5_mT6_P12ihipStream_tbENKUlT_T0_E_clISt17integral_constantIbLb0EESX_IbLb1EEEEDaST_SU_EUlST_E0_NS1_11comp_targetILNS1_3genE0ELNS1_11target_archE4294967295ELNS1_3gpuE0ELNS1_3repE0EEENS1_30default_config_static_selectorELNS0_4arch9wavefront6targetE1EEEvT1_ ; -- Begin function _ZN7rocprim17ROCPRIM_400000_NS6detail17trampoline_kernelINS0_14default_configENS1_20scan_config_selectorIN3c104HalfEEEZZNS1_9scan_implILNS1_25lookback_scan_determinismE0ELb0ELb0ES3_PKS6_PS6_S6_ZZZN2at6native31launch_logcumsumexp_cuda_kernelERKNSD_10TensorBaseESH_lENKUlvE_clEvENKUlvE3_clEvEUlS6_S6_E_S6_EEDaPvRmT3_T4_T5_mT6_P12ihipStream_tbENKUlT_T0_E_clISt17integral_constantIbLb0EESX_IbLb1EEEEDaST_SU_EUlST_E0_NS1_11comp_targetILNS1_3genE0ELNS1_11target_archE4294967295ELNS1_3gpuE0ELNS1_3repE0EEENS1_30default_config_static_selectorELNS0_4arch9wavefront6targetE1EEEvT1_
	.p2align	8
	.type	_ZN7rocprim17ROCPRIM_400000_NS6detail17trampoline_kernelINS0_14default_configENS1_20scan_config_selectorIN3c104HalfEEEZZNS1_9scan_implILNS1_25lookback_scan_determinismE0ELb0ELb0ES3_PKS6_PS6_S6_ZZZN2at6native31launch_logcumsumexp_cuda_kernelERKNSD_10TensorBaseESH_lENKUlvE_clEvENKUlvE3_clEvEUlS6_S6_E_S6_EEDaPvRmT3_T4_T5_mT6_P12ihipStream_tbENKUlT_T0_E_clISt17integral_constantIbLb0EESX_IbLb1EEEEDaST_SU_EUlST_E0_NS1_11comp_targetILNS1_3genE0ELNS1_11target_archE4294967295ELNS1_3gpuE0ELNS1_3repE0EEENS1_30default_config_static_selectorELNS0_4arch9wavefront6targetE1EEEvT1_,@function
_ZN7rocprim17ROCPRIM_400000_NS6detail17trampoline_kernelINS0_14default_configENS1_20scan_config_selectorIN3c104HalfEEEZZNS1_9scan_implILNS1_25lookback_scan_determinismE0ELb0ELb0ES3_PKS6_PS6_S6_ZZZN2at6native31launch_logcumsumexp_cuda_kernelERKNSD_10TensorBaseESH_lENKUlvE_clEvENKUlvE3_clEvEUlS6_S6_E_S6_EEDaPvRmT3_T4_T5_mT6_P12ihipStream_tbENKUlT_T0_E_clISt17integral_constantIbLb0EESX_IbLb1EEEEDaST_SU_EUlST_E0_NS1_11comp_targetILNS1_3genE0ELNS1_11target_archE4294967295ELNS1_3gpuE0ELNS1_3repE0EEENS1_30default_config_static_selectorELNS0_4arch9wavefront6targetE1EEEvT1_: ; @_ZN7rocprim17ROCPRIM_400000_NS6detail17trampoline_kernelINS0_14default_configENS1_20scan_config_selectorIN3c104HalfEEEZZNS1_9scan_implILNS1_25lookback_scan_determinismE0ELb0ELb0ES3_PKS6_PS6_S6_ZZZN2at6native31launch_logcumsumexp_cuda_kernelERKNSD_10TensorBaseESH_lENKUlvE_clEvENKUlvE3_clEvEUlS6_S6_E_S6_EEDaPvRmT3_T4_T5_mT6_P12ihipStream_tbENKUlT_T0_E_clISt17integral_constantIbLb0EESX_IbLb1EEEEDaST_SU_EUlST_E0_NS1_11comp_targetILNS1_3genE0ELNS1_11target_archE4294967295ELNS1_3gpuE0ELNS1_3repE0EEENS1_30default_config_static_selectorELNS0_4arch9wavefront6targetE1EEEvT1_
; %bb.0:
	.section	.rodata,"a",@progbits
	.p2align	6, 0x0
	.amdhsa_kernel _ZN7rocprim17ROCPRIM_400000_NS6detail17trampoline_kernelINS0_14default_configENS1_20scan_config_selectorIN3c104HalfEEEZZNS1_9scan_implILNS1_25lookback_scan_determinismE0ELb0ELb0ES3_PKS6_PS6_S6_ZZZN2at6native31launch_logcumsumexp_cuda_kernelERKNSD_10TensorBaseESH_lENKUlvE_clEvENKUlvE3_clEvEUlS6_S6_E_S6_EEDaPvRmT3_T4_T5_mT6_P12ihipStream_tbENKUlT_T0_E_clISt17integral_constantIbLb0EESX_IbLb1EEEEDaST_SU_EUlST_E0_NS1_11comp_targetILNS1_3genE0ELNS1_11target_archE4294967295ELNS1_3gpuE0ELNS1_3repE0EEENS1_30default_config_static_selectorELNS0_4arch9wavefront6targetE1EEEvT1_
		.amdhsa_group_segment_fixed_size 0
		.amdhsa_private_segment_fixed_size 0
		.amdhsa_kernarg_size 32
		.amdhsa_user_sgpr_count 2
		.amdhsa_user_sgpr_dispatch_ptr 0
		.amdhsa_user_sgpr_queue_ptr 0
		.amdhsa_user_sgpr_kernarg_segment_ptr 1
		.amdhsa_user_sgpr_dispatch_id 0
		.amdhsa_user_sgpr_kernarg_preload_length 0
		.amdhsa_user_sgpr_kernarg_preload_offset 0
		.amdhsa_user_sgpr_private_segment_size 0
		.amdhsa_uses_dynamic_stack 0
		.amdhsa_enable_private_segment 0
		.amdhsa_system_sgpr_workgroup_id_x 1
		.amdhsa_system_sgpr_workgroup_id_y 0
		.amdhsa_system_sgpr_workgroup_id_z 0
		.amdhsa_system_sgpr_workgroup_info 0
		.amdhsa_system_vgpr_workitem_id 0
		.amdhsa_next_free_vgpr 1
		.amdhsa_next_free_sgpr 0
		.amdhsa_accum_offset 4
		.amdhsa_reserve_vcc 0
		.amdhsa_float_round_mode_32 0
		.amdhsa_float_round_mode_16_64 0
		.amdhsa_float_denorm_mode_32 3
		.amdhsa_float_denorm_mode_16_64 3
		.amdhsa_dx10_clamp 1
		.amdhsa_ieee_mode 1
		.amdhsa_fp16_overflow 0
		.amdhsa_tg_split 0
		.amdhsa_exception_fp_ieee_invalid_op 0
		.amdhsa_exception_fp_denorm_src 0
		.amdhsa_exception_fp_ieee_div_zero 0
		.amdhsa_exception_fp_ieee_overflow 0
		.amdhsa_exception_fp_ieee_underflow 0
		.amdhsa_exception_fp_ieee_inexact 0
		.amdhsa_exception_int_div_zero 0
	.end_amdhsa_kernel
	.section	.text._ZN7rocprim17ROCPRIM_400000_NS6detail17trampoline_kernelINS0_14default_configENS1_20scan_config_selectorIN3c104HalfEEEZZNS1_9scan_implILNS1_25lookback_scan_determinismE0ELb0ELb0ES3_PKS6_PS6_S6_ZZZN2at6native31launch_logcumsumexp_cuda_kernelERKNSD_10TensorBaseESH_lENKUlvE_clEvENKUlvE3_clEvEUlS6_S6_E_S6_EEDaPvRmT3_T4_T5_mT6_P12ihipStream_tbENKUlT_T0_E_clISt17integral_constantIbLb0EESX_IbLb1EEEEDaST_SU_EUlST_E0_NS1_11comp_targetILNS1_3genE0ELNS1_11target_archE4294967295ELNS1_3gpuE0ELNS1_3repE0EEENS1_30default_config_static_selectorELNS0_4arch9wavefront6targetE1EEEvT1_,"axG",@progbits,_ZN7rocprim17ROCPRIM_400000_NS6detail17trampoline_kernelINS0_14default_configENS1_20scan_config_selectorIN3c104HalfEEEZZNS1_9scan_implILNS1_25lookback_scan_determinismE0ELb0ELb0ES3_PKS6_PS6_S6_ZZZN2at6native31launch_logcumsumexp_cuda_kernelERKNSD_10TensorBaseESH_lENKUlvE_clEvENKUlvE3_clEvEUlS6_S6_E_S6_EEDaPvRmT3_T4_T5_mT6_P12ihipStream_tbENKUlT_T0_E_clISt17integral_constantIbLb0EESX_IbLb1EEEEDaST_SU_EUlST_E0_NS1_11comp_targetILNS1_3genE0ELNS1_11target_archE4294967295ELNS1_3gpuE0ELNS1_3repE0EEENS1_30default_config_static_selectorELNS0_4arch9wavefront6targetE1EEEvT1_,comdat
.Lfunc_end437:
	.size	_ZN7rocprim17ROCPRIM_400000_NS6detail17trampoline_kernelINS0_14default_configENS1_20scan_config_selectorIN3c104HalfEEEZZNS1_9scan_implILNS1_25lookback_scan_determinismE0ELb0ELb0ES3_PKS6_PS6_S6_ZZZN2at6native31launch_logcumsumexp_cuda_kernelERKNSD_10TensorBaseESH_lENKUlvE_clEvENKUlvE3_clEvEUlS6_S6_E_S6_EEDaPvRmT3_T4_T5_mT6_P12ihipStream_tbENKUlT_T0_E_clISt17integral_constantIbLb0EESX_IbLb1EEEEDaST_SU_EUlST_E0_NS1_11comp_targetILNS1_3genE0ELNS1_11target_archE4294967295ELNS1_3gpuE0ELNS1_3repE0EEENS1_30default_config_static_selectorELNS0_4arch9wavefront6targetE1EEEvT1_, .Lfunc_end437-_ZN7rocprim17ROCPRIM_400000_NS6detail17trampoline_kernelINS0_14default_configENS1_20scan_config_selectorIN3c104HalfEEEZZNS1_9scan_implILNS1_25lookback_scan_determinismE0ELb0ELb0ES3_PKS6_PS6_S6_ZZZN2at6native31launch_logcumsumexp_cuda_kernelERKNSD_10TensorBaseESH_lENKUlvE_clEvENKUlvE3_clEvEUlS6_S6_E_S6_EEDaPvRmT3_T4_T5_mT6_P12ihipStream_tbENKUlT_T0_E_clISt17integral_constantIbLb0EESX_IbLb1EEEEDaST_SU_EUlST_E0_NS1_11comp_targetILNS1_3genE0ELNS1_11target_archE4294967295ELNS1_3gpuE0ELNS1_3repE0EEENS1_30default_config_static_selectorELNS0_4arch9wavefront6targetE1EEEvT1_
                                        ; -- End function
	.section	.AMDGPU.csdata,"",@progbits
; Kernel info:
; codeLenInByte = 0
; NumSgprs: 6
; NumVgprs: 0
; NumAgprs: 0
; TotalNumVgprs: 0
; ScratchSize: 0
; MemoryBound: 0
; FloatMode: 240
; IeeeMode: 1
; LDSByteSize: 0 bytes/workgroup (compile time only)
; SGPRBlocks: 0
; VGPRBlocks: 0
; NumSGPRsForWavesPerEU: 6
; NumVGPRsForWavesPerEU: 1
; AccumOffset: 4
; Occupancy: 8
; WaveLimiterHint : 0
; COMPUTE_PGM_RSRC2:SCRATCH_EN: 0
; COMPUTE_PGM_RSRC2:USER_SGPR: 2
; COMPUTE_PGM_RSRC2:TRAP_HANDLER: 0
; COMPUTE_PGM_RSRC2:TGID_X_EN: 1
; COMPUTE_PGM_RSRC2:TGID_Y_EN: 0
; COMPUTE_PGM_RSRC2:TGID_Z_EN: 0
; COMPUTE_PGM_RSRC2:TIDIG_COMP_CNT: 0
; COMPUTE_PGM_RSRC3_GFX90A:ACCUM_OFFSET: 0
; COMPUTE_PGM_RSRC3_GFX90A:TG_SPLIT: 0
	.section	.text._ZN7rocprim17ROCPRIM_400000_NS6detail17trampoline_kernelINS0_14default_configENS1_20scan_config_selectorIN3c104HalfEEEZZNS1_9scan_implILNS1_25lookback_scan_determinismE0ELb0ELb0ES3_PKS6_PS6_S6_ZZZN2at6native31launch_logcumsumexp_cuda_kernelERKNSD_10TensorBaseESH_lENKUlvE_clEvENKUlvE3_clEvEUlS6_S6_E_S6_EEDaPvRmT3_T4_T5_mT6_P12ihipStream_tbENKUlT_T0_E_clISt17integral_constantIbLb0EESX_IbLb1EEEEDaST_SU_EUlST_E0_NS1_11comp_targetILNS1_3genE5ELNS1_11target_archE942ELNS1_3gpuE9ELNS1_3repE0EEENS1_30default_config_static_selectorELNS0_4arch9wavefront6targetE1EEEvT1_,"axG",@progbits,_ZN7rocprim17ROCPRIM_400000_NS6detail17trampoline_kernelINS0_14default_configENS1_20scan_config_selectorIN3c104HalfEEEZZNS1_9scan_implILNS1_25lookback_scan_determinismE0ELb0ELb0ES3_PKS6_PS6_S6_ZZZN2at6native31launch_logcumsumexp_cuda_kernelERKNSD_10TensorBaseESH_lENKUlvE_clEvENKUlvE3_clEvEUlS6_S6_E_S6_EEDaPvRmT3_T4_T5_mT6_P12ihipStream_tbENKUlT_T0_E_clISt17integral_constantIbLb0EESX_IbLb1EEEEDaST_SU_EUlST_E0_NS1_11comp_targetILNS1_3genE5ELNS1_11target_archE942ELNS1_3gpuE9ELNS1_3repE0EEENS1_30default_config_static_selectorELNS0_4arch9wavefront6targetE1EEEvT1_,comdat
	.globl	_ZN7rocprim17ROCPRIM_400000_NS6detail17trampoline_kernelINS0_14default_configENS1_20scan_config_selectorIN3c104HalfEEEZZNS1_9scan_implILNS1_25lookback_scan_determinismE0ELb0ELb0ES3_PKS6_PS6_S6_ZZZN2at6native31launch_logcumsumexp_cuda_kernelERKNSD_10TensorBaseESH_lENKUlvE_clEvENKUlvE3_clEvEUlS6_S6_E_S6_EEDaPvRmT3_T4_T5_mT6_P12ihipStream_tbENKUlT_T0_E_clISt17integral_constantIbLb0EESX_IbLb1EEEEDaST_SU_EUlST_E0_NS1_11comp_targetILNS1_3genE5ELNS1_11target_archE942ELNS1_3gpuE9ELNS1_3repE0EEENS1_30default_config_static_selectorELNS0_4arch9wavefront6targetE1EEEvT1_ ; -- Begin function _ZN7rocprim17ROCPRIM_400000_NS6detail17trampoline_kernelINS0_14default_configENS1_20scan_config_selectorIN3c104HalfEEEZZNS1_9scan_implILNS1_25lookback_scan_determinismE0ELb0ELb0ES3_PKS6_PS6_S6_ZZZN2at6native31launch_logcumsumexp_cuda_kernelERKNSD_10TensorBaseESH_lENKUlvE_clEvENKUlvE3_clEvEUlS6_S6_E_S6_EEDaPvRmT3_T4_T5_mT6_P12ihipStream_tbENKUlT_T0_E_clISt17integral_constantIbLb0EESX_IbLb1EEEEDaST_SU_EUlST_E0_NS1_11comp_targetILNS1_3genE5ELNS1_11target_archE942ELNS1_3gpuE9ELNS1_3repE0EEENS1_30default_config_static_selectorELNS0_4arch9wavefront6targetE1EEEvT1_
	.p2align	8
	.type	_ZN7rocprim17ROCPRIM_400000_NS6detail17trampoline_kernelINS0_14default_configENS1_20scan_config_selectorIN3c104HalfEEEZZNS1_9scan_implILNS1_25lookback_scan_determinismE0ELb0ELb0ES3_PKS6_PS6_S6_ZZZN2at6native31launch_logcumsumexp_cuda_kernelERKNSD_10TensorBaseESH_lENKUlvE_clEvENKUlvE3_clEvEUlS6_S6_E_S6_EEDaPvRmT3_T4_T5_mT6_P12ihipStream_tbENKUlT_T0_E_clISt17integral_constantIbLb0EESX_IbLb1EEEEDaST_SU_EUlST_E0_NS1_11comp_targetILNS1_3genE5ELNS1_11target_archE942ELNS1_3gpuE9ELNS1_3repE0EEENS1_30default_config_static_selectorELNS0_4arch9wavefront6targetE1EEEvT1_,@function
_ZN7rocprim17ROCPRIM_400000_NS6detail17trampoline_kernelINS0_14default_configENS1_20scan_config_selectorIN3c104HalfEEEZZNS1_9scan_implILNS1_25lookback_scan_determinismE0ELb0ELb0ES3_PKS6_PS6_S6_ZZZN2at6native31launch_logcumsumexp_cuda_kernelERKNSD_10TensorBaseESH_lENKUlvE_clEvENKUlvE3_clEvEUlS6_S6_E_S6_EEDaPvRmT3_T4_T5_mT6_P12ihipStream_tbENKUlT_T0_E_clISt17integral_constantIbLb0EESX_IbLb1EEEEDaST_SU_EUlST_E0_NS1_11comp_targetILNS1_3genE5ELNS1_11target_archE942ELNS1_3gpuE9ELNS1_3repE0EEENS1_30default_config_static_selectorELNS0_4arch9wavefront6targetE1EEEvT1_: ; @_ZN7rocprim17ROCPRIM_400000_NS6detail17trampoline_kernelINS0_14default_configENS1_20scan_config_selectorIN3c104HalfEEEZZNS1_9scan_implILNS1_25lookback_scan_determinismE0ELb0ELb0ES3_PKS6_PS6_S6_ZZZN2at6native31launch_logcumsumexp_cuda_kernelERKNSD_10TensorBaseESH_lENKUlvE_clEvENKUlvE3_clEvEUlS6_S6_E_S6_EEDaPvRmT3_T4_T5_mT6_P12ihipStream_tbENKUlT_T0_E_clISt17integral_constantIbLb0EESX_IbLb1EEEEDaST_SU_EUlST_E0_NS1_11comp_targetILNS1_3genE5ELNS1_11target_archE942ELNS1_3gpuE9ELNS1_3repE0EEENS1_30default_config_static_selectorELNS0_4arch9wavefront6targetE1EEEvT1_
; %bb.0:
	s_load_dwordx4 s[48:51], s[0:1], 0x0
	v_mov_b32_e32 v1, 0
	v_lshlrev_b32_e32 v14, 1, v0
	s_waitcnt lgkmcnt(0)
	global_load_ushort v1, v1, s[48:49]
	v_cmp_gt_u32_e64 s[4:5], s50, v0
	s_waitcnt vmcnt(0)
	v_mov_b32_e32 v2, v1
	s_mov_b64 s[2:3], exec
                                        ; implicit-def: $vgpr53 : SGPR spill to VGPR lane
	v_writelane_b32 v53, s4, 0
	s_nop 1
	v_writelane_b32 v53, s5, 1
	s_and_b64 s[4:5], s[2:3], s[4:5]
	s_mov_b64 exec, s[4:5]
	s_cbranch_execz .LBB438_2
; %bb.1:
	global_load_ushort v2, v14, s[48:49]
.LBB438_2:
	s_or_b64 exec, exec, s[2:3]
	v_or_b32_e32 v3, 0x100, v0
	v_cmp_gt_u32_e64 s[4:5], s50, v3
	v_mov_b32_e32 v3, v1
	s_mov_b64 s[2:3], exec
	v_writelane_b32 v53, s4, 2
	s_nop 1
	v_writelane_b32 v53, s5, 3
	s_and_b64 s[4:5], s[2:3], s[4:5]
	s_mov_b64 exec, s[4:5]
	s_cbranch_execz .LBB438_4
; %bb.3:
	global_load_ushort v3, v14, s[48:49] offset:512
.LBB438_4:
	s_or_b64 exec, exec, s[2:3]
	v_or_b32_e32 v4, 0x200, v0
	v_cmp_gt_u32_e64 s[2:3], s50, v4
	v_mov_b32_e32 v4, v1
	s_nop 0
	v_writelane_b32 v53, s2, 4
	s_nop 1
	v_writelane_b32 v53, s3, 5
	s_and_saveexec_b64 s[4:5], s[2:3]
	s_cbranch_execz .LBB438_6
; %bb.5:
	global_load_ushort v4, v14, s[48:49] offset:1024
.LBB438_6:
	s_or_b64 exec, exec, s[4:5]
	v_or_b32_e32 v5, 0x300, v0
	v_cmp_gt_u32_e64 s[4:5], s50, v5
	v_mov_b32_e32 v5, v1
	s_and_saveexec_b64 s[6:7], s[4:5]
	s_cbranch_execz .LBB438_8
; %bb.7:
	global_load_ushort v5, v14, s[48:49] offset:1536
.LBB438_8:
	s_or_b64 exec, exec, s[6:7]
	v_or_b32_e32 v6, 0x400, v0
	v_cmp_gt_u32_e64 s[6:7], s50, v6
	v_mov_b32_e32 v6, v1
	;; [unrolled: 9-line block ×6, first 2 shown]
	s_and_saveexec_b64 s[16:17], s[14:15]
	s_cbranch_execz .LBB438_18
; %bb.17:
	v_lshlrev_b32_e32 v10, 1, v11
	global_load_ushort v10, v10, s[48:49]
.LBB438_18:
	s_or_b64 exec, exec, s[16:17]
	v_or_b32_e32 v12, 0x900, v0
	v_cmp_gt_u32_e64 s[16:17], s50, v12
	v_mov_b32_e32 v11, v1
	s_and_saveexec_b64 s[18:19], s[16:17]
	s_cbranch_execz .LBB438_20
; %bb.19:
	v_lshlrev_b32_e32 v11, 1, v12
	global_load_ushort v11, v11, s[48:49]
.LBB438_20:
	s_or_b64 exec, exec, s[18:19]
	v_or_b32_e32 v13, 0xa00, v0
	v_cmp_gt_u32_e64 s[18:19], s50, v13
	v_mov_b32_e32 v12, v1
	;; [unrolled: 10-line block ×14, first 2 shown]
	s_and_saveexec_b64 s[46:47], s[44:45]
	s_cbranch_execz .LBB438_46
; %bb.45:
	v_lshlrev_b32_e32 v25, 1, v26
	global_load_ushort v25, v25, s[48:49]
.LBB438_46:
	s_or_b64 exec, exec, s[46:47]
	v_or_b32_e32 v26, 0x1700, v0
	v_cmp_gt_u32_e64 s[46:47], s50, v26
	s_and_saveexec_b64 s[50:51], s[46:47]
	s_cbranch_execz .LBB438_48
; %bb.47:
	v_lshlrev_b32_e32 v1, 1, v26
	global_load_ushort v1, v1, s[48:49]
.LBB438_48:
	s_or_b64 exec, exec, s[50:51]
	s_waitcnt vmcnt(0)
	ds_write_b16 v14, v2
	ds_write_b16 v14, v3 offset:512
	ds_write_b16 v14, v4 offset:1024
	;; [unrolled: 1-line block ×23, first 2 shown]
	v_mad_u32_u24 v1, v0, 46, v14
	s_waitcnt lgkmcnt(0)
	s_barrier
	ds_read_b128 v[2:5], v1
	ds_read_b128 v[10:13], v1 offset:16
	ds_read_b128 v[6:9], v1 offset:32
	s_movk_i32 s33, 0x1f8
	s_waitcnt lgkmcnt(0)
	v_cvt_f32_f16_e32 v1, v2
	v_cvt_f32_f16_sdwa v15, v2 dst_sel:DWORD dst_unused:UNUSED_PAD src0_sel:WORD_1
	v_cmp_u_f16_e64 s[94:95], v2, v2
	v_cmp_u_f16_sdwa s[48:49], v2, v2 src0_sel:WORD_1 src1_sel:WORD_1
	v_mov_b32_e32 v32, v1
	v_min_f32_e32 v28, v1, v15
	v_cndmask_b32_e64 v16, v28, v1, s[94:95]
	v_max_f32_e32 v29, v1, v15
	v_cndmask_b32_e64 v17, v16, v15, s[48:49]
	v_cndmask_b32_e64 v16, v29, v1, s[94:95]
	;; [unrolled: 1-line block ×3, first 2 shown]
	v_cmp_neq_f32_e64 s[50:51], v17, v16
	v_cmp_class_f32_e64 s[52:53], v17, s33
	s_or_b64 s[50:51], s[50:51], s[52:53]
	v_mov_b32_e32 v30, v2
	v_mov_b32_e32 v31, v2
	s_barrier
	s_and_saveexec_b64 s[52:53], s[50:51]
	s_cbranch_execz .LBB438_50
; %bb.49:
	v_sub_f32_e32 v17, v17, v16
	s_mov_b32 s2, 0x3fb8aa3b
	v_mul_f32_e32 v18, 0x3fb8aa3b, v17
	v_fma_f32 v19, v17, s2, -v18
	v_rndne_f32_e32 v20, v18
	v_fmamk_f32 v19, v17, 0x32a5705f, v19
	v_sub_f32_e32 v18, v18, v20
	v_add_f32_e32 v18, v18, v19
	v_exp_f32_e32 v18, v18
	v_cvt_i32_f32_e32 v19, v20
	s_mov_b32 s2, 0xc2ce8ed0
	v_cmp_ngt_f32_e64 s[50:51], s2, v17
	s_mov_b32 s2, 0x42b17218
	v_ldexp_f32 v18, v18, v19
	v_cndmask_b32_e64 v18, 0, v18, s[50:51]
	v_mov_b32_e32 v19, 0x7f800000
	v_cmp_nlt_f32_e64 s[50:51], s2, v17
	s_mov_b32 s2, 0x3f2aaaab
	s_mov_b32 s3, 0x7f800000
	v_cndmask_b32_e64 v36, v19, v18, s[50:51]
	v_add_f32_e32 v17, 1.0, v36
	v_add_f32_e32 v18, -1.0, v17
	v_sub_f32_e32 v19, v18, v17
	v_add_f32_e32 v19, 1.0, v19
	v_sub_f32_e32 v18, v36, v18
	v_add_f32_e32 v20, v18, v19
	v_frexp_mant_f32_e32 v21, v17
	v_cvt_f64_f32_e32 v[18:19], v17
	v_frexp_exp_i32_f64_e32 v18, v[18:19]
	v_cmp_gt_f32_e64 s[50:51], s2, v21
	s_mov_b32 s2, 0x3f317218
	s_nop 0
	v_subbrev_co_u32_e64 v26, s[50:51], 0, v18, s[50:51]
	v_sub_u32_e32 v18, 0, v26
	v_ldexp_f32 v17, v17, v18
	v_ldexp_f32 v18, v20, v18
	v_add_f32_e32 v20, -1.0, v17
	v_add_f32_e32 v19, 1.0, v20
	v_sub_f32_e32 v19, v17, v19
	v_add_f32_e32 v21, v18, v19
	v_add_f32_e32 v19, 1.0, v17
	v_add_f32_e32 v22, -1.0, v19
	v_sub_f32_e32 v17, v17, v22
	v_add_f32_e32 v17, v18, v17
	v_add_f32_e32 v27, v19, v17
	v_rcp_f32_e32 v30, v27
	v_sub_f32_e32 v18, v19, v27
	v_add_f32_e32 v19, v20, v21
	v_add_f32_e32 v17, v17, v18
	v_mul_f32_e32 v32, v19, v30
	v_sub_f32_e32 v18, v20, v19
	v_mul_f32_e32 v20, v27, v32
	v_fma_f32 v22, v32, v27, -v20
	v_fmac_f32_e32 v22, v32, v17
	v_add_f32_e32 v31, v21, v18
	v_add_f32_e32 v18, v20, v22
	v_sub_f32_e32 v21, v19, v18
	v_pk_add_f32 v[24:25], v[18:19], v[20:21] neg_lo:[0,1] neg_hi:[0,1]
	v_mov_b32_e32 v23, v18
	v_pk_add_f32 v[18:19], v[24:25], v[22:23] neg_lo:[0,1] neg_hi:[0,1]
	v_cmp_eq_f32_e64 s[50:51], s3, v36
	v_add_f32_e32 v19, v31, v19
	v_add_f32_e32 v18, v18, v19
	;; [unrolled: 1-line block ×3, first 2 shown]
	v_mul_f32_e32 v31, v30, v19
	v_mul_f32_e32 v20, v27, v31
	v_fma_f32 v22, v31, v27, -v20
	v_fmac_f32_e32 v22, v31, v17
	v_sub_f32_e32 v17, v21, v19
	v_add_f32_e32 v17, v18, v17
	v_add_f32_e32 v18, v20, v22
	v_sub_f32_e32 v21, v19, v18
	v_pk_add_f32 v[24:25], v[18:19], v[20:21] neg_lo:[0,1] neg_hi:[0,1]
	v_mov_b32_e32 v23, v18
	v_pk_add_f32 v[18:19], v[24:25], v[22:23] neg_lo:[0,1] neg_hi:[0,1]
	v_cvt_f32_i32_e32 v20, v26
	v_add_f32_e32 v17, v17, v19
	v_add_f32_e32 v17, v18, v17
	;; [unrolled: 1-line block ×4, first 2 shown]
	v_sub_f32_e32 v19, v18, v32
	v_mul_f32_e32 v17, v30, v17
	v_sub_f32_e32 v19, v31, v19
	v_add_f32_e32 v17, v19, v17
	v_add_f32_e32 v21, v18, v17
	v_mul_f32_e32 v22, v21, v21
	v_mov_b32_e32 v19, 0x3ecc95a3
	v_fmac_f32_e32 v19, 0x3e9b6dac, v22
	v_sub_f32_e32 v18, v21, v18
	v_fmaak_f32 v19, v22, v19, 0x3f2aaada
	v_sub_f32_e32 v17, v17, v18
	v_ldexp_f32 v23, v21, 1
	v_mul_f32_e32 v21, v21, v22
	v_mov_b32_e32 v18, 0x3f317218
	v_pk_mul_f32 v[18:19], v[20:21], v[18:19]
	v_ldexp_f32 v17, v17, 1
	v_fma_f32 v21, v20, s2, -v18
	v_fmamk_f32 v22, v20, 0xb102e308, v21
	v_pk_add_f32 v[20:21], v[18:19], v[22:23]
	v_mov_b32_e32 v24, v18
	v_sub_f32_e32 v23, v21, v23
	v_sub_f32_e32 v23, v19, v23
	v_add_f32_e32 v25, v17, v23
	v_pk_add_f32 v[18:19], v[20:21], v[18:19] neg_lo:[0,1] neg_hi:[0,1]
	v_pk_add_f32 v[26:27], v[20:21], v[24:25]
	v_mov_b32_e32 v23, v20
	v_mov_b32_e32 v19, v27
	v_pk_add_f32 v[30:31], v[22:23], v[18:19] neg_lo:[0,1] neg_hi:[0,1]
	v_pk_add_f32 v[18:19], v[22:23], v[18:19]
	v_mov_b32_e32 v24, v25
	v_mov_b32_e32 v22, v19
	v_pk_add_f32 v[32:33], v[22:23], v[20:21] neg_lo:[0,1] neg_hi:[0,1]
	v_mov_b32_e32 v18, v27
	v_mov_b32_e32 v17, v32
	v_pk_add_f32 v[34:35], v[26:27], v[16:17] neg_lo:[0,1] neg_hi:[0,1]
	v_mov_b32_e32 v26, v21
	v_mov_b32_e32 v27, v32
	;; [unrolled: 1-line block ×3, first 2 shown]
	v_pk_add_f32 v[18:19], v[18:19], v[26:27] neg_lo:[0,1] neg_hi:[0,1]
	v_mov_b32_e32 v25, v20
	v_pk_add_f32 v[18:19], v[24:25], v[18:19] neg_lo:[0,1] neg_hi:[0,1]
	v_mov_b32_e32 v34, v30
	v_pk_add_f32 v[20:21], v[34:35], v[18:19]
	s_mov_b32 s2, 0x33800000
	v_mov_b32_e32 v24, v21
	v_pk_add_f32 v[24:25], v[20:21], v[24:25]
	v_cmp_lt_f32_e64 s[54:55], |v36|, s2
	v_pk_add_f32 v[22:23], v[22:23], v[24:25]
	v_mov_b32_e32 v19, v24
	v_mov_b32_e32 v21, v22
	v_pk_add_f32 v[26:27], v[20:21], v[30:31] neg_lo:[0,1] neg_hi:[0,1]
	s_or_b64 s[50:51], s[50:51], s[54:55]
	v_sub_f32_e32 v17, v20, v26
	v_pk_add_f32 v[18:19], v[18:19], v[26:27] neg_lo:[0,1] neg_hi:[0,1]
	v_sub_f32_e32 v17, v30, v17
	v_add_f32_e32 v17, v18, v17
	v_add_f32_e32 v17, v17, v19
	;; [unrolled: 1-line block ×3, first 2 shown]
	v_cndmask_b32_e64 v17, v17, v36, s[50:51]
	v_add_f32_e32 v16, v16, v17
	v_cvt_f16_f32_e32 v30, v16
	v_cvt_f32_f16_e32 v32, v30
	v_mov_b32_e32 v31, v30
.LBB438_50:
	s_or_b64 exec, exec, s[52:53]
	v_cvt_f32_f16_e32 v16, v3
	v_max_f32_e32 v17, v32, v32
	v_cmp_u_f16_e64 s[52:53], v30, v30
	v_cmp_u_f16_e64 s[50:51], v3, v3
	v_min_f32_e32 v18, v17, v16
	v_max_f32_e32 v17, v17, v16
	v_cndmask_b32_e64 v18, v18, v32, s[52:53]
	v_cndmask_b32_e64 v17, v17, v32, s[52:53]
	;; [unrolled: 1-line block ×4, first 2 shown]
	v_cmp_neq_f32_e64 s[52:53], v18, v17
	v_cmp_class_f32_e64 s[54:55], v18, s33
	s_or_b64 s[52:53], s[52:53], s[54:55]
	s_and_saveexec_b64 s[54:55], s[52:53]
	s_cbranch_execz .LBB438_52
; %bb.51:
	v_sub_f32_e32 v18, v18, v17
	s_mov_b32 s2, 0x3fb8aa3b
	v_mul_f32_e32 v19, 0x3fb8aa3b, v18
	v_fma_f32 v20, v18, s2, -v19
	v_rndne_f32_e32 v21, v19
	v_fmamk_f32 v20, v18, 0x32a5705f, v20
	v_sub_f32_e32 v19, v19, v21
	v_add_f32_e32 v19, v19, v20
	v_exp_f32_e32 v19, v19
	v_cvt_i32_f32_e32 v20, v21
	s_mov_b32 s2, 0xc2ce8ed0
	v_cmp_ngt_f32_e64 s[52:53], s2, v18
	s_mov_b32 s2, 0x42b17218
	v_ldexp_f32 v19, v19, v20
	v_cndmask_b32_e64 v19, 0, v19, s[52:53]
	v_mov_b32_e32 v20, 0x7f800000
	v_cmp_nlt_f32_e64 s[52:53], s2, v18
	s_mov_b32 s2, 0x3f2aaaab
	s_mov_b32 s3, 0x7f800000
	v_cndmask_b32_e64 v36, v20, v19, s[52:53]
	v_add_f32_e32 v20, 1.0, v36
	v_add_f32_e32 v18, -1.0, v20
	v_sub_f32_e32 v19, v18, v20
	v_add_f32_e32 v19, 1.0, v19
	v_sub_f32_e32 v18, v36, v18
	v_add_f32_e32 v21, v18, v19
	v_frexp_mant_f32_e32 v22, v20
	v_cvt_f64_f32_e32 v[18:19], v20
	v_frexp_exp_i32_f64_e32 v18, v[18:19]
	v_cmp_gt_f32_e64 s[52:53], s2, v22
	s_mov_b32 s2, 0x3f317218
	s_nop 0
	v_subbrev_co_u32_e64 v26, s[52:53], 0, v18, s[52:53]
	v_sub_u32_e32 v18, 0, v26
	v_ldexp_f32 v19, v20, v18
	v_add_f32_e32 v20, -1.0, v19
	v_add_f32_e32 v22, 1.0, v19
	v_ldexp_f32 v18, v21, v18
	v_add_f32_e32 v21, 1.0, v20
	v_add_f32_e32 v23, -1.0, v22
	v_sub_f32_e32 v21, v19, v21
	v_sub_f32_e32 v19, v19, v23
	v_add_f32_e32 v21, v18, v21
	v_add_f32_e32 v18, v18, v19
	;; [unrolled: 1-line block ×3, first 2 shown]
	v_rcp_f32_e32 v31, v27
	v_sub_f32_e32 v19, v22, v27
	v_add_f32_e32 v30, v18, v19
	v_add_f32_e32 v19, v20, v21
	v_mul_f32_e32 v33, v19, v31
	v_sub_f32_e32 v18, v20, v19
	v_mul_f32_e32 v20, v27, v33
	v_fma_f32 v22, v33, v27, -v20
	v_fmac_f32_e32 v22, v33, v30
	v_add_f32_e32 v32, v21, v18
	v_add_f32_e32 v18, v20, v22
	v_sub_f32_e32 v21, v19, v18
	v_pk_add_f32 v[24:25], v[18:19], v[20:21] neg_lo:[0,1] neg_hi:[0,1]
	v_mov_b32_e32 v23, v18
	v_pk_add_f32 v[18:19], v[24:25], v[22:23] neg_lo:[0,1] neg_hi:[0,1]
	v_cmp_eq_f32_e64 s[52:53], s3, v36
	v_add_f32_e32 v19, v32, v19
	v_add_f32_e32 v18, v18, v19
	;; [unrolled: 1-line block ×3, first 2 shown]
	v_mul_f32_e32 v32, v31, v19
	v_mul_f32_e32 v20, v27, v32
	v_fma_f32 v22, v32, v27, -v20
	v_fmac_f32_e32 v22, v32, v30
	v_sub_f32_e32 v21, v21, v19
	v_add_f32_e32 v27, v18, v21
	v_add_f32_e32 v18, v20, v22
	v_sub_f32_e32 v21, v19, v18
	v_pk_add_f32 v[24:25], v[18:19], v[20:21] neg_lo:[0,1] neg_hi:[0,1]
	v_mov_b32_e32 v23, v18
	v_pk_add_f32 v[18:19], v[24:25], v[22:23] neg_lo:[0,1] neg_hi:[0,1]
	v_cvt_f32_i32_e32 v20, v26
	v_add_f32_e32 v19, v27, v19
	v_add_f32_e32 v18, v18, v19
	v_add_f32_e32 v18, v21, v18
	v_add_f32_e32 v21, v33, v32
	v_sub_f32_e32 v19, v21, v33
	v_mul_f32_e32 v18, v31, v18
	v_sub_f32_e32 v19, v32, v19
	v_add_f32_e32 v18, v19, v18
	v_add_f32_e32 v22, v21, v18
	v_mul_f32_e32 v24, v22, v22
	v_mov_b32_e32 v19, 0x3ecc95a3
	v_sub_f32_e32 v21, v22, v21
	v_fmac_f32_e32 v19, 0x3e9b6dac, v24
	v_sub_f32_e32 v18, v18, v21
	v_fmaak_f32 v19, v24, v19, 0x3f2aaada
	v_ldexp_f32 v25, v18, 1
	v_mul_f32_e32 v21, v22, v24
	v_mov_b32_e32 v18, 0x3f317218
	v_pk_mul_f32 v[18:19], v[20:21], v[18:19]
	v_ldexp_f32 v23, v22, 1
	v_fma_f32 v21, v20, s2, -v18
	v_fmamk_f32 v22, v20, 0xb102e308, v21
	v_pk_add_f32 v[20:21], v[18:19], v[22:23]
	v_mov_b32_e32 v24, v18
	v_sub_f32_e32 v23, v21, v23
	v_sub_f32_e32 v23, v19, v23
	v_add_f32_e32 v25, v25, v23
	v_pk_add_f32 v[18:19], v[20:21], v[18:19] neg_lo:[0,1] neg_hi:[0,1]
	v_pk_add_f32 v[26:27], v[20:21], v[24:25]
	v_mov_b32_e32 v23, v20
	v_mov_b32_e32 v19, v27
	v_pk_add_f32 v[30:31], v[22:23], v[18:19] neg_lo:[0,1] neg_hi:[0,1]
	v_pk_add_f32 v[18:19], v[22:23], v[18:19]
	v_mov_b32_e32 v24, v25
	v_mov_b32_e32 v22, v19
	v_pk_add_f32 v[32:33], v[22:23], v[20:21] neg_lo:[0,1] neg_hi:[0,1]
	v_mov_b32_e32 v18, v27
	v_mov_b32_e32 v23, v32
	v_pk_add_f32 v[34:35], v[26:27], v[22:23] neg_lo:[0,1] neg_hi:[0,1]
	v_mov_b32_e32 v26, v21
	v_mov_b32_e32 v27, v32
	;; [unrolled: 1-line block ×3, first 2 shown]
	v_pk_add_f32 v[18:19], v[18:19], v[26:27] neg_lo:[0,1] neg_hi:[0,1]
	v_mov_b32_e32 v25, v20
	v_pk_add_f32 v[18:19], v[24:25], v[18:19] neg_lo:[0,1] neg_hi:[0,1]
	v_mov_b32_e32 v34, v30
	v_pk_add_f32 v[20:21], v[34:35], v[18:19]
	s_mov_b32 s2, 0x33800000
	v_mov_b32_e32 v24, v21
	v_pk_add_f32 v[24:25], v[20:21], v[24:25]
	v_cmp_lt_f32_e64 s[56:57], |v36|, s2
	v_pk_add_f32 v[22:23], v[22:23], v[24:25]
	v_mov_b32_e32 v19, v24
	v_mov_b32_e32 v21, v22
	v_pk_add_f32 v[26:27], v[20:21], v[30:31] neg_lo:[0,1] neg_hi:[0,1]
	s_or_b64 s[52:53], s[52:53], s[56:57]
	v_sub_f32_e32 v20, v20, v26
	v_pk_add_f32 v[18:19], v[18:19], v[26:27] neg_lo:[0,1] neg_hi:[0,1]
	v_sub_f32_e32 v20, v30, v20
	v_add_f32_e32 v18, v18, v20
	v_add_f32_e32 v18, v18, v19
	;; [unrolled: 1-line block ×3, first 2 shown]
	v_cndmask_b32_e64 v18, v18, v36, s[52:53]
	v_add_f32_e32 v17, v17, v18
	v_cvt_f16_f32_e32 v30, v17
	v_cvt_f32_f16_e32 v32, v30
	v_mov_b32_e32 v31, v30
.LBB438_52:
	s_or_b64 exec, exec, s[54:55]
	v_cvt_f32_f16_sdwa v17, v3 dst_sel:DWORD dst_unused:UNUSED_PAD src0_sel:WORD_1
	v_max_f32_e32 v19, v32, v32
	v_cmp_u_f16_e64 s[54:55], v30, v30
	v_cmp_u_f16_sdwa s[52:53], v3, v3 src0_sel:WORD_1 src1_sel:WORD_1
	v_min_f32_e32 v18, v19, v17
	v_max_f32_e32 v3, v19, v17
	v_cndmask_b32_e64 v18, v18, v32, s[54:55]
	v_cndmask_b32_e64 v3, v3, v32, s[54:55]
	;; [unrolled: 1-line block ×4, first 2 shown]
	v_cmp_neq_f32_e64 s[54:55], v18, v3
	v_cmp_class_f32_e64 s[56:57], v18, s33
	s_or_b64 s[54:55], s[54:55], s[56:57]
	s_and_saveexec_b64 s[56:57], s[54:55]
	s_cbranch_execz .LBB438_54
; %bb.53:
	v_sub_f32_e32 v18, v18, v3
	s_mov_b32 s2, 0x3fb8aa3b
	v_mul_f32_e32 v19, 0x3fb8aa3b, v18
	v_fma_f32 v20, v18, s2, -v19
	v_rndne_f32_e32 v21, v19
	v_fmamk_f32 v20, v18, 0x32a5705f, v20
	v_sub_f32_e32 v19, v19, v21
	v_add_f32_e32 v19, v19, v20
	v_exp_f32_e32 v19, v19
	v_cvt_i32_f32_e32 v20, v21
	s_mov_b32 s2, 0xc2ce8ed0
	v_cmp_ngt_f32_e64 s[54:55], s2, v18
	s_mov_b32 s2, 0x42b17218
	v_ldexp_f32 v19, v19, v20
	v_cndmask_b32_e64 v19, 0, v19, s[54:55]
	v_mov_b32_e32 v20, 0x7f800000
	v_cmp_nlt_f32_e64 s[54:55], s2, v18
	s_mov_b32 s2, 0x3f2aaaab
	s_mov_b32 s3, 0x7f800000
	v_cndmask_b32_e64 v36, v20, v19, s[54:55]
	v_add_f32_e32 v20, 1.0, v36
	v_add_f32_e32 v18, -1.0, v20
	v_sub_f32_e32 v19, v18, v20
	v_add_f32_e32 v19, 1.0, v19
	v_sub_f32_e32 v18, v36, v18
	v_add_f32_e32 v21, v18, v19
	v_frexp_mant_f32_e32 v22, v20
	v_cvt_f64_f32_e32 v[18:19], v20
	v_frexp_exp_i32_f64_e32 v18, v[18:19]
	v_cmp_gt_f32_e64 s[54:55], s2, v22
	s_mov_b32 s2, 0x3f317218
	s_nop 0
	v_subbrev_co_u32_e64 v26, s[54:55], 0, v18, s[54:55]
	v_sub_u32_e32 v18, 0, v26
	v_ldexp_f32 v19, v20, v18
	v_add_f32_e32 v20, -1.0, v19
	v_add_f32_e32 v22, 1.0, v19
	v_ldexp_f32 v18, v21, v18
	v_add_f32_e32 v21, 1.0, v20
	v_add_f32_e32 v23, -1.0, v22
	v_sub_f32_e32 v21, v19, v21
	v_sub_f32_e32 v19, v19, v23
	v_add_f32_e32 v21, v18, v21
	v_add_f32_e32 v18, v18, v19
	;; [unrolled: 1-line block ×3, first 2 shown]
	v_rcp_f32_e32 v31, v27
	v_sub_f32_e32 v19, v22, v27
	v_add_f32_e32 v30, v18, v19
	v_add_f32_e32 v19, v20, v21
	v_mul_f32_e32 v33, v19, v31
	v_sub_f32_e32 v18, v20, v19
	v_mul_f32_e32 v20, v27, v33
	v_fma_f32 v22, v33, v27, -v20
	v_fmac_f32_e32 v22, v33, v30
	v_add_f32_e32 v32, v21, v18
	v_add_f32_e32 v18, v20, v22
	v_sub_f32_e32 v21, v19, v18
	v_pk_add_f32 v[24:25], v[18:19], v[20:21] neg_lo:[0,1] neg_hi:[0,1]
	v_mov_b32_e32 v23, v18
	v_pk_add_f32 v[18:19], v[24:25], v[22:23] neg_lo:[0,1] neg_hi:[0,1]
	v_cmp_eq_f32_e64 s[54:55], s3, v36
	v_add_f32_e32 v19, v32, v19
	v_add_f32_e32 v18, v18, v19
	;; [unrolled: 1-line block ×3, first 2 shown]
	v_mul_f32_e32 v32, v31, v19
	v_mul_f32_e32 v20, v27, v32
	v_fma_f32 v22, v32, v27, -v20
	v_fmac_f32_e32 v22, v32, v30
	v_sub_f32_e32 v21, v21, v19
	v_add_f32_e32 v27, v18, v21
	v_add_f32_e32 v18, v20, v22
	v_sub_f32_e32 v21, v19, v18
	v_pk_add_f32 v[24:25], v[18:19], v[20:21] neg_lo:[0,1] neg_hi:[0,1]
	v_mov_b32_e32 v23, v18
	v_pk_add_f32 v[18:19], v[24:25], v[22:23] neg_lo:[0,1] neg_hi:[0,1]
	v_cvt_f32_i32_e32 v20, v26
	v_add_f32_e32 v19, v27, v19
	v_add_f32_e32 v18, v18, v19
	;; [unrolled: 1-line block ×4, first 2 shown]
	v_sub_f32_e32 v19, v21, v33
	v_mul_f32_e32 v18, v31, v18
	v_sub_f32_e32 v19, v32, v19
	v_add_f32_e32 v18, v19, v18
	v_add_f32_e32 v22, v21, v18
	v_mul_f32_e32 v24, v22, v22
	v_mov_b32_e32 v19, 0x3ecc95a3
	v_sub_f32_e32 v21, v22, v21
	v_fmac_f32_e32 v19, 0x3e9b6dac, v24
	v_sub_f32_e32 v18, v18, v21
	v_fmaak_f32 v19, v24, v19, 0x3f2aaada
	v_ldexp_f32 v25, v18, 1
	v_mul_f32_e32 v21, v22, v24
	v_mov_b32_e32 v18, 0x3f317218
	v_pk_mul_f32 v[18:19], v[20:21], v[18:19]
	v_ldexp_f32 v23, v22, 1
	v_fma_f32 v21, v20, s2, -v18
	v_fmamk_f32 v22, v20, 0xb102e308, v21
	v_pk_add_f32 v[20:21], v[18:19], v[22:23]
	v_mov_b32_e32 v24, v18
	v_sub_f32_e32 v23, v21, v23
	v_sub_f32_e32 v23, v19, v23
	v_add_f32_e32 v25, v25, v23
	v_pk_add_f32 v[18:19], v[20:21], v[18:19] neg_lo:[0,1] neg_hi:[0,1]
	v_pk_add_f32 v[26:27], v[20:21], v[24:25]
	v_mov_b32_e32 v23, v20
	v_mov_b32_e32 v19, v27
	v_pk_add_f32 v[30:31], v[22:23], v[18:19] neg_lo:[0,1] neg_hi:[0,1]
	v_pk_add_f32 v[18:19], v[22:23], v[18:19]
	v_mov_b32_e32 v24, v25
	v_mov_b32_e32 v22, v19
	v_pk_add_f32 v[32:33], v[22:23], v[20:21] neg_lo:[0,1] neg_hi:[0,1]
	v_mov_b32_e32 v18, v27
	v_mov_b32_e32 v23, v32
	v_pk_add_f32 v[34:35], v[26:27], v[22:23] neg_lo:[0,1] neg_hi:[0,1]
	v_mov_b32_e32 v26, v21
	v_mov_b32_e32 v27, v32
	;; [unrolled: 1-line block ×3, first 2 shown]
	v_pk_add_f32 v[18:19], v[18:19], v[26:27] neg_lo:[0,1] neg_hi:[0,1]
	v_mov_b32_e32 v25, v20
	v_pk_add_f32 v[18:19], v[24:25], v[18:19] neg_lo:[0,1] neg_hi:[0,1]
	v_mov_b32_e32 v34, v30
	v_pk_add_f32 v[20:21], v[34:35], v[18:19]
	s_mov_b32 s2, 0x33800000
	v_mov_b32_e32 v24, v21
	v_pk_add_f32 v[24:25], v[20:21], v[24:25]
	v_cmp_lt_f32_e64 s[58:59], |v36|, s2
	v_pk_add_f32 v[22:23], v[22:23], v[24:25]
	v_mov_b32_e32 v19, v24
	v_mov_b32_e32 v21, v22
	v_pk_add_f32 v[26:27], v[20:21], v[30:31] neg_lo:[0,1] neg_hi:[0,1]
	s_or_b64 s[54:55], s[54:55], s[58:59]
	v_sub_f32_e32 v20, v20, v26
	v_pk_add_f32 v[18:19], v[18:19], v[26:27] neg_lo:[0,1] neg_hi:[0,1]
	v_sub_f32_e32 v20, v30, v20
	v_add_f32_e32 v18, v18, v20
	v_add_f32_e32 v18, v18, v19
	;; [unrolled: 1-line block ×3, first 2 shown]
	v_cndmask_b32_e64 v18, v18, v36, s[54:55]
	v_add_f32_e32 v3, v3, v18
	v_cvt_f16_f32_e32 v30, v3
	v_cvt_f32_f16_e32 v32, v30
	v_mov_b32_e32 v31, v30
.LBB438_54:
	s_or_b64 exec, exec, s[56:57]
	v_cvt_f32_f16_e32 v3, v4
	v_max_f32_e32 v18, v32, v32
	v_cmp_u_f16_e64 s[56:57], v30, v30
	v_cmp_u_f16_e64 s[54:55], v4, v4
	v_min_f32_e32 v19, v18, v3
	v_max_f32_e32 v18, v18, v3
	v_cndmask_b32_e64 v19, v19, v32, s[56:57]
	v_cndmask_b32_e64 v18, v18, v32, s[56:57]
	;; [unrolled: 1-line block ×4, first 2 shown]
	v_cmp_neq_f32_e64 s[56:57], v19, v18
	v_cmp_class_f32_e64 s[58:59], v19, s33
	s_or_b64 s[56:57], s[56:57], s[58:59]
	s_and_saveexec_b64 s[58:59], s[56:57]
	s_cbranch_execz .LBB438_56
; %bb.55:
	v_sub_f32_e32 v19, v19, v18
	s_mov_b32 s2, 0x3fb8aa3b
	v_mul_f32_e32 v20, 0x3fb8aa3b, v19
	v_fma_f32 v21, v19, s2, -v20
	v_rndne_f32_e32 v22, v20
	v_fmamk_f32 v21, v19, 0x32a5705f, v21
	v_sub_f32_e32 v20, v20, v22
	v_add_f32_e32 v20, v20, v21
	v_exp_f32_e32 v20, v20
	v_cvt_i32_f32_e32 v21, v22
	s_mov_b32 s2, 0xc2ce8ed0
	v_cmp_ngt_f32_e64 s[56:57], s2, v19
	s_mov_b32 s2, 0x42b17218
	v_ldexp_f32 v20, v20, v21
	v_cndmask_b32_e64 v20, 0, v20, s[56:57]
	v_mov_b32_e32 v21, 0x7f800000
	v_cmp_nlt_f32_e64 s[56:57], s2, v19
	s_mov_b32 s2, 0x3f2aaaab
	s_mov_b32 s3, 0x7f800000
	v_cndmask_b32_e64 v38, v21, v20, s[56:57]
	v_add_f32_e32 v19, 1.0, v38
	v_add_f32_e32 v20, -1.0, v19
	v_sub_f32_e32 v21, v20, v19
	v_add_f32_e32 v21, 1.0, v21
	v_sub_f32_e32 v20, v38, v20
	v_add_f32_e32 v22, v20, v21
	v_frexp_mant_f32_e32 v23, v19
	v_cvt_f64_f32_e32 v[20:21], v19
	v_frexp_exp_i32_f64_e32 v20, v[20:21]
	v_cmp_gt_f32_e64 s[56:57], s2, v23
	s_mov_b32 s2, 0x3f317218
	s_nop 0
	v_subbrev_co_u32_e64 v30, s[56:57], 0, v20, s[56:57]
	v_sub_u32_e32 v20, 0, v30
	v_ldexp_f32 v19, v19, v20
	v_ldexp_f32 v20, v22, v20
	v_add_f32_e32 v22, -1.0, v19
	v_add_f32_e32 v21, 1.0, v22
	v_sub_f32_e32 v21, v19, v21
	v_add_f32_e32 v23, v20, v21
	v_add_f32_e32 v21, 1.0, v19
	v_add_f32_e32 v24, -1.0, v21
	v_sub_f32_e32 v19, v19, v24
	v_add_f32_e32 v19, v20, v19
	v_add_f32_e32 v31, v21, v19
	v_rcp_f32_e32 v32, v31
	v_sub_f32_e32 v20, v21, v31
	v_add_f32_e32 v21, v22, v23
	v_add_f32_e32 v19, v19, v20
	v_mul_f32_e32 v34, v21, v32
	v_sub_f32_e32 v20, v22, v21
	v_mul_f32_e32 v22, v31, v34
	v_fma_f32 v24, v34, v31, -v22
	v_fmac_f32_e32 v24, v34, v19
	v_add_f32_e32 v33, v23, v20
	v_add_f32_e32 v20, v22, v24
	v_sub_f32_e32 v23, v21, v20
	v_pk_add_f32 v[26:27], v[20:21], v[22:23] neg_lo:[0,1] neg_hi:[0,1]
	v_mov_b32_e32 v25, v20
	v_pk_add_f32 v[20:21], v[26:27], v[24:25] neg_lo:[0,1] neg_hi:[0,1]
	v_cmp_eq_f32_e64 s[56:57], s3, v38
	v_add_f32_e32 v21, v33, v21
	v_add_f32_e32 v20, v20, v21
	v_add_f32_e32 v21, v23, v20
	v_mul_f32_e32 v33, v32, v21
	v_mul_f32_e32 v22, v31, v33
	v_fma_f32 v24, v33, v31, -v22
	v_fmac_f32_e32 v24, v33, v19
	v_sub_f32_e32 v19, v23, v21
	v_add_f32_e32 v19, v20, v19
	v_add_f32_e32 v20, v22, v24
	v_sub_f32_e32 v23, v21, v20
	v_pk_add_f32 v[26:27], v[20:21], v[22:23] neg_lo:[0,1] neg_hi:[0,1]
	v_mov_b32_e32 v25, v20
	v_pk_add_f32 v[20:21], v[26:27], v[24:25] neg_lo:[0,1] neg_hi:[0,1]
	v_cvt_f32_i32_e32 v22, v30
	v_add_f32_e32 v19, v19, v21
	v_add_f32_e32 v19, v20, v19
	;; [unrolled: 1-line block ×4, first 2 shown]
	v_sub_f32_e32 v21, v20, v34
	v_mul_f32_e32 v19, v32, v19
	v_sub_f32_e32 v21, v33, v21
	v_add_f32_e32 v19, v21, v19
	v_add_f32_e32 v23, v20, v19
	v_mul_f32_e32 v24, v23, v23
	v_mov_b32_e32 v21, 0x3ecc95a3
	v_fmac_f32_e32 v21, 0x3e9b6dac, v24
	v_sub_f32_e32 v20, v23, v20
	v_fmaak_f32 v21, v24, v21, 0x3f2aaada
	v_sub_f32_e32 v19, v19, v20
	v_ldexp_f32 v25, v23, 1
	v_mul_f32_e32 v23, v23, v24
	v_mov_b32_e32 v20, 0x3f317218
	v_pk_mul_f32 v[20:21], v[22:23], v[20:21]
	v_ldexp_f32 v19, v19, 1
	v_fma_f32 v23, v22, s2, -v20
	v_fmamk_f32 v24, v22, 0xb102e308, v23
	v_pk_add_f32 v[22:23], v[20:21], v[24:25]
	v_mov_b32_e32 v26, v20
	v_sub_f32_e32 v25, v23, v25
	v_sub_f32_e32 v25, v21, v25
	v_add_f32_e32 v27, v19, v25
	v_pk_add_f32 v[20:21], v[22:23], v[20:21] neg_lo:[0,1] neg_hi:[0,1]
	v_pk_add_f32 v[30:31], v[22:23], v[26:27]
	v_mov_b32_e32 v25, v22
	v_mov_b32_e32 v21, v31
	v_pk_add_f32 v[32:33], v[24:25], v[20:21] neg_lo:[0,1] neg_hi:[0,1]
	v_pk_add_f32 v[20:21], v[24:25], v[20:21]
	v_mov_b32_e32 v26, v27
	v_mov_b32_e32 v24, v21
	v_pk_add_f32 v[34:35], v[24:25], v[22:23] neg_lo:[0,1] neg_hi:[0,1]
	v_mov_b32_e32 v20, v31
	v_mov_b32_e32 v19, v34
	v_pk_add_f32 v[36:37], v[30:31], v[18:19] neg_lo:[0,1] neg_hi:[0,1]
	v_mov_b32_e32 v30, v23
	v_mov_b32_e32 v31, v34
	;; [unrolled: 1-line block ×3, first 2 shown]
	v_pk_add_f32 v[20:21], v[20:21], v[30:31] neg_lo:[0,1] neg_hi:[0,1]
	v_mov_b32_e32 v27, v22
	v_pk_add_f32 v[20:21], v[26:27], v[20:21] neg_lo:[0,1] neg_hi:[0,1]
	v_mov_b32_e32 v36, v32
	v_pk_add_f32 v[22:23], v[36:37], v[20:21]
	s_mov_b32 s2, 0x33800000
	v_mov_b32_e32 v26, v23
	v_pk_add_f32 v[26:27], v[22:23], v[26:27]
	v_cmp_lt_f32_e64 s[60:61], |v38|, s2
	v_pk_add_f32 v[24:25], v[24:25], v[26:27]
	v_mov_b32_e32 v21, v26
	v_mov_b32_e32 v23, v24
	v_pk_add_f32 v[30:31], v[22:23], v[32:33] neg_lo:[0,1] neg_hi:[0,1]
	s_or_b64 s[56:57], s[56:57], s[60:61]
	v_sub_f32_e32 v19, v22, v30
	v_pk_add_f32 v[20:21], v[20:21], v[30:31] neg_lo:[0,1] neg_hi:[0,1]
	v_sub_f32_e32 v19, v32, v19
	v_add_f32_e32 v19, v20, v19
	v_add_f32_e32 v19, v19, v21
	;; [unrolled: 1-line block ×3, first 2 shown]
	v_cndmask_b32_e64 v19, v19, v38, s[56:57]
	v_add_f32_e32 v18, v18, v19
	v_cvt_f16_f32_e32 v30, v18
	v_cvt_f32_f16_e32 v32, v30
	v_mov_b32_e32 v31, v30
.LBB438_56:
	s_or_b64 exec, exec, s[58:59]
	v_cvt_f32_f16_sdwa v18, v4 dst_sel:DWORD dst_unused:UNUSED_PAD src0_sel:WORD_1
	v_max_f32_e32 v20, v32, v32
	v_cmp_u_f16_e64 s[58:59], v30, v30
	v_cmp_u_f16_sdwa s[56:57], v4, v4 src0_sel:WORD_1 src1_sel:WORD_1
	v_min_f32_e32 v19, v20, v18
	v_max_f32_e32 v4, v20, v18
	v_cndmask_b32_e64 v19, v19, v32, s[58:59]
	v_cndmask_b32_e64 v4, v4, v32, s[58:59]
	;; [unrolled: 1-line block ×4, first 2 shown]
	v_cmp_neq_f32_e64 s[58:59], v19, v4
	v_cmp_class_f32_e64 s[60:61], v19, s33
	s_or_b64 s[58:59], s[58:59], s[60:61]
	s_and_saveexec_b64 s[60:61], s[58:59]
	s_cbranch_execz .LBB438_58
; %bb.57:
	v_sub_f32_e32 v19, v19, v4
	s_mov_b32 s2, 0x3fb8aa3b
	v_mul_f32_e32 v20, 0x3fb8aa3b, v19
	v_fma_f32 v21, v19, s2, -v20
	v_rndne_f32_e32 v22, v20
	v_fmamk_f32 v21, v19, 0x32a5705f, v21
	v_sub_f32_e32 v20, v20, v22
	v_add_f32_e32 v20, v20, v21
	v_exp_f32_e32 v20, v20
	v_cvt_i32_f32_e32 v21, v22
	s_mov_b32 s2, 0xc2ce8ed0
	v_cmp_ngt_f32_e64 s[58:59], s2, v19
	s_mov_b32 s2, 0x42b17218
	v_ldexp_f32 v20, v20, v21
	v_cndmask_b32_e64 v20, 0, v20, s[58:59]
	v_mov_b32_e32 v21, 0x7f800000
	v_cmp_nlt_f32_e64 s[58:59], s2, v19
	s_mov_b32 s2, 0x3f2aaaab
	s_mov_b32 s3, 0x7f800000
	v_cndmask_b32_e64 v38, v21, v20, s[58:59]
	v_add_f32_e32 v19, 1.0, v38
	v_add_f32_e32 v20, -1.0, v19
	v_sub_f32_e32 v21, v20, v19
	v_add_f32_e32 v21, 1.0, v21
	v_sub_f32_e32 v20, v38, v20
	v_add_f32_e32 v22, v20, v21
	v_frexp_mant_f32_e32 v23, v19
	v_cvt_f64_f32_e32 v[20:21], v19
	v_frexp_exp_i32_f64_e32 v20, v[20:21]
	v_cmp_gt_f32_e64 s[58:59], s2, v23
	s_mov_b32 s2, 0x3f317218
	s_nop 0
	v_subbrev_co_u32_e64 v30, s[58:59], 0, v20, s[58:59]
	v_sub_u32_e32 v20, 0, v30
	v_ldexp_f32 v19, v19, v20
	v_ldexp_f32 v20, v22, v20
	v_add_f32_e32 v22, -1.0, v19
	v_add_f32_e32 v21, 1.0, v22
	v_sub_f32_e32 v21, v19, v21
	v_add_f32_e32 v23, v20, v21
	v_add_f32_e32 v21, 1.0, v19
	v_add_f32_e32 v24, -1.0, v21
	v_sub_f32_e32 v19, v19, v24
	v_add_f32_e32 v19, v20, v19
	v_add_f32_e32 v31, v21, v19
	v_rcp_f32_e32 v32, v31
	v_sub_f32_e32 v20, v21, v31
	v_add_f32_e32 v21, v22, v23
	v_add_f32_e32 v19, v19, v20
	v_mul_f32_e32 v34, v21, v32
	v_sub_f32_e32 v20, v22, v21
	v_mul_f32_e32 v22, v31, v34
	v_fma_f32 v24, v34, v31, -v22
	v_fmac_f32_e32 v24, v34, v19
	v_add_f32_e32 v33, v23, v20
	v_add_f32_e32 v20, v22, v24
	v_sub_f32_e32 v23, v21, v20
	v_pk_add_f32 v[26:27], v[20:21], v[22:23] neg_lo:[0,1] neg_hi:[0,1]
	v_mov_b32_e32 v25, v20
	v_pk_add_f32 v[20:21], v[26:27], v[24:25] neg_lo:[0,1] neg_hi:[0,1]
	v_cmp_eq_f32_e64 s[58:59], s3, v38
	v_add_f32_e32 v21, v33, v21
	v_add_f32_e32 v20, v20, v21
	;; [unrolled: 1-line block ×3, first 2 shown]
	v_mul_f32_e32 v33, v32, v21
	v_mul_f32_e32 v22, v31, v33
	v_fma_f32 v24, v33, v31, -v22
	v_fmac_f32_e32 v24, v33, v19
	v_sub_f32_e32 v19, v23, v21
	v_add_f32_e32 v19, v20, v19
	v_add_f32_e32 v20, v22, v24
	v_sub_f32_e32 v23, v21, v20
	v_pk_add_f32 v[26:27], v[20:21], v[22:23] neg_lo:[0,1] neg_hi:[0,1]
	v_mov_b32_e32 v25, v20
	v_pk_add_f32 v[20:21], v[26:27], v[24:25] neg_lo:[0,1] neg_hi:[0,1]
	v_cvt_f32_i32_e32 v22, v30
	v_add_f32_e32 v19, v19, v21
	v_add_f32_e32 v19, v20, v19
	;; [unrolled: 1-line block ×4, first 2 shown]
	v_sub_f32_e32 v21, v20, v34
	v_mul_f32_e32 v19, v32, v19
	v_sub_f32_e32 v21, v33, v21
	v_add_f32_e32 v19, v21, v19
	v_add_f32_e32 v23, v20, v19
	v_mul_f32_e32 v24, v23, v23
	v_mov_b32_e32 v21, 0x3ecc95a3
	v_fmac_f32_e32 v21, 0x3e9b6dac, v24
	v_sub_f32_e32 v20, v23, v20
	v_fmaak_f32 v21, v24, v21, 0x3f2aaada
	v_sub_f32_e32 v19, v19, v20
	v_ldexp_f32 v25, v23, 1
	v_mul_f32_e32 v23, v23, v24
	v_mov_b32_e32 v20, 0x3f317218
	v_pk_mul_f32 v[20:21], v[22:23], v[20:21]
	v_ldexp_f32 v19, v19, 1
	v_fma_f32 v23, v22, s2, -v20
	v_fmamk_f32 v24, v22, 0xb102e308, v23
	v_pk_add_f32 v[22:23], v[20:21], v[24:25]
	v_mov_b32_e32 v26, v20
	v_sub_f32_e32 v25, v23, v25
	v_sub_f32_e32 v25, v21, v25
	v_add_f32_e32 v27, v19, v25
	v_pk_add_f32 v[20:21], v[22:23], v[20:21] neg_lo:[0,1] neg_hi:[0,1]
	v_pk_add_f32 v[30:31], v[22:23], v[26:27]
	v_mov_b32_e32 v25, v22
	v_mov_b32_e32 v21, v31
	v_pk_add_f32 v[32:33], v[24:25], v[20:21] neg_lo:[0,1] neg_hi:[0,1]
	v_pk_add_f32 v[20:21], v[24:25], v[20:21]
	v_mov_b32_e32 v26, v27
	v_mov_b32_e32 v24, v21
	v_pk_add_f32 v[34:35], v[24:25], v[22:23] neg_lo:[0,1] neg_hi:[0,1]
	v_mov_b32_e32 v20, v31
	v_mov_b32_e32 v19, v34
	v_pk_add_f32 v[36:37], v[30:31], v[18:19] neg_lo:[0,1] neg_hi:[0,1]
	v_mov_b32_e32 v30, v23
	v_mov_b32_e32 v31, v34
	;; [unrolled: 1-line block ×3, first 2 shown]
	v_pk_add_f32 v[20:21], v[20:21], v[30:31] neg_lo:[0,1] neg_hi:[0,1]
	v_mov_b32_e32 v27, v22
	v_pk_add_f32 v[20:21], v[26:27], v[20:21] neg_lo:[0,1] neg_hi:[0,1]
	v_mov_b32_e32 v36, v32
	v_pk_add_f32 v[22:23], v[36:37], v[20:21]
	s_mov_b32 s2, 0x33800000
	v_mov_b32_e32 v26, v23
	v_pk_add_f32 v[26:27], v[22:23], v[26:27]
	v_cmp_lt_f32_e64 s[62:63], |v38|, s2
	v_pk_add_f32 v[24:25], v[24:25], v[26:27]
	v_mov_b32_e32 v21, v26
	v_mov_b32_e32 v23, v24
	v_pk_add_f32 v[30:31], v[22:23], v[32:33] neg_lo:[0,1] neg_hi:[0,1]
	s_or_b64 s[58:59], s[58:59], s[62:63]
	v_sub_f32_e32 v19, v22, v30
	v_pk_add_f32 v[20:21], v[20:21], v[30:31] neg_lo:[0,1] neg_hi:[0,1]
	v_sub_f32_e32 v19, v32, v19
	v_add_f32_e32 v19, v20, v19
	v_add_f32_e32 v19, v19, v21
	;; [unrolled: 1-line block ×3, first 2 shown]
	v_cndmask_b32_e64 v19, v19, v38, s[58:59]
	v_add_f32_e32 v4, v4, v19
	v_cvt_f16_f32_e32 v30, v4
	v_cvt_f32_f16_e32 v32, v30
	v_mov_b32_e32 v31, v30
.LBB438_58:
	s_or_b64 exec, exec, s[60:61]
	v_cvt_f32_f16_e32 v4, v5
	v_max_f32_e32 v19, v32, v32
	v_cmp_u_f16_e64 s[60:61], v30, v30
	v_cmp_u_f16_e64 s[58:59], v5, v5
	v_min_f32_e32 v20, v19, v4
	v_max_f32_e32 v19, v19, v4
	v_cndmask_b32_e64 v20, v20, v32, s[60:61]
	v_cndmask_b32_e64 v19, v19, v32, s[60:61]
	;; [unrolled: 1-line block ×4, first 2 shown]
	v_cmp_neq_f32_e64 s[60:61], v20, v19
	v_cmp_class_f32_e64 s[62:63], v20, s33
	s_or_b64 s[60:61], s[60:61], s[62:63]
	s_and_saveexec_b64 s[62:63], s[60:61]
	s_cbranch_execz .LBB438_60
; %bb.59:
	v_sub_f32_e32 v20, v20, v19
	s_mov_b32 s2, 0x3fb8aa3b
	v_mul_f32_e32 v21, 0x3fb8aa3b, v20
	v_fma_f32 v22, v20, s2, -v21
	v_rndne_f32_e32 v23, v21
	v_fmamk_f32 v22, v20, 0x32a5705f, v22
	v_sub_f32_e32 v21, v21, v23
	v_add_f32_e32 v21, v21, v22
	v_exp_f32_e32 v21, v21
	v_cvt_i32_f32_e32 v22, v23
	s_mov_b32 s2, 0xc2ce8ed0
	v_cmp_ngt_f32_e64 s[60:61], s2, v20
	s_mov_b32 s2, 0x42b17218
	v_ldexp_f32 v21, v21, v22
	v_cndmask_b32_e64 v21, 0, v21, s[60:61]
	v_mov_b32_e32 v22, 0x7f800000
	v_cmp_nlt_f32_e64 s[60:61], s2, v20
	s_mov_b32 s2, 0x3f2aaaab
	s_mov_b32 s3, 0x7f800000
	v_cndmask_b32_e64 v38, v22, v21, s[60:61]
	v_add_f32_e32 v22, 1.0, v38
	v_add_f32_e32 v20, -1.0, v22
	v_sub_f32_e32 v21, v20, v22
	v_add_f32_e32 v21, 1.0, v21
	v_sub_f32_e32 v20, v38, v20
	v_add_f32_e32 v23, v20, v21
	v_frexp_mant_f32_e32 v24, v22
	v_cvt_f64_f32_e32 v[20:21], v22
	v_frexp_exp_i32_f64_e32 v20, v[20:21]
	v_cmp_gt_f32_e64 s[60:61], s2, v24
	s_mov_b32 s2, 0x3f317218
	s_nop 0
	v_subbrev_co_u32_e64 v30, s[60:61], 0, v20, s[60:61]
	v_sub_u32_e32 v20, 0, v30
	v_ldexp_f32 v21, v22, v20
	v_add_f32_e32 v22, -1.0, v21
	v_add_f32_e32 v24, 1.0, v21
	v_ldexp_f32 v20, v23, v20
	v_add_f32_e32 v23, 1.0, v22
	v_add_f32_e32 v25, -1.0, v24
	v_sub_f32_e32 v23, v21, v23
	v_sub_f32_e32 v21, v21, v25
	v_add_f32_e32 v23, v20, v23
	v_add_f32_e32 v20, v20, v21
	;; [unrolled: 1-line block ×3, first 2 shown]
	v_rcp_f32_e32 v33, v31
	v_sub_f32_e32 v21, v24, v31
	v_add_f32_e32 v32, v20, v21
	v_add_f32_e32 v21, v22, v23
	v_mul_f32_e32 v35, v21, v33
	v_sub_f32_e32 v20, v22, v21
	v_mul_f32_e32 v22, v31, v35
	v_fma_f32 v24, v35, v31, -v22
	v_fmac_f32_e32 v24, v35, v32
	v_add_f32_e32 v34, v23, v20
	v_add_f32_e32 v20, v22, v24
	v_sub_f32_e32 v23, v21, v20
	v_pk_add_f32 v[26:27], v[20:21], v[22:23] neg_lo:[0,1] neg_hi:[0,1]
	v_mov_b32_e32 v25, v20
	v_pk_add_f32 v[20:21], v[26:27], v[24:25] neg_lo:[0,1] neg_hi:[0,1]
	v_cmp_eq_f32_e64 s[60:61], s3, v38
	v_add_f32_e32 v21, v34, v21
	v_add_f32_e32 v20, v20, v21
	;; [unrolled: 1-line block ×3, first 2 shown]
	v_mul_f32_e32 v34, v33, v21
	v_mul_f32_e32 v22, v31, v34
	v_fma_f32 v24, v34, v31, -v22
	v_fmac_f32_e32 v24, v34, v32
	v_sub_f32_e32 v23, v23, v21
	v_add_f32_e32 v31, v20, v23
	v_add_f32_e32 v20, v22, v24
	v_sub_f32_e32 v23, v21, v20
	v_pk_add_f32 v[26:27], v[20:21], v[22:23] neg_lo:[0,1] neg_hi:[0,1]
	v_mov_b32_e32 v25, v20
	v_pk_add_f32 v[20:21], v[26:27], v[24:25] neg_lo:[0,1] neg_hi:[0,1]
	v_cvt_f32_i32_e32 v22, v30
	v_add_f32_e32 v21, v31, v21
	v_add_f32_e32 v20, v20, v21
	;; [unrolled: 1-line block ×4, first 2 shown]
	v_sub_f32_e32 v21, v23, v35
	v_mul_f32_e32 v20, v33, v20
	v_sub_f32_e32 v21, v34, v21
	v_add_f32_e32 v20, v21, v20
	v_add_f32_e32 v24, v23, v20
	v_mul_f32_e32 v26, v24, v24
	v_mov_b32_e32 v21, 0x3ecc95a3
	v_sub_f32_e32 v23, v24, v23
	v_fmac_f32_e32 v21, 0x3e9b6dac, v26
	v_sub_f32_e32 v20, v20, v23
	v_fmaak_f32 v21, v26, v21, 0x3f2aaada
	v_ldexp_f32 v27, v20, 1
	v_mul_f32_e32 v23, v24, v26
	v_mov_b32_e32 v20, 0x3f317218
	v_pk_mul_f32 v[20:21], v[22:23], v[20:21]
	v_ldexp_f32 v25, v24, 1
	v_fma_f32 v23, v22, s2, -v20
	v_fmamk_f32 v24, v22, 0xb102e308, v23
	v_pk_add_f32 v[22:23], v[20:21], v[24:25]
	v_mov_b32_e32 v26, v20
	v_sub_f32_e32 v25, v23, v25
	v_sub_f32_e32 v25, v21, v25
	v_add_f32_e32 v27, v27, v25
	v_pk_add_f32 v[20:21], v[22:23], v[20:21] neg_lo:[0,1] neg_hi:[0,1]
	v_pk_add_f32 v[30:31], v[22:23], v[26:27]
	v_mov_b32_e32 v25, v22
	v_mov_b32_e32 v21, v31
	v_pk_add_f32 v[32:33], v[24:25], v[20:21] neg_lo:[0,1] neg_hi:[0,1]
	v_pk_add_f32 v[20:21], v[24:25], v[20:21]
	v_mov_b32_e32 v26, v27
	v_mov_b32_e32 v24, v21
	v_pk_add_f32 v[34:35], v[24:25], v[22:23] neg_lo:[0,1] neg_hi:[0,1]
	v_mov_b32_e32 v20, v31
	v_mov_b32_e32 v25, v34
	v_pk_add_f32 v[36:37], v[30:31], v[24:25] neg_lo:[0,1] neg_hi:[0,1]
	v_mov_b32_e32 v30, v23
	v_mov_b32_e32 v31, v34
	;; [unrolled: 1-line block ×3, first 2 shown]
	v_pk_add_f32 v[20:21], v[20:21], v[30:31] neg_lo:[0,1] neg_hi:[0,1]
	v_mov_b32_e32 v27, v22
	v_pk_add_f32 v[20:21], v[26:27], v[20:21] neg_lo:[0,1] neg_hi:[0,1]
	v_mov_b32_e32 v36, v32
	v_pk_add_f32 v[22:23], v[36:37], v[20:21]
	s_mov_b32 s2, 0x33800000
	v_mov_b32_e32 v26, v23
	v_pk_add_f32 v[26:27], v[22:23], v[26:27]
	v_cmp_lt_f32_e64 s[64:65], |v38|, s2
	v_pk_add_f32 v[24:25], v[24:25], v[26:27]
	v_mov_b32_e32 v21, v26
	v_mov_b32_e32 v23, v24
	v_pk_add_f32 v[30:31], v[22:23], v[32:33] neg_lo:[0,1] neg_hi:[0,1]
	s_or_b64 s[60:61], s[60:61], s[64:65]
	v_sub_f32_e32 v22, v22, v30
	v_pk_add_f32 v[20:21], v[20:21], v[30:31] neg_lo:[0,1] neg_hi:[0,1]
	v_sub_f32_e32 v22, v32, v22
	v_add_f32_e32 v20, v20, v22
	v_add_f32_e32 v20, v20, v21
	;; [unrolled: 1-line block ×3, first 2 shown]
	v_cndmask_b32_e64 v20, v20, v38, s[60:61]
	v_add_f32_e32 v19, v19, v20
	v_cvt_f16_f32_e32 v30, v19
	v_cvt_f32_f16_e32 v32, v30
	v_mov_b32_e32 v31, v30
.LBB438_60:
	s_or_b64 exec, exec, s[62:63]
	v_cvt_f32_f16_sdwa v19, v5 dst_sel:DWORD dst_unused:UNUSED_PAD src0_sel:WORD_1
	v_max_f32_e32 v21, v32, v32
	v_cmp_u_f16_e64 s[62:63], v30, v30
	v_cmp_u_f16_sdwa s[60:61], v5, v5 src0_sel:WORD_1 src1_sel:WORD_1
	v_min_f32_e32 v20, v21, v19
	v_max_f32_e32 v5, v21, v19
	v_cndmask_b32_e64 v20, v20, v32, s[62:63]
	v_cndmask_b32_e64 v5, v5, v32, s[62:63]
	;; [unrolled: 1-line block ×4, first 2 shown]
	v_cmp_neq_f32_e64 s[62:63], v20, v5
	v_cmp_class_f32_e64 s[64:65], v20, s33
	s_or_b64 s[62:63], s[62:63], s[64:65]
	s_and_saveexec_b64 s[64:65], s[62:63]
	s_cbranch_execz .LBB438_62
; %bb.61:
	v_sub_f32_e32 v20, v20, v5
	s_mov_b32 s2, 0x3fb8aa3b
	v_mul_f32_e32 v21, 0x3fb8aa3b, v20
	v_fma_f32 v22, v20, s2, -v21
	v_rndne_f32_e32 v23, v21
	v_fmamk_f32 v22, v20, 0x32a5705f, v22
	v_sub_f32_e32 v21, v21, v23
	v_add_f32_e32 v21, v21, v22
	v_exp_f32_e32 v21, v21
	v_cvt_i32_f32_e32 v22, v23
	s_mov_b32 s2, 0xc2ce8ed0
	v_cmp_ngt_f32_e64 s[62:63], s2, v20
	s_mov_b32 s2, 0x42b17218
	v_ldexp_f32 v21, v21, v22
	v_cndmask_b32_e64 v21, 0, v21, s[62:63]
	v_mov_b32_e32 v22, 0x7f800000
	v_cmp_nlt_f32_e64 s[62:63], s2, v20
	s_mov_b32 s2, 0x3f2aaaab
	s_mov_b32 s3, 0x7f800000
	v_cndmask_b32_e64 v38, v22, v21, s[62:63]
	v_add_f32_e32 v22, 1.0, v38
	v_add_f32_e32 v20, -1.0, v22
	v_sub_f32_e32 v21, v20, v22
	v_add_f32_e32 v21, 1.0, v21
	v_sub_f32_e32 v20, v38, v20
	v_add_f32_e32 v23, v20, v21
	v_frexp_mant_f32_e32 v24, v22
	v_cvt_f64_f32_e32 v[20:21], v22
	v_frexp_exp_i32_f64_e32 v20, v[20:21]
	v_cmp_gt_f32_e64 s[62:63], s2, v24
	s_mov_b32 s2, 0x3f317218
	s_nop 0
	v_subbrev_co_u32_e64 v30, s[62:63], 0, v20, s[62:63]
	v_sub_u32_e32 v20, 0, v30
	v_ldexp_f32 v21, v22, v20
	v_add_f32_e32 v22, -1.0, v21
	v_add_f32_e32 v24, 1.0, v21
	v_ldexp_f32 v20, v23, v20
	v_add_f32_e32 v23, 1.0, v22
	v_add_f32_e32 v25, -1.0, v24
	v_sub_f32_e32 v23, v21, v23
	v_sub_f32_e32 v21, v21, v25
	v_add_f32_e32 v23, v20, v23
	v_add_f32_e32 v20, v20, v21
	;; [unrolled: 1-line block ×3, first 2 shown]
	v_rcp_f32_e32 v33, v31
	v_sub_f32_e32 v21, v24, v31
	v_add_f32_e32 v32, v20, v21
	v_add_f32_e32 v21, v22, v23
	v_mul_f32_e32 v35, v21, v33
	v_sub_f32_e32 v20, v22, v21
	v_mul_f32_e32 v22, v31, v35
	v_fma_f32 v24, v35, v31, -v22
	v_fmac_f32_e32 v24, v35, v32
	v_add_f32_e32 v34, v23, v20
	v_add_f32_e32 v20, v22, v24
	v_sub_f32_e32 v23, v21, v20
	v_pk_add_f32 v[26:27], v[20:21], v[22:23] neg_lo:[0,1] neg_hi:[0,1]
	v_mov_b32_e32 v25, v20
	v_pk_add_f32 v[20:21], v[26:27], v[24:25] neg_lo:[0,1] neg_hi:[0,1]
	v_cmp_eq_f32_e64 s[62:63], s3, v38
	v_add_f32_e32 v21, v34, v21
	v_add_f32_e32 v20, v20, v21
	;; [unrolled: 1-line block ×3, first 2 shown]
	v_mul_f32_e32 v34, v33, v21
	v_mul_f32_e32 v22, v31, v34
	v_fma_f32 v24, v34, v31, -v22
	v_fmac_f32_e32 v24, v34, v32
	v_sub_f32_e32 v23, v23, v21
	v_add_f32_e32 v31, v20, v23
	v_add_f32_e32 v20, v22, v24
	v_sub_f32_e32 v23, v21, v20
	v_pk_add_f32 v[26:27], v[20:21], v[22:23] neg_lo:[0,1] neg_hi:[0,1]
	v_mov_b32_e32 v25, v20
	v_pk_add_f32 v[20:21], v[26:27], v[24:25] neg_lo:[0,1] neg_hi:[0,1]
	v_cvt_f32_i32_e32 v22, v30
	v_add_f32_e32 v21, v31, v21
	v_add_f32_e32 v20, v20, v21
	;; [unrolled: 1-line block ×4, first 2 shown]
	v_sub_f32_e32 v21, v23, v35
	v_mul_f32_e32 v20, v33, v20
	v_sub_f32_e32 v21, v34, v21
	v_add_f32_e32 v20, v21, v20
	v_add_f32_e32 v24, v23, v20
	v_mul_f32_e32 v26, v24, v24
	v_mov_b32_e32 v21, 0x3ecc95a3
	v_sub_f32_e32 v23, v24, v23
	v_fmac_f32_e32 v21, 0x3e9b6dac, v26
	v_sub_f32_e32 v20, v20, v23
	v_fmaak_f32 v21, v26, v21, 0x3f2aaada
	v_ldexp_f32 v27, v20, 1
	v_mul_f32_e32 v23, v24, v26
	v_mov_b32_e32 v20, 0x3f317218
	v_pk_mul_f32 v[20:21], v[22:23], v[20:21]
	v_ldexp_f32 v25, v24, 1
	v_fma_f32 v23, v22, s2, -v20
	v_fmamk_f32 v24, v22, 0xb102e308, v23
	v_pk_add_f32 v[22:23], v[20:21], v[24:25]
	v_mov_b32_e32 v26, v20
	v_sub_f32_e32 v25, v23, v25
	v_sub_f32_e32 v25, v21, v25
	v_add_f32_e32 v27, v27, v25
	v_pk_add_f32 v[20:21], v[22:23], v[20:21] neg_lo:[0,1] neg_hi:[0,1]
	v_pk_add_f32 v[30:31], v[22:23], v[26:27]
	v_mov_b32_e32 v25, v22
	v_mov_b32_e32 v21, v31
	v_pk_add_f32 v[32:33], v[24:25], v[20:21] neg_lo:[0,1] neg_hi:[0,1]
	v_pk_add_f32 v[20:21], v[24:25], v[20:21]
	v_mov_b32_e32 v26, v27
	v_mov_b32_e32 v24, v21
	v_pk_add_f32 v[34:35], v[24:25], v[22:23] neg_lo:[0,1] neg_hi:[0,1]
	v_mov_b32_e32 v20, v31
	v_mov_b32_e32 v25, v34
	v_pk_add_f32 v[36:37], v[30:31], v[24:25] neg_lo:[0,1] neg_hi:[0,1]
	v_mov_b32_e32 v30, v23
	v_mov_b32_e32 v31, v34
	;; [unrolled: 1-line block ×3, first 2 shown]
	v_pk_add_f32 v[20:21], v[20:21], v[30:31] neg_lo:[0,1] neg_hi:[0,1]
	v_mov_b32_e32 v27, v22
	v_pk_add_f32 v[20:21], v[26:27], v[20:21] neg_lo:[0,1] neg_hi:[0,1]
	v_mov_b32_e32 v36, v32
	v_pk_add_f32 v[22:23], v[36:37], v[20:21]
	s_mov_b32 s2, 0x33800000
	v_mov_b32_e32 v26, v23
	v_pk_add_f32 v[26:27], v[22:23], v[26:27]
	v_cmp_lt_f32_e64 s[66:67], |v38|, s2
	v_pk_add_f32 v[24:25], v[24:25], v[26:27]
	v_mov_b32_e32 v21, v26
	v_mov_b32_e32 v23, v24
	v_pk_add_f32 v[30:31], v[22:23], v[32:33] neg_lo:[0,1] neg_hi:[0,1]
	s_or_b64 s[62:63], s[62:63], s[66:67]
	v_sub_f32_e32 v22, v22, v30
	v_pk_add_f32 v[20:21], v[20:21], v[30:31] neg_lo:[0,1] neg_hi:[0,1]
	v_sub_f32_e32 v22, v32, v22
	v_add_f32_e32 v20, v20, v22
	v_add_f32_e32 v20, v20, v21
	;; [unrolled: 1-line block ×3, first 2 shown]
	v_cndmask_b32_e64 v20, v20, v38, s[62:63]
	v_add_f32_e32 v5, v5, v20
	v_cvt_f16_f32_e32 v30, v5
	v_cvt_f32_f16_e32 v32, v30
	v_mov_b32_e32 v31, v30
.LBB438_62:
	s_or_b64 exec, exec, s[64:65]
	v_cvt_f32_f16_e32 v5, v10
	v_max_f32_e32 v20, v32, v32
	v_cmp_u_f16_e64 s[64:65], v30, v30
	v_cmp_u_f16_e64 s[62:63], v10, v10
	v_min_f32_e32 v21, v20, v5
	v_max_f32_e32 v20, v20, v5
	v_cndmask_b32_e64 v21, v21, v32, s[64:65]
	v_cndmask_b32_e64 v20, v20, v32, s[64:65]
	;; [unrolled: 1-line block ×4, first 2 shown]
	v_cmp_neq_f32_e64 s[64:65], v21, v20
	v_cmp_class_f32_e64 s[66:67], v21, s33
	s_or_b64 s[64:65], s[64:65], s[66:67]
	s_and_saveexec_b64 s[66:67], s[64:65]
	s_cbranch_execz .LBB438_64
; %bb.63:
	v_sub_f32_e32 v21, v21, v20
	s_mov_b32 s2, 0x3fb8aa3b
	v_mul_f32_e32 v22, 0x3fb8aa3b, v21
	v_fma_f32 v23, v21, s2, -v22
	v_rndne_f32_e32 v24, v22
	v_fmamk_f32 v23, v21, 0x32a5705f, v23
	v_sub_f32_e32 v22, v22, v24
	v_add_f32_e32 v22, v22, v23
	v_exp_f32_e32 v22, v22
	v_cvt_i32_f32_e32 v23, v24
	s_mov_b32 s2, 0xc2ce8ed0
	v_cmp_ngt_f32_e64 s[64:65], s2, v21
	s_mov_b32 s2, 0x42b17218
	v_ldexp_f32 v22, v22, v23
	v_cndmask_b32_e64 v22, 0, v22, s[64:65]
	v_mov_b32_e32 v23, 0x7f800000
	v_cmp_nlt_f32_e64 s[64:65], s2, v21
	s_mov_b32 s2, 0x3f2aaaab
	s_mov_b32 s3, 0x7f800000
	v_cndmask_b32_e64 v40, v23, v22, s[64:65]
	v_add_f32_e32 v21, 1.0, v40
	v_add_f32_e32 v22, -1.0, v21
	v_sub_f32_e32 v23, v22, v21
	v_add_f32_e32 v23, 1.0, v23
	v_sub_f32_e32 v22, v40, v22
	v_add_f32_e32 v24, v22, v23
	v_frexp_mant_f32_e32 v25, v21
	v_cvt_f64_f32_e32 v[22:23], v21
	v_frexp_exp_i32_f64_e32 v22, v[22:23]
	v_cmp_gt_f32_e64 s[64:65], s2, v25
	s_mov_b32 s2, 0x3f317218
	s_nop 0
	v_subbrev_co_u32_e64 v32, s[64:65], 0, v22, s[64:65]
	v_sub_u32_e32 v22, 0, v32
	v_ldexp_f32 v21, v21, v22
	v_ldexp_f32 v22, v24, v22
	v_add_f32_e32 v24, -1.0, v21
	v_add_f32_e32 v23, 1.0, v24
	v_sub_f32_e32 v23, v21, v23
	v_add_f32_e32 v25, v22, v23
	v_add_f32_e32 v23, 1.0, v21
	v_add_f32_e32 v26, -1.0, v23
	v_sub_f32_e32 v21, v21, v26
	v_add_f32_e32 v21, v22, v21
	v_add_f32_e32 v33, v23, v21
	v_rcp_f32_e32 v34, v33
	v_sub_f32_e32 v22, v23, v33
	v_add_f32_e32 v23, v24, v25
	v_add_f32_e32 v21, v21, v22
	v_mul_f32_e32 v36, v23, v34
	v_sub_f32_e32 v22, v24, v23
	v_mul_f32_e32 v24, v33, v36
	v_fma_f32 v26, v36, v33, -v24
	v_fmac_f32_e32 v26, v36, v21
	v_add_f32_e32 v35, v25, v22
	v_add_f32_e32 v22, v24, v26
	v_sub_f32_e32 v25, v23, v22
	v_pk_add_f32 v[30:31], v[22:23], v[24:25] neg_lo:[0,1] neg_hi:[0,1]
	v_mov_b32_e32 v27, v22
	v_pk_add_f32 v[22:23], v[30:31], v[26:27] neg_lo:[0,1] neg_hi:[0,1]
	v_cmp_eq_f32_e64 s[64:65], s3, v40
	v_add_f32_e32 v23, v35, v23
	v_add_f32_e32 v22, v22, v23
	;; [unrolled: 1-line block ×3, first 2 shown]
	v_mul_f32_e32 v35, v34, v23
	v_mul_f32_e32 v24, v33, v35
	v_fma_f32 v26, v35, v33, -v24
	v_fmac_f32_e32 v26, v35, v21
	v_sub_f32_e32 v21, v25, v23
	v_add_f32_e32 v21, v22, v21
	v_add_f32_e32 v22, v24, v26
	v_sub_f32_e32 v25, v23, v22
	v_pk_add_f32 v[30:31], v[22:23], v[24:25] neg_lo:[0,1] neg_hi:[0,1]
	v_mov_b32_e32 v27, v22
	v_pk_add_f32 v[22:23], v[30:31], v[26:27] neg_lo:[0,1] neg_hi:[0,1]
	v_cvt_f32_i32_e32 v24, v32
	v_add_f32_e32 v21, v21, v23
	v_add_f32_e32 v21, v22, v21
	;; [unrolled: 1-line block ×4, first 2 shown]
	v_sub_f32_e32 v23, v22, v36
	v_mul_f32_e32 v21, v34, v21
	v_sub_f32_e32 v23, v35, v23
	v_add_f32_e32 v21, v23, v21
	v_add_f32_e32 v25, v22, v21
	v_mul_f32_e32 v26, v25, v25
	v_mov_b32_e32 v23, 0x3ecc95a3
	v_fmac_f32_e32 v23, 0x3e9b6dac, v26
	v_sub_f32_e32 v22, v25, v22
	v_fmaak_f32 v23, v26, v23, 0x3f2aaada
	v_sub_f32_e32 v21, v21, v22
	v_ldexp_f32 v27, v25, 1
	v_mul_f32_e32 v25, v25, v26
	v_mov_b32_e32 v22, 0x3f317218
	v_pk_mul_f32 v[22:23], v[24:25], v[22:23]
	v_ldexp_f32 v21, v21, 1
	v_fma_f32 v25, v24, s2, -v22
	v_fmamk_f32 v26, v24, 0xb102e308, v25
	v_pk_add_f32 v[24:25], v[22:23], v[26:27]
	v_mov_b32_e32 v30, v22
	v_sub_f32_e32 v27, v25, v27
	v_sub_f32_e32 v27, v23, v27
	v_add_f32_e32 v31, v21, v27
	v_pk_add_f32 v[22:23], v[24:25], v[22:23] neg_lo:[0,1] neg_hi:[0,1]
	v_pk_add_f32 v[32:33], v[24:25], v[30:31]
	v_mov_b32_e32 v27, v24
	v_mov_b32_e32 v23, v33
	v_pk_add_f32 v[34:35], v[26:27], v[22:23] neg_lo:[0,1] neg_hi:[0,1]
	v_pk_add_f32 v[22:23], v[26:27], v[22:23]
	v_mov_b32_e32 v30, v31
	v_mov_b32_e32 v26, v23
	v_pk_add_f32 v[36:37], v[26:27], v[24:25] neg_lo:[0,1] neg_hi:[0,1]
	v_mov_b32_e32 v22, v33
	v_mov_b32_e32 v21, v36
	v_pk_add_f32 v[38:39], v[32:33], v[20:21] neg_lo:[0,1] neg_hi:[0,1]
	v_mov_b32_e32 v32, v25
	v_mov_b32_e32 v33, v36
	;; [unrolled: 1-line block ×3, first 2 shown]
	v_pk_add_f32 v[22:23], v[22:23], v[32:33] neg_lo:[0,1] neg_hi:[0,1]
	v_mov_b32_e32 v31, v24
	v_pk_add_f32 v[22:23], v[30:31], v[22:23] neg_lo:[0,1] neg_hi:[0,1]
	v_mov_b32_e32 v38, v34
	v_pk_add_f32 v[24:25], v[38:39], v[22:23]
	s_mov_b32 s2, 0x33800000
	v_mov_b32_e32 v30, v25
	v_pk_add_f32 v[30:31], v[24:25], v[30:31]
	v_cmp_lt_f32_e64 s[68:69], |v40|, s2
	v_pk_add_f32 v[26:27], v[26:27], v[30:31]
	v_mov_b32_e32 v23, v30
	v_mov_b32_e32 v25, v26
	v_pk_add_f32 v[32:33], v[24:25], v[34:35] neg_lo:[0,1] neg_hi:[0,1]
	s_or_b64 s[64:65], s[64:65], s[68:69]
	v_sub_f32_e32 v21, v24, v32
	v_pk_add_f32 v[22:23], v[22:23], v[32:33] neg_lo:[0,1] neg_hi:[0,1]
	v_sub_f32_e32 v21, v34, v21
	v_add_f32_e32 v21, v22, v21
	v_add_f32_e32 v21, v21, v23
	;; [unrolled: 1-line block ×3, first 2 shown]
	v_cndmask_b32_e64 v21, v21, v40, s[64:65]
	v_add_f32_e32 v20, v20, v21
	v_cvt_f16_f32_e32 v30, v20
	v_cvt_f32_f16_e32 v32, v30
	v_mov_b32_e32 v31, v30
.LBB438_64:
	s_or_b64 exec, exec, s[66:67]
	v_cvt_f32_f16_sdwa v20, v10 dst_sel:DWORD dst_unused:UNUSED_PAD src0_sel:WORD_1
	v_max_f32_e32 v22, v32, v32
	v_cmp_u_f16_e64 s[66:67], v30, v30
	v_cmp_u_f16_sdwa s[64:65], v10, v10 src0_sel:WORD_1 src1_sel:WORD_1
	v_min_f32_e32 v21, v22, v20
	v_max_f32_e32 v10, v22, v20
	v_cndmask_b32_e64 v21, v21, v32, s[66:67]
	v_cndmask_b32_e64 v10, v10, v32, s[66:67]
	;; [unrolled: 1-line block ×4, first 2 shown]
	v_cmp_neq_f32_e64 s[66:67], v21, v10
	v_cmp_class_f32_e64 s[68:69], v21, s33
	s_or_b64 s[66:67], s[66:67], s[68:69]
	s_and_saveexec_b64 s[68:69], s[66:67]
	s_cbranch_execz .LBB438_66
; %bb.65:
	v_sub_f32_e32 v21, v21, v10
	s_mov_b32 s2, 0x3fb8aa3b
	v_mul_f32_e32 v22, 0x3fb8aa3b, v21
	v_fma_f32 v23, v21, s2, -v22
	v_rndne_f32_e32 v24, v22
	v_fmamk_f32 v23, v21, 0x32a5705f, v23
	v_sub_f32_e32 v22, v22, v24
	v_add_f32_e32 v22, v22, v23
	v_exp_f32_e32 v22, v22
	v_cvt_i32_f32_e32 v23, v24
	s_mov_b32 s2, 0xc2ce8ed0
	v_cmp_ngt_f32_e64 s[66:67], s2, v21
	s_mov_b32 s2, 0x42b17218
	v_ldexp_f32 v22, v22, v23
	v_cndmask_b32_e64 v22, 0, v22, s[66:67]
	v_mov_b32_e32 v23, 0x7f800000
	v_cmp_nlt_f32_e64 s[66:67], s2, v21
	s_mov_b32 s2, 0x3f2aaaab
	s_mov_b32 s3, 0x7f800000
	v_cndmask_b32_e64 v40, v23, v22, s[66:67]
	v_add_f32_e32 v21, 1.0, v40
	v_add_f32_e32 v22, -1.0, v21
	v_sub_f32_e32 v23, v22, v21
	v_add_f32_e32 v23, 1.0, v23
	v_sub_f32_e32 v22, v40, v22
	v_add_f32_e32 v24, v22, v23
	v_frexp_mant_f32_e32 v25, v21
	v_cvt_f64_f32_e32 v[22:23], v21
	v_frexp_exp_i32_f64_e32 v22, v[22:23]
	v_cmp_gt_f32_e64 s[66:67], s2, v25
	s_mov_b32 s2, 0x3f317218
	s_nop 0
	v_subbrev_co_u32_e64 v32, s[66:67], 0, v22, s[66:67]
	v_sub_u32_e32 v22, 0, v32
	v_ldexp_f32 v21, v21, v22
	v_ldexp_f32 v22, v24, v22
	v_add_f32_e32 v24, -1.0, v21
	v_add_f32_e32 v23, 1.0, v24
	v_sub_f32_e32 v23, v21, v23
	v_add_f32_e32 v25, v22, v23
	v_add_f32_e32 v23, 1.0, v21
	v_add_f32_e32 v26, -1.0, v23
	v_sub_f32_e32 v21, v21, v26
	v_add_f32_e32 v21, v22, v21
	v_add_f32_e32 v33, v23, v21
	v_rcp_f32_e32 v34, v33
	v_sub_f32_e32 v22, v23, v33
	v_add_f32_e32 v23, v24, v25
	v_add_f32_e32 v21, v21, v22
	v_mul_f32_e32 v36, v23, v34
	v_sub_f32_e32 v22, v24, v23
	v_mul_f32_e32 v24, v33, v36
	v_fma_f32 v26, v36, v33, -v24
	v_fmac_f32_e32 v26, v36, v21
	v_add_f32_e32 v35, v25, v22
	v_add_f32_e32 v22, v24, v26
	v_sub_f32_e32 v25, v23, v22
	v_pk_add_f32 v[30:31], v[22:23], v[24:25] neg_lo:[0,1] neg_hi:[0,1]
	v_mov_b32_e32 v27, v22
	v_pk_add_f32 v[22:23], v[30:31], v[26:27] neg_lo:[0,1] neg_hi:[0,1]
	v_cmp_eq_f32_e64 s[66:67], s3, v40
	v_add_f32_e32 v23, v35, v23
	v_add_f32_e32 v22, v22, v23
	;; [unrolled: 1-line block ×3, first 2 shown]
	v_mul_f32_e32 v35, v34, v23
	v_mul_f32_e32 v24, v33, v35
	v_fma_f32 v26, v35, v33, -v24
	v_fmac_f32_e32 v26, v35, v21
	v_sub_f32_e32 v21, v25, v23
	v_add_f32_e32 v21, v22, v21
	v_add_f32_e32 v22, v24, v26
	v_sub_f32_e32 v25, v23, v22
	v_pk_add_f32 v[30:31], v[22:23], v[24:25] neg_lo:[0,1] neg_hi:[0,1]
	v_mov_b32_e32 v27, v22
	v_pk_add_f32 v[22:23], v[30:31], v[26:27] neg_lo:[0,1] neg_hi:[0,1]
	v_cvt_f32_i32_e32 v24, v32
	v_add_f32_e32 v21, v21, v23
	v_add_f32_e32 v21, v22, v21
	;; [unrolled: 1-line block ×4, first 2 shown]
	v_sub_f32_e32 v23, v22, v36
	v_mul_f32_e32 v21, v34, v21
	v_sub_f32_e32 v23, v35, v23
	v_add_f32_e32 v21, v23, v21
	v_add_f32_e32 v25, v22, v21
	v_mul_f32_e32 v26, v25, v25
	v_mov_b32_e32 v23, 0x3ecc95a3
	v_fmac_f32_e32 v23, 0x3e9b6dac, v26
	v_sub_f32_e32 v22, v25, v22
	v_fmaak_f32 v23, v26, v23, 0x3f2aaada
	v_sub_f32_e32 v21, v21, v22
	v_ldexp_f32 v27, v25, 1
	v_mul_f32_e32 v25, v25, v26
	v_mov_b32_e32 v22, 0x3f317218
	v_pk_mul_f32 v[22:23], v[24:25], v[22:23]
	v_ldexp_f32 v21, v21, 1
	v_fma_f32 v25, v24, s2, -v22
	v_fmamk_f32 v26, v24, 0xb102e308, v25
	v_pk_add_f32 v[24:25], v[22:23], v[26:27]
	v_mov_b32_e32 v30, v22
	v_sub_f32_e32 v27, v25, v27
	v_sub_f32_e32 v27, v23, v27
	v_add_f32_e32 v31, v21, v27
	v_pk_add_f32 v[22:23], v[24:25], v[22:23] neg_lo:[0,1] neg_hi:[0,1]
	v_pk_add_f32 v[32:33], v[24:25], v[30:31]
	v_mov_b32_e32 v27, v24
	v_mov_b32_e32 v23, v33
	v_pk_add_f32 v[34:35], v[26:27], v[22:23] neg_lo:[0,1] neg_hi:[0,1]
	v_pk_add_f32 v[22:23], v[26:27], v[22:23]
	v_mov_b32_e32 v30, v31
	v_mov_b32_e32 v26, v23
	v_pk_add_f32 v[36:37], v[26:27], v[24:25] neg_lo:[0,1] neg_hi:[0,1]
	v_mov_b32_e32 v22, v33
	v_mov_b32_e32 v21, v36
	v_pk_add_f32 v[38:39], v[32:33], v[20:21] neg_lo:[0,1] neg_hi:[0,1]
	v_mov_b32_e32 v32, v25
	v_mov_b32_e32 v33, v36
	;; [unrolled: 1-line block ×3, first 2 shown]
	v_pk_add_f32 v[22:23], v[22:23], v[32:33] neg_lo:[0,1] neg_hi:[0,1]
	v_mov_b32_e32 v31, v24
	v_pk_add_f32 v[22:23], v[30:31], v[22:23] neg_lo:[0,1] neg_hi:[0,1]
	v_mov_b32_e32 v38, v34
	v_pk_add_f32 v[24:25], v[38:39], v[22:23]
	s_mov_b32 s2, 0x33800000
	v_mov_b32_e32 v30, v25
	v_pk_add_f32 v[30:31], v[24:25], v[30:31]
	v_cmp_lt_f32_e64 s[70:71], |v40|, s2
	v_pk_add_f32 v[26:27], v[26:27], v[30:31]
	v_mov_b32_e32 v23, v30
	v_mov_b32_e32 v25, v26
	v_pk_add_f32 v[32:33], v[24:25], v[34:35] neg_lo:[0,1] neg_hi:[0,1]
	s_or_b64 s[66:67], s[66:67], s[70:71]
	v_sub_f32_e32 v21, v24, v32
	v_pk_add_f32 v[22:23], v[22:23], v[32:33] neg_lo:[0,1] neg_hi:[0,1]
	v_sub_f32_e32 v21, v34, v21
	v_add_f32_e32 v21, v22, v21
	v_add_f32_e32 v21, v21, v23
	;; [unrolled: 1-line block ×3, first 2 shown]
	v_cndmask_b32_e64 v21, v21, v40, s[66:67]
	v_add_f32_e32 v10, v10, v21
	v_cvt_f16_f32_e32 v30, v10
	v_cvt_f32_f16_e32 v32, v30
	v_mov_b32_e32 v31, v30
.LBB438_66:
	s_or_b64 exec, exec, s[68:69]
	v_cvt_f32_f16_e32 v10, v11
	v_max_f32_e32 v21, v32, v32
	v_cmp_u_f16_e64 s[68:69], v30, v30
	v_cmp_u_f16_e64 s[66:67], v11, v11
	v_min_f32_e32 v22, v21, v10
	v_max_f32_e32 v21, v21, v10
	v_cndmask_b32_e64 v22, v22, v32, s[68:69]
	v_cndmask_b32_e64 v21, v21, v32, s[68:69]
	;; [unrolled: 1-line block ×4, first 2 shown]
	v_cmp_neq_f32_e64 s[68:69], v22, v21
	v_cmp_class_f32_e64 s[70:71], v22, s33
	s_or_b64 s[68:69], s[68:69], s[70:71]
	s_and_saveexec_b64 s[70:71], s[68:69]
	s_cbranch_execz .LBB438_68
; %bb.67:
	v_sub_f32_e32 v22, v22, v21
	s_mov_b32 s2, 0x3fb8aa3b
	v_mul_f32_e32 v23, 0x3fb8aa3b, v22
	v_fma_f32 v24, v22, s2, -v23
	v_rndne_f32_e32 v25, v23
	v_fmamk_f32 v24, v22, 0x32a5705f, v24
	v_sub_f32_e32 v23, v23, v25
	v_add_f32_e32 v23, v23, v24
	v_exp_f32_e32 v23, v23
	v_cvt_i32_f32_e32 v24, v25
	s_mov_b32 s2, 0xc2ce8ed0
	v_cmp_ngt_f32_e64 s[68:69], s2, v22
	s_mov_b32 s2, 0x42b17218
	v_ldexp_f32 v23, v23, v24
	v_cndmask_b32_e64 v23, 0, v23, s[68:69]
	v_mov_b32_e32 v24, 0x7f800000
	v_cmp_nlt_f32_e64 s[68:69], s2, v22
	s_mov_b32 s2, 0x3f2aaaab
	s_mov_b32 s3, 0x7f800000
	v_cndmask_b32_e64 v40, v24, v23, s[68:69]
	v_add_f32_e32 v24, 1.0, v40
	v_add_f32_e32 v22, -1.0, v24
	v_sub_f32_e32 v23, v22, v24
	v_add_f32_e32 v23, 1.0, v23
	v_sub_f32_e32 v22, v40, v22
	v_add_f32_e32 v25, v22, v23
	v_frexp_mant_f32_e32 v26, v24
	v_cvt_f64_f32_e32 v[22:23], v24
	v_frexp_exp_i32_f64_e32 v22, v[22:23]
	v_cmp_gt_f32_e64 s[68:69], s2, v26
	s_mov_b32 s2, 0x3f317218
	s_nop 0
	v_subbrev_co_u32_e64 v32, s[68:69], 0, v22, s[68:69]
	v_sub_u32_e32 v22, 0, v32
	v_ldexp_f32 v23, v24, v22
	v_add_f32_e32 v24, -1.0, v23
	v_add_f32_e32 v26, 1.0, v23
	v_ldexp_f32 v22, v25, v22
	v_add_f32_e32 v25, 1.0, v24
	v_add_f32_e32 v27, -1.0, v26
	v_sub_f32_e32 v25, v23, v25
	v_sub_f32_e32 v23, v23, v27
	v_add_f32_e32 v25, v22, v25
	v_add_f32_e32 v22, v22, v23
	;; [unrolled: 1-line block ×3, first 2 shown]
	v_rcp_f32_e32 v35, v33
	v_sub_f32_e32 v23, v26, v33
	v_add_f32_e32 v34, v22, v23
	v_add_f32_e32 v23, v24, v25
	v_mul_f32_e32 v37, v23, v35
	v_sub_f32_e32 v22, v24, v23
	v_mul_f32_e32 v24, v33, v37
	v_fma_f32 v26, v37, v33, -v24
	v_fmac_f32_e32 v26, v37, v34
	v_add_f32_e32 v36, v25, v22
	v_add_f32_e32 v22, v24, v26
	v_sub_f32_e32 v25, v23, v22
	v_pk_add_f32 v[30:31], v[22:23], v[24:25] neg_lo:[0,1] neg_hi:[0,1]
	v_mov_b32_e32 v27, v22
	v_pk_add_f32 v[22:23], v[30:31], v[26:27] neg_lo:[0,1] neg_hi:[0,1]
	v_cmp_eq_f32_e64 s[68:69], s3, v40
	v_add_f32_e32 v23, v36, v23
	v_add_f32_e32 v22, v22, v23
	;; [unrolled: 1-line block ×3, first 2 shown]
	v_mul_f32_e32 v36, v35, v23
	v_mul_f32_e32 v24, v33, v36
	v_fma_f32 v26, v36, v33, -v24
	v_fmac_f32_e32 v26, v36, v34
	v_sub_f32_e32 v25, v25, v23
	v_add_f32_e32 v33, v22, v25
	v_add_f32_e32 v22, v24, v26
	v_sub_f32_e32 v25, v23, v22
	v_pk_add_f32 v[30:31], v[22:23], v[24:25] neg_lo:[0,1] neg_hi:[0,1]
	v_mov_b32_e32 v27, v22
	v_pk_add_f32 v[22:23], v[30:31], v[26:27] neg_lo:[0,1] neg_hi:[0,1]
	v_cvt_f32_i32_e32 v24, v32
	v_add_f32_e32 v23, v33, v23
	v_add_f32_e32 v22, v22, v23
	v_add_f32_e32 v22, v25, v22
	v_add_f32_e32 v25, v37, v36
	v_sub_f32_e32 v23, v25, v37
	v_mul_f32_e32 v22, v35, v22
	v_sub_f32_e32 v23, v36, v23
	v_add_f32_e32 v22, v23, v22
	v_add_f32_e32 v26, v25, v22
	v_mul_f32_e32 v30, v26, v26
	v_mov_b32_e32 v23, 0x3ecc95a3
	v_sub_f32_e32 v25, v26, v25
	v_fmac_f32_e32 v23, 0x3e9b6dac, v30
	v_sub_f32_e32 v22, v22, v25
	v_fmaak_f32 v23, v30, v23, 0x3f2aaada
	v_ldexp_f32 v31, v22, 1
	v_mul_f32_e32 v25, v26, v30
	v_mov_b32_e32 v22, 0x3f317218
	v_pk_mul_f32 v[22:23], v[24:25], v[22:23]
	v_ldexp_f32 v27, v26, 1
	v_fma_f32 v25, v24, s2, -v22
	v_fmamk_f32 v26, v24, 0xb102e308, v25
	v_pk_add_f32 v[24:25], v[22:23], v[26:27]
	v_mov_b32_e32 v30, v22
	v_sub_f32_e32 v27, v25, v27
	v_sub_f32_e32 v27, v23, v27
	v_add_f32_e32 v31, v31, v27
	v_pk_add_f32 v[22:23], v[24:25], v[22:23] neg_lo:[0,1] neg_hi:[0,1]
	v_pk_add_f32 v[32:33], v[24:25], v[30:31]
	v_mov_b32_e32 v27, v24
	v_mov_b32_e32 v23, v33
	v_pk_add_f32 v[34:35], v[26:27], v[22:23] neg_lo:[0,1] neg_hi:[0,1]
	v_pk_add_f32 v[22:23], v[26:27], v[22:23]
	v_mov_b32_e32 v30, v31
	v_mov_b32_e32 v26, v23
	v_pk_add_f32 v[36:37], v[26:27], v[24:25] neg_lo:[0,1] neg_hi:[0,1]
	v_mov_b32_e32 v22, v33
	v_mov_b32_e32 v27, v36
	v_pk_add_f32 v[38:39], v[32:33], v[26:27] neg_lo:[0,1] neg_hi:[0,1]
	v_mov_b32_e32 v32, v25
	v_mov_b32_e32 v33, v36
	;; [unrolled: 1-line block ×3, first 2 shown]
	v_pk_add_f32 v[22:23], v[22:23], v[32:33] neg_lo:[0,1] neg_hi:[0,1]
	v_mov_b32_e32 v31, v24
	v_pk_add_f32 v[22:23], v[30:31], v[22:23] neg_lo:[0,1] neg_hi:[0,1]
	v_mov_b32_e32 v38, v34
	v_pk_add_f32 v[24:25], v[38:39], v[22:23]
	s_mov_b32 s2, 0x33800000
	v_mov_b32_e32 v30, v25
	v_pk_add_f32 v[30:31], v[24:25], v[30:31]
	v_cmp_lt_f32_e64 s[72:73], |v40|, s2
	v_pk_add_f32 v[26:27], v[26:27], v[30:31]
	v_mov_b32_e32 v23, v30
	v_mov_b32_e32 v25, v26
	v_pk_add_f32 v[32:33], v[24:25], v[34:35] neg_lo:[0,1] neg_hi:[0,1]
	s_or_b64 s[68:69], s[68:69], s[72:73]
	v_sub_f32_e32 v24, v24, v32
	v_pk_add_f32 v[22:23], v[22:23], v[32:33] neg_lo:[0,1] neg_hi:[0,1]
	v_sub_f32_e32 v24, v34, v24
	v_add_f32_e32 v22, v22, v24
	v_add_f32_e32 v22, v22, v23
	;; [unrolled: 1-line block ×3, first 2 shown]
	v_cndmask_b32_e64 v22, v22, v40, s[68:69]
	v_add_f32_e32 v21, v21, v22
	v_cvt_f16_f32_e32 v30, v21
	v_cvt_f32_f16_e32 v32, v30
	v_mov_b32_e32 v31, v30
.LBB438_68:
	s_or_b64 exec, exec, s[70:71]
	v_cvt_f32_f16_sdwa v21, v11 dst_sel:DWORD dst_unused:UNUSED_PAD src0_sel:WORD_1
	v_max_f32_e32 v23, v32, v32
	v_cmp_u_f16_e64 s[70:71], v30, v30
	v_cmp_u_f16_sdwa s[68:69], v11, v11 src0_sel:WORD_1 src1_sel:WORD_1
	v_min_f32_e32 v22, v23, v21
	v_max_f32_e32 v11, v23, v21
	v_cndmask_b32_e64 v22, v22, v32, s[70:71]
	v_cndmask_b32_e64 v11, v11, v32, s[70:71]
	;; [unrolled: 1-line block ×4, first 2 shown]
	v_cmp_neq_f32_e64 s[70:71], v22, v11
	v_cmp_class_f32_e64 s[72:73], v22, s33
	s_or_b64 s[70:71], s[70:71], s[72:73]
	s_and_saveexec_b64 s[72:73], s[70:71]
	s_cbranch_execz .LBB438_70
; %bb.69:
	v_sub_f32_e32 v22, v22, v11
	s_mov_b32 s2, 0x3fb8aa3b
	v_mul_f32_e32 v23, 0x3fb8aa3b, v22
	v_fma_f32 v24, v22, s2, -v23
	v_rndne_f32_e32 v25, v23
	v_fmamk_f32 v24, v22, 0x32a5705f, v24
	v_sub_f32_e32 v23, v23, v25
	v_add_f32_e32 v23, v23, v24
	v_exp_f32_e32 v23, v23
	v_cvt_i32_f32_e32 v24, v25
	s_mov_b32 s2, 0xc2ce8ed0
	v_cmp_ngt_f32_e64 s[70:71], s2, v22
	s_mov_b32 s2, 0x42b17218
	v_ldexp_f32 v23, v23, v24
	v_cndmask_b32_e64 v23, 0, v23, s[70:71]
	v_mov_b32_e32 v24, 0x7f800000
	v_cmp_nlt_f32_e64 s[70:71], s2, v22
	s_mov_b32 s2, 0x3f2aaaab
	s_mov_b32 s3, 0x7f800000
	v_cndmask_b32_e64 v40, v24, v23, s[70:71]
	v_add_f32_e32 v24, 1.0, v40
	v_add_f32_e32 v22, -1.0, v24
	v_sub_f32_e32 v23, v22, v24
	v_add_f32_e32 v23, 1.0, v23
	v_sub_f32_e32 v22, v40, v22
	v_add_f32_e32 v25, v22, v23
	v_frexp_mant_f32_e32 v26, v24
	v_cvt_f64_f32_e32 v[22:23], v24
	v_frexp_exp_i32_f64_e32 v22, v[22:23]
	v_cmp_gt_f32_e64 s[70:71], s2, v26
	s_mov_b32 s2, 0x3f317218
	s_nop 0
	v_subbrev_co_u32_e64 v32, s[70:71], 0, v22, s[70:71]
	v_sub_u32_e32 v22, 0, v32
	v_ldexp_f32 v23, v24, v22
	v_add_f32_e32 v24, -1.0, v23
	v_add_f32_e32 v26, 1.0, v23
	v_ldexp_f32 v22, v25, v22
	v_add_f32_e32 v25, 1.0, v24
	v_add_f32_e32 v27, -1.0, v26
	v_sub_f32_e32 v25, v23, v25
	v_sub_f32_e32 v23, v23, v27
	v_add_f32_e32 v25, v22, v25
	v_add_f32_e32 v22, v22, v23
	;; [unrolled: 1-line block ×3, first 2 shown]
	v_rcp_f32_e32 v35, v33
	v_sub_f32_e32 v23, v26, v33
	v_add_f32_e32 v34, v22, v23
	v_add_f32_e32 v23, v24, v25
	v_mul_f32_e32 v37, v23, v35
	v_sub_f32_e32 v22, v24, v23
	v_mul_f32_e32 v24, v33, v37
	v_fma_f32 v26, v37, v33, -v24
	v_fmac_f32_e32 v26, v37, v34
	v_add_f32_e32 v36, v25, v22
	v_add_f32_e32 v22, v24, v26
	v_sub_f32_e32 v25, v23, v22
	v_pk_add_f32 v[30:31], v[22:23], v[24:25] neg_lo:[0,1] neg_hi:[0,1]
	v_mov_b32_e32 v27, v22
	v_pk_add_f32 v[22:23], v[30:31], v[26:27] neg_lo:[0,1] neg_hi:[0,1]
	v_cmp_eq_f32_e64 s[70:71], s3, v40
	v_add_f32_e32 v23, v36, v23
	v_add_f32_e32 v22, v22, v23
	;; [unrolled: 1-line block ×3, first 2 shown]
	v_mul_f32_e32 v36, v35, v23
	v_mul_f32_e32 v24, v33, v36
	v_fma_f32 v26, v36, v33, -v24
	v_fmac_f32_e32 v26, v36, v34
	v_sub_f32_e32 v25, v25, v23
	v_add_f32_e32 v33, v22, v25
	v_add_f32_e32 v22, v24, v26
	v_sub_f32_e32 v25, v23, v22
	v_pk_add_f32 v[30:31], v[22:23], v[24:25] neg_lo:[0,1] neg_hi:[0,1]
	v_mov_b32_e32 v27, v22
	v_pk_add_f32 v[22:23], v[30:31], v[26:27] neg_lo:[0,1] neg_hi:[0,1]
	v_cvt_f32_i32_e32 v24, v32
	v_add_f32_e32 v23, v33, v23
	v_add_f32_e32 v22, v22, v23
	;; [unrolled: 1-line block ×4, first 2 shown]
	v_sub_f32_e32 v23, v25, v37
	v_mul_f32_e32 v22, v35, v22
	v_sub_f32_e32 v23, v36, v23
	v_add_f32_e32 v22, v23, v22
	v_add_f32_e32 v26, v25, v22
	v_mul_f32_e32 v30, v26, v26
	v_mov_b32_e32 v23, 0x3ecc95a3
	v_sub_f32_e32 v25, v26, v25
	v_fmac_f32_e32 v23, 0x3e9b6dac, v30
	v_sub_f32_e32 v22, v22, v25
	v_fmaak_f32 v23, v30, v23, 0x3f2aaada
	v_ldexp_f32 v31, v22, 1
	v_mul_f32_e32 v25, v26, v30
	v_mov_b32_e32 v22, 0x3f317218
	v_pk_mul_f32 v[22:23], v[24:25], v[22:23]
	v_ldexp_f32 v27, v26, 1
	v_fma_f32 v25, v24, s2, -v22
	v_fmamk_f32 v26, v24, 0xb102e308, v25
	v_pk_add_f32 v[24:25], v[22:23], v[26:27]
	v_mov_b32_e32 v30, v22
	v_sub_f32_e32 v27, v25, v27
	v_sub_f32_e32 v27, v23, v27
	v_add_f32_e32 v31, v31, v27
	v_pk_add_f32 v[22:23], v[24:25], v[22:23] neg_lo:[0,1] neg_hi:[0,1]
	v_pk_add_f32 v[32:33], v[24:25], v[30:31]
	v_mov_b32_e32 v27, v24
	v_mov_b32_e32 v23, v33
	v_pk_add_f32 v[34:35], v[26:27], v[22:23] neg_lo:[0,1] neg_hi:[0,1]
	v_pk_add_f32 v[22:23], v[26:27], v[22:23]
	v_mov_b32_e32 v30, v31
	v_mov_b32_e32 v26, v23
	v_pk_add_f32 v[36:37], v[26:27], v[24:25] neg_lo:[0,1] neg_hi:[0,1]
	v_mov_b32_e32 v22, v33
	v_mov_b32_e32 v27, v36
	v_pk_add_f32 v[38:39], v[32:33], v[26:27] neg_lo:[0,1] neg_hi:[0,1]
	v_mov_b32_e32 v32, v25
	v_mov_b32_e32 v33, v36
	;; [unrolled: 1-line block ×3, first 2 shown]
	v_pk_add_f32 v[22:23], v[22:23], v[32:33] neg_lo:[0,1] neg_hi:[0,1]
	v_mov_b32_e32 v31, v24
	v_pk_add_f32 v[22:23], v[30:31], v[22:23] neg_lo:[0,1] neg_hi:[0,1]
	v_mov_b32_e32 v38, v34
	v_pk_add_f32 v[24:25], v[38:39], v[22:23]
	s_mov_b32 s2, 0x33800000
	v_mov_b32_e32 v30, v25
	v_pk_add_f32 v[30:31], v[24:25], v[30:31]
	v_cmp_lt_f32_e64 s[74:75], |v40|, s2
	v_pk_add_f32 v[26:27], v[26:27], v[30:31]
	v_mov_b32_e32 v23, v30
	v_mov_b32_e32 v25, v26
	v_pk_add_f32 v[32:33], v[24:25], v[34:35] neg_lo:[0,1] neg_hi:[0,1]
	s_or_b64 s[70:71], s[70:71], s[74:75]
	v_sub_f32_e32 v24, v24, v32
	v_pk_add_f32 v[22:23], v[22:23], v[32:33] neg_lo:[0,1] neg_hi:[0,1]
	v_sub_f32_e32 v24, v34, v24
	v_add_f32_e32 v22, v22, v24
	v_add_f32_e32 v22, v22, v23
	;; [unrolled: 1-line block ×3, first 2 shown]
	v_cndmask_b32_e64 v22, v22, v40, s[70:71]
	v_add_f32_e32 v11, v11, v22
	v_cvt_f16_f32_e32 v30, v11
	v_cvt_f32_f16_e32 v32, v30
	v_mov_b32_e32 v31, v30
.LBB438_70:
	s_or_b64 exec, exec, s[72:73]
	v_cvt_f32_f16_e32 v11, v12
	v_max_f32_e32 v22, v32, v32
	v_cmp_u_f16_e64 s[72:73], v30, v30
	v_cmp_u_f16_e64 s[70:71], v12, v12
	v_min_f32_e32 v23, v22, v11
	v_max_f32_e32 v22, v22, v11
	v_cndmask_b32_e64 v23, v23, v32, s[72:73]
	v_cndmask_b32_e64 v22, v22, v32, s[72:73]
	;; [unrolled: 1-line block ×4, first 2 shown]
	v_cmp_neq_f32_e64 s[72:73], v23, v22
	v_cmp_class_f32_e64 s[74:75], v23, s33
	s_or_b64 s[72:73], s[72:73], s[74:75]
	s_and_saveexec_b64 s[74:75], s[72:73]
	s_cbranch_execz .LBB438_72
; %bb.71:
	v_sub_f32_e32 v23, v23, v22
	s_mov_b32 s2, 0x3fb8aa3b
	v_mul_f32_e32 v24, 0x3fb8aa3b, v23
	v_fma_f32 v25, v23, s2, -v24
	v_rndne_f32_e32 v26, v24
	v_fmamk_f32 v25, v23, 0x32a5705f, v25
	v_sub_f32_e32 v24, v24, v26
	v_add_f32_e32 v24, v24, v25
	v_exp_f32_e32 v24, v24
	v_cvt_i32_f32_e32 v25, v26
	s_mov_b32 s2, 0xc2ce8ed0
	v_cmp_ngt_f32_e64 s[72:73], s2, v23
	s_mov_b32 s2, 0x42b17218
	v_ldexp_f32 v24, v24, v25
	v_cndmask_b32_e64 v24, 0, v24, s[72:73]
	v_mov_b32_e32 v25, 0x7f800000
	v_cmp_nlt_f32_e64 s[72:73], s2, v23
	s_mov_b32 s2, 0x3f2aaaab
	s_mov_b32 s3, 0x7f800000
	v_cndmask_b32_e64 v42, v25, v24, s[72:73]
	v_add_f32_e32 v23, 1.0, v42
	v_add_f32_e32 v24, -1.0, v23
	v_sub_f32_e32 v25, v24, v23
	v_add_f32_e32 v25, 1.0, v25
	v_sub_f32_e32 v24, v42, v24
	v_add_f32_e32 v26, v24, v25
	v_frexp_mant_f32_e32 v27, v23
	v_cvt_f64_f32_e32 v[24:25], v23
	v_frexp_exp_i32_f64_e32 v24, v[24:25]
	v_cmp_gt_f32_e64 s[72:73], s2, v27
	s_mov_b32 s2, 0x3f317218
	s_nop 0
	v_subbrev_co_u32_e64 v34, s[72:73], 0, v24, s[72:73]
	v_sub_u32_e32 v24, 0, v34
	v_ldexp_f32 v23, v23, v24
	v_ldexp_f32 v24, v26, v24
	v_add_f32_e32 v26, -1.0, v23
	v_add_f32_e32 v25, 1.0, v26
	v_sub_f32_e32 v25, v23, v25
	v_add_f32_e32 v27, v24, v25
	v_add_f32_e32 v25, 1.0, v23
	v_add_f32_e32 v30, -1.0, v25
	v_sub_f32_e32 v23, v23, v30
	v_add_f32_e32 v23, v24, v23
	v_add_f32_e32 v35, v25, v23
	v_rcp_f32_e32 v36, v35
	v_sub_f32_e32 v24, v25, v35
	v_add_f32_e32 v25, v26, v27
	v_add_f32_e32 v23, v23, v24
	v_mul_f32_e32 v38, v25, v36
	v_sub_f32_e32 v24, v26, v25
	v_mul_f32_e32 v26, v35, v38
	v_fma_f32 v30, v38, v35, -v26
	v_fmac_f32_e32 v30, v38, v23
	v_add_f32_e32 v37, v27, v24
	v_add_f32_e32 v24, v26, v30
	v_sub_f32_e32 v27, v25, v24
	v_pk_add_f32 v[32:33], v[24:25], v[26:27] neg_lo:[0,1] neg_hi:[0,1]
	v_mov_b32_e32 v31, v24
	v_pk_add_f32 v[24:25], v[32:33], v[30:31] neg_lo:[0,1] neg_hi:[0,1]
	v_cmp_eq_f32_e64 s[72:73], s3, v42
	v_add_f32_e32 v25, v37, v25
	v_add_f32_e32 v24, v24, v25
	;; [unrolled: 1-line block ×3, first 2 shown]
	v_mul_f32_e32 v37, v36, v25
	v_mul_f32_e32 v26, v35, v37
	v_fma_f32 v30, v37, v35, -v26
	v_fmac_f32_e32 v30, v37, v23
	v_sub_f32_e32 v23, v27, v25
	v_add_f32_e32 v23, v24, v23
	v_add_f32_e32 v24, v26, v30
	v_sub_f32_e32 v27, v25, v24
	v_pk_add_f32 v[32:33], v[24:25], v[26:27] neg_lo:[0,1] neg_hi:[0,1]
	v_mov_b32_e32 v31, v24
	v_pk_add_f32 v[24:25], v[32:33], v[30:31] neg_lo:[0,1] neg_hi:[0,1]
	v_cvt_f32_i32_e32 v26, v34
	v_add_f32_e32 v23, v23, v25
	v_add_f32_e32 v23, v24, v23
	;; [unrolled: 1-line block ×4, first 2 shown]
	v_sub_f32_e32 v25, v24, v38
	v_mul_f32_e32 v23, v36, v23
	v_sub_f32_e32 v25, v37, v25
	v_add_f32_e32 v23, v25, v23
	v_add_f32_e32 v27, v24, v23
	v_mul_f32_e32 v30, v27, v27
	v_mov_b32_e32 v25, 0x3ecc95a3
	v_fmac_f32_e32 v25, 0x3e9b6dac, v30
	v_sub_f32_e32 v24, v27, v24
	v_fmaak_f32 v25, v30, v25, 0x3f2aaada
	v_sub_f32_e32 v23, v23, v24
	v_ldexp_f32 v31, v27, 1
	v_mul_f32_e32 v27, v27, v30
	v_mov_b32_e32 v24, 0x3f317218
	v_pk_mul_f32 v[24:25], v[26:27], v[24:25]
	v_ldexp_f32 v23, v23, 1
	v_fma_f32 v27, v26, s2, -v24
	v_fmamk_f32 v30, v26, 0xb102e308, v27
	v_pk_add_f32 v[26:27], v[24:25], v[30:31]
	v_mov_b32_e32 v32, v24
	v_sub_f32_e32 v31, v27, v31
	v_sub_f32_e32 v31, v25, v31
	v_add_f32_e32 v33, v23, v31
	v_pk_add_f32 v[24:25], v[26:27], v[24:25] neg_lo:[0,1] neg_hi:[0,1]
	v_pk_add_f32 v[34:35], v[26:27], v[32:33]
	v_mov_b32_e32 v31, v26
	v_mov_b32_e32 v25, v35
	v_pk_add_f32 v[36:37], v[30:31], v[24:25] neg_lo:[0,1] neg_hi:[0,1]
	v_pk_add_f32 v[24:25], v[30:31], v[24:25]
	v_mov_b32_e32 v32, v33
	v_mov_b32_e32 v30, v25
	v_pk_add_f32 v[38:39], v[30:31], v[26:27] neg_lo:[0,1] neg_hi:[0,1]
	v_mov_b32_e32 v24, v35
	v_mov_b32_e32 v23, v38
	v_pk_add_f32 v[40:41], v[34:35], v[22:23] neg_lo:[0,1] neg_hi:[0,1]
	v_mov_b32_e32 v34, v27
	v_mov_b32_e32 v35, v38
	;; [unrolled: 1-line block ×3, first 2 shown]
	v_pk_add_f32 v[24:25], v[24:25], v[34:35] neg_lo:[0,1] neg_hi:[0,1]
	v_mov_b32_e32 v33, v26
	v_pk_add_f32 v[24:25], v[32:33], v[24:25] neg_lo:[0,1] neg_hi:[0,1]
	v_mov_b32_e32 v40, v36
	v_pk_add_f32 v[26:27], v[40:41], v[24:25]
	s_mov_b32 s2, 0x33800000
	v_mov_b32_e32 v32, v27
	v_pk_add_f32 v[32:33], v[26:27], v[32:33]
	v_cmp_lt_f32_e64 s[76:77], |v42|, s2
	v_pk_add_f32 v[30:31], v[30:31], v[32:33]
	v_mov_b32_e32 v25, v32
	v_mov_b32_e32 v27, v30
	v_pk_add_f32 v[34:35], v[26:27], v[36:37] neg_lo:[0,1] neg_hi:[0,1]
	s_or_b64 s[72:73], s[72:73], s[76:77]
	v_sub_f32_e32 v23, v26, v34
	v_pk_add_f32 v[24:25], v[24:25], v[34:35] neg_lo:[0,1] neg_hi:[0,1]
	v_sub_f32_e32 v23, v36, v23
	v_add_f32_e32 v23, v24, v23
	v_add_f32_e32 v23, v23, v25
	;; [unrolled: 1-line block ×3, first 2 shown]
	v_cndmask_b32_e64 v23, v23, v42, s[72:73]
	v_add_f32_e32 v22, v22, v23
	v_cvt_f16_f32_e32 v30, v22
	v_cvt_f32_f16_e32 v32, v30
	v_mov_b32_e32 v31, v30
.LBB438_72:
	s_or_b64 exec, exec, s[74:75]
	v_cvt_f32_f16_sdwa v22, v12 dst_sel:DWORD dst_unused:UNUSED_PAD src0_sel:WORD_1
	v_max_f32_e32 v24, v32, v32
	v_cmp_u_f16_e64 s[74:75], v30, v30
	v_cmp_u_f16_sdwa s[72:73], v12, v12 src0_sel:WORD_1 src1_sel:WORD_1
	v_min_f32_e32 v23, v24, v22
	v_max_f32_e32 v12, v24, v22
	v_cndmask_b32_e64 v23, v23, v32, s[74:75]
	v_cndmask_b32_e64 v12, v12, v32, s[74:75]
	;; [unrolled: 1-line block ×4, first 2 shown]
	v_cmp_neq_f32_e64 s[74:75], v23, v12
	v_cmp_class_f32_e64 s[76:77], v23, s33
	s_or_b64 s[74:75], s[74:75], s[76:77]
	s_and_saveexec_b64 s[76:77], s[74:75]
	s_cbranch_execz .LBB438_74
; %bb.73:
	v_sub_f32_e32 v23, v23, v12
	s_mov_b32 s2, 0x3fb8aa3b
	v_mul_f32_e32 v24, 0x3fb8aa3b, v23
	v_fma_f32 v25, v23, s2, -v24
	v_rndne_f32_e32 v26, v24
	v_fmamk_f32 v25, v23, 0x32a5705f, v25
	v_sub_f32_e32 v24, v24, v26
	v_add_f32_e32 v24, v24, v25
	v_exp_f32_e32 v24, v24
	v_cvt_i32_f32_e32 v25, v26
	s_mov_b32 s2, 0xc2ce8ed0
	v_cmp_ngt_f32_e64 s[74:75], s2, v23
	s_mov_b32 s2, 0x42b17218
	v_ldexp_f32 v24, v24, v25
	v_cndmask_b32_e64 v24, 0, v24, s[74:75]
	v_mov_b32_e32 v25, 0x7f800000
	v_cmp_nlt_f32_e64 s[74:75], s2, v23
	s_mov_b32 s2, 0x3f2aaaab
	s_mov_b32 s3, 0x7f800000
	v_cndmask_b32_e64 v42, v25, v24, s[74:75]
	v_add_f32_e32 v23, 1.0, v42
	v_add_f32_e32 v24, -1.0, v23
	v_sub_f32_e32 v25, v24, v23
	v_add_f32_e32 v25, 1.0, v25
	v_sub_f32_e32 v24, v42, v24
	v_add_f32_e32 v26, v24, v25
	v_frexp_mant_f32_e32 v27, v23
	v_cvt_f64_f32_e32 v[24:25], v23
	v_frexp_exp_i32_f64_e32 v24, v[24:25]
	v_cmp_gt_f32_e64 s[74:75], s2, v27
	s_mov_b32 s2, 0x3f317218
	s_nop 0
	v_subbrev_co_u32_e64 v34, s[74:75], 0, v24, s[74:75]
	v_sub_u32_e32 v24, 0, v34
	v_ldexp_f32 v23, v23, v24
	v_ldexp_f32 v24, v26, v24
	v_add_f32_e32 v26, -1.0, v23
	v_add_f32_e32 v25, 1.0, v26
	v_sub_f32_e32 v25, v23, v25
	v_add_f32_e32 v27, v24, v25
	v_add_f32_e32 v25, 1.0, v23
	v_add_f32_e32 v30, -1.0, v25
	v_sub_f32_e32 v23, v23, v30
	v_add_f32_e32 v23, v24, v23
	v_add_f32_e32 v35, v25, v23
	v_rcp_f32_e32 v36, v35
	v_sub_f32_e32 v24, v25, v35
	v_add_f32_e32 v25, v26, v27
	v_add_f32_e32 v23, v23, v24
	v_mul_f32_e32 v38, v25, v36
	v_sub_f32_e32 v24, v26, v25
	v_mul_f32_e32 v26, v35, v38
	v_fma_f32 v30, v38, v35, -v26
	v_fmac_f32_e32 v30, v38, v23
	v_add_f32_e32 v37, v27, v24
	v_add_f32_e32 v24, v26, v30
	v_sub_f32_e32 v27, v25, v24
	v_pk_add_f32 v[32:33], v[24:25], v[26:27] neg_lo:[0,1] neg_hi:[0,1]
	v_mov_b32_e32 v31, v24
	v_pk_add_f32 v[24:25], v[32:33], v[30:31] neg_lo:[0,1] neg_hi:[0,1]
	v_cmp_eq_f32_e64 s[74:75], s3, v42
	v_add_f32_e32 v25, v37, v25
	v_add_f32_e32 v24, v24, v25
	;; [unrolled: 1-line block ×3, first 2 shown]
	v_mul_f32_e32 v37, v36, v25
	v_mul_f32_e32 v26, v35, v37
	v_fma_f32 v30, v37, v35, -v26
	v_fmac_f32_e32 v30, v37, v23
	v_sub_f32_e32 v23, v27, v25
	v_add_f32_e32 v23, v24, v23
	v_add_f32_e32 v24, v26, v30
	v_sub_f32_e32 v27, v25, v24
	v_pk_add_f32 v[32:33], v[24:25], v[26:27] neg_lo:[0,1] neg_hi:[0,1]
	v_mov_b32_e32 v31, v24
	v_pk_add_f32 v[24:25], v[32:33], v[30:31] neg_lo:[0,1] neg_hi:[0,1]
	v_cvt_f32_i32_e32 v26, v34
	v_add_f32_e32 v23, v23, v25
	v_add_f32_e32 v23, v24, v23
	;; [unrolled: 1-line block ×4, first 2 shown]
	v_sub_f32_e32 v25, v24, v38
	v_mul_f32_e32 v23, v36, v23
	v_sub_f32_e32 v25, v37, v25
	v_add_f32_e32 v23, v25, v23
	v_add_f32_e32 v27, v24, v23
	v_mul_f32_e32 v30, v27, v27
	v_mov_b32_e32 v25, 0x3ecc95a3
	v_fmac_f32_e32 v25, 0x3e9b6dac, v30
	v_sub_f32_e32 v24, v27, v24
	v_fmaak_f32 v25, v30, v25, 0x3f2aaada
	v_sub_f32_e32 v23, v23, v24
	v_ldexp_f32 v31, v27, 1
	v_mul_f32_e32 v27, v27, v30
	v_mov_b32_e32 v24, 0x3f317218
	v_pk_mul_f32 v[24:25], v[26:27], v[24:25]
	v_ldexp_f32 v23, v23, 1
	v_fma_f32 v27, v26, s2, -v24
	v_fmamk_f32 v30, v26, 0xb102e308, v27
	v_pk_add_f32 v[26:27], v[24:25], v[30:31]
	v_mov_b32_e32 v32, v24
	v_sub_f32_e32 v31, v27, v31
	v_sub_f32_e32 v31, v25, v31
	v_add_f32_e32 v33, v23, v31
	v_pk_add_f32 v[24:25], v[26:27], v[24:25] neg_lo:[0,1] neg_hi:[0,1]
	v_pk_add_f32 v[34:35], v[26:27], v[32:33]
	v_mov_b32_e32 v31, v26
	v_mov_b32_e32 v25, v35
	v_pk_add_f32 v[36:37], v[30:31], v[24:25] neg_lo:[0,1] neg_hi:[0,1]
	v_pk_add_f32 v[24:25], v[30:31], v[24:25]
	v_mov_b32_e32 v32, v33
	v_mov_b32_e32 v30, v25
	v_pk_add_f32 v[38:39], v[30:31], v[26:27] neg_lo:[0,1] neg_hi:[0,1]
	v_mov_b32_e32 v24, v35
	v_mov_b32_e32 v23, v38
	v_pk_add_f32 v[40:41], v[34:35], v[22:23] neg_lo:[0,1] neg_hi:[0,1]
	v_mov_b32_e32 v34, v27
	v_mov_b32_e32 v35, v38
	;; [unrolled: 1-line block ×3, first 2 shown]
	v_pk_add_f32 v[24:25], v[24:25], v[34:35] neg_lo:[0,1] neg_hi:[0,1]
	v_mov_b32_e32 v33, v26
	v_pk_add_f32 v[24:25], v[32:33], v[24:25] neg_lo:[0,1] neg_hi:[0,1]
	v_mov_b32_e32 v40, v36
	v_pk_add_f32 v[26:27], v[40:41], v[24:25]
	s_mov_b32 s2, 0x33800000
	v_mov_b32_e32 v32, v27
	v_pk_add_f32 v[32:33], v[26:27], v[32:33]
	v_cmp_lt_f32_e64 s[78:79], |v42|, s2
	v_pk_add_f32 v[30:31], v[30:31], v[32:33]
	v_mov_b32_e32 v25, v32
	v_mov_b32_e32 v27, v30
	v_pk_add_f32 v[34:35], v[26:27], v[36:37] neg_lo:[0,1] neg_hi:[0,1]
	s_or_b64 s[74:75], s[74:75], s[78:79]
	v_sub_f32_e32 v23, v26, v34
	v_pk_add_f32 v[24:25], v[24:25], v[34:35] neg_lo:[0,1] neg_hi:[0,1]
	v_sub_f32_e32 v23, v36, v23
	v_add_f32_e32 v23, v24, v23
	v_add_f32_e32 v23, v23, v25
	;; [unrolled: 1-line block ×3, first 2 shown]
	v_cndmask_b32_e64 v23, v23, v42, s[74:75]
	v_add_f32_e32 v12, v12, v23
	v_cvt_f16_f32_e32 v30, v12
	v_cvt_f32_f16_e32 v32, v30
	v_mov_b32_e32 v31, v30
.LBB438_74:
	s_or_b64 exec, exec, s[76:77]
	v_cvt_f32_f16_e32 v12, v13
	v_max_f32_e32 v23, v32, v32
	v_cmp_u_f16_e64 s[76:77], v30, v30
	v_cmp_u_f16_e64 s[74:75], v13, v13
	v_min_f32_e32 v24, v23, v12
	v_max_f32_e32 v23, v23, v12
	v_cndmask_b32_e64 v24, v24, v32, s[76:77]
	v_cndmask_b32_e64 v23, v23, v32, s[76:77]
	;; [unrolled: 1-line block ×4, first 2 shown]
	v_cmp_neq_f32_e64 s[76:77], v24, v23
	v_cmp_class_f32_e64 s[78:79], v24, s33
	s_or_b64 s[76:77], s[76:77], s[78:79]
	s_and_saveexec_b64 s[78:79], s[76:77]
	s_cbranch_execz .LBB438_76
; %bb.75:
	v_sub_f32_e32 v24, v24, v23
	s_mov_b32 s2, 0x3fb8aa3b
	v_mul_f32_e32 v25, 0x3fb8aa3b, v24
	v_fma_f32 v26, v24, s2, -v25
	v_rndne_f32_e32 v27, v25
	v_fmamk_f32 v26, v24, 0x32a5705f, v26
	v_sub_f32_e32 v25, v25, v27
	v_add_f32_e32 v25, v25, v26
	v_exp_f32_e32 v25, v25
	v_cvt_i32_f32_e32 v26, v27
	s_mov_b32 s2, 0xc2ce8ed0
	v_cmp_ngt_f32_e64 s[76:77], s2, v24
	s_mov_b32 s2, 0x42b17218
	v_ldexp_f32 v25, v25, v26
	v_cndmask_b32_e64 v25, 0, v25, s[76:77]
	v_mov_b32_e32 v26, 0x7f800000
	v_cmp_nlt_f32_e64 s[76:77], s2, v24
	s_mov_b32 s2, 0x3f2aaaab
	s_mov_b32 s3, 0x7f800000
	v_cndmask_b32_e64 v42, v26, v25, s[76:77]
	v_add_f32_e32 v26, 1.0, v42
	v_add_f32_e32 v24, -1.0, v26
	v_sub_f32_e32 v25, v24, v26
	v_add_f32_e32 v25, 1.0, v25
	v_sub_f32_e32 v24, v42, v24
	v_add_f32_e32 v27, v24, v25
	v_frexp_mant_f32_e32 v30, v26
	v_cvt_f64_f32_e32 v[24:25], v26
	v_frexp_exp_i32_f64_e32 v24, v[24:25]
	v_cmp_gt_f32_e64 s[76:77], s2, v30
	s_mov_b32 s2, 0x3f317218
	s_nop 0
	v_subbrev_co_u32_e64 v34, s[76:77], 0, v24, s[76:77]
	v_sub_u32_e32 v24, 0, v34
	v_ldexp_f32 v25, v26, v24
	v_add_f32_e32 v26, -1.0, v25
	v_add_f32_e32 v30, 1.0, v25
	v_ldexp_f32 v24, v27, v24
	v_add_f32_e32 v27, 1.0, v26
	v_add_f32_e32 v31, -1.0, v30
	v_sub_f32_e32 v27, v25, v27
	v_sub_f32_e32 v25, v25, v31
	v_add_f32_e32 v27, v24, v27
	v_add_f32_e32 v24, v24, v25
	;; [unrolled: 1-line block ×3, first 2 shown]
	v_rcp_f32_e32 v37, v35
	v_sub_f32_e32 v25, v30, v35
	v_add_f32_e32 v36, v24, v25
	v_add_f32_e32 v25, v26, v27
	v_mul_f32_e32 v39, v25, v37
	v_sub_f32_e32 v24, v26, v25
	v_mul_f32_e32 v26, v35, v39
	v_fma_f32 v30, v39, v35, -v26
	v_fmac_f32_e32 v30, v39, v36
	v_add_f32_e32 v38, v27, v24
	v_add_f32_e32 v24, v26, v30
	v_sub_f32_e32 v27, v25, v24
	v_pk_add_f32 v[32:33], v[24:25], v[26:27] neg_lo:[0,1] neg_hi:[0,1]
	v_mov_b32_e32 v31, v24
	v_pk_add_f32 v[24:25], v[32:33], v[30:31] neg_lo:[0,1] neg_hi:[0,1]
	v_cmp_eq_f32_e64 s[76:77], s3, v42
	v_add_f32_e32 v25, v38, v25
	v_add_f32_e32 v24, v24, v25
	;; [unrolled: 1-line block ×3, first 2 shown]
	v_mul_f32_e32 v38, v37, v25
	v_mul_f32_e32 v26, v35, v38
	v_fma_f32 v30, v38, v35, -v26
	v_fmac_f32_e32 v30, v38, v36
	v_sub_f32_e32 v27, v27, v25
	v_add_f32_e32 v35, v24, v27
	v_add_f32_e32 v24, v26, v30
	v_sub_f32_e32 v27, v25, v24
	v_pk_add_f32 v[32:33], v[24:25], v[26:27] neg_lo:[0,1] neg_hi:[0,1]
	v_mov_b32_e32 v31, v24
	v_pk_add_f32 v[24:25], v[32:33], v[30:31] neg_lo:[0,1] neg_hi:[0,1]
	v_cvt_f32_i32_e32 v26, v34
	v_add_f32_e32 v25, v35, v25
	v_add_f32_e32 v24, v24, v25
	;; [unrolled: 1-line block ×4, first 2 shown]
	v_sub_f32_e32 v25, v27, v39
	v_mul_f32_e32 v24, v37, v24
	v_sub_f32_e32 v25, v38, v25
	v_add_f32_e32 v24, v25, v24
	v_add_f32_e32 v30, v27, v24
	v_mul_f32_e32 v32, v30, v30
	v_mov_b32_e32 v25, 0x3ecc95a3
	v_sub_f32_e32 v27, v30, v27
	v_fmac_f32_e32 v25, 0x3e9b6dac, v32
	v_sub_f32_e32 v24, v24, v27
	v_fmaak_f32 v25, v32, v25, 0x3f2aaada
	v_ldexp_f32 v33, v24, 1
	v_mul_f32_e32 v27, v30, v32
	v_mov_b32_e32 v24, 0x3f317218
	v_pk_mul_f32 v[24:25], v[26:27], v[24:25]
	v_ldexp_f32 v31, v30, 1
	v_fma_f32 v27, v26, s2, -v24
	v_fmamk_f32 v30, v26, 0xb102e308, v27
	v_pk_add_f32 v[26:27], v[24:25], v[30:31]
	v_mov_b32_e32 v32, v24
	v_sub_f32_e32 v31, v27, v31
	v_sub_f32_e32 v31, v25, v31
	v_add_f32_e32 v33, v33, v31
	v_pk_add_f32 v[24:25], v[26:27], v[24:25] neg_lo:[0,1] neg_hi:[0,1]
	v_pk_add_f32 v[34:35], v[26:27], v[32:33]
	v_mov_b32_e32 v31, v26
	v_mov_b32_e32 v25, v35
	v_pk_add_f32 v[36:37], v[30:31], v[24:25] neg_lo:[0,1] neg_hi:[0,1]
	v_pk_add_f32 v[24:25], v[30:31], v[24:25]
	v_mov_b32_e32 v32, v33
	v_mov_b32_e32 v30, v25
	v_pk_add_f32 v[38:39], v[30:31], v[26:27] neg_lo:[0,1] neg_hi:[0,1]
	v_mov_b32_e32 v24, v35
	v_mov_b32_e32 v31, v38
	v_pk_add_f32 v[40:41], v[34:35], v[30:31] neg_lo:[0,1] neg_hi:[0,1]
	v_mov_b32_e32 v34, v27
	v_mov_b32_e32 v35, v38
	v_mov_b32_e32 v37, v25
	v_pk_add_f32 v[24:25], v[24:25], v[34:35] neg_lo:[0,1] neg_hi:[0,1]
	v_mov_b32_e32 v33, v26
	v_pk_add_f32 v[24:25], v[32:33], v[24:25] neg_lo:[0,1] neg_hi:[0,1]
	v_mov_b32_e32 v40, v36
	v_pk_add_f32 v[26:27], v[40:41], v[24:25]
	s_mov_b32 s2, 0x33800000
	v_mov_b32_e32 v32, v27
	v_pk_add_f32 v[32:33], v[26:27], v[32:33]
	v_cmp_lt_f32_e64 s[80:81], |v42|, s2
	v_pk_add_f32 v[30:31], v[30:31], v[32:33]
	v_mov_b32_e32 v25, v32
	v_mov_b32_e32 v27, v30
	v_pk_add_f32 v[34:35], v[26:27], v[36:37] neg_lo:[0,1] neg_hi:[0,1]
	s_or_b64 s[76:77], s[76:77], s[80:81]
	v_sub_f32_e32 v26, v26, v34
	v_pk_add_f32 v[24:25], v[24:25], v[34:35] neg_lo:[0,1] neg_hi:[0,1]
	v_sub_f32_e32 v26, v36, v26
	v_add_f32_e32 v24, v24, v26
	v_add_f32_e32 v24, v24, v25
	;; [unrolled: 1-line block ×3, first 2 shown]
	v_cndmask_b32_e64 v24, v24, v42, s[76:77]
	v_add_f32_e32 v23, v23, v24
	v_cvt_f16_f32_e32 v30, v23
	v_cvt_f32_f16_e32 v32, v30
	v_mov_b32_e32 v31, v30
.LBB438_76:
	s_or_b64 exec, exec, s[78:79]
	v_cvt_f32_f16_sdwa v23, v13 dst_sel:DWORD dst_unused:UNUSED_PAD src0_sel:WORD_1
	v_max_f32_e32 v25, v32, v32
	v_cmp_u_f16_e64 s[78:79], v30, v30
	v_cmp_u_f16_sdwa s[76:77], v13, v13 src0_sel:WORD_1 src1_sel:WORD_1
	v_min_f32_e32 v24, v25, v23
	v_max_f32_e32 v13, v25, v23
	v_cndmask_b32_e64 v24, v24, v32, s[78:79]
	v_cndmask_b32_e64 v13, v13, v32, s[78:79]
	;; [unrolled: 1-line block ×4, first 2 shown]
	v_cmp_neq_f32_e64 s[78:79], v24, v13
	v_cmp_class_f32_e64 s[80:81], v24, s33
	s_or_b64 s[78:79], s[78:79], s[80:81]
	s_and_saveexec_b64 s[80:81], s[78:79]
	s_cbranch_execz .LBB438_78
; %bb.77:
	v_sub_f32_e32 v24, v24, v13
	s_mov_b32 s2, 0x3fb8aa3b
	v_mul_f32_e32 v25, 0x3fb8aa3b, v24
	v_fma_f32 v26, v24, s2, -v25
	v_rndne_f32_e32 v27, v25
	v_fmamk_f32 v26, v24, 0x32a5705f, v26
	v_sub_f32_e32 v25, v25, v27
	v_add_f32_e32 v25, v25, v26
	v_exp_f32_e32 v25, v25
	v_cvt_i32_f32_e32 v26, v27
	s_mov_b32 s2, 0xc2ce8ed0
	v_cmp_ngt_f32_e64 s[78:79], s2, v24
	s_mov_b32 s2, 0x42b17218
	v_ldexp_f32 v25, v25, v26
	v_cndmask_b32_e64 v25, 0, v25, s[78:79]
	v_mov_b32_e32 v26, 0x7f800000
	v_cmp_nlt_f32_e64 s[78:79], s2, v24
	s_mov_b32 s2, 0x3f2aaaab
	s_mov_b32 s3, 0x7f800000
	v_cndmask_b32_e64 v42, v26, v25, s[78:79]
	v_add_f32_e32 v26, 1.0, v42
	v_add_f32_e32 v24, -1.0, v26
	v_sub_f32_e32 v25, v24, v26
	v_add_f32_e32 v25, 1.0, v25
	v_sub_f32_e32 v24, v42, v24
	v_add_f32_e32 v27, v24, v25
	v_frexp_mant_f32_e32 v30, v26
	v_cvt_f64_f32_e32 v[24:25], v26
	v_frexp_exp_i32_f64_e32 v24, v[24:25]
	v_cmp_gt_f32_e64 s[78:79], s2, v30
	s_mov_b32 s2, 0x3f317218
	s_nop 0
	v_subbrev_co_u32_e64 v34, s[78:79], 0, v24, s[78:79]
	v_sub_u32_e32 v24, 0, v34
	v_ldexp_f32 v25, v26, v24
	v_add_f32_e32 v26, -1.0, v25
	v_add_f32_e32 v30, 1.0, v25
	v_ldexp_f32 v24, v27, v24
	v_add_f32_e32 v27, 1.0, v26
	v_add_f32_e32 v31, -1.0, v30
	v_sub_f32_e32 v27, v25, v27
	v_sub_f32_e32 v25, v25, v31
	v_add_f32_e32 v27, v24, v27
	v_add_f32_e32 v24, v24, v25
	;; [unrolled: 1-line block ×3, first 2 shown]
	v_rcp_f32_e32 v37, v35
	v_sub_f32_e32 v25, v30, v35
	v_add_f32_e32 v36, v24, v25
	v_add_f32_e32 v25, v26, v27
	v_mul_f32_e32 v39, v25, v37
	v_sub_f32_e32 v24, v26, v25
	v_mul_f32_e32 v26, v35, v39
	v_fma_f32 v30, v39, v35, -v26
	v_fmac_f32_e32 v30, v39, v36
	v_add_f32_e32 v38, v27, v24
	v_add_f32_e32 v24, v26, v30
	v_sub_f32_e32 v27, v25, v24
	v_pk_add_f32 v[32:33], v[24:25], v[26:27] neg_lo:[0,1] neg_hi:[0,1]
	v_mov_b32_e32 v31, v24
	v_pk_add_f32 v[24:25], v[32:33], v[30:31] neg_lo:[0,1] neg_hi:[0,1]
	v_cmp_eq_f32_e64 s[78:79], s3, v42
	v_add_f32_e32 v25, v38, v25
	v_add_f32_e32 v24, v24, v25
	;; [unrolled: 1-line block ×3, first 2 shown]
	v_mul_f32_e32 v38, v37, v25
	v_mul_f32_e32 v26, v35, v38
	v_fma_f32 v30, v38, v35, -v26
	v_fmac_f32_e32 v30, v38, v36
	v_sub_f32_e32 v27, v27, v25
	v_add_f32_e32 v35, v24, v27
	v_add_f32_e32 v24, v26, v30
	v_sub_f32_e32 v27, v25, v24
	v_pk_add_f32 v[32:33], v[24:25], v[26:27] neg_lo:[0,1] neg_hi:[0,1]
	v_mov_b32_e32 v31, v24
	v_pk_add_f32 v[24:25], v[32:33], v[30:31] neg_lo:[0,1] neg_hi:[0,1]
	v_cvt_f32_i32_e32 v26, v34
	v_add_f32_e32 v25, v35, v25
	v_add_f32_e32 v24, v24, v25
	;; [unrolled: 1-line block ×4, first 2 shown]
	v_sub_f32_e32 v25, v27, v39
	v_mul_f32_e32 v24, v37, v24
	v_sub_f32_e32 v25, v38, v25
	v_add_f32_e32 v24, v25, v24
	v_add_f32_e32 v30, v27, v24
	v_mul_f32_e32 v32, v30, v30
	v_mov_b32_e32 v25, 0x3ecc95a3
	v_sub_f32_e32 v27, v30, v27
	v_fmac_f32_e32 v25, 0x3e9b6dac, v32
	v_sub_f32_e32 v24, v24, v27
	v_fmaak_f32 v25, v32, v25, 0x3f2aaada
	v_ldexp_f32 v33, v24, 1
	v_mul_f32_e32 v27, v30, v32
	v_mov_b32_e32 v24, 0x3f317218
	v_pk_mul_f32 v[24:25], v[26:27], v[24:25]
	v_ldexp_f32 v31, v30, 1
	v_fma_f32 v27, v26, s2, -v24
	v_fmamk_f32 v30, v26, 0xb102e308, v27
	v_pk_add_f32 v[26:27], v[24:25], v[30:31]
	v_mov_b32_e32 v32, v24
	v_sub_f32_e32 v31, v27, v31
	v_sub_f32_e32 v31, v25, v31
	v_add_f32_e32 v33, v33, v31
	v_pk_add_f32 v[24:25], v[26:27], v[24:25] neg_lo:[0,1] neg_hi:[0,1]
	v_pk_add_f32 v[34:35], v[26:27], v[32:33]
	v_mov_b32_e32 v31, v26
	v_mov_b32_e32 v25, v35
	v_pk_add_f32 v[36:37], v[30:31], v[24:25] neg_lo:[0,1] neg_hi:[0,1]
	v_pk_add_f32 v[24:25], v[30:31], v[24:25]
	v_mov_b32_e32 v32, v33
	v_mov_b32_e32 v30, v25
	v_pk_add_f32 v[38:39], v[30:31], v[26:27] neg_lo:[0,1] neg_hi:[0,1]
	v_mov_b32_e32 v24, v35
	v_mov_b32_e32 v31, v38
	v_pk_add_f32 v[40:41], v[34:35], v[30:31] neg_lo:[0,1] neg_hi:[0,1]
	v_mov_b32_e32 v34, v27
	v_mov_b32_e32 v35, v38
	;; [unrolled: 1-line block ×3, first 2 shown]
	v_pk_add_f32 v[24:25], v[24:25], v[34:35] neg_lo:[0,1] neg_hi:[0,1]
	v_mov_b32_e32 v33, v26
	v_pk_add_f32 v[24:25], v[32:33], v[24:25] neg_lo:[0,1] neg_hi:[0,1]
	v_mov_b32_e32 v40, v36
	v_pk_add_f32 v[26:27], v[40:41], v[24:25]
	s_mov_b32 s2, 0x33800000
	v_mov_b32_e32 v32, v27
	v_pk_add_f32 v[32:33], v[26:27], v[32:33]
	v_cmp_lt_f32_e64 s[82:83], |v42|, s2
	v_pk_add_f32 v[30:31], v[30:31], v[32:33]
	v_mov_b32_e32 v25, v32
	v_mov_b32_e32 v27, v30
	v_pk_add_f32 v[34:35], v[26:27], v[36:37] neg_lo:[0,1] neg_hi:[0,1]
	s_or_b64 s[78:79], s[78:79], s[82:83]
	v_sub_f32_e32 v26, v26, v34
	v_pk_add_f32 v[24:25], v[24:25], v[34:35] neg_lo:[0,1] neg_hi:[0,1]
	v_sub_f32_e32 v26, v36, v26
	v_add_f32_e32 v24, v24, v26
	v_add_f32_e32 v24, v24, v25
	;; [unrolled: 1-line block ×3, first 2 shown]
	v_cndmask_b32_e64 v24, v24, v42, s[78:79]
	v_add_f32_e32 v13, v13, v24
	v_cvt_f16_f32_e32 v30, v13
	v_cvt_f32_f16_e32 v32, v30
	v_mov_b32_e32 v31, v30
.LBB438_78:
	s_or_b64 exec, exec, s[80:81]
	v_cvt_f32_f16_e32 v13, v6
	v_max_f32_e32 v24, v32, v32
	v_cmp_u_f16_e64 s[80:81], v30, v30
	v_cmp_u_f16_e64 s[78:79], v6, v6
	v_min_f32_e32 v25, v24, v13
	v_max_f32_e32 v24, v24, v13
	v_cndmask_b32_e64 v25, v25, v32, s[80:81]
	v_cndmask_b32_e64 v24, v24, v32, s[80:81]
	;; [unrolled: 1-line block ×4, first 2 shown]
	v_cmp_neq_f32_e64 s[80:81], v25, v24
	v_cmp_class_f32_e64 s[82:83], v25, s33
	s_or_b64 s[80:81], s[80:81], s[82:83]
	s_and_saveexec_b64 s[82:83], s[80:81]
	s_cbranch_execz .LBB438_80
; %bb.79:
	v_sub_f32_e32 v25, v25, v24
	s_mov_b32 s2, 0x3fb8aa3b
	v_mul_f32_e32 v26, 0x3fb8aa3b, v25
	v_fma_f32 v27, v25, s2, -v26
	v_rndne_f32_e32 v30, v26
	v_fmamk_f32 v27, v25, 0x32a5705f, v27
	v_sub_f32_e32 v26, v26, v30
	v_add_f32_e32 v26, v26, v27
	v_exp_f32_e32 v26, v26
	v_cvt_i32_f32_e32 v27, v30
	s_mov_b32 s2, 0xc2ce8ed0
	v_cmp_ngt_f32_e64 s[80:81], s2, v25
	s_mov_b32 s2, 0x42b17218
	v_ldexp_f32 v26, v26, v27
	v_cndmask_b32_e64 v26, 0, v26, s[80:81]
	v_mov_b32_e32 v27, 0x7f800000
	v_cmp_nlt_f32_e64 s[80:81], s2, v25
	s_mov_b32 s2, 0x3f2aaaab
	s_mov_b32 s3, 0x7f800000
	v_cndmask_b32_e64 v44, v27, v26, s[80:81]
	v_add_f32_e32 v25, 1.0, v44
	v_add_f32_e32 v26, -1.0, v25
	v_sub_f32_e32 v27, v26, v25
	v_add_f32_e32 v27, 1.0, v27
	v_sub_f32_e32 v26, v44, v26
	v_add_f32_e32 v30, v26, v27
	v_frexp_mant_f32_e32 v31, v25
	v_cvt_f64_f32_e32 v[26:27], v25
	v_frexp_exp_i32_f64_e32 v26, v[26:27]
	v_cmp_gt_f32_e64 s[80:81], s2, v31
	s_mov_b32 s2, 0x3f317218
	s_nop 0
	v_subbrev_co_u32_e64 v36, s[80:81], 0, v26, s[80:81]
	v_sub_u32_e32 v26, 0, v36
	v_ldexp_f32 v25, v25, v26
	v_ldexp_f32 v26, v30, v26
	v_add_f32_e32 v30, -1.0, v25
	v_add_f32_e32 v27, 1.0, v30
	v_sub_f32_e32 v27, v25, v27
	v_add_f32_e32 v31, v26, v27
	v_add_f32_e32 v27, 1.0, v25
	v_add_f32_e32 v32, -1.0, v27
	v_sub_f32_e32 v25, v25, v32
	v_add_f32_e32 v25, v26, v25
	v_add_f32_e32 v37, v27, v25
	v_rcp_f32_e32 v38, v37
	v_sub_f32_e32 v26, v27, v37
	v_add_f32_e32 v27, v30, v31
	v_add_f32_e32 v25, v25, v26
	v_mul_f32_e32 v40, v27, v38
	v_sub_f32_e32 v26, v30, v27
	v_mul_f32_e32 v30, v37, v40
	v_fma_f32 v32, v40, v37, -v30
	v_fmac_f32_e32 v32, v40, v25
	v_add_f32_e32 v39, v31, v26
	v_add_f32_e32 v26, v30, v32
	v_sub_f32_e32 v31, v27, v26
	v_pk_add_f32 v[34:35], v[26:27], v[30:31] neg_lo:[0,1] neg_hi:[0,1]
	v_mov_b32_e32 v33, v26
	v_pk_add_f32 v[26:27], v[34:35], v[32:33] neg_lo:[0,1] neg_hi:[0,1]
	v_cmp_eq_f32_e64 s[80:81], s3, v44
	v_add_f32_e32 v27, v39, v27
	v_add_f32_e32 v26, v26, v27
	;; [unrolled: 1-line block ×3, first 2 shown]
	v_mul_f32_e32 v39, v38, v27
	v_mul_f32_e32 v30, v37, v39
	v_fma_f32 v32, v39, v37, -v30
	v_fmac_f32_e32 v32, v39, v25
	v_sub_f32_e32 v25, v31, v27
	v_add_f32_e32 v25, v26, v25
	v_add_f32_e32 v26, v30, v32
	v_sub_f32_e32 v31, v27, v26
	v_pk_add_f32 v[34:35], v[26:27], v[30:31] neg_lo:[0,1] neg_hi:[0,1]
	v_mov_b32_e32 v33, v26
	v_pk_add_f32 v[26:27], v[34:35], v[32:33] neg_lo:[0,1] neg_hi:[0,1]
	v_cvt_f32_i32_e32 v30, v36
	v_add_f32_e32 v25, v25, v27
	v_add_f32_e32 v25, v26, v25
	;; [unrolled: 1-line block ×4, first 2 shown]
	v_sub_f32_e32 v27, v26, v40
	v_mul_f32_e32 v25, v38, v25
	v_sub_f32_e32 v27, v39, v27
	v_add_f32_e32 v25, v27, v25
	v_add_f32_e32 v31, v26, v25
	v_mul_f32_e32 v32, v31, v31
	v_mov_b32_e32 v27, 0x3ecc95a3
	v_fmac_f32_e32 v27, 0x3e9b6dac, v32
	v_sub_f32_e32 v26, v31, v26
	v_fmaak_f32 v27, v32, v27, 0x3f2aaada
	v_sub_f32_e32 v25, v25, v26
	v_ldexp_f32 v33, v31, 1
	v_mul_f32_e32 v31, v31, v32
	v_mov_b32_e32 v26, 0x3f317218
	v_pk_mul_f32 v[26:27], v[30:31], v[26:27]
	v_ldexp_f32 v25, v25, 1
	v_fma_f32 v31, v30, s2, -v26
	v_fmamk_f32 v32, v30, 0xb102e308, v31
	v_pk_add_f32 v[30:31], v[26:27], v[32:33]
	v_mov_b32_e32 v34, v26
	v_sub_f32_e32 v33, v31, v33
	v_sub_f32_e32 v33, v27, v33
	v_add_f32_e32 v35, v25, v33
	v_pk_add_f32 v[26:27], v[30:31], v[26:27] neg_lo:[0,1] neg_hi:[0,1]
	v_pk_add_f32 v[36:37], v[30:31], v[34:35]
	v_mov_b32_e32 v33, v30
	v_mov_b32_e32 v27, v37
	v_pk_add_f32 v[38:39], v[32:33], v[26:27] neg_lo:[0,1] neg_hi:[0,1]
	v_pk_add_f32 v[26:27], v[32:33], v[26:27]
	v_mov_b32_e32 v34, v35
	v_mov_b32_e32 v32, v27
	v_pk_add_f32 v[40:41], v[32:33], v[30:31] neg_lo:[0,1] neg_hi:[0,1]
	v_mov_b32_e32 v26, v37
	v_mov_b32_e32 v25, v40
	v_pk_add_f32 v[42:43], v[36:37], v[24:25] neg_lo:[0,1] neg_hi:[0,1]
	v_mov_b32_e32 v36, v31
	v_mov_b32_e32 v37, v40
	;; [unrolled: 1-line block ×3, first 2 shown]
	v_pk_add_f32 v[26:27], v[26:27], v[36:37] neg_lo:[0,1] neg_hi:[0,1]
	v_mov_b32_e32 v35, v30
	v_pk_add_f32 v[26:27], v[34:35], v[26:27] neg_lo:[0,1] neg_hi:[0,1]
	v_mov_b32_e32 v42, v38
	v_pk_add_f32 v[30:31], v[42:43], v[26:27]
	s_mov_b32 s2, 0x33800000
	v_mov_b32_e32 v34, v31
	v_pk_add_f32 v[34:35], v[30:31], v[34:35]
	v_cmp_lt_f32_e64 s[84:85], |v44|, s2
	v_pk_add_f32 v[32:33], v[32:33], v[34:35]
	v_mov_b32_e32 v27, v34
	v_mov_b32_e32 v31, v32
	v_pk_add_f32 v[36:37], v[30:31], v[38:39] neg_lo:[0,1] neg_hi:[0,1]
	s_or_b64 s[80:81], s[80:81], s[84:85]
	v_sub_f32_e32 v25, v30, v36
	v_pk_add_f32 v[26:27], v[26:27], v[36:37] neg_lo:[0,1] neg_hi:[0,1]
	v_sub_f32_e32 v25, v38, v25
	v_add_f32_e32 v25, v26, v25
	v_add_f32_e32 v25, v25, v27
	;; [unrolled: 1-line block ×3, first 2 shown]
	v_cndmask_b32_e64 v25, v25, v44, s[80:81]
	v_add_f32_e32 v24, v24, v25
	v_cvt_f16_f32_e32 v30, v24
	v_cvt_f32_f16_e32 v32, v30
	v_mov_b32_e32 v31, v30
.LBB438_80:
	s_or_b64 exec, exec, s[82:83]
	v_cvt_f32_f16_sdwa v24, v6 dst_sel:DWORD dst_unused:UNUSED_PAD src0_sel:WORD_1
	v_max_f32_e32 v26, v32, v32
	v_cmp_u_f16_e64 s[82:83], v30, v30
	v_cmp_u_f16_sdwa s[80:81], v6, v6 src0_sel:WORD_1 src1_sel:WORD_1
	v_min_f32_e32 v25, v26, v24
	v_max_f32_e32 v6, v26, v24
	v_cndmask_b32_e64 v25, v25, v32, s[82:83]
	v_cndmask_b32_e64 v6, v6, v32, s[82:83]
	;; [unrolled: 1-line block ×4, first 2 shown]
	v_cmp_neq_f32_e64 s[82:83], v25, v6
	v_cmp_class_f32_e64 s[84:85], v25, s33
	s_or_b64 s[82:83], s[82:83], s[84:85]
	s_and_saveexec_b64 s[84:85], s[82:83]
	s_cbranch_execz .LBB438_82
; %bb.81:
	v_sub_f32_e32 v25, v25, v6
	s_mov_b32 s2, 0x3fb8aa3b
	v_mul_f32_e32 v26, 0x3fb8aa3b, v25
	v_fma_f32 v27, v25, s2, -v26
	v_rndne_f32_e32 v30, v26
	v_fmamk_f32 v27, v25, 0x32a5705f, v27
	v_sub_f32_e32 v26, v26, v30
	v_add_f32_e32 v26, v26, v27
	v_exp_f32_e32 v26, v26
	v_cvt_i32_f32_e32 v27, v30
	s_mov_b32 s2, 0xc2ce8ed0
	v_cmp_ngt_f32_e64 s[82:83], s2, v25
	s_mov_b32 s2, 0x42b17218
	v_ldexp_f32 v26, v26, v27
	v_cndmask_b32_e64 v26, 0, v26, s[82:83]
	v_mov_b32_e32 v27, 0x7f800000
	v_cmp_nlt_f32_e64 s[82:83], s2, v25
	s_mov_b32 s2, 0x3f2aaaab
	s_mov_b32 s3, 0x7f800000
	v_cndmask_b32_e64 v44, v27, v26, s[82:83]
	v_add_f32_e32 v25, 1.0, v44
	v_add_f32_e32 v26, -1.0, v25
	v_sub_f32_e32 v27, v26, v25
	v_add_f32_e32 v27, 1.0, v27
	v_sub_f32_e32 v26, v44, v26
	v_add_f32_e32 v30, v26, v27
	v_frexp_mant_f32_e32 v31, v25
	v_cvt_f64_f32_e32 v[26:27], v25
	v_frexp_exp_i32_f64_e32 v26, v[26:27]
	v_cmp_gt_f32_e64 s[82:83], s2, v31
	s_mov_b32 s2, 0x3f317218
	s_nop 0
	v_subbrev_co_u32_e64 v36, s[82:83], 0, v26, s[82:83]
	v_sub_u32_e32 v26, 0, v36
	v_ldexp_f32 v25, v25, v26
	v_ldexp_f32 v26, v30, v26
	v_add_f32_e32 v30, -1.0, v25
	v_add_f32_e32 v27, 1.0, v30
	v_sub_f32_e32 v27, v25, v27
	v_add_f32_e32 v31, v26, v27
	v_add_f32_e32 v27, 1.0, v25
	v_add_f32_e32 v32, -1.0, v27
	v_sub_f32_e32 v25, v25, v32
	v_add_f32_e32 v25, v26, v25
	v_add_f32_e32 v37, v27, v25
	v_rcp_f32_e32 v38, v37
	v_sub_f32_e32 v26, v27, v37
	v_add_f32_e32 v27, v30, v31
	v_add_f32_e32 v25, v25, v26
	v_mul_f32_e32 v40, v27, v38
	v_sub_f32_e32 v26, v30, v27
	v_mul_f32_e32 v30, v37, v40
	v_fma_f32 v32, v40, v37, -v30
	v_fmac_f32_e32 v32, v40, v25
	v_add_f32_e32 v39, v31, v26
	v_add_f32_e32 v26, v30, v32
	v_sub_f32_e32 v31, v27, v26
	v_pk_add_f32 v[34:35], v[26:27], v[30:31] neg_lo:[0,1] neg_hi:[0,1]
	v_mov_b32_e32 v33, v26
	v_pk_add_f32 v[26:27], v[34:35], v[32:33] neg_lo:[0,1] neg_hi:[0,1]
	v_cmp_eq_f32_e64 s[82:83], s3, v44
	v_add_f32_e32 v27, v39, v27
	v_add_f32_e32 v26, v26, v27
	;; [unrolled: 1-line block ×3, first 2 shown]
	v_mul_f32_e32 v39, v38, v27
	v_mul_f32_e32 v30, v37, v39
	v_fma_f32 v32, v39, v37, -v30
	v_fmac_f32_e32 v32, v39, v25
	v_sub_f32_e32 v25, v31, v27
	v_add_f32_e32 v25, v26, v25
	v_add_f32_e32 v26, v30, v32
	v_sub_f32_e32 v31, v27, v26
	v_pk_add_f32 v[34:35], v[26:27], v[30:31] neg_lo:[0,1] neg_hi:[0,1]
	v_mov_b32_e32 v33, v26
	v_pk_add_f32 v[26:27], v[34:35], v[32:33] neg_lo:[0,1] neg_hi:[0,1]
	v_cvt_f32_i32_e32 v30, v36
	v_add_f32_e32 v25, v25, v27
	v_add_f32_e32 v25, v26, v25
	;; [unrolled: 1-line block ×4, first 2 shown]
	v_sub_f32_e32 v27, v26, v40
	v_mul_f32_e32 v25, v38, v25
	v_sub_f32_e32 v27, v39, v27
	v_add_f32_e32 v25, v27, v25
	v_add_f32_e32 v31, v26, v25
	v_mul_f32_e32 v32, v31, v31
	v_mov_b32_e32 v27, 0x3ecc95a3
	v_fmac_f32_e32 v27, 0x3e9b6dac, v32
	v_sub_f32_e32 v26, v31, v26
	v_fmaak_f32 v27, v32, v27, 0x3f2aaada
	v_sub_f32_e32 v25, v25, v26
	v_ldexp_f32 v33, v31, 1
	v_mul_f32_e32 v31, v31, v32
	v_mov_b32_e32 v26, 0x3f317218
	v_pk_mul_f32 v[26:27], v[30:31], v[26:27]
	v_ldexp_f32 v25, v25, 1
	v_fma_f32 v31, v30, s2, -v26
	v_fmamk_f32 v32, v30, 0xb102e308, v31
	v_pk_add_f32 v[30:31], v[26:27], v[32:33]
	v_mov_b32_e32 v34, v26
	v_sub_f32_e32 v33, v31, v33
	v_sub_f32_e32 v33, v27, v33
	v_add_f32_e32 v35, v25, v33
	v_pk_add_f32 v[26:27], v[30:31], v[26:27] neg_lo:[0,1] neg_hi:[0,1]
	v_pk_add_f32 v[36:37], v[30:31], v[34:35]
	v_mov_b32_e32 v33, v30
	v_mov_b32_e32 v27, v37
	v_pk_add_f32 v[38:39], v[32:33], v[26:27] neg_lo:[0,1] neg_hi:[0,1]
	v_pk_add_f32 v[26:27], v[32:33], v[26:27]
	v_mov_b32_e32 v34, v35
	v_mov_b32_e32 v32, v27
	v_pk_add_f32 v[40:41], v[32:33], v[30:31] neg_lo:[0,1] neg_hi:[0,1]
	v_mov_b32_e32 v26, v37
	v_mov_b32_e32 v25, v40
	v_pk_add_f32 v[42:43], v[36:37], v[24:25] neg_lo:[0,1] neg_hi:[0,1]
	v_mov_b32_e32 v36, v31
	v_mov_b32_e32 v37, v40
	;; [unrolled: 1-line block ×3, first 2 shown]
	v_pk_add_f32 v[26:27], v[26:27], v[36:37] neg_lo:[0,1] neg_hi:[0,1]
	v_mov_b32_e32 v35, v30
	v_pk_add_f32 v[26:27], v[34:35], v[26:27] neg_lo:[0,1] neg_hi:[0,1]
	v_mov_b32_e32 v42, v38
	v_pk_add_f32 v[30:31], v[42:43], v[26:27]
	s_mov_b32 s2, 0x33800000
	v_mov_b32_e32 v34, v31
	v_pk_add_f32 v[34:35], v[30:31], v[34:35]
	v_cmp_lt_f32_e64 s[86:87], |v44|, s2
	v_pk_add_f32 v[32:33], v[32:33], v[34:35]
	v_mov_b32_e32 v27, v34
	v_mov_b32_e32 v31, v32
	v_pk_add_f32 v[36:37], v[30:31], v[38:39] neg_lo:[0,1] neg_hi:[0,1]
	s_or_b64 s[82:83], s[82:83], s[86:87]
	v_sub_f32_e32 v25, v30, v36
	v_pk_add_f32 v[26:27], v[26:27], v[36:37] neg_lo:[0,1] neg_hi:[0,1]
	v_sub_f32_e32 v25, v38, v25
	v_add_f32_e32 v25, v26, v25
	v_add_f32_e32 v25, v25, v27
	;; [unrolled: 1-line block ×3, first 2 shown]
	v_cndmask_b32_e64 v25, v25, v44, s[82:83]
	v_add_f32_e32 v6, v6, v25
	v_cvt_f16_f32_e32 v30, v6
	v_cvt_f32_f16_e32 v32, v30
	v_mov_b32_e32 v31, v30
.LBB438_82:
	s_or_b64 exec, exec, s[84:85]
	v_cvt_f32_f16_e32 v6, v7
	v_max_f32_e32 v25, v32, v32
	v_cmp_u_f16_e64 s[84:85], v30, v30
	v_cmp_u_f16_e64 s[82:83], v7, v7
	v_min_f32_e32 v26, v25, v6
	v_max_f32_e32 v25, v25, v6
	v_cndmask_b32_e64 v26, v26, v32, s[84:85]
	v_cndmask_b32_e64 v25, v25, v32, s[84:85]
	;; [unrolled: 1-line block ×4, first 2 shown]
	v_cmp_neq_f32_e64 s[84:85], v26, v25
	v_cmp_class_f32_e64 s[86:87], v26, s33
	s_or_b64 s[84:85], s[84:85], s[86:87]
	s_and_saveexec_b64 s[86:87], s[84:85]
	s_cbranch_execz .LBB438_84
; %bb.83:
	v_sub_f32_e32 v26, v26, v25
	s_mov_b32 s2, 0x3fb8aa3b
	v_mul_f32_e32 v27, 0x3fb8aa3b, v26
	v_fma_f32 v30, v26, s2, -v27
	v_rndne_f32_e32 v31, v27
	v_fmamk_f32 v30, v26, 0x32a5705f, v30
	v_sub_f32_e32 v27, v27, v31
	v_add_f32_e32 v27, v27, v30
	v_exp_f32_e32 v27, v27
	v_cvt_i32_f32_e32 v30, v31
	s_mov_b32 s2, 0xc2ce8ed0
	v_cmp_ngt_f32_e64 s[84:85], s2, v26
	s_mov_b32 s2, 0x42b17218
	v_ldexp_f32 v27, v27, v30
	v_cndmask_b32_e64 v27, 0, v27, s[84:85]
	v_mov_b32_e32 v30, 0x7f800000
	v_cmp_nlt_f32_e64 s[84:85], s2, v26
	s_mov_b32 s2, 0x3f2aaaab
	s_mov_b32 s3, 0x7f800000
	v_cndmask_b32_e64 v44, v30, v27, s[84:85]
	v_add_f32_e32 v30, 1.0, v44
	v_add_f32_e32 v26, -1.0, v30
	v_sub_f32_e32 v27, v26, v30
	v_add_f32_e32 v27, 1.0, v27
	v_sub_f32_e32 v26, v44, v26
	v_add_f32_e32 v31, v26, v27
	v_frexp_mant_f32_e32 v32, v30
	v_cvt_f64_f32_e32 v[26:27], v30
	v_frexp_exp_i32_f64_e32 v26, v[26:27]
	v_cmp_gt_f32_e64 s[84:85], s2, v32
	s_mov_b32 s2, 0x3f317218
	s_nop 0
	v_subbrev_co_u32_e64 v36, s[84:85], 0, v26, s[84:85]
	v_sub_u32_e32 v26, 0, v36
	v_ldexp_f32 v27, v30, v26
	v_add_f32_e32 v30, -1.0, v27
	v_add_f32_e32 v32, 1.0, v27
	v_ldexp_f32 v26, v31, v26
	v_add_f32_e32 v31, 1.0, v30
	v_add_f32_e32 v33, -1.0, v32
	v_sub_f32_e32 v31, v27, v31
	v_sub_f32_e32 v27, v27, v33
	v_add_f32_e32 v31, v26, v31
	v_add_f32_e32 v26, v26, v27
	;; [unrolled: 1-line block ×3, first 2 shown]
	v_rcp_f32_e32 v39, v37
	v_sub_f32_e32 v27, v32, v37
	v_add_f32_e32 v38, v26, v27
	v_add_f32_e32 v27, v30, v31
	v_mul_f32_e32 v41, v27, v39
	v_sub_f32_e32 v26, v30, v27
	v_mul_f32_e32 v30, v37, v41
	v_fma_f32 v32, v41, v37, -v30
	v_fmac_f32_e32 v32, v41, v38
	v_add_f32_e32 v40, v31, v26
	v_add_f32_e32 v26, v30, v32
	v_sub_f32_e32 v31, v27, v26
	v_pk_add_f32 v[34:35], v[26:27], v[30:31] neg_lo:[0,1] neg_hi:[0,1]
	v_mov_b32_e32 v33, v26
	v_pk_add_f32 v[26:27], v[34:35], v[32:33] neg_lo:[0,1] neg_hi:[0,1]
	v_cmp_eq_f32_e64 s[84:85], s3, v44
	v_add_f32_e32 v27, v40, v27
	v_add_f32_e32 v26, v26, v27
	;; [unrolled: 1-line block ×3, first 2 shown]
	v_mul_f32_e32 v40, v39, v27
	v_mul_f32_e32 v30, v37, v40
	v_fma_f32 v32, v40, v37, -v30
	v_fmac_f32_e32 v32, v40, v38
	v_sub_f32_e32 v31, v31, v27
	v_add_f32_e32 v37, v26, v31
	v_add_f32_e32 v26, v30, v32
	v_sub_f32_e32 v31, v27, v26
	v_pk_add_f32 v[34:35], v[26:27], v[30:31] neg_lo:[0,1] neg_hi:[0,1]
	v_mov_b32_e32 v33, v26
	v_pk_add_f32 v[26:27], v[34:35], v[32:33] neg_lo:[0,1] neg_hi:[0,1]
	v_cvt_f32_i32_e32 v30, v36
	v_add_f32_e32 v27, v37, v27
	v_add_f32_e32 v26, v26, v27
	;; [unrolled: 1-line block ×4, first 2 shown]
	v_sub_f32_e32 v27, v31, v41
	v_mul_f32_e32 v26, v39, v26
	v_sub_f32_e32 v27, v40, v27
	v_add_f32_e32 v26, v27, v26
	v_add_f32_e32 v32, v31, v26
	v_mul_f32_e32 v34, v32, v32
	v_mov_b32_e32 v27, 0x3ecc95a3
	v_sub_f32_e32 v31, v32, v31
	v_fmac_f32_e32 v27, 0x3e9b6dac, v34
	v_sub_f32_e32 v26, v26, v31
	v_fmaak_f32 v27, v34, v27, 0x3f2aaada
	v_ldexp_f32 v35, v26, 1
	v_mul_f32_e32 v31, v32, v34
	v_mov_b32_e32 v26, 0x3f317218
	v_pk_mul_f32 v[26:27], v[30:31], v[26:27]
	v_ldexp_f32 v33, v32, 1
	v_fma_f32 v31, v30, s2, -v26
	v_fmamk_f32 v32, v30, 0xb102e308, v31
	v_pk_add_f32 v[30:31], v[26:27], v[32:33]
	v_mov_b32_e32 v34, v26
	v_sub_f32_e32 v33, v31, v33
	v_sub_f32_e32 v33, v27, v33
	v_add_f32_e32 v35, v35, v33
	v_pk_add_f32 v[26:27], v[30:31], v[26:27] neg_lo:[0,1] neg_hi:[0,1]
	v_pk_add_f32 v[36:37], v[30:31], v[34:35]
	v_mov_b32_e32 v33, v30
	v_mov_b32_e32 v27, v37
	v_pk_add_f32 v[38:39], v[32:33], v[26:27] neg_lo:[0,1] neg_hi:[0,1]
	v_pk_add_f32 v[26:27], v[32:33], v[26:27]
	v_mov_b32_e32 v34, v35
	v_mov_b32_e32 v32, v27
	v_pk_add_f32 v[40:41], v[32:33], v[30:31] neg_lo:[0,1] neg_hi:[0,1]
	v_mov_b32_e32 v26, v37
	v_mov_b32_e32 v33, v40
	v_pk_add_f32 v[42:43], v[36:37], v[32:33] neg_lo:[0,1] neg_hi:[0,1]
	v_mov_b32_e32 v36, v31
	v_mov_b32_e32 v37, v40
	;; [unrolled: 1-line block ×3, first 2 shown]
	v_pk_add_f32 v[26:27], v[26:27], v[36:37] neg_lo:[0,1] neg_hi:[0,1]
	v_mov_b32_e32 v35, v30
	v_pk_add_f32 v[26:27], v[34:35], v[26:27] neg_lo:[0,1] neg_hi:[0,1]
	v_mov_b32_e32 v42, v38
	v_pk_add_f32 v[30:31], v[42:43], v[26:27]
	s_mov_b32 s2, 0x33800000
	v_mov_b32_e32 v34, v31
	v_pk_add_f32 v[34:35], v[30:31], v[34:35]
	v_cmp_lt_f32_e64 s[88:89], |v44|, s2
	v_pk_add_f32 v[32:33], v[32:33], v[34:35]
	v_mov_b32_e32 v27, v34
	v_mov_b32_e32 v31, v32
	v_pk_add_f32 v[36:37], v[30:31], v[38:39] neg_lo:[0,1] neg_hi:[0,1]
	s_or_b64 s[84:85], s[84:85], s[88:89]
	v_sub_f32_e32 v30, v30, v36
	v_pk_add_f32 v[26:27], v[26:27], v[36:37] neg_lo:[0,1] neg_hi:[0,1]
	v_sub_f32_e32 v30, v38, v30
	v_add_f32_e32 v26, v26, v30
	v_add_f32_e32 v26, v26, v27
	;; [unrolled: 1-line block ×3, first 2 shown]
	v_cndmask_b32_e64 v26, v26, v44, s[84:85]
	v_add_f32_e32 v25, v25, v26
	v_cvt_f16_f32_e32 v30, v25
	v_cvt_f32_f16_e32 v32, v30
	v_mov_b32_e32 v31, v30
.LBB438_84:
	s_or_b64 exec, exec, s[86:87]
	v_cvt_f32_f16_sdwa v25, v7 dst_sel:DWORD dst_unused:UNUSED_PAD src0_sel:WORD_1
	v_max_f32_e32 v27, v32, v32
	v_cmp_u_f16_e64 s[86:87], v30, v30
	v_cmp_u_f16_sdwa s[84:85], v7, v7 src0_sel:WORD_1 src1_sel:WORD_1
	v_min_f32_e32 v26, v27, v25
	v_max_f32_e32 v7, v27, v25
	v_cndmask_b32_e64 v26, v26, v32, s[86:87]
	v_cndmask_b32_e64 v7, v7, v32, s[86:87]
	v_cndmask_b32_e64 v26, v26, v25, s[84:85]
	v_cndmask_b32_e64 v7, v7, v25, s[84:85]
	v_cmp_neq_f32_e64 s[86:87], v26, v7
	v_cmp_class_f32_e64 s[88:89], v26, s33
	s_or_b64 s[86:87], s[86:87], s[88:89]
	s_and_saveexec_b64 s[88:89], s[86:87]
	s_cbranch_execz .LBB438_86
; %bb.85:
	v_sub_f32_e32 v26, v26, v7
	s_mov_b32 s2, 0x3fb8aa3b
	v_mul_f32_e32 v27, 0x3fb8aa3b, v26
	v_fma_f32 v30, v26, s2, -v27
	v_rndne_f32_e32 v31, v27
	v_fmamk_f32 v30, v26, 0x32a5705f, v30
	v_sub_f32_e32 v27, v27, v31
	v_add_f32_e32 v27, v27, v30
	v_exp_f32_e32 v27, v27
	v_cvt_i32_f32_e32 v30, v31
	s_mov_b32 s2, 0xc2ce8ed0
	v_cmp_ngt_f32_e64 s[86:87], s2, v26
	s_mov_b32 s2, 0x42b17218
	v_ldexp_f32 v27, v27, v30
	v_cndmask_b32_e64 v27, 0, v27, s[86:87]
	v_mov_b32_e32 v30, 0x7f800000
	v_cmp_nlt_f32_e64 s[86:87], s2, v26
	s_mov_b32 s2, 0x3f2aaaab
	s_mov_b32 s3, 0x7f800000
	v_cndmask_b32_e64 v44, v30, v27, s[86:87]
	v_add_f32_e32 v30, 1.0, v44
	v_add_f32_e32 v26, -1.0, v30
	v_sub_f32_e32 v27, v26, v30
	v_add_f32_e32 v27, 1.0, v27
	v_sub_f32_e32 v26, v44, v26
	v_add_f32_e32 v31, v26, v27
	v_frexp_mant_f32_e32 v32, v30
	v_cvt_f64_f32_e32 v[26:27], v30
	v_frexp_exp_i32_f64_e32 v26, v[26:27]
	v_cmp_gt_f32_e64 s[86:87], s2, v32
	s_mov_b32 s2, 0x3f317218
	s_nop 0
	v_subbrev_co_u32_e64 v36, s[86:87], 0, v26, s[86:87]
	v_sub_u32_e32 v26, 0, v36
	v_ldexp_f32 v27, v30, v26
	v_add_f32_e32 v30, -1.0, v27
	v_add_f32_e32 v32, 1.0, v27
	v_ldexp_f32 v26, v31, v26
	v_add_f32_e32 v31, 1.0, v30
	v_add_f32_e32 v33, -1.0, v32
	v_sub_f32_e32 v31, v27, v31
	v_sub_f32_e32 v27, v27, v33
	v_add_f32_e32 v31, v26, v31
	v_add_f32_e32 v26, v26, v27
	;; [unrolled: 1-line block ×3, first 2 shown]
	v_rcp_f32_e32 v39, v37
	v_sub_f32_e32 v27, v32, v37
	v_add_f32_e32 v38, v26, v27
	v_add_f32_e32 v27, v30, v31
	v_mul_f32_e32 v41, v27, v39
	v_sub_f32_e32 v26, v30, v27
	v_mul_f32_e32 v30, v37, v41
	v_fma_f32 v32, v41, v37, -v30
	v_fmac_f32_e32 v32, v41, v38
	v_add_f32_e32 v40, v31, v26
	v_add_f32_e32 v26, v30, v32
	v_sub_f32_e32 v31, v27, v26
	v_pk_add_f32 v[34:35], v[26:27], v[30:31] neg_lo:[0,1] neg_hi:[0,1]
	v_mov_b32_e32 v33, v26
	v_pk_add_f32 v[26:27], v[34:35], v[32:33] neg_lo:[0,1] neg_hi:[0,1]
	v_cmp_eq_f32_e64 s[86:87], s3, v44
	v_add_f32_e32 v27, v40, v27
	v_add_f32_e32 v26, v26, v27
	;; [unrolled: 1-line block ×3, first 2 shown]
	v_mul_f32_e32 v40, v39, v27
	v_mul_f32_e32 v30, v37, v40
	v_fma_f32 v32, v40, v37, -v30
	v_fmac_f32_e32 v32, v40, v38
	v_sub_f32_e32 v31, v31, v27
	v_add_f32_e32 v37, v26, v31
	v_add_f32_e32 v26, v30, v32
	v_sub_f32_e32 v31, v27, v26
	v_pk_add_f32 v[34:35], v[26:27], v[30:31] neg_lo:[0,1] neg_hi:[0,1]
	v_mov_b32_e32 v33, v26
	v_pk_add_f32 v[26:27], v[34:35], v[32:33] neg_lo:[0,1] neg_hi:[0,1]
	v_cvt_f32_i32_e32 v30, v36
	v_add_f32_e32 v27, v37, v27
	v_add_f32_e32 v26, v26, v27
	;; [unrolled: 1-line block ×4, first 2 shown]
	v_sub_f32_e32 v27, v31, v41
	v_mul_f32_e32 v26, v39, v26
	v_sub_f32_e32 v27, v40, v27
	v_add_f32_e32 v26, v27, v26
	v_add_f32_e32 v32, v31, v26
	v_mul_f32_e32 v34, v32, v32
	v_mov_b32_e32 v27, 0x3ecc95a3
	v_sub_f32_e32 v31, v32, v31
	v_fmac_f32_e32 v27, 0x3e9b6dac, v34
	v_sub_f32_e32 v26, v26, v31
	v_fmaak_f32 v27, v34, v27, 0x3f2aaada
	v_ldexp_f32 v35, v26, 1
	v_mul_f32_e32 v31, v32, v34
	v_mov_b32_e32 v26, 0x3f317218
	v_pk_mul_f32 v[26:27], v[30:31], v[26:27]
	v_ldexp_f32 v33, v32, 1
	v_fma_f32 v31, v30, s2, -v26
	v_fmamk_f32 v32, v30, 0xb102e308, v31
	v_pk_add_f32 v[30:31], v[26:27], v[32:33]
	v_mov_b32_e32 v34, v26
	v_sub_f32_e32 v33, v31, v33
	v_sub_f32_e32 v33, v27, v33
	v_add_f32_e32 v35, v35, v33
	v_pk_add_f32 v[26:27], v[30:31], v[26:27] neg_lo:[0,1] neg_hi:[0,1]
	v_pk_add_f32 v[36:37], v[30:31], v[34:35]
	v_mov_b32_e32 v33, v30
	v_mov_b32_e32 v27, v37
	v_pk_add_f32 v[38:39], v[32:33], v[26:27] neg_lo:[0,1] neg_hi:[0,1]
	v_pk_add_f32 v[26:27], v[32:33], v[26:27]
	v_mov_b32_e32 v34, v35
	v_mov_b32_e32 v32, v27
	v_pk_add_f32 v[40:41], v[32:33], v[30:31] neg_lo:[0,1] neg_hi:[0,1]
	v_mov_b32_e32 v26, v37
	v_mov_b32_e32 v33, v40
	v_pk_add_f32 v[42:43], v[36:37], v[32:33] neg_lo:[0,1] neg_hi:[0,1]
	v_mov_b32_e32 v36, v31
	v_mov_b32_e32 v37, v40
	;; [unrolled: 1-line block ×3, first 2 shown]
	v_pk_add_f32 v[26:27], v[26:27], v[36:37] neg_lo:[0,1] neg_hi:[0,1]
	v_mov_b32_e32 v35, v30
	v_pk_add_f32 v[26:27], v[34:35], v[26:27] neg_lo:[0,1] neg_hi:[0,1]
	v_mov_b32_e32 v42, v38
	v_pk_add_f32 v[30:31], v[42:43], v[26:27]
	s_mov_b32 s2, 0x33800000
	v_mov_b32_e32 v34, v31
	v_pk_add_f32 v[34:35], v[30:31], v[34:35]
	v_cmp_lt_f32_e64 s[90:91], |v44|, s2
	v_pk_add_f32 v[32:33], v[32:33], v[34:35]
	v_mov_b32_e32 v27, v34
	v_mov_b32_e32 v31, v32
	v_pk_add_f32 v[36:37], v[30:31], v[38:39] neg_lo:[0,1] neg_hi:[0,1]
	s_or_b64 s[86:87], s[86:87], s[90:91]
	v_sub_f32_e32 v30, v30, v36
	v_pk_add_f32 v[26:27], v[26:27], v[36:37] neg_lo:[0,1] neg_hi:[0,1]
	v_sub_f32_e32 v30, v38, v30
	v_add_f32_e32 v26, v26, v30
	v_add_f32_e32 v26, v26, v27
	;; [unrolled: 1-line block ×3, first 2 shown]
	v_cndmask_b32_e64 v26, v26, v44, s[86:87]
	v_add_f32_e32 v7, v7, v26
	v_cvt_f16_f32_e32 v30, v7
	v_cvt_f32_f16_e32 v32, v30
	v_mov_b32_e32 v31, v30
.LBB438_86:
	s_or_b64 exec, exec, s[88:89]
	v_cvt_f32_f16_e32 v7, v8
	v_max_f32_e32 v26, v32, v32
	v_cmp_u_f16_e64 s[88:89], v30, v30
	v_cmp_u_f16_e64 s[86:87], v8, v8
	v_min_f32_e32 v27, v26, v7
	v_max_f32_e32 v26, v26, v7
	v_cndmask_b32_e64 v27, v27, v32, s[88:89]
	v_cndmask_b32_e64 v26, v26, v32, s[88:89]
	;; [unrolled: 1-line block ×4, first 2 shown]
	v_cmp_neq_f32_e64 s[88:89], v27, v26
	v_cmp_class_f32_e64 s[90:91], v27, s33
	s_or_b64 s[88:89], s[88:89], s[90:91]
	s_and_saveexec_b64 s[90:91], s[88:89]
	s_cbranch_execz .LBB438_88
; %bb.87:
	v_sub_f32_e32 v27, v27, v26
	s_mov_b32 s2, 0x3fb8aa3b
	v_mul_f32_e32 v30, 0x3fb8aa3b, v27
	v_fma_f32 v31, v27, s2, -v30
	v_rndne_f32_e32 v32, v30
	v_fmamk_f32 v31, v27, 0x32a5705f, v31
	v_sub_f32_e32 v30, v30, v32
	v_add_f32_e32 v30, v30, v31
	v_exp_f32_e32 v30, v30
	v_cvt_i32_f32_e32 v31, v32
	s_mov_b32 s2, 0xc2ce8ed0
	v_cmp_ngt_f32_e64 s[88:89], s2, v27
	s_mov_b32 s2, 0x42b17218
	v_ldexp_f32 v30, v30, v31
	v_cndmask_b32_e64 v30, 0, v30, s[88:89]
	v_mov_b32_e32 v31, 0x7f800000
	v_cmp_nlt_f32_e64 s[88:89], s2, v27
	s_mov_b32 s2, 0x3f2aaaab
	s_mov_b32 s3, 0x7f800000
	v_cndmask_b32_e64 v46, v31, v30, s[88:89]
	v_add_f32_e32 v27, 1.0, v46
	v_add_f32_e32 v30, -1.0, v27
	v_sub_f32_e32 v31, v30, v27
	v_add_f32_e32 v31, 1.0, v31
	v_sub_f32_e32 v30, v46, v30
	v_add_f32_e32 v32, v30, v31
	v_frexp_mant_f32_e32 v33, v27
	v_cvt_f64_f32_e32 v[30:31], v27
	v_frexp_exp_i32_f64_e32 v30, v[30:31]
	v_cmp_gt_f32_e64 s[88:89], s2, v33
	s_mov_b32 s2, 0x3f317218
	s_nop 0
	v_subbrev_co_u32_e64 v38, s[88:89], 0, v30, s[88:89]
	v_sub_u32_e32 v30, 0, v38
	v_ldexp_f32 v27, v27, v30
	v_ldexp_f32 v30, v32, v30
	v_add_f32_e32 v32, -1.0, v27
	v_add_f32_e32 v31, 1.0, v32
	v_sub_f32_e32 v31, v27, v31
	v_add_f32_e32 v33, v30, v31
	v_add_f32_e32 v31, 1.0, v27
	v_add_f32_e32 v34, -1.0, v31
	v_sub_f32_e32 v27, v27, v34
	v_add_f32_e32 v27, v30, v27
	v_add_f32_e32 v39, v31, v27
	v_rcp_f32_e32 v40, v39
	v_sub_f32_e32 v30, v31, v39
	v_add_f32_e32 v31, v32, v33
	v_add_f32_e32 v27, v27, v30
	v_mul_f32_e32 v42, v31, v40
	v_sub_f32_e32 v30, v32, v31
	v_mul_f32_e32 v32, v39, v42
	v_fma_f32 v34, v42, v39, -v32
	v_fmac_f32_e32 v34, v42, v27
	v_add_f32_e32 v41, v33, v30
	v_add_f32_e32 v30, v32, v34
	v_sub_f32_e32 v33, v31, v30
	v_pk_add_f32 v[36:37], v[30:31], v[32:33] neg_lo:[0,1] neg_hi:[0,1]
	v_mov_b32_e32 v35, v30
	v_pk_add_f32 v[30:31], v[36:37], v[34:35] neg_lo:[0,1] neg_hi:[0,1]
	v_cmp_eq_f32_e64 s[88:89], s3, v46
	v_add_f32_e32 v31, v41, v31
	v_add_f32_e32 v30, v30, v31
	;; [unrolled: 1-line block ×3, first 2 shown]
	v_mul_f32_e32 v41, v40, v31
	v_mul_f32_e32 v32, v39, v41
	v_fma_f32 v34, v41, v39, -v32
	v_fmac_f32_e32 v34, v41, v27
	v_sub_f32_e32 v27, v33, v31
	v_add_f32_e32 v27, v30, v27
	v_add_f32_e32 v30, v32, v34
	v_sub_f32_e32 v33, v31, v30
	v_pk_add_f32 v[36:37], v[30:31], v[32:33] neg_lo:[0,1] neg_hi:[0,1]
	v_mov_b32_e32 v35, v30
	v_pk_add_f32 v[30:31], v[36:37], v[34:35] neg_lo:[0,1] neg_hi:[0,1]
	v_cvt_f32_i32_e32 v32, v38
	v_add_f32_e32 v27, v27, v31
	v_add_f32_e32 v27, v30, v27
	;; [unrolled: 1-line block ×4, first 2 shown]
	v_sub_f32_e32 v31, v30, v42
	v_mul_f32_e32 v27, v40, v27
	v_sub_f32_e32 v31, v41, v31
	v_add_f32_e32 v27, v31, v27
	v_add_f32_e32 v33, v30, v27
	v_mul_f32_e32 v34, v33, v33
	v_mov_b32_e32 v31, 0x3ecc95a3
	v_fmac_f32_e32 v31, 0x3e9b6dac, v34
	v_sub_f32_e32 v30, v33, v30
	v_fmaak_f32 v31, v34, v31, 0x3f2aaada
	v_sub_f32_e32 v27, v27, v30
	v_ldexp_f32 v35, v33, 1
	v_mul_f32_e32 v33, v33, v34
	v_mov_b32_e32 v30, 0x3f317218
	v_pk_mul_f32 v[30:31], v[32:33], v[30:31]
	v_ldexp_f32 v27, v27, 1
	v_fma_f32 v33, v32, s2, -v30
	v_fmamk_f32 v34, v32, 0xb102e308, v33
	v_pk_add_f32 v[32:33], v[30:31], v[34:35]
	v_mov_b32_e32 v36, v30
	v_sub_f32_e32 v35, v33, v35
	v_sub_f32_e32 v35, v31, v35
	v_add_f32_e32 v37, v27, v35
	v_pk_add_f32 v[30:31], v[32:33], v[30:31] neg_lo:[0,1] neg_hi:[0,1]
	v_pk_add_f32 v[38:39], v[32:33], v[36:37]
	v_mov_b32_e32 v35, v32
	v_mov_b32_e32 v31, v39
	v_pk_add_f32 v[40:41], v[34:35], v[30:31] neg_lo:[0,1] neg_hi:[0,1]
	v_pk_add_f32 v[30:31], v[34:35], v[30:31]
	v_mov_b32_e32 v36, v37
	v_mov_b32_e32 v34, v31
	v_pk_add_f32 v[42:43], v[34:35], v[32:33] neg_lo:[0,1] neg_hi:[0,1]
	v_mov_b32_e32 v30, v39
	v_mov_b32_e32 v27, v42
	v_pk_add_f32 v[44:45], v[38:39], v[26:27] neg_lo:[0,1] neg_hi:[0,1]
	v_mov_b32_e32 v38, v33
	v_mov_b32_e32 v39, v42
	;; [unrolled: 1-line block ×3, first 2 shown]
	v_pk_add_f32 v[30:31], v[30:31], v[38:39] neg_lo:[0,1] neg_hi:[0,1]
	v_mov_b32_e32 v37, v32
	v_pk_add_f32 v[30:31], v[36:37], v[30:31] neg_lo:[0,1] neg_hi:[0,1]
	v_mov_b32_e32 v44, v40
	v_pk_add_f32 v[32:33], v[44:45], v[30:31]
	s_mov_b32 s2, 0x33800000
	v_mov_b32_e32 v36, v33
	v_pk_add_f32 v[36:37], v[32:33], v[36:37]
	v_cmp_lt_f32_e64 s[92:93], |v46|, s2
	v_pk_add_f32 v[34:35], v[34:35], v[36:37]
	v_mov_b32_e32 v31, v36
	v_mov_b32_e32 v33, v34
	v_pk_add_f32 v[38:39], v[32:33], v[40:41] neg_lo:[0,1] neg_hi:[0,1]
	s_or_b64 s[88:89], s[88:89], s[92:93]
	v_sub_f32_e32 v27, v32, v38
	v_pk_add_f32 v[30:31], v[30:31], v[38:39] neg_lo:[0,1] neg_hi:[0,1]
	v_sub_f32_e32 v27, v40, v27
	v_add_f32_e32 v27, v30, v27
	v_add_f32_e32 v27, v27, v31
	v_add_f32_e32 v27, v34, v27
	v_cndmask_b32_e64 v27, v27, v46, s[88:89]
	v_add_f32_e32 v26, v26, v27
	v_cvt_f16_f32_e32 v30, v26
	v_cvt_f32_f16_e32 v32, v30
	v_mov_b32_e32 v31, v30
.LBB438_88:
	s_or_b64 exec, exec, s[90:91]
	v_cvt_f32_f16_sdwa v26, v8 dst_sel:DWORD dst_unused:UNUSED_PAD src0_sel:WORD_1
	v_max_f32_e32 v33, v32, v32
	v_cmp_u_f16_e64 s[90:91], v30, v30
	v_cmp_u_f16_sdwa s[88:89], v8, v8 src0_sel:WORD_1 src1_sel:WORD_1
	v_min_f32_e32 v27, v33, v26
	v_max_f32_e32 v8, v33, v26
	v_cndmask_b32_e64 v27, v27, v32, s[90:91]
	v_cndmask_b32_e64 v8, v8, v32, s[90:91]
	;; [unrolled: 1-line block ×4, first 2 shown]
	v_cmp_neq_f32_e64 s[90:91], v27, v8
	v_cmp_class_f32_e64 s[92:93], v27, s33
	s_or_b64 s[90:91], s[90:91], s[92:93]
	s_and_saveexec_b64 s[92:93], s[90:91]
	s_cbranch_execz .LBB438_90
; %bb.89:
	v_sub_f32_e32 v27, v27, v8
	s_mov_b32 s2, 0x3fb8aa3b
	v_mul_f32_e32 v30, 0x3fb8aa3b, v27
	v_fma_f32 v31, v27, s2, -v30
	v_rndne_f32_e32 v32, v30
	v_fmamk_f32 v31, v27, 0x32a5705f, v31
	v_sub_f32_e32 v30, v30, v32
	v_add_f32_e32 v30, v30, v31
	v_exp_f32_e32 v30, v30
	v_cvt_i32_f32_e32 v31, v32
	s_mov_b32 s2, 0xc2ce8ed0
	v_cmp_ngt_f32_e64 s[90:91], s2, v27
	s_mov_b32 s2, 0x42b17218
	v_ldexp_f32 v30, v30, v31
	v_cndmask_b32_e64 v30, 0, v30, s[90:91]
	v_mov_b32_e32 v31, 0x7f800000
	v_cmp_nlt_f32_e64 s[90:91], s2, v27
	s_mov_b32 s2, 0x3f2aaaab
	s_mov_b32 s3, 0x7f800000
	v_cndmask_b32_e64 v46, v31, v30, s[90:91]
	v_add_f32_e32 v27, 1.0, v46
	v_add_f32_e32 v30, -1.0, v27
	v_sub_f32_e32 v31, v30, v27
	v_add_f32_e32 v31, 1.0, v31
	v_sub_f32_e32 v30, v46, v30
	v_add_f32_e32 v32, v30, v31
	v_frexp_mant_f32_e32 v33, v27
	v_cvt_f64_f32_e32 v[30:31], v27
	v_frexp_exp_i32_f64_e32 v30, v[30:31]
	v_cmp_gt_f32_e64 s[90:91], s2, v33
	s_mov_b32 s2, 0x3f317218
	s_nop 0
	v_subbrev_co_u32_e64 v38, s[90:91], 0, v30, s[90:91]
	v_sub_u32_e32 v30, 0, v38
	v_ldexp_f32 v27, v27, v30
	v_ldexp_f32 v30, v32, v30
	v_add_f32_e32 v32, -1.0, v27
	v_add_f32_e32 v31, 1.0, v32
	v_sub_f32_e32 v31, v27, v31
	v_add_f32_e32 v33, v30, v31
	v_add_f32_e32 v31, 1.0, v27
	v_add_f32_e32 v34, -1.0, v31
	v_sub_f32_e32 v27, v27, v34
	v_add_f32_e32 v27, v30, v27
	v_add_f32_e32 v39, v31, v27
	v_rcp_f32_e32 v40, v39
	v_sub_f32_e32 v30, v31, v39
	v_add_f32_e32 v31, v32, v33
	v_add_f32_e32 v27, v27, v30
	v_mul_f32_e32 v42, v31, v40
	v_sub_f32_e32 v30, v32, v31
	v_mul_f32_e32 v32, v39, v42
	v_fma_f32 v34, v42, v39, -v32
	v_fmac_f32_e32 v34, v42, v27
	v_add_f32_e32 v41, v33, v30
	v_add_f32_e32 v30, v32, v34
	v_sub_f32_e32 v33, v31, v30
	v_pk_add_f32 v[36:37], v[30:31], v[32:33] neg_lo:[0,1] neg_hi:[0,1]
	v_mov_b32_e32 v35, v30
	v_pk_add_f32 v[30:31], v[36:37], v[34:35] neg_lo:[0,1] neg_hi:[0,1]
	v_cmp_eq_f32_e64 s[90:91], s3, v46
	v_add_f32_e32 v31, v41, v31
	v_add_f32_e32 v30, v30, v31
	;; [unrolled: 1-line block ×3, first 2 shown]
	v_mul_f32_e32 v41, v40, v31
	v_mul_f32_e32 v32, v39, v41
	v_fma_f32 v34, v41, v39, -v32
	v_fmac_f32_e32 v34, v41, v27
	v_sub_f32_e32 v27, v33, v31
	v_add_f32_e32 v27, v30, v27
	v_add_f32_e32 v30, v32, v34
	v_sub_f32_e32 v33, v31, v30
	v_pk_add_f32 v[36:37], v[30:31], v[32:33] neg_lo:[0,1] neg_hi:[0,1]
	v_mov_b32_e32 v35, v30
	v_pk_add_f32 v[30:31], v[36:37], v[34:35] neg_lo:[0,1] neg_hi:[0,1]
	v_cvt_f32_i32_e32 v32, v38
	v_add_f32_e32 v27, v27, v31
	v_add_f32_e32 v27, v30, v27
	v_add_f32_e32 v30, v42, v41
	v_add_f32_e32 v27, v33, v27
	v_sub_f32_e32 v31, v30, v42
	v_mul_f32_e32 v27, v40, v27
	v_sub_f32_e32 v31, v41, v31
	v_add_f32_e32 v27, v31, v27
	v_add_f32_e32 v33, v30, v27
	v_mul_f32_e32 v34, v33, v33
	v_mov_b32_e32 v31, 0x3ecc95a3
	v_fmac_f32_e32 v31, 0x3e9b6dac, v34
	v_sub_f32_e32 v30, v33, v30
	v_fmaak_f32 v31, v34, v31, 0x3f2aaada
	v_sub_f32_e32 v27, v27, v30
	v_ldexp_f32 v35, v33, 1
	v_mul_f32_e32 v33, v33, v34
	v_mov_b32_e32 v30, 0x3f317218
	v_pk_mul_f32 v[30:31], v[32:33], v[30:31]
	v_ldexp_f32 v27, v27, 1
	v_fma_f32 v33, v32, s2, -v30
	v_fmamk_f32 v34, v32, 0xb102e308, v33
	v_pk_add_f32 v[32:33], v[30:31], v[34:35]
	v_mov_b32_e32 v36, v30
	v_sub_f32_e32 v35, v33, v35
	v_sub_f32_e32 v35, v31, v35
	v_add_f32_e32 v37, v27, v35
	v_pk_add_f32 v[30:31], v[32:33], v[30:31] neg_lo:[0,1] neg_hi:[0,1]
	v_pk_add_f32 v[38:39], v[32:33], v[36:37]
	v_mov_b32_e32 v35, v32
	v_mov_b32_e32 v31, v39
	v_pk_add_f32 v[40:41], v[34:35], v[30:31] neg_lo:[0,1] neg_hi:[0,1]
	v_pk_add_f32 v[30:31], v[34:35], v[30:31]
	v_mov_b32_e32 v36, v37
	v_mov_b32_e32 v34, v31
	v_pk_add_f32 v[42:43], v[34:35], v[32:33] neg_lo:[0,1] neg_hi:[0,1]
	v_mov_b32_e32 v30, v39
	v_mov_b32_e32 v27, v42
	v_pk_add_f32 v[44:45], v[38:39], v[26:27] neg_lo:[0,1] neg_hi:[0,1]
	v_mov_b32_e32 v38, v33
	v_mov_b32_e32 v39, v42
	;; [unrolled: 1-line block ×3, first 2 shown]
	v_pk_add_f32 v[30:31], v[30:31], v[38:39] neg_lo:[0,1] neg_hi:[0,1]
	v_mov_b32_e32 v37, v32
	v_pk_add_f32 v[30:31], v[36:37], v[30:31] neg_lo:[0,1] neg_hi:[0,1]
	v_mov_b32_e32 v44, v40
	v_pk_add_f32 v[32:33], v[44:45], v[30:31]
	s_mov_b32 s2, 0x33800000
	v_mov_b32_e32 v36, v33
	v_pk_add_f32 v[36:37], v[32:33], v[36:37]
	v_cmp_lt_f32_e64 s[96:97], |v46|, s2
	v_pk_add_f32 v[34:35], v[34:35], v[36:37]
	v_mov_b32_e32 v31, v36
	v_mov_b32_e32 v33, v34
	v_pk_add_f32 v[38:39], v[32:33], v[40:41] neg_lo:[0,1] neg_hi:[0,1]
	s_or_b64 s[90:91], s[90:91], s[96:97]
	v_sub_f32_e32 v27, v32, v38
	v_pk_add_f32 v[30:31], v[30:31], v[38:39] neg_lo:[0,1] neg_hi:[0,1]
	v_sub_f32_e32 v27, v40, v27
	v_add_f32_e32 v27, v30, v27
	v_add_f32_e32 v27, v27, v31
	;; [unrolled: 1-line block ×3, first 2 shown]
	v_cndmask_b32_e64 v27, v27, v46, s[90:91]
	v_add_f32_e32 v8, v8, v27
	v_cvt_f16_f32_e32 v30, v8
	v_cvt_f32_f16_e32 v32, v30
	v_mov_b32_e32 v31, v30
.LBB438_90:
	s_or_b64 exec, exec, s[92:93]
	v_cvt_f32_f16_e32 v8, v9
	v_max_f32_e32 v27, v32, v32
	v_cmp_u_f16_e64 s[92:93], v30, v30
	v_cmp_u_f16_e64 s[90:91], v9, v9
	v_min_f32_e32 v33, v27, v8
	v_max_f32_e32 v27, v27, v8
	v_cndmask_b32_e64 v33, v33, v32, s[92:93]
	v_cndmask_b32_e64 v27, v27, v32, s[92:93]
	;; [unrolled: 1-line block ×4, first 2 shown]
	v_cmp_neq_f32_e64 s[92:93], v33, v27
	v_cmp_class_f32_e64 s[96:97], v33, s33
	s_or_b64 s[92:93], s[92:93], s[96:97]
	s_and_saveexec_b64 s[96:97], s[92:93]
	s_cbranch_execz .LBB438_92
; %bb.91:
	v_sub_f32_e32 v30, v33, v27
	s_mov_b32 s2, 0x3fb8aa3b
	v_mul_f32_e32 v31, 0x3fb8aa3b, v30
	v_fma_f32 v32, v30, s2, -v31
	v_rndne_f32_e32 v33, v31
	v_fmamk_f32 v32, v30, 0x32a5705f, v32
	v_sub_f32_e32 v31, v31, v33
	v_add_f32_e32 v31, v31, v32
	v_exp_f32_e32 v31, v31
	v_cvt_i32_f32_e32 v32, v33
	s_mov_b32 s2, 0xc2ce8ed0
	v_cmp_ngt_f32_e64 s[92:93], s2, v30
	s_mov_b32 s2, 0x42b17218
	v_ldexp_f32 v31, v31, v32
	v_cndmask_b32_e64 v31, 0, v31, s[92:93]
	v_mov_b32_e32 v32, 0x7f800000
	v_cmp_nlt_f32_e64 s[92:93], s2, v30
	s_mov_b32 s2, 0x3f2aaaab
	s_mov_b32 s3, 0x7f800000
	v_cndmask_b32_e64 v46, v32, v31, s[92:93]
	v_add_f32_e32 v32, 1.0, v46
	v_add_f32_e32 v30, -1.0, v32
	v_sub_f32_e32 v31, v30, v32
	v_add_f32_e32 v31, 1.0, v31
	v_sub_f32_e32 v30, v46, v30
	v_add_f32_e32 v33, v30, v31
	v_frexp_mant_f32_e32 v34, v32
	v_cvt_f64_f32_e32 v[30:31], v32
	v_frexp_exp_i32_f64_e32 v30, v[30:31]
	v_cmp_gt_f32_e64 s[92:93], s2, v34
	s_mov_b32 s2, 0x3f317218
	s_nop 0
	v_subbrev_co_u32_e64 v38, s[92:93], 0, v30, s[92:93]
	v_sub_u32_e32 v30, 0, v38
	v_ldexp_f32 v31, v32, v30
	v_add_f32_e32 v32, -1.0, v31
	v_add_f32_e32 v34, 1.0, v31
	v_ldexp_f32 v30, v33, v30
	v_add_f32_e32 v33, 1.0, v32
	v_add_f32_e32 v35, -1.0, v34
	v_sub_f32_e32 v33, v31, v33
	v_sub_f32_e32 v31, v31, v35
	v_add_f32_e32 v33, v30, v33
	v_add_f32_e32 v30, v30, v31
	;; [unrolled: 1-line block ×3, first 2 shown]
	v_rcp_f32_e32 v41, v39
	v_sub_f32_e32 v31, v34, v39
	v_add_f32_e32 v40, v30, v31
	v_add_f32_e32 v31, v32, v33
	v_mul_f32_e32 v43, v31, v41
	v_sub_f32_e32 v30, v32, v31
	v_mul_f32_e32 v32, v39, v43
	v_fma_f32 v34, v43, v39, -v32
	v_fmac_f32_e32 v34, v43, v40
	v_add_f32_e32 v42, v33, v30
	v_add_f32_e32 v30, v32, v34
	v_sub_f32_e32 v33, v31, v30
	v_pk_add_f32 v[36:37], v[30:31], v[32:33] neg_lo:[0,1] neg_hi:[0,1]
	v_mov_b32_e32 v35, v30
	v_pk_add_f32 v[30:31], v[36:37], v[34:35] neg_lo:[0,1] neg_hi:[0,1]
	v_cmp_eq_f32_e64 s[92:93], s3, v46
	v_add_f32_e32 v31, v42, v31
	v_add_f32_e32 v30, v30, v31
	;; [unrolled: 1-line block ×3, first 2 shown]
	v_mul_f32_e32 v42, v41, v31
	v_mul_f32_e32 v32, v39, v42
	v_fma_f32 v34, v42, v39, -v32
	v_fmac_f32_e32 v34, v42, v40
	v_sub_f32_e32 v33, v33, v31
	v_add_f32_e32 v39, v30, v33
	v_add_f32_e32 v30, v32, v34
	v_sub_f32_e32 v33, v31, v30
	v_pk_add_f32 v[36:37], v[30:31], v[32:33] neg_lo:[0,1] neg_hi:[0,1]
	v_mov_b32_e32 v35, v30
	v_pk_add_f32 v[30:31], v[36:37], v[34:35] neg_lo:[0,1] neg_hi:[0,1]
	v_cvt_f32_i32_e32 v32, v38
	v_add_f32_e32 v31, v39, v31
	v_add_f32_e32 v30, v30, v31
	;; [unrolled: 1-line block ×4, first 2 shown]
	v_sub_f32_e32 v31, v33, v43
	v_mul_f32_e32 v30, v41, v30
	v_sub_f32_e32 v31, v42, v31
	v_add_f32_e32 v30, v31, v30
	v_add_f32_e32 v34, v33, v30
	v_mul_f32_e32 v36, v34, v34
	v_mov_b32_e32 v31, 0x3ecc95a3
	v_sub_f32_e32 v33, v34, v33
	v_fmac_f32_e32 v31, 0x3e9b6dac, v36
	v_sub_f32_e32 v30, v30, v33
	v_fmaak_f32 v31, v36, v31, 0x3f2aaada
	v_ldexp_f32 v37, v30, 1
	v_mul_f32_e32 v33, v34, v36
	v_mov_b32_e32 v30, 0x3f317218
	v_pk_mul_f32 v[30:31], v[32:33], v[30:31]
	v_ldexp_f32 v35, v34, 1
	v_fma_f32 v33, v32, s2, -v30
	v_fmamk_f32 v34, v32, 0xb102e308, v33
	v_pk_add_f32 v[32:33], v[30:31], v[34:35]
	v_mov_b32_e32 v36, v30
	v_sub_f32_e32 v35, v33, v35
	v_sub_f32_e32 v35, v31, v35
	v_add_f32_e32 v37, v37, v35
	v_pk_add_f32 v[30:31], v[32:33], v[30:31] neg_lo:[0,1] neg_hi:[0,1]
	v_pk_add_f32 v[38:39], v[32:33], v[36:37]
	v_mov_b32_e32 v35, v32
	v_mov_b32_e32 v31, v39
	v_pk_add_f32 v[40:41], v[34:35], v[30:31] neg_lo:[0,1] neg_hi:[0,1]
	v_pk_add_f32 v[30:31], v[34:35], v[30:31]
	v_mov_b32_e32 v36, v37
	v_mov_b32_e32 v34, v31
	v_pk_add_f32 v[42:43], v[34:35], v[32:33] neg_lo:[0,1] neg_hi:[0,1]
	v_mov_b32_e32 v30, v39
	v_mov_b32_e32 v35, v42
	v_pk_add_f32 v[44:45], v[38:39], v[34:35] neg_lo:[0,1] neg_hi:[0,1]
	v_mov_b32_e32 v38, v33
	v_mov_b32_e32 v39, v42
	;; [unrolled: 1-line block ×3, first 2 shown]
	v_pk_add_f32 v[30:31], v[30:31], v[38:39] neg_lo:[0,1] neg_hi:[0,1]
	v_mov_b32_e32 v37, v32
	v_pk_add_f32 v[30:31], v[36:37], v[30:31] neg_lo:[0,1] neg_hi:[0,1]
	v_mov_b32_e32 v44, v40
	v_pk_add_f32 v[32:33], v[44:45], v[30:31]
	s_mov_b32 s2, 0x33800000
	v_mov_b32_e32 v36, v33
	v_pk_add_f32 v[36:37], v[32:33], v[36:37]
	v_cmp_lt_f32_e64 s[98:99], |v46|, s2
	v_pk_add_f32 v[34:35], v[34:35], v[36:37]
	v_mov_b32_e32 v31, v36
	v_mov_b32_e32 v33, v34
	v_pk_add_f32 v[38:39], v[32:33], v[40:41] neg_lo:[0,1] neg_hi:[0,1]
	s_or_b64 s[92:93], s[92:93], s[98:99]
	v_sub_f32_e32 v32, v32, v38
	v_pk_add_f32 v[30:31], v[30:31], v[38:39] neg_lo:[0,1] neg_hi:[0,1]
	v_sub_f32_e32 v32, v40, v32
	v_add_f32_e32 v30, v30, v32
	v_add_f32_e32 v30, v30, v31
	;; [unrolled: 1-line block ×3, first 2 shown]
	v_cndmask_b32_e64 v30, v30, v46, s[92:93]
	v_add_f32_e32 v27, v27, v30
	v_cvt_f16_f32_e32 v30, v27
	v_cvt_f32_f16_e32 v32, v30
	v_mov_b32_e32 v31, v30
.LBB438_92:
	s_or_b64 exec, exec, s[96:97]
	v_cvt_f32_f16_sdwa v27, v9 dst_sel:DWORD dst_unused:UNUSED_PAD src0_sel:WORD_1
	v_max_f32_e32 v33, v32, v32
	v_cmp_u_f16_e64 s[98:99], v30, v30
	v_cmp_u_f16_sdwa s[92:93], v9, v9 src0_sel:WORD_1 src1_sel:WORD_1
	v_min_f32_e32 v9, v33, v27
	v_cndmask_b32_e64 v9, v9, v32, s[98:99]
	v_cndmask_b32_e64 v30, v9, v27, s[92:93]
	v_max_f32_e32 v9, v33, v27
	v_cndmask_b32_e64 v9, v9, v32, s[98:99]
	v_cndmask_b32_e64 v9, v9, v27, s[92:93]
	s_movk_i32 s2, 0x1f8
	v_cmp_neq_f32_e64 s[98:99], v30, v9
	v_cmp_class_f32_e64 s[96:97], v30, s2
	s_or_b64 s[98:99], s[98:99], s[96:97]
	s_and_saveexec_b64 s[96:97], s[98:99]
	s_cbranch_execz .LBB438_94
; %bb.93:
	v_sub_f32_e32 v30, v30, v9
	s_mov_b32 s2, 0x3fb8aa3b
	v_mul_f32_e32 v31, 0x3fb8aa3b, v30
	v_fma_f32 v32, v30, s2, -v31
	v_rndne_f32_e32 v33, v31
	v_fmamk_f32 v32, v30, 0x32a5705f, v32
	v_sub_f32_e32 v31, v31, v33
	v_add_f32_e32 v31, v31, v32
	v_exp_f32_e32 v31, v31
	v_cvt_i32_f32_e32 v32, v33
	s_mov_b32 s2, 0xc2ce8ed0
	v_cmp_ngt_f32_e64 s[98:99], s2, v30
	s_mov_b32 s2, 0x42b17218
	v_ldexp_f32 v31, v31, v32
	v_cndmask_b32_e64 v31, 0, v31, s[98:99]
	v_mov_b32_e32 v32, 0x7f800000
	v_cmp_nlt_f32_e64 s[98:99], s2, v30
	s_mov_b32 s2, 0x3f2aaaab
	s_mov_b32 s3, 0x7f800000
	v_cndmask_b32_e64 v46, v32, v31, s[98:99]
	v_add_f32_e32 v32, 1.0, v46
	v_add_f32_e32 v30, -1.0, v32
	v_sub_f32_e32 v31, v30, v32
	v_add_f32_e32 v31, 1.0, v31
	v_sub_f32_e32 v30, v46, v30
	v_add_f32_e32 v33, v30, v31
	v_frexp_mant_f32_e32 v34, v32
	v_cvt_f64_f32_e32 v[30:31], v32
	v_frexp_exp_i32_f64_e32 v30, v[30:31]
	v_cmp_gt_f32_e64 s[98:99], s2, v34
	s_mov_b32 s2, 0x3f317218
	s_nop 0
	v_subbrev_co_u32_e64 v38, s[98:99], 0, v30, s[98:99]
	v_sub_u32_e32 v30, 0, v38
	v_ldexp_f32 v31, v32, v30
	v_add_f32_e32 v32, -1.0, v31
	v_add_f32_e32 v34, 1.0, v31
	v_ldexp_f32 v30, v33, v30
	v_add_f32_e32 v33, 1.0, v32
	v_add_f32_e32 v35, -1.0, v34
	v_sub_f32_e32 v33, v31, v33
	v_sub_f32_e32 v31, v31, v35
	v_add_f32_e32 v33, v30, v33
	v_add_f32_e32 v30, v30, v31
	;; [unrolled: 1-line block ×3, first 2 shown]
	v_rcp_f32_e32 v41, v39
	v_sub_f32_e32 v31, v34, v39
	v_add_f32_e32 v40, v30, v31
	v_add_f32_e32 v31, v32, v33
	v_mul_f32_e32 v43, v31, v41
	v_sub_f32_e32 v30, v32, v31
	v_mul_f32_e32 v32, v39, v43
	v_fma_f32 v34, v43, v39, -v32
	v_fmac_f32_e32 v34, v43, v40
	v_add_f32_e32 v42, v33, v30
	v_add_f32_e32 v30, v32, v34
	v_sub_f32_e32 v33, v31, v30
	v_pk_add_f32 v[36:37], v[30:31], v[32:33] neg_lo:[0,1] neg_hi:[0,1]
	v_mov_b32_e32 v35, v30
	v_pk_add_f32 v[30:31], v[36:37], v[34:35] neg_lo:[0,1] neg_hi:[0,1]
	v_cmp_eq_f32_e64 s[98:99], s3, v46
	v_add_f32_e32 v31, v42, v31
	v_add_f32_e32 v30, v30, v31
	;; [unrolled: 1-line block ×3, first 2 shown]
	v_mul_f32_e32 v42, v41, v31
	v_mul_f32_e32 v32, v39, v42
	v_fma_f32 v34, v42, v39, -v32
	v_fmac_f32_e32 v34, v42, v40
	v_sub_f32_e32 v33, v33, v31
	v_add_f32_e32 v39, v30, v33
	v_add_f32_e32 v30, v32, v34
	v_sub_f32_e32 v33, v31, v30
	v_pk_add_f32 v[36:37], v[30:31], v[32:33] neg_lo:[0,1] neg_hi:[0,1]
	v_mov_b32_e32 v35, v30
	v_pk_add_f32 v[30:31], v[36:37], v[34:35] neg_lo:[0,1] neg_hi:[0,1]
	v_cvt_f32_i32_e32 v32, v38
	v_add_f32_e32 v31, v39, v31
	v_add_f32_e32 v30, v30, v31
	;; [unrolled: 1-line block ×4, first 2 shown]
	v_sub_f32_e32 v31, v33, v43
	v_mul_f32_e32 v30, v41, v30
	v_sub_f32_e32 v31, v42, v31
	v_add_f32_e32 v30, v31, v30
	v_add_f32_e32 v34, v33, v30
	v_mul_f32_e32 v36, v34, v34
	v_mov_b32_e32 v31, 0x3ecc95a3
	v_sub_f32_e32 v33, v34, v33
	v_fmac_f32_e32 v31, 0x3e9b6dac, v36
	v_sub_f32_e32 v30, v30, v33
	v_fmaak_f32 v31, v36, v31, 0x3f2aaada
	v_ldexp_f32 v37, v30, 1
	v_mul_f32_e32 v33, v34, v36
	v_mov_b32_e32 v30, 0x3f317218
	v_pk_mul_f32 v[30:31], v[32:33], v[30:31]
	v_ldexp_f32 v35, v34, 1
	v_fma_f32 v33, v32, s2, -v30
	v_fmamk_f32 v34, v32, 0xb102e308, v33
	v_pk_add_f32 v[32:33], v[30:31], v[34:35]
	v_mov_b32_e32 v36, v30
	v_sub_f32_e32 v35, v33, v35
	v_sub_f32_e32 v35, v31, v35
	v_add_f32_e32 v37, v37, v35
	v_pk_add_f32 v[30:31], v[32:33], v[30:31] neg_lo:[0,1] neg_hi:[0,1]
	v_pk_add_f32 v[38:39], v[32:33], v[36:37]
	v_mov_b32_e32 v35, v32
	v_mov_b32_e32 v31, v39
	v_pk_add_f32 v[40:41], v[34:35], v[30:31] neg_lo:[0,1] neg_hi:[0,1]
	v_pk_add_f32 v[30:31], v[34:35], v[30:31]
	v_mov_b32_e32 v36, v37
	v_mov_b32_e32 v34, v31
	v_pk_add_f32 v[42:43], v[34:35], v[32:33] neg_lo:[0,1] neg_hi:[0,1]
	v_mov_b32_e32 v30, v39
	v_mov_b32_e32 v35, v42
	v_pk_add_f32 v[44:45], v[38:39], v[34:35] neg_lo:[0,1] neg_hi:[0,1]
	v_mov_b32_e32 v38, v33
	v_mov_b32_e32 v39, v42
	;; [unrolled: 1-line block ×3, first 2 shown]
	v_pk_add_f32 v[30:31], v[30:31], v[38:39] neg_lo:[0,1] neg_hi:[0,1]
	v_mov_b32_e32 v37, v32
	v_pk_add_f32 v[30:31], v[36:37], v[30:31] neg_lo:[0,1] neg_hi:[0,1]
	v_mov_b32_e32 v44, v40
	v_pk_add_f32 v[32:33], v[44:45], v[30:31]
	s_mov_b32 s2, 0x33800000
	v_mov_b32_e32 v36, v33
	v_pk_add_f32 v[36:37], v[32:33], v[36:37]
	v_cmp_lt_f32_e64 vcc, |v46|, s2
	v_pk_add_f32 v[34:35], v[34:35], v[36:37]
	v_mov_b32_e32 v31, v36
	v_mov_b32_e32 v33, v34
	v_pk_add_f32 v[38:39], v[32:33], v[40:41] neg_lo:[0,1] neg_hi:[0,1]
	s_or_b64 s[98:99], s[98:99], vcc
	v_sub_f32_e32 v32, v32, v38
	v_pk_add_f32 v[30:31], v[30:31], v[38:39] neg_lo:[0,1] neg_hi:[0,1]
	v_sub_f32_e32 v32, v40, v32
	v_add_f32_e32 v30, v30, v32
	v_add_f32_e32 v30, v30, v31
	;; [unrolled: 1-line block ×3, first 2 shown]
	v_cndmask_b32_e64 v30, v30, v46, s[98:99]
	v_add_f32_e32 v9, v9, v30
	v_cvt_f16_f32_e32 v31, v9
.LBB438_94:
	s_or_b64 exec, exec, s[96:97]
	v_mbcnt_lo_u32_b32 v9, -1, 0
	v_mbcnt_hi_u32_b32 v30, -1, v9
	v_and_b32_e32 v32, 15, v30
	v_and_b32_e32 v33, 0xffff, v31
	v_cmp_ne_u32_e64 s[98:99], 0, v32
	s_nop 0
	v_mov_b32_dpp v34, v33 row_shr:1 row_mask:0xf bank_mask:0xf
	s_and_saveexec_b64 s[96:97], s[98:99]
	s_cbranch_execz .LBB438_98
; %bb.95:
	v_cvt_f32_f16_e32 v9, v34
	v_cvt_f32_f16_e32 v33, v31
	v_cmp_u_f16_e64 s[98:99], v34, v34
	v_cmp_u_f16_e32 vcc, v31, v31
	s_movk_i32 s2, 0x1f8
	v_min_f32_e32 v31, v9, v33
	v_max_f32_e32 v35, v9, v33
	v_cndmask_b32_e64 v31, v31, v9, s[98:99]
	v_cndmask_b32_e64 v9, v35, v9, s[98:99]
	v_cndmask_b32_e32 v31, v31, v33, vcc
	v_cndmask_b32_e32 v9, v9, v33, vcc
	v_cmp_neq_f32_e32 vcc, v31, v9
	v_cmp_class_f32_e64 s[98:99], v31, s2
	s_or_b64 vcc, vcc, s[98:99]
	s_and_saveexec_b64 s[98:99], vcc
	s_cbranch_execz .LBB438_97
; %bb.96:
	v_sub_f32_e32 v31, v31, v9
	s_mov_b32 s2, 0x3fb8aa3b
	v_mul_f32_e32 v33, 0x3fb8aa3b, v31
	v_fma_f32 v34, v31, s2, -v33
	v_rndne_f32_e32 v35, v33
	v_fmamk_f32 v34, v31, 0x32a5705f, v34
	v_sub_f32_e32 v33, v33, v35
	v_add_f32_e32 v33, v33, v34
	v_exp_f32_e32 v33, v33
	v_cvt_i32_f32_e32 v34, v35
	s_mov_b32 s2, 0xc2ce8ed0
	v_cmp_ngt_f32_e32 vcc, s2, v31
	s_mov_b32 s2, 0x42b17218
	v_ldexp_f32 v33, v33, v34
	v_cndmask_b32_e32 v33, 0, v33, vcc
	v_mov_b32_e32 v34, 0x7f800000
	v_cmp_nlt_f32_e32 vcc, s2, v31
	s_mov_b32 s2, 0x3f2aaaab
	s_mov_b32 s3, 0x7f800000
	v_cndmask_b32_e32 v33, v34, v33, vcc
	v_add_f32_e32 v31, 1.0, v33
	v_add_f32_e32 v34, -1.0, v31
	v_sub_f32_e32 v35, v34, v31
	v_add_f32_e32 v35, 1.0, v35
	v_sub_f32_e32 v34, v33, v34
	v_add_f32_e32 v36, v34, v35
	v_frexp_mant_f32_e32 v37, v31
	v_cvt_f64_f32_e32 v[34:35], v31
	v_frexp_exp_i32_f64_e32 v34, v[34:35]
	v_cmp_gt_f32_e32 vcc, s2, v37
	s_mov_b32 s2, 0x3f317218
	s_nop 0
	v_subbrev_co_u32_e32 v42, vcc, 0, v34, vcc
	v_sub_u32_e32 v34, 0, v42
	v_ldexp_f32 v31, v31, v34
	v_ldexp_f32 v34, v36, v34
	v_add_f32_e32 v36, -1.0, v31
	v_add_f32_e32 v35, 1.0, v36
	v_sub_f32_e32 v35, v31, v35
	v_add_f32_e32 v37, v34, v35
	v_add_f32_e32 v35, 1.0, v31
	v_add_f32_e32 v38, -1.0, v35
	v_sub_f32_e32 v31, v31, v38
	v_add_f32_e32 v31, v34, v31
	v_add_f32_e32 v43, v35, v31
	v_rcp_f32_e32 v44, v43
	v_sub_f32_e32 v34, v35, v43
	v_add_f32_e32 v35, v36, v37
	v_add_f32_e32 v31, v31, v34
	v_mul_f32_e32 v46, v35, v44
	v_sub_f32_e32 v34, v36, v35
	v_mul_f32_e32 v36, v43, v46
	v_fma_f32 v38, v46, v43, -v36
	v_fmac_f32_e32 v38, v46, v31
	v_add_f32_e32 v45, v37, v34
	v_add_f32_e32 v34, v36, v38
	v_sub_f32_e32 v37, v35, v34
	v_pk_add_f32 v[40:41], v[34:35], v[36:37] neg_lo:[0,1] neg_hi:[0,1]
	v_mov_b32_e32 v39, v34
	v_pk_add_f32 v[34:35], v[40:41], v[38:39] neg_lo:[0,1] neg_hi:[0,1]
	v_cmp_eq_f32_e32 vcc, s3, v33
	v_add_f32_e32 v35, v45, v35
	v_add_f32_e32 v34, v34, v35
	;; [unrolled: 1-line block ×3, first 2 shown]
	v_mul_f32_e32 v45, v44, v35
	v_mul_f32_e32 v36, v43, v45
	v_fma_f32 v38, v45, v43, -v36
	v_fmac_f32_e32 v38, v45, v31
	v_sub_f32_e32 v31, v37, v35
	v_add_f32_e32 v31, v34, v31
	v_add_f32_e32 v34, v36, v38
	v_sub_f32_e32 v37, v35, v34
	v_pk_add_f32 v[40:41], v[34:35], v[36:37] neg_lo:[0,1] neg_hi:[0,1]
	v_mov_b32_e32 v39, v34
	v_pk_add_f32 v[34:35], v[40:41], v[38:39] neg_lo:[0,1] neg_hi:[0,1]
	v_cvt_f32_i32_e32 v36, v42
	v_add_f32_e32 v31, v31, v35
	v_add_f32_e32 v31, v34, v31
	;; [unrolled: 1-line block ×4, first 2 shown]
	v_sub_f32_e32 v35, v34, v46
	v_mul_f32_e32 v31, v44, v31
	v_sub_f32_e32 v35, v45, v35
	v_add_f32_e32 v31, v35, v31
	v_add_f32_e32 v37, v34, v31
	v_mul_f32_e32 v38, v37, v37
	v_mov_b32_e32 v35, 0x3ecc95a3
	v_fmac_f32_e32 v35, 0x3e9b6dac, v38
	v_sub_f32_e32 v34, v37, v34
	v_fmaak_f32 v35, v38, v35, 0x3f2aaada
	v_sub_f32_e32 v31, v31, v34
	v_ldexp_f32 v39, v37, 1
	v_mul_f32_e32 v37, v37, v38
	v_mov_b32_e32 v34, 0x3f317218
	v_pk_mul_f32 v[34:35], v[36:37], v[34:35]
	v_ldexp_f32 v31, v31, 1
	v_fma_f32 v37, v36, s2, -v34
	v_fmamk_f32 v38, v36, 0xb102e308, v37
	v_pk_add_f32 v[36:37], v[34:35], v[38:39]
	v_mov_b32_e32 v40, v34
	v_sub_f32_e32 v39, v37, v39
	v_sub_f32_e32 v39, v35, v39
	v_add_f32_e32 v41, v31, v39
	v_pk_add_f32 v[34:35], v[36:37], v[34:35] neg_lo:[0,1] neg_hi:[0,1]
	v_pk_add_f32 v[42:43], v[36:37], v[40:41]
	v_mov_b32_e32 v39, v36
	v_mov_b32_e32 v35, v43
	v_pk_add_f32 v[44:45], v[38:39], v[34:35] neg_lo:[0,1] neg_hi:[0,1]
	v_pk_add_f32 v[34:35], v[38:39], v[34:35]
	v_mov_b32_e32 v40, v41
	v_mov_b32_e32 v38, v35
	v_pk_add_f32 v[46:47], v[38:39], v[36:37] neg_lo:[0,1] neg_hi:[0,1]
	v_mov_b32_e32 v34, v43
	v_mov_b32_e32 v31, v46
	v_pk_add_f32 v[48:49], v[42:43], v[30:31] neg_lo:[0,1] neg_hi:[0,1]
	v_mov_b32_e32 v42, v37
	v_mov_b32_e32 v43, v46
	;; [unrolled: 1-line block ×3, first 2 shown]
	v_pk_add_f32 v[34:35], v[34:35], v[42:43] neg_lo:[0,1] neg_hi:[0,1]
	v_mov_b32_e32 v41, v36
	v_pk_add_f32 v[34:35], v[40:41], v[34:35] neg_lo:[0,1] neg_hi:[0,1]
	v_mov_b32_e32 v48, v44
	v_pk_add_f32 v[36:37], v[48:49], v[34:35]
	s_mov_b32 s2, 0x33800000
	v_mov_b32_e32 v40, v37
	v_pk_add_f32 v[40:41], v[36:37], v[40:41]
	v_cmp_lt_f32_e64 s[2:3], |v33|, s2
	v_pk_add_f32 v[38:39], v[38:39], v[40:41]
	v_mov_b32_e32 v35, v40
	v_mov_b32_e32 v37, v38
	v_pk_add_f32 v[42:43], v[36:37], v[44:45] neg_lo:[0,1] neg_hi:[0,1]
	s_or_b64 vcc, vcc, s[2:3]
	v_sub_f32_e32 v31, v36, v42
	v_pk_add_f32 v[34:35], v[34:35], v[42:43] neg_lo:[0,1] neg_hi:[0,1]
	v_sub_f32_e32 v31, v44, v31
	v_add_f32_e32 v31, v34, v31
	v_add_f32_e32 v31, v31, v35
	;; [unrolled: 1-line block ×3, first 2 shown]
	v_cndmask_b32_e32 v31, v31, v33, vcc
	v_add_f32_e32 v9, v9, v31
	v_cvt_f16_f32_e32 v34, v9
.LBB438_97:
	s_or_b64 exec, exec, s[98:99]
	v_and_b32_e32 v33, 0xffff, v34
	v_mov_b32_e32 v31, v34
.LBB438_98:
	s_or_b64 exec, exec, s[96:97]
	s_load_dwordx2 s[0:1], s[0:1], 0x18
	v_mul_u32_u24_e32 v9, 46, v0
	v_mov_b32_dpp v34, v33 row_shr:2 row_mask:0xf bank_mask:0xf
	v_cmp_lt_u32_e32 vcc, 1, v32
	s_waitcnt lgkmcnt(0)
	v_writelane_b32 v53, s0, 6
	s_nop 1
	v_writelane_b32 v53, s1, 7
	s_and_saveexec_b64 s[96:97], vcc
	s_cbranch_execz .LBB438_102
; %bb.99:
	v_cvt_f32_f16_e32 v35, v34
	v_cvt_f32_f16_e32 v36, v31
	v_cmp_u_f16_e32 vcc, v34, v34
	v_cmp_u_f16_e64 s[0:1], v31, v31
	v_min_f32_e32 v31, v35, v36
	v_cndmask_b32_e32 v31, v31, v35, vcc
	v_cndmask_b32_e64 v33, v31, v36, s[0:1]
	v_max_f32_e32 v31, v35, v36
	v_cndmask_b32_e32 v31, v31, v35, vcc
	v_cndmask_b32_e64 v31, v31, v36, s[0:1]
	s_movk_i32 s0, 0x1f8
	v_cmp_neq_f32_e32 vcc, v33, v31
	v_cmp_class_f32_e64 s[0:1], v33, s0
	s_or_b64 s[2:3], vcc, s[0:1]
	s_and_saveexec_b64 s[0:1], s[2:3]
	s_cbranch_execz .LBB438_101
; %bb.100:
	v_sub_f32_e32 v33, v33, v31
	s_mov_b32 s2, 0x3fb8aa3b
	v_mul_f32_e32 v34, 0x3fb8aa3b, v33
	v_fma_f32 v35, v33, s2, -v34
	v_rndne_f32_e32 v36, v34
	v_fmamk_f32 v35, v33, 0x32a5705f, v35
	v_sub_f32_e32 v34, v34, v36
	v_add_f32_e32 v34, v34, v35
	v_exp_f32_e32 v34, v34
	v_cvt_i32_f32_e32 v35, v36
	s_mov_b32 s2, 0xc2ce8ed0
	v_cmp_ngt_f32_e32 vcc, s2, v33
	s_mov_b32 s2, 0x42b17218
	v_ldexp_f32 v34, v34, v35
	v_cndmask_b32_e32 v34, 0, v34, vcc
	v_mov_b32_e32 v35, 0x7f800000
	v_cmp_nlt_f32_e32 vcc, s2, v33
	s_mov_b32 s2, 0x3f2aaaab
	s_mov_b32 s3, 0x7f800000
	v_cndmask_b32_e32 v50, v35, v34, vcc
	v_add_f32_e32 v33, 1.0, v50
	v_add_f32_e32 v34, -1.0, v33
	v_sub_f32_e32 v35, v34, v33
	v_add_f32_e32 v35, 1.0, v35
	v_sub_f32_e32 v34, v50, v34
	v_add_f32_e32 v36, v34, v35
	v_frexp_mant_f32_e32 v37, v33
	v_cvt_f64_f32_e32 v[34:35], v33
	v_frexp_exp_i32_f64_e32 v34, v[34:35]
	v_cmp_gt_f32_e32 vcc, s2, v37
	s_mov_b32 s2, 0x3f317218
	s_nop 0
	v_subbrev_co_u32_e32 v42, vcc, 0, v34, vcc
	v_sub_u32_e32 v34, 0, v42
	v_ldexp_f32 v33, v33, v34
	v_ldexp_f32 v34, v36, v34
	v_add_f32_e32 v36, -1.0, v33
	v_add_f32_e32 v35, 1.0, v36
	v_sub_f32_e32 v35, v33, v35
	v_add_f32_e32 v37, v34, v35
	v_add_f32_e32 v35, 1.0, v33
	v_add_f32_e32 v38, -1.0, v35
	v_sub_f32_e32 v33, v33, v38
	v_add_f32_e32 v33, v34, v33
	v_add_f32_e32 v43, v35, v33
	v_rcp_f32_e32 v44, v43
	v_sub_f32_e32 v34, v35, v43
	v_add_f32_e32 v35, v36, v37
	v_add_f32_e32 v33, v33, v34
	v_mul_f32_e32 v46, v35, v44
	v_sub_f32_e32 v34, v36, v35
	v_mul_f32_e32 v36, v43, v46
	v_fma_f32 v38, v46, v43, -v36
	v_fmac_f32_e32 v38, v46, v33
	v_add_f32_e32 v45, v37, v34
	v_add_f32_e32 v34, v36, v38
	v_sub_f32_e32 v37, v35, v34
	v_pk_add_f32 v[40:41], v[34:35], v[36:37] neg_lo:[0,1] neg_hi:[0,1]
	v_mov_b32_e32 v39, v34
	v_pk_add_f32 v[34:35], v[40:41], v[38:39] neg_lo:[0,1] neg_hi:[0,1]
	v_cmp_eq_f32_e32 vcc, s3, v50
	v_add_f32_e32 v35, v45, v35
	v_add_f32_e32 v34, v34, v35
	;; [unrolled: 1-line block ×3, first 2 shown]
	v_mul_f32_e32 v45, v44, v35
	v_mul_f32_e32 v36, v43, v45
	v_fma_f32 v38, v45, v43, -v36
	v_fmac_f32_e32 v38, v45, v33
	v_sub_f32_e32 v33, v37, v35
	v_add_f32_e32 v33, v34, v33
	v_add_f32_e32 v34, v36, v38
	v_sub_f32_e32 v37, v35, v34
	v_pk_add_f32 v[40:41], v[34:35], v[36:37] neg_lo:[0,1] neg_hi:[0,1]
	v_mov_b32_e32 v39, v34
	v_pk_add_f32 v[34:35], v[40:41], v[38:39] neg_lo:[0,1] neg_hi:[0,1]
	v_cvt_f32_i32_e32 v36, v42
	v_add_f32_e32 v33, v33, v35
	v_add_f32_e32 v33, v34, v33
	;; [unrolled: 1-line block ×4, first 2 shown]
	v_sub_f32_e32 v35, v34, v46
	v_mul_f32_e32 v33, v44, v33
	v_sub_f32_e32 v35, v45, v35
	v_add_f32_e32 v33, v35, v33
	v_add_f32_e32 v37, v34, v33
	v_mul_f32_e32 v38, v37, v37
	v_mov_b32_e32 v35, 0x3ecc95a3
	v_fmac_f32_e32 v35, 0x3e9b6dac, v38
	v_sub_f32_e32 v34, v37, v34
	v_fmaak_f32 v35, v38, v35, 0x3f2aaada
	v_sub_f32_e32 v33, v33, v34
	v_ldexp_f32 v39, v37, 1
	v_mul_f32_e32 v37, v37, v38
	v_mov_b32_e32 v34, 0x3f317218
	v_pk_mul_f32 v[34:35], v[36:37], v[34:35]
	v_ldexp_f32 v33, v33, 1
	v_fma_f32 v37, v36, s2, -v34
	v_fmamk_f32 v38, v36, 0xb102e308, v37
	v_pk_add_f32 v[36:37], v[34:35], v[38:39]
	v_mov_b32_e32 v40, v34
	v_sub_f32_e32 v39, v37, v39
	v_sub_f32_e32 v39, v35, v39
	v_add_f32_e32 v41, v33, v39
	v_pk_add_f32 v[34:35], v[36:37], v[34:35] neg_lo:[0,1] neg_hi:[0,1]
	v_pk_add_f32 v[42:43], v[36:37], v[40:41]
	v_mov_b32_e32 v39, v36
	v_mov_b32_e32 v35, v43
	v_pk_add_f32 v[44:45], v[38:39], v[34:35] neg_lo:[0,1] neg_hi:[0,1]
	v_pk_add_f32 v[34:35], v[38:39], v[34:35]
	v_mov_b32_e32 v40, v41
	v_mov_b32_e32 v38, v35
	v_pk_add_f32 v[46:47], v[38:39], v[36:37] neg_lo:[0,1] neg_hi:[0,1]
	v_mov_b32_e32 v34, v43
	v_mov_b32_e32 v33, v46
	v_pk_add_f32 v[48:49], v[42:43], v[32:33] neg_lo:[0,1] neg_hi:[0,1]
	v_mov_b32_e32 v42, v37
	v_mov_b32_e32 v43, v46
	v_mov_b32_e32 v45, v35
	v_pk_add_f32 v[34:35], v[34:35], v[42:43] neg_lo:[0,1] neg_hi:[0,1]
	v_mov_b32_e32 v41, v36
	v_pk_add_f32 v[34:35], v[40:41], v[34:35] neg_lo:[0,1] neg_hi:[0,1]
	v_mov_b32_e32 v48, v44
	v_pk_add_f32 v[36:37], v[48:49], v[34:35]
	s_mov_b32 s2, 0x33800000
	v_mov_b32_e32 v40, v37
	v_pk_add_f32 v[40:41], v[36:37], v[40:41]
	v_cmp_lt_f32_e64 s[2:3], |v50|, s2
	v_pk_add_f32 v[38:39], v[38:39], v[40:41]
	v_mov_b32_e32 v35, v40
	v_mov_b32_e32 v37, v38
	v_pk_add_f32 v[42:43], v[36:37], v[44:45] neg_lo:[0,1] neg_hi:[0,1]
	s_or_b64 vcc, vcc, s[2:3]
	v_sub_f32_e32 v33, v36, v42
	v_pk_add_f32 v[34:35], v[34:35], v[42:43] neg_lo:[0,1] neg_hi:[0,1]
	v_sub_f32_e32 v33, v44, v33
	v_add_f32_e32 v33, v34, v33
	v_add_f32_e32 v33, v33, v35
	;; [unrolled: 1-line block ×3, first 2 shown]
	v_cndmask_b32_e32 v33, v33, v50, vcc
	v_add_f32_e32 v31, v31, v33
	v_cvt_f16_f32_e32 v34, v31
.LBB438_101:
	s_or_b64 exec, exec, s[0:1]
	v_and_b32_e32 v33, 0xffff, v34
	v_mov_b32_e32 v31, v34
.LBB438_102:
	s_or_b64 exec, exec, s[96:97]
	v_mov_b32_dpp v34, v33 row_shr:4 row_mask:0xf bank_mask:0xf
	v_cmp_lt_u32_e32 vcc, 3, v32
	s_and_saveexec_b64 s[96:97], vcc
	s_cbranch_execz .LBB438_106
; %bb.103:
	v_cvt_f32_f16_e32 v35, v34
	v_cvt_f32_f16_e32 v36, v31
	v_cmp_u_f16_e32 vcc, v34, v34
	v_cmp_u_f16_e64 s[0:1], v31, v31
	v_min_f32_e32 v31, v35, v36
	v_cndmask_b32_e32 v31, v31, v35, vcc
	v_cndmask_b32_e64 v33, v31, v36, s[0:1]
	v_max_f32_e32 v31, v35, v36
	v_cndmask_b32_e32 v31, v31, v35, vcc
	v_cndmask_b32_e64 v31, v31, v36, s[0:1]
	s_movk_i32 s0, 0x1f8
	v_cmp_neq_f32_e32 vcc, v33, v31
	v_cmp_class_f32_e64 s[0:1], v33, s0
	s_or_b64 s[2:3], vcc, s[0:1]
	s_and_saveexec_b64 s[0:1], s[2:3]
	s_cbranch_execz .LBB438_105
; %bb.104:
	v_sub_f32_e32 v33, v33, v31
	s_mov_b32 s2, 0x3fb8aa3b
	v_mul_f32_e32 v34, 0x3fb8aa3b, v33
	v_fma_f32 v35, v33, s2, -v34
	v_rndne_f32_e32 v36, v34
	v_fmamk_f32 v35, v33, 0x32a5705f, v35
	v_sub_f32_e32 v34, v34, v36
	v_add_f32_e32 v34, v34, v35
	v_exp_f32_e32 v34, v34
	v_cvt_i32_f32_e32 v35, v36
	s_mov_b32 s2, 0xc2ce8ed0
	v_cmp_ngt_f32_e32 vcc, s2, v33
	s_mov_b32 s2, 0x42b17218
	v_ldexp_f32 v34, v34, v35
	v_cndmask_b32_e32 v34, 0, v34, vcc
	v_mov_b32_e32 v35, 0x7f800000
	v_cmp_nlt_f32_e32 vcc, s2, v33
	s_mov_b32 s2, 0x3f2aaaab
	s_mov_b32 s3, 0x7f800000
	v_cndmask_b32_e32 v50, v35, v34, vcc
	v_add_f32_e32 v33, 1.0, v50
	v_add_f32_e32 v34, -1.0, v33
	v_sub_f32_e32 v35, v34, v33
	v_add_f32_e32 v35, 1.0, v35
	v_sub_f32_e32 v34, v50, v34
	v_add_f32_e32 v36, v34, v35
	v_frexp_mant_f32_e32 v37, v33
	v_cvt_f64_f32_e32 v[34:35], v33
	v_frexp_exp_i32_f64_e32 v34, v[34:35]
	v_cmp_gt_f32_e32 vcc, s2, v37
	s_mov_b32 s2, 0x3f317218
	s_nop 0
	v_subbrev_co_u32_e32 v42, vcc, 0, v34, vcc
	v_sub_u32_e32 v34, 0, v42
	v_ldexp_f32 v33, v33, v34
	v_ldexp_f32 v34, v36, v34
	v_add_f32_e32 v36, -1.0, v33
	v_add_f32_e32 v35, 1.0, v36
	v_sub_f32_e32 v35, v33, v35
	v_add_f32_e32 v37, v34, v35
	v_add_f32_e32 v35, 1.0, v33
	v_add_f32_e32 v38, -1.0, v35
	v_sub_f32_e32 v33, v33, v38
	v_add_f32_e32 v33, v34, v33
	v_add_f32_e32 v43, v35, v33
	v_rcp_f32_e32 v44, v43
	v_sub_f32_e32 v34, v35, v43
	v_add_f32_e32 v35, v36, v37
	v_add_f32_e32 v33, v33, v34
	v_mul_f32_e32 v46, v35, v44
	v_sub_f32_e32 v34, v36, v35
	v_mul_f32_e32 v36, v43, v46
	v_fma_f32 v38, v46, v43, -v36
	v_fmac_f32_e32 v38, v46, v33
	v_add_f32_e32 v45, v37, v34
	v_add_f32_e32 v34, v36, v38
	v_sub_f32_e32 v37, v35, v34
	v_pk_add_f32 v[40:41], v[34:35], v[36:37] neg_lo:[0,1] neg_hi:[0,1]
	v_mov_b32_e32 v39, v34
	v_pk_add_f32 v[34:35], v[40:41], v[38:39] neg_lo:[0,1] neg_hi:[0,1]
	v_cmp_eq_f32_e32 vcc, s3, v50
	v_add_f32_e32 v35, v45, v35
	v_add_f32_e32 v34, v34, v35
	;; [unrolled: 1-line block ×3, first 2 shown]
	v_mul_f32_e32 v45, v44, v35
	v_mul_f32_e32 v36, v43, v45
	v_fma_f32 v38, v45, v43, -v36
	v_fmac_f32_e32 v38, v45, v33
	v_sub_f32_e32 v33, v37, v35
	v_add_f32_e32 v33, v34, v33
	v_add_f32_e32 v34, v36, v38
	v_sub_f32_e32 v37, v35, v34
	v_pk_add_f32 v[40:41], v[34:35], v[36:37] neg_lo:[0,1] neg_hi:[0,1]
	v_mov_b32_e32 v39, v34
	v_pk_add_f32 v[34:35], v[40:41], v[38:39] neg_lo:[0,1] neg_hi:[0,1]
	v_cvt_f32_i32_e32 v36, v42
	v_add_f32_e32 v33, v33, v35
	v_add_f32_e32 v33, v34, v33
	;; [unrolled: 1-line block ×4, first 2 shown]
	v_sub_f32_e32 v35, v34, v46
	v_mul_f32_e32 v33, v44, v33
	v_sub_f32_e32 v35, v45, v35
	v_add_f32_e32 v33, v35, v33
	v_add_f32_e32 v37, v34, v33
	v_mul_f32_e32 v38, v37, v37
	v_mov_b32_e32 v35, 0x3ecc95a3
	v_fmac_f32_e32 v35, 0x3e9b6dac, v38
	v_sub_f32_e32 v34, v37, v34
	v_fmaak_f32 v35, v38, v35, 0x3f2aaada
	v_sub_f32_e32 v33, v33, v34
	v_ldexp_f32 v39, v37, 1
	v_mul_f32_e32 v37, v37, v38
	v_mov_b32_e32 v34, 0x3f317218
	v_pk_mul_f32 v[34:35], v[36:37], v[34:35]
	v_ldexp_f32 v33, v33, 1
	v_fma_f32 v37, v36, s2, -v34
	v_fmamk_f32 v38, v36, 0xb102e308, v37
	v_pk_add_f32 v[36:37], v[34:35], v[38:39]
	v_mov_b32_e32 v40, v34
	v_sub_f32_e32 v39, v37, v39
	v_sub_f32_e32 v39, v35, v39
	v_add_f32_e32 v41, v33, v39
	v_pk_add_f32 v[34:35], v[36:37], v[34:35] neg_lo:[0,1] neg_hi:[0,1]
	v_pk_add_f32 v[42:43], v[36:37], v[40:41]
	v_mov_b32_e32 v39, v36
	v_mov_b32_e32 v35, v43
	v_pk_add_f32 v[44:45], v[38:39], v[34:35] neg_lo:[0,1] neg_hi:[0,1]
	v_pk_add_f32 v[34:35], v[38:39], v[34:35]
	v_mov_b32_e32 v40, v41
	v_mov_b32_e32 v38, v35
	v_pk_add_f32 v[46:47], v[38:39], v[36:37] neg_lo:[0,1] neg_hi:[0,1]
	v_mov_b32_e32 v34, v43
	v_mov_b32_e32 v33, v46
	v_pk_add_f32 v[48:49], v[42:43], v[32:33] neg_lo:[0,1] neg_hi:[0,1]
	v_mov_b32_e32 v42, v37
	v_mov_b32_e32 v43, v46
	;; [unrolled: 1-line block ×3, first 2 shown]
	v_pk_add_f32 v[34:35], v[34:35], v[42:43] neg_lo:[0,1] neg_hi:[0,1]
	v_mov_b32_e32 v41, v36
	v_pk_add_f32 v[34:35], v[40:41], v[34:35] neg_lo:[0,1] neg_hi:[0,1]
	v_mov_b32_e32 v48, v44
	v_pk_add_f32 v[36:37], v[48:49], v[34:35]
	s_mov_b32 s2, 0x33800000
	v_mov_b32_e32 v40, v37
	v_pk_add_f32 v[40:41], v[36:37], v[40:41]
	v_cmp_lt_f32_e64 s[2:3], |v50|, s2
	v_pk_add_f32 v[38:39], v[38:39], v[40:41]
	v_mov_b32_e32 v35, v40
	v_mov_b32_e32 v37, v38
	v_pk_add_f32 v[42:43], v[36:37], v[44:45] neg_lo:[0,1] neg_hi:[0,1]
	s_or_b64 vcc, vcc, s[2:3]
	v_sub_f32_e32 v33, v36, v42
	v_pk_add_f32 v[34:35], v[34:35], v[42:43] neg_lo:[0,1] neg_hi:[0,1]
	v_sub_f32_e32 v33, v44, v33
	v_add_f32_e32 v33, v34, v33
	v_add_f32_e32 v33, v33, v35
	;; [unrolled: 1-line block ×3, first 2 shown]
	v_cndmask_b32_e32 v33, v33, v50, vcc
	v_add_f32_e32 v31, v31, v33
	v_cvt_f16_f32_e32 v34, v31
.LBB438_105:
	s_or_b64 exec, exec, s[0:1]
	v_and_b32_e32 v33, 0xffff, v34
	v_mov_b32_e32 v31, v34
.LBB438_106:
	s_or_b64 exec, exec, s[96:97]
	v_mov_b32_dpp v34, v33 row_shr:8 row_mask:0xf bank_mask:0xf
	v_cmp_lt_u32_e32 vcc, 7, v32
	s_and_saveexec_b64 s[96:97], vcc
	s_cbranch_execz .LBB438_110
; %bb.107:
	v_cvt_f32_f16_e32 v33, v34
	v_cvt_f32_f16_e32 v35, v31
	v_cmp_u_f16_e32 vcc, v34, v34
	v_cmp_u_f16_e64 s[0:1], v31, v31
	v_min_f32_e32 v31, v33, v35
	v_cndmask_b32_e32 v31, v31, v33, vcc
	v_cndmask_b32_e64 v32, v31, v35, s[0:1]
	v_max_f32_e32 v31, v33, v35
	v_cndmask_b32_e32 v31, v31, v33, vcc
	v_cndmask_b32_e64 v31, v31, v35, s[0:1]
	s_movk_i32 s0, 0x1f8
	v_cmp_neq_f32_e32 vcc, v32, v31
	v_cmp_class_f32_e64 s[0:1], v32, s0
	s_or_b64 s[2:3], vcc, s[0:1]
	s_and_saveexec_b64 s[0:1], s[2:3]
	s_cbranch_execz .LBB438_109
; %bb.108:
	v_sub_f32_e32 v32, v32, v31
	s_mov_b32 s2, 0x3fb8aa3b
	v_mul_f32_e32 v33, 0x3fb8aa3b, v32
	v_fma_f32 v34, v32, s2, -v33
	v_rndne_f32_e32 v35, v33
	v_fmamk_f32 v34, v32, 0x32a5705f, v34
	v_sub_f32_e32 v33, v33, v35
	v_add_f32_e32 v33, v33, v34
	v_exp_f32_e32 v33, v33
	v_cvt_i32_f32_e32 v34, v35
	s_mov_b32 s2, 0xc2ce8ed0
	v_cmp_ngt_f32_e32 vcc, s2, v32
	s_mov_b32 s2, 0x42b17218
	v_ldexp_f32 v33, v33, v34
	v_cndmask_b32_e32 v33, 0, v33, vcc
	v_mov_b32_e32 v34, 0x7f800000
	v_cmp_nlt_f32_e32 vcc, s2, v32
	s_mov_b32 s2, 0x3f2aaaab
	s_mov_b32 s3, 0x7f800000
	v_cndmask_b32_e32 v48, v34, v33, vcc
	v_add_f32_e32 v34, 1.0, v48
	v_add_f32_e32 v32, -1.0, v34
	v_sub_f32_e32 v33, v32, v34
	v_add_f32_e32 v33, 1.0, v33
	v_sub_f32_e32 v32, v48, v32
	v_add_f32_e32 v35, v32, v33
	v_frexp_mant_f32_e32 v36, v34
	v_cvt_f64_f32_e32 v[32:33], v34
	v_frexp_exp_i32_f64_e32 v32, v[32:33]
	v_cmp_gt_f32_e32 vcc, s2, v36
	s_mov_b32 s2, 0x3f317218
	s_nop 0
	v_subbrev_co_u32_e32 v40, vcc, 0, v32, vcc
	v_sub_u32_e32 v32, 0, v40
	v_ldexp_f32 v33, v34, v32
	v_add_f32_e32 v34, -1.0, v33
	v_add_f32_e32 v36, 1.0, v33
	v_ldexp_f32 v32, v35, v32
	v_add_f32_e32 v35, 1.0, v34
	v_add_f32_e32 v37, -1.0, v36
	v_sub_f32_e32 v35, v33, v35
	v_sub_f32_e32 v33, v33, v37
	v_add_f32_e32 v35, v32, v35
	v_add_f32_e32 v32, v32, v33
	;; [unrolled: 1-line block ×3, first 2 shown]
	v_rcp_f32_e32 v43, v41
	v_sub_f32_e32 v33, v36, v41
	v_add_f32_e32 v42, v32, v33
	v_add_f32_e32 v33, v34, v35
	v_mul_f32_e32 v45, v33, v43
	v_sub_f32_e32 v32, v34, v33
	v_mul_f32_e32 v34, v41, v45
	v_fma_f32 v36, v45, v41, -v34
	v_fmac_f32_e32 v36, v45, v42
	v_add_f32_e32 v44, v35, v32
	v_add_f32_e32 v32, v34, v36
	v_sub_f32_e32 v35, v33, v32
	v_pk_add_f32 v[38:39], v[32:33], v[34:35] neg_lo:[0,1] neg_hi:[0,1]
	v_mov_b32_e32 v37, v32
	v_pk_add_f32 v[32:33], v[38:39], v[36:37] neg_lo:[0,1] neg_hi:[0,1]
	v_cmp_eq_f32_e32 vcc, s3, v48
	v_add_f32_e32 v33, v44, v33
	v_add_f32_e32 v32, v32, v33
	;; [unrolled: 1-line block ×3, first 2 shown]
	v_mul_f32_e32 v44, v43, v33
	v_mul_f32_e32 v34, v41, v44
	v_fma_f32 v36, v44, v41, -v34
	v_fmac_f32_e32 v36, v44, v42
	v_sub_f32_e32 v35, v35, v33
	v_add_f32_e32 v41, v32, v35
	v_add_f32_e32 v32, v34, v36
	v_sub_f32_e32 v35, v33, v32
	v_pk_add_f32 v[38:39], v[32:33], v[34:35] neg_lo:[0,1] neg_hi:[0,1]
	v_mov_b32_e32 v37, v32
	v_pk_add_f32 v[32:33], v[38:39], v[36:37] neg_lo:[0,1] neg_hi:[0,1]
	v_cvt_f32_i32_e32 v34, v40
	v_add_f32_e32 v33, v41, v33
	v_add_f32_e32 v32, v32, v33
	;; [unrolled: 1-line block ×4, first 2 shown]
	v_sub_f32_e32 v33, v35, v45
	v_mul_f32_e32 v32, v43, v32
	v_sub_f32_e32 v33, v44, v33
	v_add_f32_e32 v32, v33, v32
	v_add_f32_e32 v36, v35, v32
	v_mul_f32_e32 v38, v36, v36
	v_mov_b32_e32 v33, 0x3ecc95a3
	v_sub_f32_e32 v35, v36, v35
	v_fmac_f32_e32 v33, 0x3e9b6dac, v38
	v_sub_f32_e32 v32, v32, v35
	v_fmaak_f32 v33, v38, v33, 0x3f2aaada
	v_ldexp_f32 v39, v32, 1
	v_mul_f32_e32 v35, v36, v38
	v_mov_b32_e32 v32, 0x3f317218
	v_pk_mul_f32 v[32:33], v[34:35], v[32:33]
	v_ldexp_f32 v37, v36, 1
	v_fma_f32 v35, v34, s2, -v32
	v_fmamk_f32 v36, v34, 0xb102e308, v35
	v_pk_add_f32 v[34:35], v[32:33], v[36:37]
	v_mov_b32_e32 v38, v32
	v_sub_f32_e32 v37, v35, v37
	v_sub_f32_e32 v37, v33, v37
	v_add_f32_e32 v39, v39, v37
	v_pk_add_f32 v[32:33], v[34:35], v[32:33] neg_lo:[0,1] neg_hi:[0,1]
	v_pk_add_f32 v[40:41], v[34:35], v[38:39]
	v_mov_b32_e32 v37, v34
	v_mov_b32_e32 v33, v41
	v_pk_add_f32 v[42:43], v[36:37], v[32:33] neg_lo:[0,1] neg_hi:[0,1]
	v_pk_add_f32 v[32:33], v[36:37], v[32:33]
	v_mov_b32_e32 v38, v39
	v_mov_b32_e32 v36, v33
	v_pk_add_f32 v[44:45], v[36:37], v[34:35] neg_lo:[0,1] neg_hi:[0,1]
	v_mov_b32_e32 v32, v41
	v_mov_b32_e32 v37, v44
	v_pk_add_f32 v[46:47], v[40:41], v[36:37] neg_lo:[0,1] neg_hi:[0,1]
	v_mov_b32_e32 v40, v35
	v_mov_b32_e32 v41, v44
	v_mov_b32_e32 v43, v33
	v_pk_add_f32 v[32:33], v[32:33], v[40:41] neg_lo:[0,1] neg_hi:[0,1]
	v_mov_b32_e32 v39, v34
	v_pk_add_f32 v[32:33], v[38:39], v[32:33] neg_lo:[0,1] neg_hi:[0,1]
	v_mov_b32_e32 v46, v42
	v_pk_add_f32 v[34:35], v[46:47], v[32:33]
	s_mov_b32 s2, 0x33800000
	v_mov_b32_e32 v38, v35
	v_pk_add_f32 v[38:39], v[34:35], v[38:39]
	v_cmp_lt_f32_e64 s[2:3], |v48|, s2
	v_pk_add_f32 v[36:37], v[36:37], v[38:39]
	v_mov_b32_e32 v33, v38
	v_mov_b32_e32 v35, v36
	v_pk_add_f32 v[40:41], v[34:35], v[42:43] neg_lo:[0,1] neg_hi:[0,1]
	s_or_b64 vcc, vcc, s[2:3]
	v_sub_f32_e32 v34, v34, v40
	v_pk_add_f32 v[32:33], v[32:33], v[40:41] neg_lo:[0,1] neg_hi:[0,1]
	v_sub_f32_e32 v34, v42, v34
	v_add_f32_e32 v32, v32, v34
	v_add_f32_e32 v32, v32, v33
	;; [unrolled: 1-line block ×3, first 2 shown]
	v_cndmask_b32_e32 v32, v32, v48, vcc
	v_add_f32_e32 v31, v31, v32
	v_cvt_f16_f32_e32 v34, v31
.LBB438_109:
	s_or_b64 exec, exec, s[0:1]
	v_and_b32_e32 v33, 0xffff, v34
	v_mov_b32_e32 v31, v34
.LBB438_110:
	s_or_b64 exec, exec, s[96:97]
	v_and_b32_e32 v34, 16, v30
	v_mov_b32_dpp v32, v33 row_bcast:15 row_mask:0xf bank_mask:0xf
	v_cmp_ne_u32_e32 vcc, 0, v34
	s_and_saveexec_b64 s[96:97], vcc
	s_cbranch_execz .LBB438_114
; %bb.111:
	v_cvt_f32_f16_e32 v34, v32
	v_cvt_f32_f16_e32 v35, v31
	v_cmp_u_f16_e32 vcc, v32, v32
	v_cmp_u_f16_e64 s[0:1], v31, v31
	v_min_f32_e32 v31, v34, v35
	v_cndmask_b32_e32 v31, v31, v34, vcc
	v_cndmask_b32_e64 v33, v31, v35, s[0:1]
	v_max_f32_e32 v31, v34, v35
	v_cndmask_b32_e32 v31, v31, v34, vcc
	v_cndmask_b32_e64 v31, v31, v35, s[0:1]
	s_movk_i32 s0, 0x1f8
	v_cmp_neq_f32_e32 vcc, v33, v31
	v_cmp_class_f32_e64 s[0:1], v33, s0
	s_or_b64 s[2:3], vcc, s[0:1]
	s_and_saveexec_b64 s[0:1], s[2:3]
	s_cbranch_execz .LBB438_113
; %bb.112:
	v_sub_f32_e32 v32, v33, v31
	s_mov_b32 s2, 0x3fb8aa3b
	v_mul_f32_e32 v33, 0x3fb8aa3b, v32
	v_fma_f32 v34, v32, s2, -v33
	v_rndne_f32_e32 v35, v33
	v_fmamk_f32 v34, v32, 0x32a5705f, v34
	v_sub_f32_e32 v33, v33, v35
	v_add_f32_e32 v33, v33, v34
	v_exp_f32_e32 v33, v33
	v_cvt_i32_f32_e32 v34, v35
	s_mov_b32 s2, 0xc2ce8ed0
	v_cmp_ngt_f32_e32 vcc, s2, v32
	s_mov_b32 s2, 0x42b17218
	v_ldexp_f32 v33, v33, v34
	v_cndmask_b32_e32 v33, 0, v33, vcc
	v_mov_b32_e32 v34, 0x7f800000
	v_cmp_nlt_f32_e32 vcc, s2, v32
	s_mov_b32 s2, 0x3f2aaaab
	s_mov_b32 s3, 0x7f800000
	v_cndmask_b32_e32 v48, v34, v33, vcc
	v_add_f32_e32 v34, 1.0, v48
	v_add_f32_e32 v32, -1.0, v34
	v_sub_f32_e32 v33, v32, v34
	v_add_f32_e32 v33, 1.0, v33
	v_sub_f32_e32 v32, v48, v32
	v_add_f32_e32 v35, v32, v33
	v_frexp_mant_f32_e32 v36, v34
	v_cvt_f64_f32_e32 v[32:33], v34
	v_frexp_exp_i32_f64_e32 v32, v[32:33]
	v_cmp_gt_f32_e32 vcc, s2, v36
	s_mov_b32 s2, 0x3f317218
	s_nop 0
	v_subbrev_co_u32_e32 v40, vcc, 0, v32, vcc
	v_sub_u32_e32 v32, 0, v40
	v_ldexp_f32 v33, v34, v32
	v_add_f32_e32 v34, -1.0, v33
	v_add_f32_e32 v36, 1.0, v33
	v_ldexp_f32 v32, v35, v32
	v_add_f32_e32 v35, 1.0, v34
	v_add_f32_e32 v37, -1.0, v36
	v_sub_f32_e32 v35, v33, v35
	v_sub_f32_e32 v33, v33, v37
	v_add_f32_e32 v35, v32, v35
	v_add_f32_e32 v32, v32, v33
	;; [unrolled: 1-line block ×3, first 2 shown]
	v_rcp_f32_e32 v43, v41
	v_sub_f32_e32 v33, v36, v41
	v_add_f32_e32 v42, v32, v33
	v_add_f32_e32 v33, v34, v35
	v_mul_f32_e32 v45, v33, v43
	v_sub_f32_e32 v32, v34, v33
	v_mul_f32_e32 v34, v41, v45
	v_fma_f32 v36, v45, v41, -v34
	v_fmac_f32_e32 v36, v45, v42
	v_add_f32_e32 v44, v35, v32
	v_add_f32_e32 v32, v34, v36
	v_sub_f32_e32 v35, v33, v32
	v_pk_add_f32 v[38:39], v[32:33], v[34:35] neg_lo:[0,1] neg_hi:[0,1]
	v_mov_b32_e32 v37, v32
	v_pk_add_f32 v[32:33], v[38:39], v[36:37] neg_lo:[0,1] neg_hi:[0,1]
	v_cmp_eq_f32_e32 vcc, s3, v48
	v_add_f32_e32 v33, v44, v33
	v_add_f32_e32 v32, v32, v33
	;; [unrolled: 1-line block ×3, first 2 shown]
	v_mul_f32_e32 v44, v43, v33
	v_mul_f32_e32 v34, v41, v44
	v_fma_f32 v36, v44, v41, -v34
	v_fmac_f32_e32 v36, v44, v42
	v_sub_f32_e32 v35, v35, v33
	v_add_f32_e32 v41, v32, v35
	v_add_f32_e32 v32, v34, v36
	v_sub_f32_e32 v35, v33, v32
	v_pk_add_f32 v[38:39], v[32:33], v[34:35] neg_lo:[0,1] neg_hi:[0,1]
	v_mov_b32_e32 v37, v32
	v_pk_add_f32 v[32:33], v[38:39], v[36:37] neg_lo:[0,1] neg_hi:[0,1]
	v_cvt_f32_i32_e32 v34, v40
	v_add_f32_e32 v33, v41, v33
	v_add_f32_e32 v32, v32, v33
	;; [unrolled: 1-line block ×4, first 2 shown]
	v_sub_f32_e32 v33, v35, v45
	v_mul_f32_e32 v32, v43, v32
	v_sub_f32_e32 v33, v44, v33
	v_add_f32_e32 v32, v33, v32
	v_add_f32_e32 v36, v35, v32
	v_mul_f32_e32 v38, v36, v36
	v_mov_b32_e32 v33, 0x3ecc95a3
	v_sub_f32_e32 v35, v36, v35
	v_fmac_f32_e32 v33, 0x3e9b6dac, v38
	v_sub_f32_e32 v32, v32, v35
	v_fmaak_f32 v33, v38, v33, 0x3f2aaada
	v_ldexp_f32 v39, v32, 1
	v_mul_f32_e32 v35, v36, v38
	v_mov_b32_e32 v32, 0x3f317218
	v_pk_mul_f32 v[32:33], v[34:35], v[32:33]
	v_ldexp_f32 v37, v36, 1
	v_fma_f32 v35, v34, s2, -v32
	v_fmamk_f32 v36, v34, 0xb102e308, v35
	v_pk_add_f32 v[34:35], v[32:33], v[36:37]
	v_mov_b32_e32 v38, v32
	v_sub_f32_e32 v37, v35, v37
	v_sub_f32_e32 v37, v33, v37
	v_add_f32_e32 v39, v39, v37
	v_pk_add_f32 v[32:33], v[34:35], v[32:33] neg_lo:[0,1] neg_hi:[0,1]
	v_pk_add_f32 v[40:41], v[34:35], v[38:39]
	v_mov_b32_e32 v37, v34
	v_mov_b32_e32 v33, v41
	v_pk_add_f32 v[42:43], v[36:37], v[32:33] neg_lo:[0,1] neg_hi:[0,1]
	v_pk_add_f32 v[32:33], v[36:37], v[32:33]
	v_mov_b32_e32 v38, v39
	v_mov_b32_e32 v36, v33
	v_pk_add_f32 v[44:45], v[36:37], v[34:35] neg_lo:[0,1] neg_hi:[0,1]
	v_mov_b32_e32 v32, v41
	v_mov_b32_e32 v37, v44
	v_pk_add_f32 v[46:47], v[40:41], v[36:37] neg_lo:[0,1] neg_hi:[0,1]
	v_mov_b32_e32 v40, v35
	v_mov_b32_e32 v41, v44
	;; [unrolled: 1-line block ×3, first 2 shown]
	v_pk_add_f32 v[32:33], v[32:33], v[40:41] neg_lo:[0,1] neg_hi:[0,1]
	v_mov_b32_e32 v39, v34
	v_pk_add_f32 v[32:33], v[38:39], v[32:33] neg_lo:[0,1] neg_hi:[0,1]
	v_mov_b32_e32 v46, v42
	v_pk_add_f32 v[34:35], v[46:47], v[32:33]
	s_mov_b32 s2, 0x33800000
	v_mov_b32_e32 v38, v35
	v_pk_add_f32 v[38:39], v[34:35], v[38:39]
	v_cmp_lt_f32_e64 s[2:3], |v48|, s2
	v_pk_add_f32 v[36:37], v[36:37], v[38:39]
	v_mov_b32_e32 v33, v38
	v_mov_b32_e32 v35, v36
	v_pk_add_f32 v[40:41], v[34:35], v[42:43] neg_lo:[0,1] neg_hi:[0,1]
	s_or_b64 vcc, vcc, s[2:3]
	v_sub_f32_e32 v34, v34, v40
	v_pk_add_f32 v[32:33], v[32:33], v[40:41] neg_lo:[0,1] neg_hi:[0,1]
	v_sub_f32_e32 v34, v42, v34
	v_add_f32_e32 v32, v32, v34
	v_add_f32_e32 v32, v32, v33
	;; [unrolled: 1-line block ×3, first 2 shown]
	v_cndmask_b32_e32 v32, v32, v48, vcc
	v_add_f32_e32 v31, v31, v32
	v_cvt_f16_f32_e32 v32, v31
.LBB438_113:
	s_or_b64 exec, exec, s[0:1]
	v_and_b32_e32 v33, 0xffff, v32
	v_mov_b32_e32 v31, v32
.LBB438_114:
	s_or_b64 exec, exec, s[96:97]
	v_mov_b32_dpp v32, v33 row_bcast:31 row_mask:0xf bank_mask:0xf
	v_cmp_lt_u32_e32 vcc, 31, v30
	s_and_saveexec_b64 s[96:97], vcc
	s_cbranch_execz .LBB438_118
; %bb.115:
	v_cvt_f32_f16_e32 v34, v32
	v_cvt_f32_f16_e32 v35, v31
	v_cmp_u_f16_e32 vcc, v32, v32
	v_cmp_u_f16_e64 s[0:1], v31, v31
	v_min_f32_e32 v31, v34, v35
	v_cndmask_b32_e32 v31, v31, v34, vcc
	v_cndmask_b32_e64 v33, v31, v35, s[0:1]
	v_max_f32_e32 v31, v34, v35
	v_cndmask_b32_e32 v31, v31, v34, vcc
	v_cndmask_b32_e64 v31, v31, v35, s[0:1]
	s_movk_i32 s0, 0x1f8
	v_cmp_neq_f32_e32 vcc, v33, v31
	v_cmp_class_f32_e64 s[0:1], v33, s0
	s_or_b64 s[2:3], vcc, s[0:1]
	s_and_saveexec_b64 s[0:1], s[2:3]
	s_cbranch_execz .LBB438_117
; %bb.116:
	v_sub_f32_e32 v32, v33, v31
	s_mov_b32 s2, 0x3fb8aa3b
	v_mul_f32_e32 v33, 0x3fb8aa3b, v32
	v_fma_f32 v34, v32, s2, -v33
	v_rndne_f32_e32 v35, v33
	v_fmamk_f32 v34, v32, 0x32a5705f, v34
	v_sub_f32_e32 v33, v33, v35
	v_add_f32_e32 v33, v33, v34
	v_exp_f32_e32 v33, v33
	v_cvt_i32_f32_e32 v34, v35
	s_mov_b32 s2, 0xc2ce8ed0
	v_cmp_ngt_f32_e32 vcc, s2, v32
	s_mov_b32 s2, 0x42b17218
	v_ldexp_f32 v33, v33, v34
	v_cndmask_b32_e32 v33, 0, v33, vcc
	v_mov_b32_e32 v34, 0x7f800000
	v_cmp_nlt_f32_e32 vcc, s2, v32
	s_mov_b32 s2, 0x3f2aaaab
	s_mov_b32 s3, 0x7f800000
	v_cndmask_b32_e32 v48, v34, v33, vcc
	v_add_f32_e32 v34, 1.0, v48
	v_add_f32_e32 v32, -1.0, v34
	v_sub_f32_e32 v33, v32, v34
	v_add_f32_e32 v33, 1.0, v33
	v_sub_f32_e32 v32, v48, v32
	v_add_f32_e32 v35, v32, v33
	v_frexp_mant_f32_e32 v36, v34
	v_cvt_f64_f32_e32 v[32:33], v34
	v_frexp_exp_i32_f64_e32 v32, v[32:33]
	v_cmp_gt_f32_e32 vcc, s2, v36
	s_mov_b32 s2, 0x3f317218
	s_nop 0
	v_subbrev_co_u32_e32 v40, vcc, 0, v32, vcc
	v_sub_u32_e32 v32, 0, v40
	v_ldexp_f32 v33, v34, v32
	v_add_f32_e32 v34, -1.0, v33
	v_add_f32_e32 v36, 1.0, v33
	v_ldexp_f32 v32, v35, v32
	v_add_f32_e32 v35, 1.0, v34
	v_add_f32_e32 v37, -1.0, v36
	v_sub_f32_e32 v35, v33, v35
	v_sub_f32_e32 v33, v33, v37
	v_add_f32_e32 v35, v32, v35
	v_add_f32_e32 v32, v32, v33
	;; [unrolled: 1-line block ×3, first 2 shown]
	v_rcp_f32_e32 v43, v41
	v_sub_f32_e32 v33, v36, v41
	v_add_f32_e32 v42, v32, v33
	v_add_f32_e32 v33, v34, v35
	v_mul_f32_e32 v45, v33, v43
	v_sub_f32_e32 v32, v34, v33
	v_mul_f32_e32 v34, v41, v45
	v_fma_f32 v36, v45, v41, -v34
	v_fmac_f32_e32 v36, v45, v42
	v_add_f32_e32 v44, v35, v32
	v_add_f32_e32 v32, v34, v36
	v_sub_f32_e32 v35, v33, v32
	v_pk_add_f32 v[38:39], v[32:33], v[34:35] neg_lo:[0,1] neg_hi:[0,1]
	v_mov_b32_e32 v37, v32
	v_pk_add_f32 v[32:33], v[38:39], v[36:37] neg_lo:[0,1] neg_hi:[0,1]
	v_cmp_eq_f32_e32 vcc, s3, v48
	v_add_f32_e32 v33, v44, v33
	v_add_f32_e32 v32, v32, v33
	;; [unrolled: 1-line block ×3, first 2 shown]
	v_mul_f32_e32 v44, v43, v33
	v_mul_f32_e32 v34, v41, v44
	v_fma_f32 v36, v44, v41, -v34
	v_fmac_f32_e32 v36, v44, v42
	v_sub_f32_e32 v35, v35, v33
	v_add_f32_e32 v41, v32, v35
	v_add_f32_e32 v32, v34, v36
	v_sub_f32_e32 v35, v33, v32
	v_pk_add_f32 v[38:39], v[32:33], v[34:35] neg_lo:[0,1] neg_hi:[0,1]
	v_mov_b32_e32 v37, v32
	v_pk_add_f32 v[32:33], v[38:39], v[36:37] neg_lo:[0,1] neg_hi:[0,1]
	v_cvt_f32_i32_e32 v34, v40
	v_add_f32_e32 v33, v41, v33
	v_add_f32_e32 v32, v32, v33
	;; [unrolled: 1-line block ×4, first 2 shown]
	v_sub_f32_e32 v33, v35, v45
	v_mul_f32_e32 v32, v43, v32
	v_sub_f32_e32 v33, v44, v33
	v_add_f32_e32 v32, v33, v32
	v_add_f32_e32 v36, v35, v32
	v_mul_f32_e32 v38, v36, v36
	v_mov_b32_e32 v33, 0x3ecc95a3
	v_sub_f32_e32 v35, v36, v35
	v_fmac_f32_e32 v33, 0x3e9b6dac, v38
	v_sub_f32_e32 v32, v32, v35
	v_fmaak_f32 v33, v38, v33, 0x3f2aaada
	v_ldexp_f32 v39, v32, 1
	v_mul_f32_e32 v35, v36, v38
	v_mov_b32_e32 v32, 0x3f317218
	v_pk_mul_f32 v[32:33], v[34:35], v[32:33]
	v_ldexp_f32 v37, v36, 1
	v_fma_f32 v35, v34, s2, -v32
	v_fmamk_f32 v36, v34, 0xb102e308, v35
	v_pk_add_f32 v[34:35], v[32:33], v[36:37]
	v_mov_b32_e32 v38, v32
	v_sub_f32_e32 v37, v35, v37
	v_sub_f32_e32 v37, v33, v37
	v_add_f32_e32 v39, v39, v37
	v_pk_add_f32 v[32:33], v[34:35], v[32:33] neg_lo:[0,1] neg_hi:[0,1]
	v_pk_add_f32 v[40:41], v[34:35], v[38:39]
	v_mov_b32_e32 v37, v34
	v_mov_b32_e32 v33, v41
	v_pk_add_f32 v[42:43], v[36:37], v[32:33] neg_lo:[0,1] neg_hi:[0,1]
	v_pk_add_f32 v[32:33], v[36:37], v[32:33]
	v_mov_b32_e32 v38, v39
	v_mov_b32_e32 v36, v33
	v_pk_add_f32 v[44:45], v[36:37], v[34:35] neg_lo:[0,1] neg_hi:[0,1]
	v_mov_b32_e32 v32, v41
	v_mov_b32_e32 v37, v44
	v_pk_add_f32 v[46:47], v[40:41], v[36:37] neg_lo:[0,1] neg_hi:[0,1]
	v_mov_b32_e32 v40, v35
	v_mov_b32_e32 v41, v44
	;; [unrolled: 1-line block ×3, first 2 shown]
	v_pk_add_f32 v[32:33], v[32:33], v[40:41] neg_lo:[0,1] neg_hi:[0,1]
	v_mov_b32_e32 v39, v34
	v_pk_add_f32 v[32:33], v[38:39], v[32:33] neg_lo:[0,1] neg_hi:[0,1]
	v_mov_b32_e32 v46, v42
	v_pk_add_f32 v[34:35], v[46:47], v[32:33]
	s_mov_b32 s2, 0x33800000
	v_mov_b32_e32 v38, v35
	v_pk_add_f32 v[38:39], v[34:35], v[38:39]
	v_cmp_lt_f32_e64 s[2:3], |v48|, s2
	v_pk_add_f32 v[36:37], v[36:37], v[38:39]
	v_mov_b32_e32 v33, v38
	v_mov_b32_e32 v35, v36
	v_pk_add_f32 v[40:41], v[34:35], v[42:43] neg_lo:[0,1] neg_hi:[0,1]
	s_or_b64 vcc, vcc, s[2:3]
	v_sub_f32_e32 v34, v34, v40
	v_pk_add_f32 v[32:33], v[32:33], v[40:41] neg_lo:[0,1] neg_hi:[0,1]
	v_sub_f32_e32 v34, v42, v34
	v_add_f32_e32 v32, v32, v34
	v_add_f32_e32 v32, v32, v33
	;; [unrolled: 1-line block ×3, first 2 shown]
	v_cndmask_b32_e32 v32, v32, v48, vcc
	v_add_f32_e32 v31, v31, v32
	v_cvt_f16_f32_e32 v32, v31
.LBB438_117:
	s_or_b64 exec, exec, s[0:1]
	v_mov_b32_e32 v31, v32
.LBB438_118:
	s_or_b64 exec, exec, s[96:97]
	v_or_b32_e32 v33, 63, v0
	v_lshrrev_b32_e32 v32, 6, v0
	v_cmp_eq_u32_e32 vcc, v33, v0
	s_and_saveexec_b64 s[0:1], vcc
	s_cbranch_execz .LBB438_120
; %bb.119:
	v_lshlrev_b32_e32 v33, 1, v32
	ds_write_b16 v33, v31
.LBB438_120:
	s_or_b64 exec, exec, s[0:1]
	v_cmp_gt_u32_e32 vcc, 4, v0
	s_waitcnt lgkmcnt(0)
	s_barrier
	s_and_saveexec_b64 s[98:99], vcc
	s_cbranch_execz .LBB438_130
; %bb.121:
	ds_read_u16 v34, v14
	v_and_b32_e32 v33, 3, v30
	v_cmp_ne_u32_e32 vcc, 0, v33
	s_waitcnt lgkmcnt(0)
	v_and_b32_e32 v36, 0xffff, v34
	s_nop 1
	v_mov_b32_dpp v35, v36 row_shr:1 row_mask:0xf bank_mask:0xf
	s_and_saveexec_b64 s[96:97], vcc
	s_cbranch_execz .LBB438_125
; %bb.122:
	v_cvt_f32_f16_e32 v37, v35
	v_cvt_f32_f16_e32 v38, v34
	v_cmp_u_f16_e32 vcc, v35, v35
	v_cmp_u_f16_e64 s[0:1], v34, v34
	v_min_f32_e32 v34, v37, v38
	v_cndmask_b32_e32 v34, v34, v37, vcc
	v_cndmask_b32_e64 v36, v34, v38, s[0:1]
	v_max_f32_e32 v34, v37, v38
	v_cndmask_b32_e32 v34, v34, v37, vcc
	v_cndmask_b32_e64 v34, v34, v38, s[0:1]
	s_movk_i32 s0, 0x1f8
	v_cmp_neq_f32_e32 vcc, v36, v34
	v_cmp_class_f32_e64 s[0:1], v36, s0
	s_or_b64 s[2:3], vcc, s[0:1]
	s_and_saveexec_b64 s[0:1], s[2:3]
	s_cbranch_execz .LBB438_124
; %bb.123:
	v_sub_f32_e32 v35, v36, v34
	s_mov_b32 s2, 0x3fb8aa3b
	v_mul_f32_e32 v36, 0x3fb8aa3b, v35
	v_fma_f32 v37, v35, s2, -v36
	v_rndne_f32_e32 v38, v36
	v_fmamk_f32 v37, v35, 0x32a5705f, v37
	v_sub_f32_e32 v36, v36, v38
	v_add_f32_e32 v36, v36, v37
	v_exp_f32_e32 v36, v36
	v_cvt_i32_f32_e32 v37, v38
	s_mov_b32 s2, 0xc2ce8ed0
	v_cmp_ngt_f32_e32 vcc, s2, v35
	s_mov_b32 s2, 0x42b17218
	v_ldexp_f32 v36, v36, v37
	v_cndmask_b32_e32 v36, 0, v36, vcc
	v_mov_b32_e32 v37, 0x7f800000
	v_cmp_nlt_f32_e32 vcc, s2, v35
	s_mov_b32 s2, 0x3f2aaaab
	s_mov_b32 s3, 0x7f800000
	v_cndmask_b32_e32 v52, v37, v36, vcc
	v_add_f32_e32 v35, 1.0, v52
	v_add_f32_e32 v36, -1.0, v35
	v_sub_f32_e32 v37, v36, v35
	v_add_f32_e32 v37, 1.0, v37
	v_sub_f32_e32 v36, v52, v36
	v_add_f32_e32 v38, v36, v37
	v_frexp_mant_f32_e32 v39, v35
	v_cvt_f64_f32_e32 v[36:37], v35
	v_frexp_exp_i32_f64_e32 v36, v[36:37]
	v_cmp_gt_f32_e32 vcc, s2, v39
	s_mov_b32 s2, 0x3f317218
	s_nop 0
	v_subbrev_co_u32_e32 v44, vcc, 0, v36, vcc
	v_sub_u32_e32 v36, 0, v44
	v_ldexp_f32 v35, v35, v36
	v_ldexp_f32 v36, v38, v36
	v_add_f32_e32 v38, -1.0, v35
	v_add_f32_e32 v37, 1.0, v38
	v_sub_f32_e32 v37, v35, v37
	v_add_f32_e32 v39, v36, v37
	v_add_f32_e32 v37, 1.0, v35
	v_add_f32_e32 v40, -1.0, v37
	v_sub_f32_e32 v35, v35, v40
	v_add_f32_e32 v35, v36, v35
	v_add_f32_e32 v45, v37, v35
	v_rcp_f32_e32 v46, v45
	v_sub_f32_e32 v36, v37, v45
	v_add_f32_e32 v37, v38, v39
	v_add_f32_e32 v35, v35, v36
	v_mul_f32_e32 v48, v37, v46
	v_sub_f32_e32 v36, v38, v37
	v_mul_f32_e32 v38, v45, v48
	v_fma_f32 v40, v48, v45, -v38
	v_fmac_f32_e32 v40, v48, v35
	v_add_f32_e32 v47, v39, v36
	v_add_f32_e32 v36, v38, v40
	v_sub_f32_e32 v39, v37, v36
	v_pk_add_f32 v[42:43], v[36:37], v[38:39] neg_lo:[0,1] neg_hi:[0,1]
	v_mov_b32_e32 v41, v36
	v_pk_add_f32 v[36:37], v[42:43], v[40:41] neg_lo:[0,1] neg_hi:[0,1]
	v_cmp_eq_f32_e32 vcc, s3, v52
	v_add_f32_e32 v37, v47, v37
	v_add_f32_e32 v36, v36, v37
	;; [unrolled: 1-line block ×3, first 2 shown]
	v_mul_f32_e32 v47, v46, v37
	v_mul_f32_e32 v38, v45, v47
	v_fma_f32 v40, v47, v45, -v38
	v_fmac_f32_e32 v40, v47, v35
	v_sub_f32_e32 v35, v39, v37
	v_add_f32_e32 v35, v36, v35
	v_add_f32_e32 v36, v38, v40
	v_sub_f32_e32 v39, v37, v36
	v_pk_add_f32 v[42:43], v[36:37], v[38:39] neg_lo:[0,1] neg_hi:[0,1]
	v_mov_b32_e32 v41, v36
	v_pk_add_f32 v[36:37], v[42:43], v[40:41] neg_lo:[0,1] neg_hi:[0,1]
	v_cvt_f32_i32_e32 v38, v44
	v_add_f32_e32 v35, v35, v37
	v_add_f32_e32 v35, v36, v35
	;; [unrolled: 1-line block ×4, first 2 shown]
	v_sub_f32_e32 v37, v36, v48
	v_mul_f32_e32 v35, v46, v35
	v_sub_f32_e32 v37, v47, v37
	v_add_f32_e32 v35, v37, v35
	v_add_f32_e32 v39, v36, v35
	v_mul_f32_e32 v40, v39, v39
	v_mov_b32_e32 v37, 0x3ecc95a3
	v_fmac_f32_e32 v37, 0x3e9b6dac, v40
	v_sub_f32_e32 v36, v39, v36
	v_fmaak_f32 v37, v40, v37, 0x3f2aaada
	v_sub_f32_e32 v35, v35, v36
	v_ldexp_f32 v41, v39, 1
	v_mul_f32_e32 v39, v39, v40
	v_mov_b32_e32 v36, 0x3f317218
	v_pk_mul_f32 v[36:37], v[38:39], v[36:37]
	v_ldexp_f32 v35, v35, 1
	v_fma_f32 v39, v38, s2, -v36
	v_fmamk_f32 v40, v38, 0xb102e308, v39
	v_pk_add_f32 v[38:39], v[36:37], v[40:41]
	v_mov_b32_e32 v42, v36
	v_sub_f32_e32 v41, v39, v41
	v_sub_f32_e32 v41, v37, v41
	v_add_f32_e32 v43, v35, v41
	v_pk_add_f32 v[36:37], v[38:39], v[36:37] neg_lo:[0,1] neg_hi:[0,1]
	v_pk_add_f32 v[44:45], v[38:39], v[42:43]
	v_mov_b32_e32 v41, v38
	v_mov_b32_e32 v37, v45
	v_pk_add_f32 v[46:47], v[40:41], v[36:37] neg_lo:[0,1] neg_hi:[0,1]
	v_pk_add_f32 v[36:37], v[40:41], v[36:37]
	v_mov_b32_e32 v42, v43
	v_mov_b32_e32 v40, v37
	v_pk_add_f32 v[48:49], v[40:41], v[38:39] neg_lo:[0,1] neg_hi:[0,1]
	v_mov_b32_e32 v36, v45
	v_mov_b32_e32 v35, v48
	v_pk_add_f32 v[50:51], v[44:45], v[34:35] neg_lo:[0,1] neg_hi:[0,1]
	v_mov_b32_e32 v44, v39
	v_mov_b32_e32 v45, v48
	;; [unrolled: 1-line block ×3, first 2 shown]
	v_pk_add_f32 v[36:37], v[36:37], v[44:45] neg_lo:[0,1] neg_hi:[0,1]
	v_mov_b32_e32 v43, v38
	v_pk_add_f32 v[36:37], v[42:43], v[36:37] neg_lo:[0,1] neg_hi:[0,1]
	v_mov_b32_e32 v50, v46
	v_pk_add_f32 v[38:39], v[50:51], v[36:37]
	s_mov_b32 s2, 0x33800000
	v_mov_b32_e32 v42, v39
	v_pk_add_f32 v[42:43], v[38:39], v[42:43]
	v_cmp_lt_f32_e64 s[2:3], |v52|, s2
	v_pk_add_f32 v[40:41], v[40:41], v[42:43]
	v_mov_b32_e32 v37, v42
	v_mov_b32_e32 v39, v40
	v_pk_add_f32 v[44:45], v[38:39], v[46:47] neg_lo:[0,1] neg_hi:[0,1]
	s_or_b64 vcc, vcc, s[2:3]
	v_sub_f32_e32 v35, v38, v44
	v_pk_add_f32 v[36:37], v[36:37], v[44:45] neg_lo:[0,1] neg_hi:[0,1]
	v_sub_f32_e32 v35, v46, v35
	v_add_f32_e32 v35, v36, v35
	v_add_f32_e32 v35, v35, v37
	;; [unrolled: 1-line block ×3, first 2 shown]
	v_cndmask_b32_e32 v35, v35, v52, vcc
	v_add_f32_e32 v34, v34, v35
	v_cvt_f16_f32_e32 v35, v34
.LBB438_124:
	s_or_b64 exec, exec, s[0:1]
	v_and_b32_e32 v36, 0xffff, v35
	v_mov_b32_e32 v34, v35
.LBB438_125:
	s_or_b64 exec, exec, s[96:97]
	v_mov_b32_dpp v35, v36 row_shr:2 row_mask:0xf bank_mask:0xf
	v_cmp_lt_u32_e32 vcc, 1, v33
	s_and_saveexec_b64 s[96:97], vcc
	s_cbranch_execz .LBB438_129
; %bb.126:
	v_cvt_f32_f16_e32 v33, v35
	v_cvt_f32_f16_e32 v36, v34
	v_cmp_u_f16_e32 vcc, v35, v35
	v_cmp_u_f16_e64 s[0:1], v34, v34
	v_min_f32_e32 v34, v33, v36
	v_max_f32_e32 v37, v33, v36
	v_cndmask_b32_e32 v34, v34, v33, vcc
	v_cndmask_b32_e32 v33, v37, v33, vcc
	v_cndmask_b32_e64 v34, v34, v36, s[0:1]
	v_cndmask_b32_e64 v33, v33, v36, s[0:1]
	s_movk_i32 s0, 0x1f8
	v_cmp_neq_f32_e32 vcc, v34, v33
	v_cmp_class_f32_e64 s[0:1], v34, s0
	s_or_b64 s[2:3], vcc, s[0:1]
	s_and_saveexec_b64 s[0:1], s[2:3]
	s_cbranch_execz .LBB438_128
; %bb.127:
	v_sub_f32_e32 v34, v34, v33
	s_mov_b32 s2, 0x3fb8aa3b
	v_mul_f32_e32 v35, 0x3fb8aa3b, v34
	v_fma_f32 v36, v34, s2, -v35
	v_rndne_f32_e32 v37, v35
	v_fmamk_f32 v36, v34, 0x32a5705f, v36
	v_sub_f32_e32 v35, v35, v37
	v_add_f32_e32 v35, v35, v36
	v_exp_f32_e32 v35, v35
	v_cvt_i32_f32_e32 v36, v37
	s_mov_b32 s2, 0xc2ce8ed0
	v_cmp_ngt_f32_e32 vcc, s2, v34
	s_mov_b32 s2, 0x42b17218
	v_ldexp_f32 v35, v35, v36
	v_cndmask_b32_e32 v35, 0, v35, vcc
	v_mov_b32_e32 v36, 0x7f800000
	v_cmp_nlt_f32_e32 vcc, s2, v34
	s_mov_b32 s2, 0x3f2aaaab
	s_mov_b32 s3, 0x7f800000
	v_cndmask_b32_e32 v50, v36, v35, vcc
	v_add_f32_e32 v36, 1.0, v50
	v_add_f32_e32 v34, -1.0, v36
	v_sub_f32_e32 v35, v34, v36
	v_add_f32_e32 v35, 1.0, v35
	v_sub_f32_e32 v34, v50, v34
	v_add_f32_e32 v37, v34, v35
	v_frexp_mant_f32_e32 v38, v36
	v_cvt_f64_f32_e32 v[34:35], v36
	v_frexp_exp_i32_f64_e32 v34, v[34:35]
	v_cmp_gt_f32_e32 vcc, s2, v38
	s_mov_b32 s2, 0x3f317218
	s_nop 0
	v_subbrev_co_u32_e32 v42, vcc, 0, v34, vcc
	v_sub_u32_e32 v34, 0, v42
	v_ldexp_f32 v35, v36, v34
	v_add_f32_e32 v36, -1.0, v35
	v_add_f32_e32 v38, 1.0, v35
	v_ldexp_f32 v34, v37, v34
	v_add_f32_e32 v37, 1.0, v36
	v_add_f32_e32 v39, -1.0, v38
	v_sub_f32_e32 v37, v35, v37
	v_sub_f32_e32 v35, v35, v39
	v_add_f32_e32 v37, v34, v37
	v_add_f32_e32 v34, v34, v35
	;; [unrolled: 1-line block ×3, first 2 shown]
	v_rcp_f32_e32 v45, v43
	v_sub_f32_e32 v35, v38, v43
	v_add_f32_e32 v44, v34, v35
	v_add_f32_e32 v35, v36, v37
	v_mul_f32_e32 v47, v35, v45
	v_sub_f32_e32 v34, v36, v35
	v_mul_f32_e32 v36, v43, v47
	v_fma_f32 v38, v47, v43, -v36
	v_fmac_f32_e32 v38, v47, v44
	v_add_f32_e32 v46, v37, v34
	v_add_f32_e32 v34, v36, v38
	v_sub_f32_e32 v37, v35, v34
	v_pk_add_f32 v[40:41], v[34:35], v[36:37] neg_lo:[0,1] neg_hi:[0,1]
	v_mov_b32_e32 v39, v34
	v_pk_add_f32 v[34:35], v[40:41], v[38:39] neg_lo:[0,1] neg_hi:[0,1]
	v_cmp_eq_f32_e32 vcc, s3, v50
	v_add_f32_e32 v35, v46, v35
	v_add_f32_e32 v34, v34, v35
	;; [unrolled: 1-line block ×3, first 2 shown]
	v_mul_f32_e32 v46, v45, v35
	v_mul_f32_e32 v36, v43, v46
	v_fma_f32 v38, v46, v43, -v36
	v_fmac_f32_e32 v38, v46, v44
	v_sub_f32_e32 v37, v37, v35
	v_add_f32_e32 v43, v34, v37
	v_add_f32_e32 v34, v36, v38
	v_sub_f32_e32 v37, v35, v34
	v_pk_add_f32 v[40:41], v[34:35], v[36:37] neg_lo:[0,1] neg_hi:[0,1]
	v_mov_b32_e32 v39, v34
	v_pk_add_f32 v[34:35], v[40:41], v[38:39] neg_lo:[0,1] neg_hi:[0,1]
	v_cvt_f32_i32_e32 v36, v42
	v_add_f32_e32 v35, v43, v35
	v_add_f32_e32 v34, v34, v35
	v_add_f32_e32 v34, v37, v34
	v_add_f32_e32 v37, v47, v46
	v_sub_f32_e32 v35, v37, v47
	v_mul_f32_e32 v34, v45, v34
	v_sub_f32_e32 v35, v46, v35
	v_add_f32_e32 v34, v35, v34
	v_add_f32_e32 v38, v37, v34
	v_mul_f32_e32 v40, v38, v38
	v_mov_b32_e32 v35, 0x3ecc95a3
	v_sub_f32_e32 v37, v38, v37
	v_fmac_f32_e32 v35, 0x3e9b6dac, v40
	v_sub_f32_e32 v34, v34, v37
	v_fmaak_f32 v35, v40, v35, 0x3f2aaada
	v_ldexp_f32 v41, v34, 1
	v_mul_f32_e32 v37, v38, v40
	v_mov_b32_e32 v34, 0x3f317218
	v_pk_mul_f32 v[34:35], v[36:37], v[34:35]
	v_ldexp_f32 v39, v38, 1
	v_fma_f32 v37, v36, s2, -v34
	v_fmamk_f32 v38, v36, 0xb102e308, v37
	v_pk_add_f32 v[36:37], v[34:35], v[38:39]
	v_mov_b32_e32 v40, v34
	v_sub_f32_e32 v39, v37, v39
	v_sub_f32_e32 v39, v35, v39
	v_add_f32_e32 v41, v41, v39
	v_pk_add_f32 v[34:35], v[36:37], v[34:35] neg_lo:[0,1] neg_hi:[0,1]
	v_pk_add_f32 v[42:43], v[36:37], v[40:41]
	v_mov_b32_e32 v39, v36
	v_mov_b32_e32 v35, v43
	v_pk_add_f32 v[44:45], v[38:39], v[34:35] neg_lo:[0,1] neg_hi:[0,1]
	v_pk_add_f32 v[34:35], v[38:39], v[34:35]
	v_mov_b32_e32 v40, v41
	v_mov_b32_e32 v38, v35
	v_pk_add_f32 v[46:47], v[38:39], v[36:37] neg_lo:[0,1] neg_hi:[0,1]
	v_mov_b32_e32 v34, v43
	v_mov_b32_e32 v39, v46
	v_pk_add_f32 v[48:49], v[42:43], v[38:39] neg_lo:[0,1] neg_hi:[0,1]
	v_mov_b32_e32 v42, v37
	v_mov_b32_e32 v43, v46
	;; [unrolled: 1-line block ×3, first 2 shown]
	v_pk_add_f32 v[34:35], v[34:35], v[42:43] neg_lo:[0,1] neg_hi:[0,1]
	v_mov_b32_e32 v41, v36
	v_pk_add_f32 v[34:35], v[40:41], v[34:35] neg_lo:[0,1] neg_hi:[0,1]
	v_mov_b32_e32 v48, v44
	v_pk_add_f32 v[36:37], v[48:49], v[34:35]
	s_mov_b32 s2, 0x33800000
	v_mov_b32_e32 v40, v37
	v_pk_add_f32 v[40:41], v[36:37], v[40:41]
	v_cmp_lt_f32_e64 s[2:3], |v50|, s2
	v_pk_add_f32 v[38:39], v[38:39], v[40:41]
	v_mov_b32_e32 v35, v40
	v_mov_b32_e32 v37, v38
	v_pk_add_f32 v[42:43], v[36:37], v[44:45] neg_lo:[0,1] neg_hi:[0,1]
	s_or_b64 vcc, vcc, s[2:3]
	v_sub_f32_e32 v36, v36, v42
	v_pk_add_f32 v[34:35], v[34:35], v[42:43] neg_lo:[0,1] neg_hi:[0,1]
	v_sub_f32_e32 v36, v44, v36
	v_add_f32_e32 v34, v34, v36
	v_add_f32_e32 v34, v34, v35
	;; [unrolled: 1-line block ×3, first 2 shown]
	v_cndmask_b32_e32 v34, v34, v50, vcc
	v_add_f32_e32 v33, v33, v34
	v_cvt_f16_f32_e32 v35, v33
.LBB438_128:
	s_or_b64 exec, exec, s[0:1]
	v_mov_b32_e32 v34, v35
.LBB438_129:
	s_or_b64 exec, exec, s[96:97]
	ds_write_b16 v14, v34
.LBB438_130:
	s_or_b64 exec, exec, s[98:99]
	v_cmp_lt_u32_e32 vcc, 63, v0
	s_waitcnt lgkmcnt(0)
	s_barrier
	s_waitcnt lgkmcnt(0)
                                        ; implicit-def: $vgpr33
	s_and_saveexec_b64 s[98:99], vcc
	s_cbranch_execz .LBB438_134
; %bb.131:
	v_lshl_add_u32 v32, v32, 1, -2
	ds_read_u16 v33, v32
	v_cvt_f32_f16_e32 v32, v31
	v_cmp_u_f16_e32 vcc, v31, v31
	s_movk_i32 s2, 0x1f8
	s_waitcnt lgkmcnt(0)
	v_cvt_f32_f16_e32 v34, v33
	v_cmp_u_f16_e64 s[0:1], v33, v33
	v_min_f32_e32 v31, v34, v32
	v_max_f32_e32 v35, v34, v32
	v_cndmask_b32_e64 v31, v31, v34, s[0:1]
	v_cndmask_b32_e64 v35, v35, v34, s[0:1]
	v_cndmask_b32_e32 v34, v31, v32, vcc
	v_cndmask_b32_e32 v32, v35, v32, vcc
	v_cmp_neq_f32_e32 vcc, v34, v32
	v_cmp_class_f32_e64 s[0:1], v34, s2
	s_or_b64 s[2:3], vcc, s[0:1]
	v_mov_b32_e32 v31, v33
	s_and_saveexec_b64 s[0:1], s[2:3]
	s_cbranch_execz .LBB438_133
; %bb.132:
	v_sub_f32_e32 v31, v34, v32
	s_mov_b32 s2, 0x3fb8aa3b
	v_mul_f32_e32 v34, 0x3fb8aa3b, v31
	v_fma_f32 v35, v31, s2, -v34
	v_rndne_f32_e32 v36, v34
	v_fmamk_f32 v35, v31, 0x32a5705f, v35
	v_sub_f32_e32 v34, v34, v36
	v_add_f32_e32 v34, v34, v35
	v_exp_f32_e32 v34, v34
	v_cvt_i32_f32_e32 v35, v36
	s_mov_b32 s2, 0xc2ce8ed0
	v_cmp_ngt_f32_e32 vcc, s2, v31
	s_mov_b32 s2, 0x42b17218
	v_ldexp_f32 v34, v34, v35
	v_cndmask_b32_e32 v34, 0, v34, vcc
	v_mov_b32_e32 v35, 0x7f800000
	v_cmp_nlt_f32_e32 vcc, s2, v31
	s_mov_b32 s2, 0x3f2aaaab
	s_mov_b32 s3, 0x7f800000
	v_cndmask_b32_e32 v50, v35, v34, vcc
	v_add_f32_e32 v31, 1.0, v50
	v_add_f32_e32 v34, -1.0, v31
	v_sub_f32_e32 v35, v34, v31
	v_add_f32_e32 v35, 1.0, v35
	v_sub_f32_e32 v34, v50, v34
	v_add_f32_e32 v36, v34, v35
	v_frexp_mant_f32_e32 v37, v31
	v_cvt_f64_f32_e32 v[34:35], v31
	v_frexp_exp_i32_f64_e32 v34, v[34:35]
	v_cmp_gt_f32_e32 vcc, s2, v37
	s_mov_b32 s2, 0x3f317218
	s_nop 0
	v_subbrev_co_u32_e32 v42, vcc, 0, v34, vcc
	v_sub_u32_e32 v34, 0, v42
	v_ldexp_f32 v31, v31, v34
	v_ldexp_f32 v34, v36, v34
	v_add_f32_e32 v36, -1.0, v31
	v_add_f32_e32 v35, 1.0, v36
	v_sub_f32_e32 v35, v31, v35
	v_add_f32_e32 v37, v34, v35
	v_add_f32_e32 v35, 1.0, v31
	v_add_f32_e32 v38, -1.0, v35
	v_sub_f32_e32 v31, v31, v38
	v_add_f32_e32 v31, v34, v31
	v_add_f32_e32 v43, v35, v31
	v_rcp_f32_e32 v44, v43
	v_sub_f32_e32 v34, v35, v43
	v_add_f32_e32 v35, v36, v37
	v_add_f32_e32 v31, v31, v34
	v_mul_f32_e32 v46, v35, v44
	v_sub_f32_e32 v34, v36, v35
	v_mul_f32_e32 v36, v43, v46
	v_fma_f32 v38, v46, v43, -v36
	v_fmac_f32_e32 v38, v46, v31
	v_add_f32_e32 v45, v37, v34
	v_add_f32_e32 v34, v36, v38
	v_sub_f32_e32 v37, v35, v34
	v_pk_add_f32 v[40:41], v[34:35], v[36:37] neg_lo:[0,1] neg_hi:[0,1]
	v_mov_b32_e32 v39, v34
	v_pk_add_f32 v[34:35], v[40:41], v[38:39] neg_lo:[0,1] neg_hi:[0,1]
	v_cmp_eq_f32_e32 vcc, s3, v50
	v_add_f32_e32 v35, v45, v35
	v_add_f32_e32 v34, v34, v35
	;; [unrolled: 1-line block ×3, first 2 shown]
	v_mul_f32_e32 v45, v44, v35
	v_mul_f32_e32 v36, v43, v45
	v_fma_f32 v38, v45, v43, -v36
	v_fmac_f32_e32 v38, v45, v31
	v_sub_f32_e32 v31, v37, v35
	v_add_f32_e32 v31, v34, v31
	v_add_f32_e32 v34, v36, v38
	v_sub_f32_e32 v37, v35, v34
	v_pk_add_f32 v[40:41], v[34:35], v[36:37] neg_lo:[0,1] neg_hi:[0,1]
	v_mov_b32_e32 v39, v34
	v_pk_add_f32 v[34:35], v[40:41], v[38:39] neg_lo:[0,1] neg_hi:[0,1]
	v_cvt_f32_i32_e32 v36, v42
	v_add_f32_e32 v31, v31, v35
	v_add_f32_e32 v31, v34, v31
	;; [unrolled: 1-line block ×4, first 2 shown]
	v_sub_f32_e32 v35, v34, v46
	v_mul_f32_e32 v31, v44, v31
	v_sub_f32_e32 v35, v45, v35
	v_add_f32_e32 v31, v35, v31
	v_add_f32_e32 v37, v34, v31
	v_mul_f32_e32 v38, v37, v37
	v_mov_b32_e32 v35, 0x3ecc95a3
	v_fmac_f32_e32 v35, 0x3e9b6dac, v38
	v_sub_f32_e32 v34, v37, v34
	v_fmaak_f32 v35, v38, v35, 0x3f2aaada
	v_sub_f32_e32 v31, v31, v34
	v_ldexp_f32 v39, v37, 1
	v_mul_f32_e32 v37, v37, v38
	v_mov_b32_e32 v34, 0x3f317218
	v_pk_mul_f32 v[34:35], v[36:37], v[34:35]
	v_ldexp_f32 v31, v31, 1
	v_fma_f32 v37, v36, s2, -v34
	v_fmamk_f32 v38, v36, 0xb102e308, v37
	v_pk_add_f32 v[36:37], v[34:35], v[38:39]
	v_mov_b32_e32 v40, v34
	v_sub_f32_e32 v39, v37, v39
	v_sub_f32_e32 v39, v35, v39
	v_add_f32_e32 v41, v31, v39
	v_pk_add_f32 v[34:35], v[36:37], v[34:35] neg_lo:[0,1] neg_hi:[0,1]
	v_pk_add_f32 v[42:43], v[36:37], v[40:41]
	v_mov_b32_e32 v39, v36
	v_mov_b32_e32 v35, v43
	v_pk_add_f32 v[44:45], v[38:39], v[34:35] neg_lo:[0,1] neg_hi:[0,1]
	v_pk_add_f32 v[34:35], v[38:39], v[34:35]
	v_mov_b32_e32 v40, v41
	v_mov_b32_e32 v38, v35
	v_pk_add_f32 v[46:47], v[38:39], v[36:37] neg_lo:[0,1] neg_hi:[0,1]
	v_mov_b32_e32 v34, v43
	v_mov_b32_e32 v31, v46
	v_pk_add_f32 v[48:49], v[42:43], v[30:31] neg_lo:[0,1] neg_hi:[0,1]
	v_mov_b32_e32 v42, v37
	v_mov_b32_e32 v43, v46
	;; [unrolled: 1-line block ×3, first 2 shown]
	v_pk_add_f32 v[34:35], v[34:35], v[42:43] neg_lo:[0,1] neg_hi:[0,1]
	v_mov_b32_e32 v41, v36
	v_pk_add_f32 v[34:35], v[40:41], v[34:35] neg_lo:[0,1] neg_hi:[0,1]
	v_mov_b32_e32 v48, v44
	v_pk_add_f32 v[36:37], v[48:49], v[34:35]
	s_mov_b32 s2, 0x33800000
	v_mov_b32_e32 v40, v37
	v_pk_add_f32 v[40:41], v[36:37], v[40:41]
	v_cmp_lt_f32_e64 s[2:3], |v50|, s2
	v_pk_add_f32 v[38:39], v[38:39], v[40:41]
	v_mov_b32_e32 v35, v40
	v_mov_b32_e32 v37, v38
	v_pk_add_f32 v[42:43], v[36:37], v[44:45] neg_lo:[0,1] neg_hi:[0,1]
	s_or_b64 vcc, vcc, s[2:3]
	v_sub_f32_e32 v31, v36, v42
	v_pk_add_f32 v[34:35], v[34:35], v[42:43] neg_lo:[0,1] neg_hi:[0,1]
	v_sub_f32_e32 v31, v44, v31
	v_add_f32_e32 v31, v34, v31
	v_add_f32_e32 v31, v31, v35
	;; [unrolled: 1-line block ×3, first 2 shown]
	v_cndmask_b32_e32 v31, v31, v50, vcc
	v_add_f32_e32 v31, v32, v31
	v_cvt_f16_f32_e32 v31, v31
.LBB438_133:
	s_or_b64 exec, exec, s[0:1]
.LBB438_134:
	s_or_b64 exec, exec, s[98:99]
	v_add_u32_e32 v32, -1, v30
	v_and_b32_e32 v34, 64, v30
	v_cmp_lt_i32_e32 vcc, v32, v34
	v_and_b32_e32 v31, 0xffff, v31
	s_nop 0
	v_cndmask_b32_e32 v32, v32, v30, vcc
	v_lshlrev_b32_e32 v32, 2, v32
	ds_bpermute_b32 v32, v32, v31
	v_cmp_ne_u32_e32 vcc, 0, v0
	v_mov_b32_e32 v31, v2
	s_and_saveexec_b64 s[0:1], vcc
	s_cbranch_execz .LBB438_138
; %bb.135:
	v_cmp_eq_u32_e32 vcc, 0, v30
	v_max_f32_e32 v0, v1, v1
	s_movk_i32 s2, 0x1f8
	s_waitcnt lgkmcnt(0)
	v_cndmask_b32_e32 v2, v32, v33, vcc
	v_cvt_f32_f16_e32 v30, v2
	v_cmp_u_f16_e32 vcc, v2, v2
	v_min_f32_e32 v28, v30, v0
	v_max_f32_e32 v0, v30, v0
	v_cndmask_b32_e32 v28, v28, v30, vcc
	v_cndmask_b32_e32 v0, v0, v30, vcc
	v_cndmask_b32_e64 v28, v28, v1, s[94:95]
	v_cndmask_b32_e64 v0, v0, v1, s[94:95]
	v_cmp_neq_f32_e32 vcc, v28, v0
	v_cmp_class_f32_e64 s[2:3], v28, s2
	s_or_b64 s[2:3], vcc, s[2:3]
	s_and_saveexec_b64 s[94:95], s[2:3]
	s_cbranch_execz .LBB438_137
; %bb.136:
	v_sub_f32_e32 v1, v28, v0
	s_mov_b32 s2, 0x3fb8aa3b
	v_mul_f32_e32 v2, 0x3fb8aa3b, v1
	v_fma_f32 v28, v1, s2, -v2
	v_rndne_f32_e32 v29, v2
	v_fmamk_f32 v28, v1, 0x32a5705f, v28
	v_sub_f32_e32 v2, v2, v29
	v_add_f32_e32 v2, v2, v28
	v_exp_f32_e32 v2, v2
	v_cvt_i32_f32_e32 v28, v29
	s_mov_b32 s2, 0xc2ce8ed0
	v_cmp_ngt_f32_e32 vcc, s2, v1
	s_mov_b32 s2, 0x42b17218
	v_ldexp_f32 v2, v2, v28
	v_cndmask_b32_e32 v2, 0, v2, vcc
	v_mov_b32_e32 v28, 0x7f800000
	v_cmp_nlt_f32_e32 vcc, s2, v1
	s_mov_b32 s2, 0x3f2aaaab
	s_mov_b32 s3, 0x7f800000
	v_cndmask_b32_e32 v42, v28, v2, vcc
	v_add_f32_e32 v1, 1.0, v42
	v_add_f32_e32 v2, -1.0, v1
	v_sub_f32_e32 v28, v2, v1
	v_add_f32_e32 v28, 1.0, v28
	v_sub_f32_e32 v2, v42, v2
	v_add_f32_e32 v2, v2, v28
	v_frexp_mant_f32_e32 v30, v1
	v_cvt_f64_f32_e32 v[28:29], v1
	v_frexp_exp_i32_f64_e32 v28, v[28:29]
	v_cmp_gt_f32_e32 vcc, s2, v30
	s_mov_b32 s2, 0x3f317218
	s_nop 0
	v_subbrev_co_u32_e32 v36, vcc, 0, v28, vcc
	v_sub_u32_e32 v28, 0, v36
	v_ldexp_f32 v1, v1, v28
	v_ldexp_f32 v2, v2, v28
	v_add_f32_e32 v28, -1.0, v1
	v_add_f32_e32 v29, 1.0, v28
	v_sub_f32_e32 v29, v1, v29
	v_add_f32_e32 v30, v2, v29
	v_add_f32_e32 v29, 1.0, v1
	v_add_f32_e32 v31, -1.0, v29
	v_sub_f32_e32 v1, v1, v31
	v_add_f32_e32 v1, v2, v1
	v_add_f32_e32 v2, v29, v1
	v_rcp_f32_e32 v37, v2
	v_sub_f32_e32 v29, v29, v2
	v_add_f32_e32 v1, v1, v29
	v_add_f32_e32 v29, v28, v30
	v_sub_f32_e32 v28, v28, v29
	v_mul_f32_e32 v39, v29, v37
	v_add_f32_e32 v38, v30, v28
	v_mul_f32_e32 v30, v2, v39
	v_fma_f32 v32, v39, v2, -v30
	v_fmac_f32_e32 v32, v39, v1
	v_add_f32_e32 v28, v30, v32
	v_sub_f32_e32 v31, v29, v28
	v_pk_add_f32 v[34:35], v[28:29], v[30:31] neg_lo:[0,1] neg_hi:[0,1]
	v_mov_b32_e32 v33, v28
	v_pk_add_f32 v[28:29], v[34:35], v[32:33] neg_lo:[0,1] neg_hi:[0,1]
	v_cmp_eq_f32_e32 vcc, s3, v42
	v_add_f32_e32 v29, v38, v29
	v_add_f32_e32 v28, v28, v29
	;; [unrolled: 1-line block ×3, first 2 shown]
	v_mul_f32_e32 v38, v37, v29
	v_mul_f32_e32 v30, v2, v38
	v_fma_f32 v32, v38, v2, -v30
	v_fmac_f32_e32 v32, v38, v1
	v_sub_f32_e32 v1, v31, v29
	v_add_f32_e32 v1, v28, v1
	v_add_f32_e32 v28, v30, v32
	v_sub_f32_e32 v31, v29, v28
	v_pk_add_f32 v[34:35], v[28:29], v[30:31] neg_lo:[0,1] neg_hi:[0,1]
	v_mov_b32_e32 v33, v28
	v_pk_add_f32 v[28:29], v[34:35], v[32:33] neg_lo:[0,1] neg_hi:[0,1]
	v_add_f32_e32 v2, v39, v38
	v_add_f32_e32 v1, v1, v29
	;; [unrolled: 1-line block ×4, first 2 shown]
	v_sub_f32_e32 v28, v2, v39
	v_mul_f32_e32 v1, v37, v1
	v_sub_f32_e32 v28, v38, v28
	v_add_f32_e32 v1, v28, v1
	v_add_f32_e32 v28, v2, v1
	v_cvt_f32_i32_e32 v30, v36
	v_mul_f32_e32 v31, v28, v28
	v_mov_b32_e32 v29, 0x3ecc95a3
	v_fmac_f32_e32 v29, 0x3e9b6dac, v31
	v_fmaak_f32 v29, v31, v29, 0x3f2aaada
	v_sub_f32_e32 v2, v28, v2
	v_ldexp_f32 v33, v28, 1
	v_mul_f32_e32 v31, v28, v31
	v_mov_b32_e32 v28, 0x3f317218
	v_pk_mul_f32 v[28:29], v[30:31], v[28:29]
	v_sub_f32_e32 v1, v1, v2
	v_fma_f32 v2, v30, s2, -v28
	v_fmamk_f32 v32, v30, 0xb102e308, v2
	v_pk_add_f32 v[30:31], v[28:29], v[32:33]
	v_ldexp_f32 v1, v1, 1
	v_sub_f32_e32 v2, v31, v33
	v_sub_f32_e32 v2, v29, v2
	v_add_f32_e32 v35, v1, v2
	v_mov_b32_e32 v34, v28
	v_pk_add_f32 v[28:29], v[30:31], v[28:29] neg_lo:[0,1] neg_hi:[0,1]
	v_pk_add_f32 v[36:37], v[30:31], v[34:35]
	v_mov_b32_e32 v33, v30
	v_mov_b32_e32 v29, v37
	v_pk_add_f32 v[38:39], v[32:33], v[28:29] neg_lo:[0,1] neg_hi:[0,1]
	v_pk_add_f32 v[28:29], v[32:33], v[28:29]
	s_mov_b32 s2, 0x33800000
	v_mov_b32_e32 v2, v29
	v_pk_add_f32 v[32:33], v[2:3], v[30:31] neg_lo:[0,1] neg_hi:[0,1]
	v_mov_b32_e32 v28, v37
	v_mov_b32_e32 v1, v32
	v_pk_add_f32 v[40:41], v[36:37], v[0:1] neg_lo:[0,1] neg_hi:[0,1]
	v_mov_b32_e32 v36, v31
	v_mov_b32_e32 v37, v32
	;; [unrolled: 1-line block ×3, first 2 shown]
	v_pk_add_f32 v[28:29], v[28:29], v[36:37] neg_lo:[0,1] neg_hi:[0,1]
	v_mov_b32_e32 v32, v35
	v_mov_b32_e32 v33, v30
	v_pk_add_f32 v[28:29], v[32:33], v[28:29] neg_lo:[0,1] neg_hi:[0,1]
	v_mov_b32_e32 v40, v38
	v_pk_add_f32 v[30:31], v[40:41], v[28:29]
	v_cmp_lt_f32_e64 s[2:3], |v42|, s2
	v_mov_b32_e32 v32, v31
	v_pk_add_f32 v[32:33], v[30:31], v[32:33]
	s_or_b64 vcc, vcc, s[2:3]
	v_pk_add_f32 v[34:35], v[2:3], v[32:33]
	v_mov_b32_e32 v29, v32
	v_mov_b32_e32 v31, v34
	v_pk_add_f32 v[36:37], v[30:31], v[38:39] neg_lo:[0,1] neg_hi:[0,1]
	s_nop 0
	v_sub_f32_e32 v1, v30, v36
	v_pk_add_f32 v[28:29], v[28:29], v[36:37] neg_lo:[0,1] neg_hi:[0,1]
	v_sub_f32_e32 v1, v38, v1
	v_add_f32_e32 v1, v28, v1
	v_add_f32_e32 v1, v1, v29
	;; [unrolled: 1-line block ×3, first 2 shown]
	v_cndmask_b32_e32 v1, v1, v42, vcc
	v_add_f32_e32 v0, v0, v1
	v_cvt_f16_f32_e32 v2, v0
	v_cvt_f32_f16_e32 v30, v2
.LBB438_137:
	s_or_b64 exec, exec, s[94:95]
	v_max_f32_e32 v0, v15, v15
	v_max_f32_e32 v1, v30, v30
	v_min_f32_e32 v28, v1, v0
	v_max_f32_e32 v29, v1, v0
	v_mov_b32_e32 v31, v2
	v_mov_b32_e32 v1, v30
	;;#ASMSTART
	;;#ASMEND
.LBB438_138:
	s_or_b64 exec, exec, s[0:1]
	v_cmp_u_f16_e32 vcc, v31, v31
	s_nop 1
	v_cndmask_b32_e32 v0, v28, v1, vcc
	v_cndmask_b32_e64 v28, v0, v15, s[48:49]
	v_cndmask_b32_e32 v0, v29, v1, vcc
	v_cndmask_b32_e64 v15, v0, v15, s[48:49]
	v_cmp_neq_f32_e32 vcc, v28, v15
	v_cmp_class_f32_e64 s[0:1], v28, s33
	s_or_b64 s[2:3], vcc, s[0:1]
	v_mov_b32_e32 v0, v2
	s_and_saveexec_b64 s[0:1], s[2:3]
	s_cbranch_execz .LBB438_140
; %bb.139:
	v_sub_f32_e32 v0, v28, v15
	s_mov_b32 s2, 0x3fb8aa3b
	v_mul_f32_e32 v1, 0x3fb8aa3b, v0
	v_fma_f32 v28, v0, s2, -v1
	v_rndne_f32_e32 v29, v1
	v_fmamk_f32 v28, v0, 0x32a5705f, v28
	v_sub_f32_e32 v1, v1, v29
	v_add_f32_e32 v1, v1, v28
	v_exp_f32_e32 v1, v1
	v_cvt_i32_f32_e32 v28, v29
	s_mov_b32 s2, 0xc2ce8ed0
	v_cmp_ngt_f32_e32 vcc, s2, v0
	s_mov_b32 s2, 0x42b17218
	v_ldexp_f32 v1, v1, v28
	v_cndmask_b32_e32 v1, 0, v1, vcc
	v_mov_b32_e32 v28, 0x7f800000
	v_cmp_nlt_f32_e32 vcc, s2, v0
	s_mov_b32 s2, 0x3f2aaaab
	s_mov_b32 s3, 0x7f800000
	v_cndmask_b32_e32 v42, v28, v1, vcc
	v_add_f32_e32 v28, 1.0, v42
	v_add_f32_e32 v0, -1.0, v28
	v_sub_f32_e32 v1, v0, v28
	v_add_f32_e32 v1, 1.0, v1
	v_sub_f32_e32 v0, v42, v0
	v_add_f32_e32 v29, v0, v1
	v_frexp_mant_f32_e32 v30, v28
	v_cvt_f64_f32_e32 v[0:1], v28
	v_frexp_exp_i32_f64_e32 v0, v[0:1]
	v_cmp_gt_f32_e32 vcc, s2, v30
	s_mov_b32 s2, 0x3f317218
	s_nop 0
	v_subbrev_co_u32_e32 v34, vcc, 0, v0, vcc
	v_sub_u32_e32 v0, 0, v34
	v_ldexp_f32 v1, v28, v0
	v_add_f32_e32 v28, -1.0, v1
	v_add_f32_e32 v30, 1.0, v1
	v_ldexp_f32 v0, v29, v0
	v_add_f32_e32 v29, 1.0, v28
	v_add_f32_e32 v31, -1.0, v30
	v_sub_f32_e32 v29, v1, v29
	v_sub_f32_e32 v1, v1, v31
	v_add_f32_e32 v29, v0, v29
	v_add_f32_e32 v0, v0, v1
	;; [unrolled: 1-line block ×3, first 2 shown]
	v_rcp_f32_e32 v37, v35
	v_sub_f32_e32 v1, v30, v35
	v_add_f32_e32 v36, v0, v1
	v_add_f32_e32 v1, v28, v29
	v_mul_f32_e32 v39, v1, v37
	v_sub_f32_e32 v0, v28, v1
	v_mul_f32_e32 v28, v35, v39
	v_fma_f32 v30, v39, v35, -v28
	v_fmac_f32_e32 v30, v39, v36
	v_add_f32_e32 v38, v29, v0
	v_add_f32_e32 v0, v28, v30
	v_sub_f32_e32 v29, v1, v0
	s_waitcnt lgkmcnt(0)
	v_pk_add_f32 v[32:33], v[0:1], v[28:29] neg_lo:[0,1] neg_hi:[0,1]
	v_mov_b32_e32 v31, v0
	v_pk_add_f32 v[0:1], v[32:33], v[30:31] neg_lo:[0,1] neg_hi:[0,1]
	v_cmp_eq_f32_e32 vcc, s3, v42
	v_add_f32_e32 v1, v38, v1
	v_add_f32_e32 v0, v0, v1
	;; [unrolled: 1-line block ×3, first 2 shown]
	v_mul_f32_e32 v38, v37, v1
	v_mul_f32_e32 v28, v35, v38
	v_fma_f32 v30, v38, v35, -v28
	v_fmac_f32_e32 v30, v38, v36
	v_sub_f32_e32 v29, v29, v1
	v_add_f32_e32 v35, v0, v29
	v_add_f32_e32 v0, v28, v30
	v_sub_f32_e32 v29, v1, v0
	v_pk_add_f32 v[32:33], v[0:1], v[28:29] neg_lo:[0,1] neg_hi:[0,1]
	v_mov_b32_e32 v31, v0
	v_pk_add_f32 v[0:1], v[32:33], v[30:31] neg_lo:[0,1] neg_hi:[0,1]
	v_cvt_f32_i32_e32 v28, v34
	v_add_f32_e32 v1, v35, v1
	v_add_f32_e32 v0, v0, v1
	;; [unrolled: 1-line block ×4, first 2 shown]
	v_sub_f32_e32 v1, v29, v39
	v_mul_f32_e32 v0, v37, v0
	v_sub_f32_e32 v1, v38, v1
	v_add_f32_e32 v0, v1, v0
	v_add_f32_e32 v30, v29, v0
	v_mul_f32_e32 v32, v30, v30
	v_mov_b32_e32 v1, 0x3ecc95a3
	v_sub_f32_e32 v29, v30, v29
	v_fmac_f32_e32 v1, 0x3e9b6dac, v32
	v_sub_f32_e32 v0, v0, v29
	v_fmaak_f32 v1, v32, v1, 0x3f2aaada
	v_ldexp_f32 v33, v0, 1
	v_mul_f32_e32 v29, v30, v32
	v_mov_b32_e32 v0, 0x3f317218
	v_pk_mul_f32 v[0:1], v[28:29], v[0:1]
	v_ldexp_f32 v31, v30, 1
	v_fma_f32 v29, v28, s2, -v0
	v_fmamk_f32 v30, v28, 0xb102e308, v29
	v_pk_add_f32 v[28:29], v[0:1], v[30:31]
	v_mov_b32_e32 v32, v0
	v_sub_f32_e32 v31, v29, v31
	v_sub_f32_e32 v31, v1, v31
	v_add_f32_e32 v33, v33, v31
	v_pk_add_f32 v[0:1], v[28:29], v[0:1] neg_lo:[0,1] neg_hi:[0,1]
	v_pk_add_f32 v[34:35], v[28:29], v[32:33]
	v_mov_b32_e32 v31, v28
	v_mov_b32_e32 v1, v35
	v_pk_add_f32 v[36:37], v[30:31], v[0:1] neg_lo:[0,1] neg_hi:[0,1]
	v_pk_add_f32 v[0:1], v[30:31], v[0:1]
	v_mov_b32_e32 v32, v33
	v_mov_b32_e32 v30, v1
	v_pk_add_f32 v[38:39], v[30:31], v[28:29] neg_lo:[0,1] neg_hi:[0,1]
	v_mov_b32_e32 v0, v35
	v_mov_b32_e32 v31, v38
	v_pk_add_f32 v[40:41], v[34:35], v[30:31] neg_lo:[0,1] neg_hi:[0,1]
	v_mov_b32_e32 v34, v29
	v_mov_b32_e32 v35, v38
	;; [unrolled: 1-line block ×3, first 2 shown]
	v_pk_add_f32 v[0:1], v[0:1], v[34:35] neg_lo:[0,1] neg_hi:[0,1]
	v_mov_b32_e32 v33, v28
	v_pk_add_f32 v[0:1], v[32:33], v[0:1] neg_lo:[0,1] neg_hi:[0,1]
	v_mov_b32_e32 v40, v36
	v_pk_add_f32 v[28:29], v[40:41], v[0:1]
	s_mov_b32 s2, 0x33800000
	v_mov_b32_e32 v32, v29
	v_pk_add_f32 v[32:33], v[28:29], v[32:33]
	v_cmp_lt_f32_e64 s[2:3], |v42|, s2
	v_pk_add_f32 v[30:31], v[30:31], v[32:33]
	v_mov_b32_e32 v1, v32
	v_mov_b32_e32 v29, v30
	v_pk_add_f32 v[34:35], v[28:29], v[36:37] neg_lo:[0,1] neg_hi:[0,1]
	s_or_b64 vcc, vcc, s[2:3]
	v_sub_f32_e32 v28, v28, v34
	v_pk_add_f32 v[0:1], v[0:1], v[34:35] neg_lo:[0,1] neg_hi:[0,1]
	v_sub_f32_e32 v28, v36, v28
	v_add_f32_e32 v0, v0, v28
	v_add_f32_e32 v0, v0, v1
	;; [unrolled: 1-line block ×3, first 2 shown]
	v_cndmask_b32_e32 v0, v0, v42, vcc
	v_add_f32_e32 v0, v15, v0
	v_cvt_f16_f32_e32 v31, v0
	v_cvt_f32_f16_e32 v1, v31
	v_mov_b32_e32 v0, v31
.LBB438_140:
	s_or_b64 exec, exec, s[0:1]
	v_max_f32_e32 v15, v16, v16
	v_max_f32_e32 v29, v1, v1
	v_min_f32_e32 v28, v29, v15
	v_cmp_u_f16_e32 vcc, v31, v31
	v_max_f32_e32 v15, v29, v15
	s_nop 0
	v_cndmask_b32_e32 v28, v28, v1, vcc
	v_cndmask_b32_e32 v15, v15, v1, vcc
	v_cndmask_b32_e64 v28, v28, v16, s[50:51]
	v_cndmask_b32_e64 v16, v15, v16, s[50:51]
	v_cmp_neq_f32_e32 vcc, v28, v16
	v_cmp_class_f32_e64 s[0:1], v28, s33
	s_or_b64 s[2:3], vcc, s[0:1]
	v_mov_b32_e32 v15, v0
	s_and_saveexec_b64 s[0:1], s[2:3]
	s_cbranch_execz .LBB438_142
; %bb.141:
	v_sub_f32_e32 v1, v28, v16
	s_mov_b32 s2, 0x3fb8aa3b
	v_mul_f32_e32 v15, 0x3fb8aa3b, v1
	v_fma_f32 v28, v1, s2, -v15
	v_rndne_f32_e32 v29, v15
	v_fmamk_f32 v28, v1, 0x32a5705f, v28
	v_sub_f32_e32 v15, v15, v29
	v_add_f32_e32 v15, v15, v28
	v_exp_f32_e32 v15, v15
	v_cvt_i32_f32_e32 v28, v29
	s_mov_b32 s2, 0xc2ce8ed0
	v_cmp_ngt_f32_e32 vcc, s2, v1
	s_mov_b32 s2, 0x42b17218
	v_ldexp_f32 v15, v15, v28
	v_cndmask_b32_e32 v15, 0, v15, vcc
	v_mov_b32_e32 v28, 0x7f800000
	v_cmp_nlt_f32_e32 vcc, s2, v1
	s_mov_b32 s2, 0x3f2aaaab
	s_mov_b32 s3, 0x7f800000
	v_cndmask_b32_e32 v15, v28, v15, vcc
	v_add_f32_e32 v1, 1.0, v15
	v_add_f32_e32 v28, -1.0, v1
	v_sub_f32_e32 v29, v28, v1
	v_add_f32_e32 v29, 1.0, v29
	v_sub_f32_e32 v28, v15, v28
	v_add_f32_e32 v30, v28, v29
	v_frexp_mant_f32_e32 v31, v1
	v_cvt_f64_f32_e32 v[28:29], v1
	v_frexp_exp_i32_f64_e32 v28, v[28:29]
	v_cmp_gt_f32_e32 vcc, s2, v31
	s_mov_b32 s2, 0x3f317218
	s_nop 0
	v_subbrev_co_u32_e32 v36, vcc, 0, v28, vcc
	v_sub_u32_e32 v28, 0, v36
	v_ldexp_f32 v1, v1, v28
	v_ldexp_f32 v28, v30, v28
	v_add_f32_e32 v30, -1.0, v1
	v_add_f32_e32 v29, 1.0, v30
	v_sub_f32_e32 v29, v1, v29
	v_add_f32_e32 v31, v28, v29
	v_add_f32_e32 v29, 1.0, v1
	s_waitcnt lgkmcnt(0)
	v_add_f32_e32 v32, -1.0, v29
	v_sub_f32_e32 v1, v1, v32
	v_add_f32_e32 v1, v28, v1
	v_add_f32_e32 v37, v29, v1
	v_rcp_f32_e32 v38, v37
	v_sub_f32_e32 v28, v29, v37
	v_add_f32_e32 v29, v30, v31
	v_add_f32_e32 v1, v1, v28
	v_mul_f32_e32 v40, v29, v38
	v_sub_f32_e32 v28, v30, v29
	v_mul_f32_e32 v30, v37, v40
	v_fma_f32 v32, v40, v37, -v30
	v_fmac_f32_e32 v32, v40, v1
	v_add_f32_e32 v39, v31, v28
	v_add_f32_e32 v28, v30, v32
	v_sub_f32_e32 v31, v29, v28
	v_pk_add_f32 v[34:35], v[28:29], v[30:31] neg_lo:[0,1] neg_hi:[0,1]
	v_mov_b32_e32 v33, v28
	v_pk_add_f32 v[28:29], v[34:35], v[32:33] neg_lo:[0,1] neg_hi:[0,1]
	v_cmp_eq_f32_e32 vcc, s3, v15
	v_add_f32_e32 v29, v39, v29
	v_add_f32_e32 v28, v28, v29
	;; [unrolled: 1-line block ×3, first 2 shown]
	v_mul_f32_e32 v39, v38, v29
	v_mul_f32_e32 v30, v37, v39
	v_fma_f32 v32, v39, v37, -v30
	v_fmac_f32_e32 v32, v39, v1
	v_sub_f32_e32 v1, v31, v29
	v_add_f32_e32 v1, v28, v1
	v_add_f32_e32 v28, v30, v32
	v_sub_f32_e32 v31, v29, v28
	v_pk_add_f32 v[34:35], v[28:29], v[30:31] neg_lo:[0,1] neg_hi:[0,1]
	v_mov_b32_e32 v33, v28
	v_pk_add_f32 v[28:29], v[34:35], v[32:33] neg_lo:[0,1] neg_hi:[0,1]
	v_cvt_f32_i32_e32 v30, v36
	v_add_f32_e32 v1, v1, v29
	v_add_f32_e32 v1, v28, v1
	;; [unrolled: 1-line block ×4, first 2 shown]
	v_sub_f32_e32 v29, v28, v40
	v_mul_f32_e32 v1, v38, v1
	v_sub_f32_e32 v29, v39, v29
	v_add_f32_e32 v1, v29, v1
	v_add_f32_e32 v31, v28, v1
	v_mul_f32_e32 v32, v31, v31
	v_mov_b32_e32 v29, 0x3ecc95a3
	v_fmac_f32_e32 v29, 0x3e9b6dac, v32
	v_sub_f32_e32 v28, v31, v28
	v_fmaak_f32 v29, v32, v29, 0x3f2aaada
	v_sub_f32_e32 v1, v1, v28
	v_ldexp_f32 v33, v31, 1
	v_mul_f32_e32 v31, v31, v32
	v_mov_b32_e32 v28, 0x3f317218
	v_pk_mul_f32 v[28:29], v[30:31], v[28:29]
	v_ldexp_f32 v1, v1, 1
	v_fma_f32 v31, v30, s2, -v28
	v_fmamk_f32 v32, v30, 0xb102e308, v31
	v_pk_add_f32 v[30:31], v[28:29], v[32:33]
	v_mov_b32_e32 v34, v28
	v_sub_f32_e32 v33, v31, v33
	v_sub_f32_e32 v33, v29, v33
	v_add_f32_e32 v35, v1, v33
	v_pk_add_f32 v[28:29], v[30:31], v[28:29] neg_lo:[0,1] neg_hi:[0,1]
	v_pk_add_f32 v[36:37], v[30:31], v[34:35]
	v_mov_b32_e32 v33, v30
	v_mov_b32_e32 v29, v37
	v_pk_add_f32 v[38:39], v[32:33], v[28:29] neg_lo:[0,1] neg_hi:[0,1]
	v_pk_add_f32 v[28:29], v[32:33], v[28:29]
	v_mov_b32_e32 v34, v35
	v_mov_b32_e32 v32, v29
	v_pk_add_f32 v[40:41], v[32:33], v[30:31] neg_lo:[0,1] neg_hi:[0,1]
	v_mov_b32_e32 v28, v37
	v_mov_b32_e32 v1, v40
	v_pk_add_f32 v[42:43], v[36:37], v[0:1] neg_lo:[0,1] neg_hi:[0,1]
	v_mov_b32_e32 v36, v31
	v_mov_b32_e32 v37, v40
	;; [unrolled: 1-line block ×3, first 2 shown]
	v_pk_add_f32 v[28:29], v[28:29], v[36:37] neg_lo:[0,1] neg_hi:[0,1]
	v_mov_b32_e32 v35, v30
	v_pk_add_f32 v[28:29], v[34:35], v[28:29] neg_lo:[0,1] neg_hi:[0,1]
	v_mov_b32_e32 v42, v38
	v_pk_add_f32 v[30:31], v[42:43], v[28:29]
	s_mov_b32 s2, 0x33800000
	v_mov_b32_e32 v34, v31
	v_pk_add_f32 v[34:35], v[30:31], v[34:35]
	v_cmp_lt_f32_e64 s[2:3], |v15|, s2
	v_pk_add_f32 v[32:33], v[32:33], v[34:35]
	v_mov_b32_e32 v29, v34
	v_mov_b32_e32 v31, v32
	v_pk_add_f32 v[36:37], v[30:31], v[38:39] neg_lo:[0,1] neg_hi:[0,1]
	s_or_b64 vcc, vcc, s[2:3]
	v_sub_f32_e32 v1, v30, v36
	v_pk_add_f32 v[28:29], v[28:29], v[36:37] neg_lo:[0,1] neg_hi:[0,1]
	v_sub_f32_e32 v1, v38, v1
	v_add_f32_e32 v1, v28, v1
	v_add_f32_e32 v1, v1, v29
	;; [unrolled: 1-line block ×3, first 2 shown]
	v_cndmask_b32_e32 v1, v1, v15, vcc
	v_add_f32_e32 v1, v16, v1
	v_cvt_f16_f32_e32 v31, v1
	v_cvt_f32_f16_e32 v1, v31
	v_mov_b32_e32 v15, v31
.LBB438_142:
	s_or_b64 exec, exec, s[0:1]
	v_max_f32_e32 v16, v17, v17
	v_max_f32_e32 v29, v1, v1
	v_min_f32_e32 v28, v29, v16
	v_cmp_u_f16_e32 vcc, v31, v31
	v_max_f32_e32 v16, v29, v16
	s_nop 0
	v_cndmask_b32_e32 v28, v28, v1, vcc
	v_cndmask_b32_e32 v16, v16, v1, vcc
	v_cndmask_b32_e64 v28, v28, v17, s[52:53]
	v_cndmask_b32_e64 v17, v16, v17, s[52:53]
	v_cmp_neq_f32_e32 vcc, v28, v17
	v_cmp_class_f32_e64 s[0:1], v28, s33
	s_or_b64 s[2:3], vcc, s[0:1]
	v_mov_b32_e32 v16, v15
	s_and_saveexec_b64 s[0:1], s[2:3]
	s_cbranch_execz .LBB438_144
; %bb.143:
	v_sub_f32_e32 v1, v28, v17
	s_mov_b32 s2, 0x3fb8aa3b
	v_mul_f32_e32 v16, 0x3fb8aa3b, v1
	v_fma_f32 v28, v1, s2, -v16
	v_rndne_f32_e32 v29, v16
	v_fmamk_f32 v28, v1, 0x32a5705f, v28
	v_sub_f32_e32 v16, v16, v29
	v_add_f32_e32 v16, v16, v28
	v_exp_f32_e32 v16, v16
	v_cvt_i32_f32_e32 v28, v29
	s_mov_b32 s2, 0xc2ce8ed0
	v_cmp_ngt_f32_e32 vcc, s2, v1
	s_mov_b32 s2, 0x42b17218
	v_ldexp_f32 v16, v16, v28
	v_cndmask_b32_e32 v16, 0, v16, vcc
	v_mov_b32_e32 v28, 0x7f800000
	v_cmp_nlt_f32_e32 vcc, s2, v1
	s_mov_b32 s2, 0x3f2aaaab
	s_mov_b32 s3, 0x7f800000
	v_cndmask_b32_e32 v42, v28, v16, vcc
	v_add_f32_e32 v1, 1.0, v42
	v_add_f32_e32 v16, -1.0, v1
	v_sub_f32_e32 v28, v16, v1
	v_add_f32_e32 v28, 1.0, v28
	v_sub_f32_e32 v16, v42, v16
	v_add_f32_e32 v16, v16, v28
	v_frexp_mant_f32_e32 v30, v1
	v_cvt_f64_f32_e32 v[28:29], v1
	v_frexp_exp_i32_f64_e32 v28, v[28:29]
	v_cmp_gt_f32_e32 vcc, s2, v30
	s_mov_b32 s2, 0x3f317218
	s_nop 0
	v_subbrev_co_u32_e32 v36, vcc, 0, v28, vcc
	v_sub_u32_e32 v28, 0, v36
	v_ldexp_f32 v1, v1, v28
	v_ldexp_f32 v16, v16, v28
	v_add_f32_e32 v28, -1.0, v1
	v_add_f32_e32 v29, 1.0, v28
	v_sub_f32_e32 v29, v1, v29
	v_add_f32_e32 v30, v16, v29
	v_add_f32_e32 v29, 1.0, v1
	v_add_f32_e32 v31, -1.0, v29
	v_sub_f32_e32 v1, v1, v31
	v_add_f32_e32 v1, v16, v1
	v_add_f32_e32 v16, v29, v1
	v_rcp_f32_e32 v37, v16
	v_sub_f32_e32 v29, v29, v16
	v_add_f32_e32 v1, v1, v29
	v_add_f32_e32 v29, v28, v30
	v_sub_f32_e32 v28, v28, v29
	v_mul_f32_e32 v39, v29, v37
	v_add_f32_e32 v38, v30, v28
	v_mul_f32_e32 v30, v16, v39
	s_waitcnt lgkmcnt(0)
	v_fma_f32 v32, v39, v16, -v30
	v_fmac_f32_e32 v32, v39, v1
	v_add_f32_e32 v28, v30, v32
	v_sub_f32_e32 v31, v29, v28
	v_pk_add_f32 v[34:35], v[28:29], v[30:31] neg_lo:[0,1] neg_hi:[0,1]
	v_mov_b32_e32 v33, v28
	v_pk_add_f32 v[28:29], v[34:35], v[32:33] neg_lo:[0,1] neg_hi:[0,1]
	v_cmp_eq_f32_e32 vcc, s3, v42
	v_add_f32_e32 v29, v38, v29
	v_add_f32_e32 v28, v28, v29
	;; [unrolled: 1-line block ×3, first 2 shown]
	v_mul_f32_e32 v38, v37, v29
	v_mul_f32_e32 v30, v16, v38
	v_fma_f32 v32, v38, v16, -v30
	v_fmac_f32_e32 v32, v38, v1
	v_sub_f32_e32 v1, v31, v29
	v_add_f32_e32 v1, v28, v1
	v_add_f32_e32 v28, v30, v32
	v_sub_f32_e32 v31, v29, v28
	v_pk_add_f32 v[34:35], v[28:29], v[30:31] neg_lo:[0,1] neg_hi:[0,1]
	v_mov_b32_e32 v33, v28
	v_pk_add_f32 v[28:29], v[34:35], v[32:33] neg_lo:[0,1] neg_hi:[0,1]
	v_add_f32_e32 v16, v39, v38
	v_add_f32_e32 v1, v1, v29
	v_add_f32_e32 v1, v28, v1
	v_add_f32_e32 v1, v31, v1
	v_sub_f32_e32 v28, v16, v39
	v_mul_f32_e32 v1, v37, v1
	v_sub_f32_e32 v28, v38, v28
	v_add_f32_e32 v1, v28, v1
	v_add_f32_e32 v28, v16, v1
	v_cvt_f32_i32_e32 v30, v36
	v_mul_f32_e32 v31, v28, v28
	v_mov_b32_e32 v29, 0x3ecc95a3
	v_fmac_f32_e32 v29, 0x3e9b6dac, v31
	v_fmaak_f32 v29, v31, v29, 0x3f2aaada
	v_sub_f32_e32 v16, v28, v16
	v_ldexp_f32 v33, v28, 1
	v_mul_f32_e32 v31, v28, v31
	v_mov_b32_e32 v28, 0x3f317218
	v_pk_mul_f32 v[28:29], v[30:31], v[28:29]
	v_sub_f32_e32 v1, v1, v16
	v_fma_f32 v16, v30, s2, -v28
	v_fmamk_f32 v32, v30, 0xb102e308, v16
	v_pk_add_f32 v[30:31], v[28:29], v[32:33]
	v_ldexp_f32 v1, v1, 1
	v_sub_f32_e32 v16, v31, v33
	v_sub_f32_e32 v16, v29, v16
	v_add_f32_e32 v35, v1, v16
	v_mov_b32_e32 v34, v28
	v_pk_add_f32 v[28:29], v[30:31], v[28:29] neg_lo:[0,1] neg_hi:[0,1]
	v_pk_add_f32 v[36:37], v[30:31], v[34:35]
	v_mov_b32_e32 v33, v30
	v_mov_b32_e32 v29, v37
	v_pk_add_f32 v[38:39], v[32:33], v[28:29] neg_lo:[0,1] neg_hi:[0,1]
	v_pk_add_f32 v[28:29], v[32:33], v[28:29]
	s_mov_b32 s2, 0x33800000
	v_mov_b32_e32 v16, v29
	v_pk_add_f32 v[32:33], v[16:17], v[30:31] neg_lo:[0,1] neg_hi:[0,1]
	v_mov_b32_e32 v28, v37
	v_mov_b32_e32 v1, v32
	v_pk_add_f32 v[40:41], v[36:37], v[0:1] neg_lo:[0,1] neg_hi:[0,1]
	v_mov_b32_e32 v36, v31
	v_mov_b32_e32 v37, v32
	v_mov_b32_e32 v39, v29
	v_pk_add_f32 v[28:29], v[28:29], v[36:37] neg_lo:[0,1] neg_hi:[0,1]
	v_mov_b32_e32 v32, v35
	v_mov_b32_e32 v33, v30
	v_pk_add_f32 v[28:29], v[32:33], v[28:29] neg_lo:[0,1] neg_hi:[0,1]
	v_mov_b32_e32 v40, v38
	v_pk_add_f32 v[30:31], v[40:41], v[28:29]
	v_cmp_lt_f32_e64 s[2:3], |v42|, s2
	v_mov_b32_e32 v32, v31
	v_pk_add_f32 v[32:33], v[30:31], v[32:33]
	s_or_b64 vcc, vcc, s[2:3]
	v_pk_add_f32 v[34:35], v[16:17], v[32:33]
	v_mov_b32_e32 v29, v32
	v_mov_b32_e32 v31, v34
	v_pk_add_f32 v[36:37], v[30:31], v[38:39] neg_lo:[0,1] neg_hi:[0,1]
	s_nop 0
	v_sub_f32_e32 v1, v30, v36
	v_pk_add_f32 v[28:29], v[28:29], v[36:37] neg_lo:[0,1] neg_hi:[0,1]
	v_sub_f32_e32 v1, v38, v1
	v_add_f32_e32 v1, v28, v1
	v_add_f32_e32 v1, v1, v29
	;; [unrolled: 1-line block ×3, first 2 shown]
	v_cndmask_b32_e32 v1, v1, v42, vcc
	v_add_f32_e32 v1, v17, v1
	v_cvt_f16_f32_e32 v31, v1
	v_cvt_f32_f16_e32 v1, v31
	v_mov_b32_e32 v16, v31
.LBB438_144:
	s_or_b64 exec, exec, s[0:1]
	v_max_f32_e32 v17, v3, v3
	v_max_f32_e32 v29, v1, v1
	v_min_f32_e32 v28, v29, v17
	v_cmp_u_f16_e32 vcc, v31, v31
	v_max_f32_e32 v17, v29, v17
	s_nop 0
	v_cndmask_b32_e32 v28, v28, v1, vcc
	v_cndmask_b32_e32 v17, v17, v1, vcc
	v_cndmask_b32_e64 v28, v28, v3, s[54:55]
	v_cndmask_b32_e64 v17, v17, v3, s[54:55]
	v_cmp_neq_f32_e32 vcc, v28, v17
	v_cmp_class_f32_e64 s[0:1], v28, s33
	s_or_b64 s[2:3], vcc, s[0:1]
	v_mov_b32_e32 v3, v16
	s_and_saveexec_b64 s[0:1], s[2:3]
	s_cbranch_execz .LBB438_146
; %bb.145:
	v_sub_f32_e32 v1, v28, v17
	s_mov_b32 s2, 0x3fb8aa3b
	v_mul_f32_e32 v3, 0x3fb8aa3b, v1
	v_fma_f32 v28, v1, s2, -v3
	v_rndne_f32_e32 v29, v3
	v_fmamk_f32 v28, v1, 0x32a5705f, v28
	v_sub_f32_e32 v3, v3, v29
	v_add_f32_e32 v3, v3, v28
	v_exp_f32_e32 v3, v3
	v_cvt_i32_f32_e32 v28, v29
	s_mov_b32 s2, 0xc2ce8ed0
	v_cmp_ngt_f32_e32 vcc, s2, v1
	s_mov_b32 s2, 0x42b17218
	v_ldexp_f32 v3, v3, v28
	v_cndmask_b32_e32 v3, 0, v3, vcc
	v_mov_b32_e32 v28, 0x7f800000
	v_cmp_nlt_f32_e32 vcc, s2, v1
	s_mov_b32 s2, 0x3f2aaaab
	s_mov_b32 s3, 0x7f800000
	v_cndmask_b32_e32 v3, v28, v3, vcc
	v_add_f32_e32 v1, 1.0, v3
	v_add_f32_e32 v28, -1.0, v1
	v_sub_f32_e32 v29, v28, v1
	v_add_f32_e32 v29, 1.0, v29
	v_sub_f32_e32 v28, v3, v28
	v_add_f32_e32 v30, v28, v29
	v_frexp_mant_f32_e32 v31, v1
	v_cvt_f64_f32_e32 v[28:29], v1
	v_frexp_exp_i32_f64_e32 v28, v[28:29]
	v_cmp_gt_f32_e32 vcc, s2, v31
	s_mov_b32 s2, 0x3f317218
	s_nop 0
	v_subbrev_co_u32_e32 v36, vcc, 0, v28, vcc
	v_sub_u32_e32 v28, 0, v36
	v_ldexp_f32 v1, v1, v28
	v_ldexp_f32 v28, v30, v28
	v_add_f32_e32 v30, -1.0, v1
	v_add_f32_e32 v29, 1.0, v30
	v_sub_f32_e32 v29, v1, v29
	v_add_f32_e32 v31, v28, v29
	v_add_f32_e32 v29, 1.0, v1
	s_waitcnt lgkmcnt(0)
	v_add_f32_e32 v32, -1.0, v29
	v_sub_f32_e32 v1, v1, v32
	v_add_f32_e32 v1, v28, v1
	v_add_f32_e32 v37, v29, v1
	v_rcp_f32_e32 v38, v37
	v_sub_f32_e32 v28, v29, v37
	v_add_f32_e32 v29, v30, v31
	v_add_f32_e32 v1, v1, v28
	v_mul_f32_e32 v40, v29, v38
	v_sub_f32_e32 v28, v30, v29
	v_mul_f32_e32 v30, v37, v40
	v_fma_f32 v32, v40, v37, -v30
	v_fmac_f32_e32 v32, v40, v1
	v_add_f32_e32 v39, v31, v28
	v_add_f32_e32 v28, v30, v32
	v_sub_f32_e32 v31, v29, v28
	v_pk_add_f32 v[34:35], v[28:29], v[30:31] neg_lo:[0,1] neg_hi:[0,1]
	v_mov_b32_e32 v33, v28
	v_pk_add_f32 v[28:29], v[34:35], v[32:33] neg_lo:[0,1] neg_hi:[0,1]
	v_cmp_eq_f32_e32 vcc, s3, v3
	v_add_f32_e32 v29, v39, v29
	v_add_f32_e32 v28, v28, v29
	v_add_f32_e32 v29, v31, v28
	v_mul_f32_e32 v39, v38, v29
	v_mul_f32_e32 v30, v37, v39
	v_fma_f32 v32, v39, v37, -v30
	v_fmac_f32_e32 v32, v39, v1
	v_sub_f32_e32 v1, v31, v29
	v_add_f32_e32 v1, v28, v1
	v_add_f32_e32 v28, v30, v32
	v_sub_f32_e32 v31, v29, v28
	v_pk_add_f32 v[34:35], v[28:29], v[30:31] neg_lo:[0,1] neg_hi:[0,1]
	v_mov_b32_e32 v33, v28
	v_pk_add_f32 v[28:29], v[34:35], v[32:33] neg_lo:[0,1] neg_hi:[0,1]
	v_cvt_f32_i32_e32 v30, v36
	v_add_f32_e32 v1, v1, v29
	v_add_f32_e32 v1, v28, v1
	;; [unrolled: 1-line block ×4, first 2 shown]
	v_sub_f32_e32 v29, v28, v40
	v_mul_f32_e32 v1, v38, v1
	v_sub_f32_e32 v29, v39, v29
	v_add_f32_e32 v1, v29, v1
	v_add_f32_e32 v31, v28, v1
	v_mul_f32_e32 v32, v31, v31
	v_mov_b32_e32 v29, 0x3ecc95a3
	v_fmac_f32_e32 v29, 0x3e9b6dac, v32
	v_sub_f32_e32 v28, v31, v28
	v_fmaak_f32 v29, v32, v29, 0x3f2aaada
	v_sub_f32_e32 v1, v1, v28
	v_ldexp_f32 v33, v31, 1
	v_mul_f32_e32 v31, v31, v32
	v_mov_b32_e32 v28, 0x3f317218
	v_pk_mul_f32 v[28:29], v[30:31], v[28:29]
	v_ldexp_f32 v1, v1, 1
	v_fma_f32 v31, v30, s2, -v28
	v_fmamk_f32 v32, v30, 0xb102e308, v31
	v_pk_add_f32 v[30:31], v[28:29], v[32:33]
	v_mov_b32_e32 v34, v28
	v_sub_f32_e32 v33, v31, v33
	v_sub_f32_e32 v33, v29, v33
	v_add_f32_e32 v35, v1, v33
	v_pk_add_f32 v[28:29], v[30:31], v[28:29] neg_lo:[0,1] neg_hi:[0,1]
	v_pk_add_f32 v[36:37], v[30:31], v[34:35]
	v_mov_b32_e32 v33, v30
	v_mov_b32_e32 v29, v37
	v_pk_add_f32 v[38:39], v[32:33], v[28:29] neg_lo:[0,1] neg_hi:[0,1]
	v_pk_add_f32 v[28:29], v[32:33], v[28:29]
	v_mov_b32_e32 v34, v35
	v_mov_b32_e32 v32, v29
	v_pk_add_f32 v[40:41], v[32:33], v[30:31] neg_lo:[0,1] neg_hi:[0,1]
	v_mov_b32_e32 v28, v37
	v_mov_b32_e32 v1, v40
	v_pk_add_f32 v[42:43], v[36:37], v[0:1] neg_lo:[0,1] neg_hi:[0,1]
	v_mov_b32_e32 v36, v31
	v_mov_b32_e32 v37, v40
	;; [unrolled: 1-line block ×3, first 2 shown]
	v_pk_add_f32 v[28:29], v[28:29], v[36:37] neg_lo:[0,1] neg_hi:[0,1]
	v_mov_b32_e32 v35, v30
	v_pk_add_f32 v[28:29], v[34:35], v[28:29] neg_lo:[0,1] neg_hi:[0,1]
	v_mov_b32_e32 v42, v38
	v_pk_add_f32 v[30:31], v[42:43], v[28:29]
	s_mov_b32 s2, 0x33800000
	v_mov_b32_e32 v34, v31
	v_pk_add_f32 v[34:35], v[30:31], v[34:35]
	v_cmp_lt_f32_e64 s[2:3], |v3|, s2
	v_pk_add_f32 v[32:33], v[32:33], v[34:35]
	v_mov_b32_e32 v29, v34
	v_mov_b32_e32 v31, v32
	v_pk_add_f32 v[36:37], v[30:31], v[38:39] neg_lo:[0,1] neg_hi:[0,1]
	s_or_b64 vcc, vcc, s[2:3]
	v_sub_f32_e32 v1, v30, v36
	v_pk_add_f32 v[28:29], v[28:29], v[36:37] neg_lo:[0,1] neg_hi:[0,1]
	v_sub_f32_e32 v1, v38, v1
	v_add_f32_e32 v1, v28, v1
	v_add_f32_e32 v1, v1, v29
	;; [unrolled: 1-line block ×3, first 2 shown]
	v_cndmask_b32_e32 v1, v1, v3, vcc
	v_add_f32_e32 v1, v17, v1
	v_cvt_f16_f32_e32 v31, v1
	v_cvt_f32_f16_e32 v1, v31
	v_mov_b32_e32 v3, v31
.LBB438_146:
	s_or_b64 exec, exec, s[0:1]
	v_max_f32_e32 v17, v18, v18
	v_max_f32_e32 v29, v1, v1
	v_min_f32_e32 v28, v29, v17
	v_cmp_u_f16_e32 vcc, v31, v31
	v_max_f32_e32 v17, v29, v17
	s_nop 0
	v_cndmask_b32_e32 v28, v28, v1, vcc
	v_cndmask_b32_e32 v17, v17, v1, vcc
	v_cndmask_b32_e64 v28, v28, v18, s[56:57]
	v_cndmask_b32_e64 v18, v17, v18, s[56:57]
	v_cmp_neq_f32_e32 vcc, v28, v18
	v_cmp_class_f32_e64 s[0:1], v28, s33
	s_or_b64 s[2:3], vcc, s[0:1]
	v_mov_b32_e32 v17, v3
	s_and_saveexec_b64 s[0:1], s[2:3]
	s_cbranch_execz .LBB438_148
; %bb.147:
	v_sub_f32_e32 v1, v28, v18
	s_mov_b32 s2, 0x3fb8aa3b
	v_mul_f32_e32 v17, 0x3fb8aa3b, v1
	v_fma_f32 v28, v1, s2, -v17
	v_rndne_f32_e32 v29, v17
	v_fmamk_f32 v28, v1, 0x32a5705f, v28
	v_sub_f32_e32 v17, v17, v29
	v_add_f32_e32 v17, v17, v28
	v_exp_f32_e32 v17, v17
	v_cvt_i32_f32_e32 v28, v29
	s_mov_b32 s2, 0xc2ce8ed0
	v_cmp_ngt_f32_e32 vcc, s2, v1
	s_mov_b32 s2, 0x42b17218
	v_ldexp_f32 v17, v17, v28
	v_cndmask_b32_e32 v17, 0, v17, vcc
	v_mov_b32_e32 v28, 0x7f800000
	v_cmp_nlt_f32_e32 vcc, s2, v1
	s_mov_b32 s2, 0x3f2aaaab
	s_mov_b32 s3, 0x7f800000
	v_cndmask_b32_e32 v17, v28, v17, vcc
	v_add_f32_e32 v1, 1.0, v17
	v_add_f32_e32 v28, -1.0, v1
	v_sub_f32_e32 v29, v28, v1
	v_add_f32_e32 v29, 1.0, v29
	v_sub_f32_e32 v28, v17, v28
	v_add_f32_e32 v30, v28, v29
	v_frexp_mant_f32_e32 v31, v1
	v_cvt_f64_f32_e32 v[28:29], v1
	v_frexp_exp_i32_f64_e32 v28, v[28:29]
	v_cmp_gt_f32_e32 vcc, s2, v31
	s_mov_b32 s2, 0x3f317218
	s_nop 0
	v_subbrev_co_u32_e32 v36, vcc, 0, v28, vcc
	v_sub_u32_e32 v28, 0, v36
	v_ldexp_f32 v1, v1, v28
	v_ldexp_f32 v28, v30, v28
	v_add_f32_e32 v30, -1.0, v1
	v_add_f32_e32 v29, 1.0, v30
	v_sub_f32_e32 v29, v1, v29
	v_add_f32_e32 v31, v28, v29
	v_add_f32_e32 v29, 1.0, v1
	s_waitcnt lgkmcnt(0)
	v_add_f32_e32 v32, -1.0, v29
	v_sub_f32_e32 v1, v1, v32
	v_add_f32_e32 v1, v28, v1
	v_add_f32_e32 v37, v29, v1
	v_rcp_f32_e32 v38, v37
	v_sub_f32_e32 v28, v29, v37
	v_add_f32_e32 v29, v30, v31
	v_add_f32_e32 v1, v1, v28
	v_mul_f32_e32 v40, v29, v38
	v_sub_f32_e32 v28, v30, v29
	v_mul_f32_e32 v30, v37, v40
	v_fma_f32 v32, v40, v37, -v30
	v_fmac_f32_e32 v32, v40, v1
	v_add_f32_e32 v39, v31, v28
	v_add_f32_e32 v28, v30, v32
	v_sub_f32_e32 v31, v29, v28
	v_pk_add_f32 v[34:35], v[28:29], v[30:31] neg_lo:[0,1] neg_hi:[0,1]
	v_mov_b32_e32 v33, v28
	v_pk_add_f32 v[28:29], v[34:35], v[32:33] neg_lo:[0,1] neg_hi:[0,1]
	v_cmp_eq_f32_e32 vcc, s3, v17
	v_add_f32_e32 v29, v39, v29
	v_add_f32_e32 v28, v28, v29
	v_add_f32_e32 v29, v31, v28
	v_mul_f32_e32 v39, v38, v29
	v_mul_f32_e32 v30, v37, v39
	v_fma_f32 v32, v39, v37, -v30
	v_fmac_f32_e32 v32, v39, v1
	v_sub_f32_e32 v1, v31, v29
	v_add_f32_e32 v1, v28, v1
	v_add_f32_e32 v28, v30, v32
	v_sub_f32_e32 v31, v29, v28
	v_pk_add_f32 v[34:35], v[28:29], v[30:31] neg_lo:[0,1] neg_hi:[0,1]
	v_mov_b32_e32 v33, v28
	v_pk_add_f32 v[28:29], v[34:35], v[32:33] neg_lo:[0,1] neg_hi:[0,1]
	v_cvt_f32_i32_e32 v30, v36
	v_add_f32_e32 v1, v1, v29
	v_add_f32_e32 v1, v28, v1
	;; [unrolled: 1-line block ×4, first 2 shown]
	v_sub_f32_e32 v29, v28, v40
	v_mul_f32_e32 v1, v38, v1
	v_sub_f32_e32 v29, v39, v29
	v_add_f32_e32 v1, v29, v1
	v_add_f32_e32 v31, v28, v1
	v_mul_f32_e32 v32, v31, v31
	v_mov_b32_e32 v29, 0x3ecc95a3
	v_fmac_f32_e32 v29, 0x3e9b6dac, v32
	v_sub_f32_e32 v28, v31, v28
	v_fmaak_f32 v29, v32, v29, 0x3f2aaada
	v_sub_f32_e32 v1, v1, v28
	v_ldexp_f32 v33, v31, 1
	v_mul_f32_e32 v31, v31, v32
	v_mov_b32_e32 v28, 0x3f317218
	v_pk_mul_f32 v[28:29], v[30:31], v[28:29]
	v_ldexp_f32 v1, v1, 1
	v_fma_f32 v31, v30, s2, -v28
	v_fmamk_f32 v32, v30, 0xb102e308, v31
	v_pk_add_f32 v[30:31], v[28:29], v[32:33]
	v_mov_b32_e32 v34, v28
	v_sub_f32_e32 v33, v31, v33
	v_sub_f32_e32 v33, v29, v33
	v_add_f32_e32 v35, v1, v33
	v_pk_add_f32 v[28:29], v[30:31], v[28:29] neg_lo:[0,1] neg_hi:[0,1]
	v_pk_add_f32 v[36:37], v[30:31], v[34:35]
	v_mov_b32_e32 v33, v30
	v_mov_b32_e32 v29, v37
	v_pk_add_f32 v[38:39], v[32:33], v[28:29] neg_lo:[0,1] neg_hi:[0,1]
	v_pk_add_f32 v[28:29], v[32:33], v[28:29]
	v_mov_b32_e32 v34, v35
	v_mov_b32_e32 v32, v29
	v_pk_add_f32 v[40:41], v[32:33], v[30:31] neg_lo:[0,1] neg_hi:[0,1]
	v_mov_b32_e32 v28, v37
	v_mov_b32_e32 v1, v40
	v_pk_add_f32 v[42:43], v[36:37], v[0:1] neg_lo:[0,1] neg_hi:[0,1]
	v_mov_b32_e32 v36, v31
	v_mov_b32_e32 v37, v40
	;; [unrolled: 1-line block ×3, first 2 shown]
	v_pk_add_f32 v[28:29], v[28:29], v[36:37] neg_lo:[0,1] neg_hi:[0,1]
	v_mov_b32_e32 v35, v30
	v_pk_add_f32 v[28:29], v[34:35], v[28:29] neg_lo:[0,1] neg_hi:[0,1]
	v_mov_b32_e32 v42, v38
	v_pk_add_f32 v[30:31], v[42:43], v[28:29]
	s_mov_b32 s2, 0x33800000
	v_mov_b32_e32 v34, v31
	v_pk_add_f32 v[34:35], v[30:31], v[34:35]
	v_cmp_lt_f32_e64 s[2:3], |v17|, s2
	v_pk_add_f32 v[32:33], v[32:33], v[34:35]
	v_mov_b32_e32 v29, v34
	v_mov_b32_e32 v31, v32
	v_pk_add_f32 v[36:37], v[30:31], v[38:39] neg_lo:[0,1] neg_hi:[0,1]
	s_or_b64 vcc, vcc, s[2:3]
	v_sub_f32_e32 v1, v30, v36
	v_pk_add_f32 v[28:29], v[28:29], v[36:37] neg_lo:[0,1] neg_hi:[0,1]
	v_sub_f32_e32 v1, v38, v1
	v_add_f32_e32 v1, v28, v1
	v_add_f32_e32 v1, v1, v29
	;; [unrolled: 1-line block ×3, first 2 shown]
	v_cndmask_b32_e32 v1, v1, v17, vcc
	v_add_f32_e32 v1, v18, v1
	v_cvt_f16_f32_e32 v31, v1
	v_cvt_f32_f16_e32 v1, v31
	v_mov_b32_e32 v17, v31
.LBB438_148:
	s_or_b64 exec, exec, s[0:1]
	v_max_f32_e32 v18, v4, v4
	v_max_f32_e32 v29, v1, v1
	v_min_f32_e32 v28, v29, v18
	v_cmp_u_f16_e32 vcc, v31, v31
	v_max_f32_e32 v18, v29, v18
	s_nop 0
	v_cndmask_b32_e32 v28, v28, v1, vcc
	v_cndmask_b32_e32 v18, v18, v1, vcc
	v_cndmask_b32_e64 v28, v28, v4, s[58:59]
	v_cndmask_b32_e64 v18, v18, v4, s[58:59]
	v_cmp_neq_f32_e32 vcc, v28, v18
	v_cmp_class_f32_e64 s[0:1], v28, s33
	s_or_b64 s[2:3], vcc, s[0:1]
	v_mov_b32_e32 v4, v17
	s_and_saveexec_b64 s[0:1], s[2:3]
	s_cbranch_execz .LBB438_150
; %bb.149:
	v_sub_f32_e32 v1, v28, v18
	s_mov_b32 s2, 0x3fb8aa3b
	v_mul_f32_e32 v4, 0x3fb8aa3b, v1
	v_fma_f32 v28, v1, s2, -v4
	v_rndne_f32_e32 v29, v4
	v_fmamk_f32 v28, v1, 0x32a5705f, v28
	v_sub_f32_e32 v4, v4, v29
	v_add_f32_e32 v4, v4, v28
	v_exp_f32_e32 v4, v4
	v_cvt_i32_f32_e32 v28, v29
	s_mov_b32 s2, 0xc2ce8ed0
	v_cmp_ngt_f32_e32 vcc, s2, v1
	s_mov_b32 s2, 0x42b17218
	v_ldexp_f32 v4, v4, v28
	v_cndmask_b32_e32 v4, 0, v4, vcc
	v_mov_b32_e32 v28, 0x7f800000
	v_cmp_nlt_f32_e32 vcc, s2, v1
	s_mov_b32 s2, 0x3f2aaaab
	s_mov_b32 s3, 0x7f800000
	v_cndmask_b32_e32 v42, v28, v4, vcc
	v_add_f32_e32 v1, 1.0, v42
	v_add_f32_e32 v4, -1.0, v1
	v_sub_f32_e32 v28, v4, v1
	v_add_f32_e32 v28, 1.0, v28
	v_sub_f32_e32 v4, v42, v4
	v_add_f32_e32 v4, v4, v28
	v_frexp_mant_f32_e32 v30, v1
	v_cvt_f64_f32_e32 v[28:29], v1
	v_frexp_exp_i32_f64_e32 v28, v[28:29]
	v_cmp_gt_f32_e32 vcc, s2, v30
	s_mov_b32 s2, 0x3f317218
	s_nop 0
	v_subbrev_co_u32_e32 v36, vcc, 0, v28, vcc
	v_sub_u32_e32 v28, 0, v36
	v_ldexp_f32 v1, v1, v28
	v_ldexp_f32 v4, v4, v28
	v_add_f32_e32 v28, -1.0, v1
	v_add_f32_e32 v29, 1.0, v28
	v_sub_f32_e32 v29, v1, v29
	v_add_f32_e32 v30, v4, v29
	v_add_f32_e32 v29, 1.0, v1
	v_add_f32_e32 v31, -1.0, v29
	v_sub_f32_e32 v1, v1, v31
	v_add_f32_e32 v1, v4, v1
	v_add_f32_e32 v4, v29, v1
	v_rcp_f32_e32 v37, v4
	v_sub_f32_e32 v29, v29, v4
	v_add_f32_e32 v1, v1, v29
	v_add_f32_e32 v29, v28, v30
	v_sub_f32_e32 v28, v28, v29
	v_mul_f32_e32 v39, v29, v37
	v_add_f32_e32 v38, v30, v28
	v_mul_f32_e32 v30, v4, v39
	s_waitcnt lgkmcnt(0)
	v_fma_f32 v32, v39, v4, -v30
	v_fmac_f32_e32 v32, v39, v1
	v_add_f32_e32 v28, v30, v32
	v_sub_f32_e32 v31, v29, v28
	v_pk_add_f32 v[34:35], v[28:29], v[30:31] neg_lo:[0,1] neg_hi:[0,1]
	v_mov_b32_e32 v33, v28
	v_pk_add_f32 v[28:29], v[34:35], v[32:33] neg_lo:[0,1] neg_hi:[0,1]
	v_cmp_eq_f32_e32 vcc, s3, v42
	v_add_f32_e32 v29, v38, v29
	v_add_f32_e32 v28, v28, v29
	;; [unrolled: 1-line block ×3, first 2 shown]
	v_mul_f32_e32 v38, v37, v29
	v_mul_f32_e32 v30, v4, v38
	v_fma_f32 v32, v38, v4, -v30
	v_fmac_f32_e32 v32, v38, v1
	v_sub_f32_e32 v1, v31, v29
	v_add_f32_e32 v1, v28, v1
	v_add_f32_e32 v28, v30, v32
	v_sub_f32_e32 v31, v29, v28
	v_pk_add_f32 v[34:35], v[28:29], v[30:31] neg_lo:[0,1] neg_hi:[0,1]
	v_mov_b32_e32 v33, v28
	v_pk_add_f32 v[28:29], v[34:35], v[32:33] neg_lo:[0,1] neg_hi:[0,1]
	v_add_f32_e32 v4, v39, v38
	v_add_f32_e32 v1, v1, v29
	;; [unrolled: 1-line block ×4, first 2 shown]
	v_sub_f32_e32 v28, v4, v39
	v_mul_f32_e32 v1, v37, v1
	v_sub_f32_e32 v28, v38, v28
	v_add_f32_e32 v1, v28, v1
	v_add_f32_e32 v28, v4, v1
	v_cvt_f32_i32_e32 v30, v36
	v_mul_f32_e32 v31, v28, v28
	v_mov_b32_e32 v29, 0x3ecc95a3
	v_fmac_f32_e32 v29, 0x3e9b6dac, v31
	v_fmaak_f32 v29, v31, v29, 0x3f2aaada
	v_sub_f32_e32 v4, v28, v4
	v_ldexp_f32 v33, v28, 1
	v_mul_f32_e32 v31, v28, v31
	v_mov_b32_e32 v28, 0x3f317218
	v_pk_mul_f32 v[28:29], v[30:31], v[28:29]
	v_sub_f32_e32 v1, v1, v4
	v_fma_f32 v4, v30, s2, -v28
	v_fmamk_f32 v32, v30, 0xb102e308, v4
	v_pk_add_f32 v[30:31], v[28:29], v[32:33]
	v_ldexp_f32 v1, v1, 1
	v_sub_f32_e32 v4, v31, v33
	v_sub_f32_e32 v4, v29, v4
	v_add_f32_e32 v35, v1, v4
	v_mov_b32_e32 v34, v28
	v_pk_add_f32 v[28:29], v[30:31], v[28:29] neg_lo:[0,1] neg_hi:[0,1]
	v_pk_add_f32 v[36:37], v[30:31], v[34:35]
	v_mov_b32_e32 v33, v30
	v_mov_b32_e32 v29, v37
	v_pk_add_f32 v[38:39], v[32:33], v[28:29] neg_lo:[0,1] neg_hi:[0,1]
	v_pk_add_f32 v[28:29], v[32:33], v[28:29]
	s_mov_b32 s2, 0x33800000
	v_mov_b32_e32 v4, v29
	v_pk_add_f32 v[32:33], v[4:5], v[30:31] neg_lo:[0,1] neg_hi:[0,1]
	v_mov_b32_e32 v28, v37
	v_mov_b32_e32 v1, v32
	v_pk_add_f32 v[40:41], v[36:37], v[0:1] neg_lo:[0,1] neg_hi:[0,1]
	v_mov_b32_e32 v36, v31
	v_mov_b32_e32 v37, v32
	;; [unrolled: 1-line block ×3, first 2 shown]
	v_pk_add_f32 v[28:29], v[28:29], v[36:37] neg_lo:[0,1] neg_hi:[0,1]
	v_mov_b32_e32 v32, v35
	v_mov_b32_e32 v33, v30
	v_pk_add_f32 v[28:29], v[32:33], v[28:29] neg_lo:[0,1] neg_hi:[0,1]
	v_mov_b32_e32 v40, v38
	v_pk_add_f32 v[30:31], v[40:41], v[28:29]
	v_cmp_lt_f32_e64 s[2:3], |v42|, s2
	v_mov_b32_e32 v32, v31
	v_pk_add_f32 v[32:33], v[30:31], v[32:33]
	s_or_b64 vcc, vcc, s[2:3]
	v_pk_add_f32 v[34:35], v[4:5], v[32:33]
	v_mov_b32_e32 v29, v32
	v_mov_b32_e32 v31, v34
	v_pk_add_f32 v[36:37], v[30:31], v[38:39] neg_lo:[0,1] neg_hi:[0,1]
	s_nop 0
	v_sub_f32_e32 v1, v30, v36
	v_pk_add_f32 v[28:29], v[28:29], v[36:37] neg_lo:[0,1] neg_hi:[0,1]
	v_sub_f32_e32 v1, v38, v1
	v_add_f32_e32 v1, v28, v1
	v_add_f32_e32 v1, v1, v29
	;; [unrolled: 1-line block ×3, first 2 shown]
	v_cndmask_b32_e32 v1, v1, v42, vcc
	v_add_f32_e32 v1, v18, v1
	v_cvt_f16_f32_e32 v31, v1
	v_cvt_f32_f16_e32 v1, v31
	v_mov_b32_e32 v4, v31
.LBB438_150:
	s_or_b64 exec, exec, s[0:1]
	v_max_f32_e32 v18, v19, v19
	v_max_f32_e32 v29, v1, v1
	v_min_f32_e32 v28, v29, v18
	v_cmp_u_f16_e32 vcc, v31, v31
	v_max_f32_e32 v18, v29, v18
	s_nop 0
	v_cndmask_b32_e32 v28, v28, v1, vcc
	v_cndmask_b32_e32 v18, v18, v1, vcc
	v_cndmask_b32_e64 v28, v28, v19, s[60:61]
	v_cndmask_b32_e64 v19, v18, v19, s[60:61]
	v_cmp_neq_f32_e32 vcc, v28, v19
	v_cmp_class_f32_e64 s[0:1], v28, s33
	s_or_b64 s[2:3], vcc, s[0:1]
	v_mov_b32_e32 v18, v4
	s_and_saveexec_b64 s[0:1], s[2:3]
	s_cbranch_execz .LBB438_152
; %bb.151:
	v_sub_f32_e32 v1, v28, v19
	s_mov_b32 s2, 0x3fb8aa3b
	v_mul_f32_e32 v18, 0x3fb8aa3b, v1
	v_fma_f32 v28, v1, s2, -v18
	v_rndne_f32_e32 v29, v18
	v_fmamk_f32 v28, v1, 0x32a5705f, v28
	v_sub_f32_e32 v18, v18, v29
	v_add_f32_e32 v18, v18, v28
	v_exp_f32_e32 v18, v18
	v_cvt_i32_f32_e32 v28, v29
	s_mov_b32 s2, 0xc2ce8ed0
	v_cmp_ngt_f32_e32 vcc, s2, v1
	s_mov_b32 s2, 0x42b17218
	v_ldexp_f32 v18, v18, v28
	v_cndmask_b32_e32 v18, 0, v18, vcc
	v_mov_b32_e32 v28, 0x7f800000
	v_cmp_nlt_f32_e32 vcc, s2, v1
	s_mov_b32 s2, 0x3f2aaaab
	s_mov_b32 s3, 0x7f800000
	v_cndmask_b32_e32 v42, v28, v18, vcc
	v_add_f32_e32 v1, 1.0, v42
	v_add_f32_e32 v18, -1.0, v1
	v_sub_f32_e32 v28, v18, v1
	v_add_f32_e32 v28, 1.0, v28
	v_sub_f32_e32 v18, v42, v18
	v_add_f32_e32 v18, v18, v28
	v_frexp_mant_f32_e32 v30, v1
	v_cvt_f64_f32_e32 v[28:29], v1
	v_frexp_exp_i32_f64_e32 v28, v[28:29]
	v_cmp_gt_f32_e32 vcc, s2, v30
	s_mov_b32 s2, 0x3f317218
	s_nop 0
	v_subbrev_co_u32_e32 v36, vcc, 0, v28, vcc
	v_sub_u32_e32 v28, 0, v36
	v_ldexp_f32 v1, v1, v28
	v_ldexp_f32 v18, v18, v28
	v_add_f32_e32 v28, -1.0, v1
	v_add_f32_e32 v29, 1.0, v28
	v_sub_f32_e32 v29, v1, v29
	v_add_f32_e32 v30, v18, v29
	v_add_f32_e32 v29, 1.0, v1
	v_add_f32_e32 v31, -1.0, v29
	v_sub_f32_e32 v1, v1, v31
	v_add_f32_e32 v1, v18, v1
	v_add_f32_e32 v18, v29, v1
	v_rcp_f32_e32 v37, v18
	v_sub_f32_e32 v29, v29, v18
	v_add_f32_e32 v1, v1, v29
	v_add_f32_e32 v29, v28, v30
	v_sub_f32_e32 v28, v28, v29
	v_mul_f32_e32 v39, v29, v37
	v_add_f32_e32 v38, v30, v28
	v_mul_f32_e32 v30, v18, v39
	s_waitcnt lgkmcnt(0)
	v_fma_f32 v32, v39, v18, -v30
	v_fmac_f32_e32 v32, v39, v1
	v_add_f32_e32 v28, v30, v32
	v_sub_f32_e32 v31, v29, v28
	v_pk_add_f32 v[34:35], v[28:29], v[30:31] neg_lo:[0,1] neg_hi:[0,1]
	v_mov_b32_e32 v33, v28
	v_pk_add_f32 v[28:29], v[34:35], v[32:33] neg_lo:[0,1] neg_hi:[0,1]
	v_cmp_eq_f32_e32 vcc, s3, v42
	v_add_f32_e32 v29, v38, v29
	v_add_f32_e32 v28, v28, v29
	;; [unrolled: 1-line block ×3, first 2 shown]
	v_mul_f32_e32 v38, v37, v29
	v_mul_f32_e32 v30, v18, v38
	v_fma_f32 v32, v38, v18, -v30
	v_fmac_f32_e32 v32, v38, v1
	v_sub_f32_e32 v1, v31, v29
	v_add_f32_e32 v1, v28, v1
	v_add_f32_e32 v28, v30, v32
	v_sub_f32_e32 v31, v29, v28
	v_pk_add_f32 v[34:35], v[28:29], v[30:31] neg_lo:[0,1] neg_hi:[0,1]
	v_mov_b32_e32 v33, v28
	v_pk_add_f32 v[28:29], v[34:35], v[32:33] neg_lo:[0,1] neg_hi:[0,1]
	v_add_f32_e32 v18, v39, v38
	v_add_f32_e32 v1, v1, v29
	;; [unrolled: 1-line block ×4, first 2 shown]
	v_sub_f32_e32 v28, v18, v39
	v_mul_f32_e32 v1, v37, v1
	v_sub_f32_e32 v28, v38, v28
	v_add_f32_e32 v1, v28, v1
	v_add_f32_e32 v28, v18, v1
	v_cvt_f32_i32_e32 v30, v36
	v_mul_f32_e32 v31, v28, v28
	v_mov_b32_e32 v29, 0x3ecc95a3
	v_fmac_f32_e32 v29, 0x3e9b6dac, v31
	v_fmaak_f32 v29, v31, v29, 0x3f2aaada
	v_sub_f32_e32 v18, v28, v18
	v_ldexp_f32 v33, v28, 1
	v_mul_f32_e32 v31, v28, v31
	v_mov_b32_e32 v28, 0x3f317218
	v_pk_mul_f32 v[28:29], v[30:31], v[28:29]
	v_sub_f32_e32 v1, v1, v18
	v_fma_f32 v18, v30, s2, -v28
	v_fmamk_f32 v32, v30, 0xb102e308, v18
	v_pk_add_f32 v[30:31], v[28:29], v[32:33]
	v_ldexp_f32 v1, v1, 1
	v_sub_f32_e32 v18, v31, v33
	v_sub_f32_e32 v18, v29, v18
	v_add_f32_e32 v35, v1, v18
	v_mov_b32_e32 v34, v28
	v_pk_add_f32 v[28:29], v[30:31], v[28:29] neg_lo:[0,1] neg_hi:[0,1]
	v_pk_add_f32 v[36:37], v[30:31], v[34:35]
	v_mov_b32_e32 v33, v30
	v_mov_b32_e32 v29, v37
	v_pk_add_f32 v[38:39], v[32:33], v[28:29] neg_lo:[0,1] neg_hi:[0,1]
	v_pk_add_f32 v[28:29], v[32:33], v[28:29]
	s_mov_b32 s2, 0x33800000
	v_mov_b32_e32 v18, v29
	v_pk_add_f32 v[32:33], v[18:19], v[30:31] neg_lo:[0,1] neg_hi:[0,1]
	v_mov_b32_e32 v28, v37
	v_mov_b32_e32 v1, v32
	v_pk_add_f32 v[40:41], v[36:37], v[0:1] neg_lo:[0,1] neg_hi:[0,1]
	v_mov_b32_e32 v36, v31
	v_mov_b32_e32 v37, v32
	;; [unrolled: 1-line block ×3, first 2 shown]
	v_pk_add_f32 v[28:29], v[28:29], v[36:37] neg_lo:[0,1] neg_hi:[0,1]
	v_mov_b32_e32 v32, v35
	v_mov_b32_e32 v33, v30
	v_pk_add_f32 v[28:29], v[32:33], v[28:29] neg_lo:[0,1] neg_hi:[0,1]
	v_mov_b32_e32 v40, v38
	v_pk_add_f32 v[30:31], v[40:41], v[28:29]
	v_cmp_lt_f32_e64 s[2:3], |v42|, s2
	v_mov_b32_e32 v32, v31
	v_pk_add_f32 v[32:33], v[30:31], v[32:33]
	s_or_b64 vcc, vcc, s[2:3]
	v_pk_add_f32 v[34:35], v[18:19], v[32:33]
	v_mov_b32_e32 v29, v32
	v_mov_b32_e32 v31, v34
	v_pk_add_f32 v[36:37], v[30:31], v[38:39] neg_lo:[0,1] neg_hi:[0,1]
	s_nop 0
	v_sub_f32_e32 v1, v30, v36
	v_pk_add_f32 v[28:29], v[28:29], v[36:37] neg_lo:[0,1] neg_hi:[0,1]
	v_sub_f32_e32 v1, v38, v1
	v_add_f32_e32 v1, v28, v1
	v_add_f32_e32 v1, v1, v29
	v_add_f32_e32 v1, v34, v1
	v_cndmask_b32_e32 v1, v1, v42, vcc
	v_add_f32_e32 v1, v19, v1
	v_cvt_f16_f32_e32 v31, v1
	v_cvt_f32_f16_e32 v1, v31
	v_mov_b32_e32 v18, v31
.LBB438_152:
	s_or_b64 exec, exec, s[0:1]
	v_max_f32_e32 v19, v5, v5
	v_max_f32_e32 v29, v1, v1
	v_min_f32_e32 v28, v29, v19
	v_cmp_u_f16_e32 vcc, v31, v31
	v_max_f32_e32 v19, v29, v19
	s_nop 0
	v_cndmask_b32_e32 v28, v28, v1, vcc
	v_cndmask_b32_e32 v19, v19, v1, vcc
	v_cndmask_b32_e64 v28, v28, v5, s[62:63]
	v_cndmask_b32_e64 v19, v19, v5, s[62:63]
	v_cmp_neq_f32_e32 vcc, v28, v19
	v_cmp_class_f32_e64 s[0:1], v28, s33
	s_or_b64 s[2:3], vcc, s[0:1]
	v_mov_b32_e32 v5, v18
	s_and_saveexec_b64 s[0:1], s[2:3]
	s_cbranch_execz .LBB438_154
; %bb.153:
	v_sub_f32_e32 v1, v28, v19
	s_mov_b32 s2, 0x3fb8aa3b
	v_mul_f32_e32 v5, 0x3fb8aa3b, v1
	v_fma_f32 v28, v1, s2, -v5
	v_rndne_f32_e32 v29, v5
	v_fmamk_f32 v28, v1, 0x32a5705f, v28
	v_sub_f32_e32 v5, v5, v29
	v_add_f32_e32 v5, v5, v28
	v_exp_f32_e32 v5, v5
	v_cvt_i32_f32_e32 v28, v29
	s_mov_b32 s2, 0xc2ce8ed0
	v_cmp_ngt_f32_e32 vcc, s2, v1
	s_mov_b32 s2, 0x42b17218
	v_ldexp_f32 v5, v5, v28
	v_cndmask_b32_e32 v5, 0, v5, vcc
	v_mov_b32_e32 v28, 0x7f800000
	v_cmp_nlt_f32_e32 vcc, s2, v1
	s_mov_b32 s2, 0x3f2aaaab
	s_mov_b32 s3, 0x7f800000
	v_cndmask_b32_e32 v5, v28, v5, vcc
	v_add_f32_e32 v1, 1.0, v5
	v_add_f32_e32 v28, -1.0, v1
	v_sub_f32_e32 v29, v28, v1
	v_add_f32_e32 v29, 1.0, v29
	v_sub_f32_e32 v28, v5, v28
	v_add_f32_e32 v30, v28, v29
	v_frexp_mant_f32_e32 v31, v1
	v_cvt_f64_f32_e32 v[28:29], v1
	v_frexp_exp_i32_f64_e32 v28, v[28:29]
	v_cmp_gt_f32_e32 vcc, s2, v31
	s_mov_b32 s2, 0x3f317218
	s_nop 0
	v_subbrev_co_u32_e32 v36, vcc, 0, v28, vcc
	v_sub_u32_e32 v28, 0, v36
	v_ldexp_f32 v1, v1, v28
	v_ldexp_f32 v28, v30, v28
	v_add_f32_e32 v30, -1.0, v1
	v_add_f32_e32 v29, 1.0, v30
	v_sub_f32_e32 v29, v1, v29
	v_add_f32_e32 v31, v28, v29
	v_add_f32_e32 v29, 1.0, v1
	s_waitcnt lgkmcnt(0)
	v_add_f32_e32 v32, -1.0, v29
	v_sub_f32_e32 v1, v1, v32
	v_add_f32_e32 v1, v28, v1
	v_add_f32_e32 v37, v29, v1
	v_rcp_f32_e32 v38, v37
	v_sub_f32_e32 v28, v29, v37
	v_add_f32_e32 v29, v30, v31
	v_add_f32_e32 v1, v1, v28
	v_mul_f32_e32 v40, v29, v38
	v_sub_f32_e32 v28, v30, v29
	v_mul_f32_e32 v30, v37, v40
	v_fma_f32 v32, v40, v37, -v30
	v_fmac_f32_e32 v32, v40, v1
	v_add_f32_e32 v39, v31, v28
	v_add_f32_e32 v28, v30, v32
	v_sub_f32_e32 v31, v29, v28
	v_pk_add_f32 v[34:35], v[28:29], v[30:31] neg_lo:[0,1] neg_hi:[0,1]
	v_mov_b32_e32 v33, v28
	v_pk_add_f32 v[28:29], v[34:35], v[32:33] neg_lo:[0,1] neg_hi:[0,1]
	v_cmp_eq_f32_e32 vcc, s3, v5
	v_add_f32_e32 v29, v39, v29
	v_add_f32_e32 v28, v28, v29
	;; [unrolled: 1-line block ×3, first 2 shown]
	v_mul_f32_e32 v39, v38, v29
	v_mul_f32_e32 v30, v37, v39
	v_fma_f32 v32, v39, v37, -v30
	v_fmac_f32_e32 v32, v39, v1
	v_sub_f32_e32 v1, v31, v29
	v_add_f32_e32 v1, v28, v1
	v_add_f32_e32 v28, v30, v32
	v_sub_f32_e32 v31, v29, v28
	v_pk_add_f32 v[34:35], v[28:29], v[30:31] neg_lo:[0,1] neg_hi:[0,1]
	v_mov_b32_e32 v33, v28
	v_pk_add_f32 v[28:29], v[34:35], v[32:33] neg_lo:[0,1] neg_hi:[0,1]
	v_cvt_f32_i32_e32 v30, v36
	v_add_f32_e32 v1, v1, v29
	v_add_f32_e32 v1, v28, v1
	v_add_f32_e32 v28, v40, v39
	v_add_f32_e32 v1, v31, v1
	v_sub_f32_e32 v29, v28, v40
	v_mul_f32_e32 v1, v38, v1
	v_sub_f32_e32 v29, v39, v29
	v_add_f32_e32 v1, v29, v1
	v_add_f32_e32 v31, v28, v1
	v_mul_f32_e32 v32, v31, v31
	v_mov_b32_e32 v29, 0x3ecc95a3
	v_fmac_f32_e32 v29, 0x3e9b6dac, v32
	v_sub_f32_e32 v28, v31, v28
	v_fmaak_f32 v29, v32, v29, 0x3f2aaada
	v_sub_f32_e32 v1, v1, v28
	v_ldexp_f32 v33, v31, 1
	v_mul_f32_e32 v31, v31, v32
	v_mov_b32_e32 v28, 0x3f317218
	v_pk_mul_f32 v[28:29], v[30:31], v[28:29]
	v_ldexp_f32 v1, v1, 1
	v_fma_f32 v31, v30, s2, -v28
	v_fmamk_f32 v32, v30, 0xb102e308, v31
	v_pk_add_f32 v[30:31], v[28:29], v[32:33]
	v_mov_b32_e32 v34, v28
	v_sub_f32_e32 v33, v31, v33
	v_sub_f32_e32 v33, v29, v33
	v_add_f32_e32 v35, v1, v33
	v_pk_add_f32 v[28:29], v[30:31], v[28:29] neg_lo:[0,1] neg_hi:[0,1]
	v_pk_add_f32 v[36:37], v[30:31], v[34:35]
	v_mov_b32_e32 v33, v30
	v_mov_b32_e32 v29, v37
	v_pk_add_f32 v[38:39], v[32:33], v[28:29] neg_lo:[0,1] neg_hi:[0,1]
	v_pk_add_f32 v[28:29], v[32:33], v[28:29]
	v_mov_b32_e32 v34, v35
	v_mov_b32_e32 v32, v29
	v_pk_add_f32 v[40:41], v[32:33], v[30:31] neg_lo:[0,1] neg_hi:[0,1]
	v_mov_b32_e32 v28, v37
	v_mov_b32_e32 v1, v40
	v_pk_add_f32 v[42:43], v[36:37], v[0:1] neg_lo:[0,1] neg_hi:[0,1]
	v_mov_b32_e32 v36, v31
	v_mov_b32_e32 v37, v40
	;; [unrolled: 1-line block ×3, first 2 shown]
	v_pk_add_f32 v[28:29], v[28:29], v[36:37] neg_lo:[0,1] neg_hi:[0,1]
	v_mov_b32_e32 v35, v30
	v_pk_add_f32 v[28:29], v[34:35], v[28:29] neg_lo:[0,1] neg_hi:[0,1]
	v_mov_b32_e32 v42, v38
	v_pk_add_f32 v[30:31], v[42:43], v[28:29]
	s_mov_b32 s2, 0x33800000
	v_mov_b32_e32 v34, v31
	v_pk_add_f32 v[34:35], v[30:31], v[34:35]
	v_cmp_lt_f32_e64 s[2:3], |v5|, s2
	v_pk_add_f32 v[32:33], v[32:33], v[34:35]
	v_mov_b32_e32 v29, v34
	v_mov_b32_e32 v31, v32
	v_pk_add_f32 v[36:37], v[30:31], v[38:39] neg_lo:[0,1] neg_hi:[0,1]
	s_or_b64 vcc, vcc, s[2:3]
	v_sub_f32_e32 v1, v30, v36
	v_pk_add_f32 v[28:29], v[28:29], v[36:37] neg_lo:[0,1] neg_hi:[0,1]
	v_sub_f32_e32 v1, v38, v1
	v_add_f32_e32 v1, v28, v1
	v_add_f32_e32 v1, v1, v29
	;; [unrolled: 1-line block ×3, first 2 shown]
	v_cndmask_b32_e32 v1, v1, v5, vcc
	v_add_f32_e32 v1, v19, v1
	v_cvt_f16_f32_e32 v31, v1
	v_cvt_f32_f16_e32 v1, v31
	v_mov_b32_e32 v5, v31
.LBB438_154:
	s_or_b64 exec, exec, s[0:1]
	v_max_f32_e32 v19, v20, v20
	v_max_f32_e32 v29, v1, v1
	v_min_f32_e32 v28, v29, v19
	v_cmp_u_f16_e32 vcc, v31, v31
	v_max_f32_e32 v19, v29, v19
	s_nop 0
	v_cndmask_b32_e32 v28, v28, v1, vcc
	v_cndmask_b32_e32 v19, v19, v1, vcc
	v_cndmask_b32_e64 v28, v28, v20, s[64:65]
	v_cndmask_b32_e64 v20, v19, v20, s[64:65]
	v_cmp_neq_f32_e32 vcc, v28, v20
	v_cmp_class_f32_e64 s[0:1], v28, s33
	s_or_b64 s[2:3], vcc, s[0:1]
	v_mov_b32_e32 v19, v5
	s_and_saveexec_b64 s[0:1], s[2:3]
	s_cbranch_execz .LBB438_156
; %bb.155:
	v_sub_f32_e32 v1, v28, v20
	s_mov_b32 s2, 0x3fb8aa3b
	v_mul_f32_e32 v19, 0x3fb8aa3b, v1
	v_fma_f32 v28, v1, s2, -v19
	v_rndne_f32_e32 v29, v19
	v_fmamk_f32 v28, v1, 0x32a5705f, v28
	v_sub_f32_e32 v19, v19, v29
	v_add_f32_e32 v19, v19, v28
	v_exp_f32_e32 v19, v19
	v_cvt_i32_f32_e32 v28, v29
	s_mov_b32 s2, 0xc2ce8ed0
	v_cmp_ngt_f32_e32 vcc, s2, v1
	s_mov_b32 s2, 0x42b17218
	v_ldexp_f32 v19, v19, v28
	v_cndmask_b32_e32 v19, 0, v19, vcc
	v_mov_b32_e32 v28, 0x7f800000
	v_cmp_nlt_f32_e32 vcc, s2, v1
	s_mov_b32 s2, 0x3f2aaaab
	s_mov_b32 s3, 0x7f800000
	v_cndmask_b32_e32 v19, v28, v19, vcc
	v_add_f32_e32 v1, 1.0, v19
	v_add_f32_e32 v28, -1.0, v1
	v_sub_f32_e32 v29, v28, v1
	v_add_f32_e32 v29, 1.0, v29
	v_sub_f32_e32 v28, v19, v28
	v_add_f32_e32 v30, v28, v29
	v_frexp_mant_f32_e32 v31, v1
	v_cvt_f64_f32_e32 v[28:29], v1
	v_frexp_exp_i32_f64_e32 v28, v[28:29]
	v_cmp_gt_f32_e32 vcc, s2, v31
	s_mov_b32 s2, 0x3f317218
	s_nop 0
	v_subbrev_co_u32_e32 v36, vcc, 0, v28, vcc
	v_sub_u32_e32 v28, 0, v36
	v_ldexp_f32 v1, v1, v28
	v_ldexp_f32 v28, v30, v28
	v_add_f32_e32 v30, -1.0, v1
	v_add_f32_e32 v29, 1.0, v30
	v_sub_f32_e32 v29, v1, v29
	v_add_f32_e32 v31, v28, v29
	v_add_f32_e32 v29, 1.0, v1
	s_waitcnt lgkmcnt(0)
	v_add_f32_e32 v32, -1.0, v29
	v_sub_f32_e32 v1, v1, v32
	v_add_f32_e32 v1, v28, v1
	v_add_f32_e32 v37, v29, v1
	v_rcp_f32_e32 v38, v37
	v_sub_f32_e32 v28, v29, v37
	v_add_f32_e32 v29, v30, v31
	v_add_f32_e32 v1, v1, v28
	v_mul_f32_e32 v40, v29, v38
	v_sub_f32_e32 v28, v30, v29
	v_mul_f32_e32 v30, v37, v40
	v_fma_f32 v32, v40, v37, -v30
	v_fmac_f32_e32 v32, v40, v1
	v_add_f32_e32 v39, v31, v28
	v_add_f32_e32 v28, v30, v32
	v_sub_f32_e32 v31, v29, v28
	v_pk_add_f32 v[34:35], v[28:29], v[30:31] neg_lo:[0,1] neg_hi:[0,1]
	v_mov_b32_e32 v33, v28
	v_pk_add_f32 v[28:29], v[34:35], v[32:33] neg_lo:[0,1] neg_hi:[0,1]
	v_cmp_eq_f32_e32 vcc, s3, v19
	v_add_f32_e32 v29, v39, v29
	v_add_f32_e32 v28, v28, v29
	v_add_f32_e32 v29, v31, v28
	v_mul_f32_e32 v39, v38, v29
	v_mul_f32_e32 v30, v37, v39
	v_fma_f32 v32, v39, v37, -v30
	v_fmac_f32_e32 v32, v39, v1
	v_sub_f32_e32 v1, v31, v29
	v_add_f32_e32 v1, v28, v1
	v_add_f32_e32 v28, v30, v32
	v_sub_f32_e32 v31, v29, v28
	v_pk_add_f32 v[34:35], v[28:29], v[30:31] neg_lo:[0,1] neg_hi:[0,1]
	v_mov_b32_e32 v33, v28
	v_pk_add_f32 v[28:29], v[34:35], v[32:33] neg_lo:[0,1] neg_hi:[0,1]
	v_cvt_f32_i32_e32 v30, v36
	v_add_f32_e32 v1, v1, v29
	v_add_f32_e32 v1, v28, v1
	;; [unrolled: 1-line block ×4, first 2 shown]
	v_sub_f32_e32 v29, v28, v40
	v_mul_f32_e32 v1, v38, v1
	v_sub_f32_e32 v29, v39, v29
	v_add_f32_e32 v1, v29, v1
	v_add_f32_e32 v31, v28, v1
	v_mul_f32_e32 v32, v31, v31
	v_mov_b32_e32 v29, 0x3ecc95a3
	v_fmac_f32_e32 v29, 0x3e9b6dac, v32
	v_sub_f32_e32 v28, v31, v28
	v_fmaak_f32 v29, v32, v29, 0x3f2aaada
	v_sub_f32_e32 v1, v1, v28
	v_ldexp_f32 v33, v31, 1
	v_mul_f32_e32 v31, v31, v32
	v_mov_b32_e32 v28, 0x3f317218
	v_pk_mul_f32 v[28:29], v[30:31], v[28:29]
	v_ldexp_f32 v1, v1, 1
	v_fma_f32 v31, v30, s2, -v28
	v_fmamk_f32 v32, v30, 0xb102e308, v31
	v_pk_add_f32 v[30:31], v[28:29], v[32:33]
	v_mov_b32_e32 v34, v28
	v_sub_f32_e32 v33, v31, v33
	v_sub_f32_e32 v33, v29, v33
	v_add_f32_e32 v35, v1, v33
	v_pk_add_f32 v[28:29], v[30:31], v[28:29] neg_lo:[0,1] neg_hi:[0,1]
	v_pk_add_f32 v[36:37], v[30:31], v[34:35]
	v_mov_b32_e32 v33, v30
	v_mov_b32_e32 v29, v37
	v_pk_add_f32 v[38:39], v[32:33], v[28:29] neg_lo:[0,1] neg_hi:[0,1]
	v_pk_add_f32 v[28:29], v[32:33], v[28:29]
	v_mov_b32_e32 v34, v35
	v_mov_b32_e32 v32, v29
	v_pk_add_f32 v[40:41], v[32:33], v[30:31] neg_lo:[0,1] neg_hi:[0,1]
	v_mov_b32_e32 v28, v37
	v_mov_b32_e32 v1, v40
	v_pk_add_f32 v[42:43], v[36:37], v[0:1] neg_lo:[0,1] neg_hi:[0,1]
	v_mov_b32_e32 v36, v31
	v_mov_b32_e32 v37, v40
	;; [unrolled: 1-line block ×3, first 2 shown]
	v_pk_add_f32 v[28:29], v[28:29], v[36:37] neg_lo:[0,1] neg_hi:[0,1]
	v_mov_b32_e32 v35, v30
	v_pk_add_f32 v[28:29], v[34:35], v[28:29] neg_lo:[0,1] neg_hi:[0,1]
	v_mov_b32_e32 v42, v38
	v_pk_add_f32 v[30:31], v[42:43], v[28:29]
	s_mov_b32 s2, 0x33800000
	v_mov_b32_e32 v34, v31
	v_pk_add_f32 v[34:35], v[30:31], v[34:35]
	v_cmp_lt_f32_e64 s[2:3], |v19|, s2
	v_pk_add_f32 v[32:33], v[32:33], v[34:35]
	v_mov_b32_e32 v29, v34
	v_mov_b32_e32 v31, v32
	v_pk_add_f32 v[36:37], v[30:31], v[38:39] neg_lo:[0,1] neg_hi:[0,1]
	s_or_b64 vcc, vcc, s[2:3]
	v_sub_f32_e32 v1, v30, v36
	v_pk_add_f32 v[28:29], v[28:29], v[36:37] neg_lo:[0,1] neg_hi:[0,1]
	v_sub_f32_e32 v1, v38, v1
	v_add_f32_e32 v1, v28, v1
	v_add_f32_e32 v1, v1, v29
	;; [unrolled: 1-line block ×3, first 2 shown]
	v_cndmask_b32_e32 v1, v1, v19, vcc
	v_add_f32_e32 v1, v20, v1
	v_cvt_f16_f32_e32 v31, v1
	v_cvt_f32_f16_e32 v1, v31
	v_mov_b32_e32 v19, v31
.LBB438_156:
	s_or_b64 exec, exec, s[0:1]
	v_max_f32_e32 v20, v10, v10
	v_max_f32_e32 v29, v1, v1
	v_min_f32_e32 v28, v29, v20
	v_cmp_u_f16_e32 vcc, v31, v31
	v_max_f32_e32 v20, v29, v20
	s_nop 0
	v_cndmask_b32_e32 v28, v28, v1, vcc
	v_cndmask_b32_e32 v20, v20, v1, vcc
	v_cndmask_b32_e64 v28, v28, v10, s[66:67]
	v_cndmask_b32_e64 v20, v20, v10, s[66:67]
	v_cmp_neq_f32_e32 vcc, v28, v20
	v_cmp_class_f32_e64 s[0:1], v28, s33
	s_or_b64 s[2:3], vcc, s[0:1]
	v_mov_b32_e32 v10, v19
	s_and_saveexec_b64 s[0:1], s[2:3]
	s_cbranch_execz .LBB438_158
; %bb.157:
	v_sub_f32_e32 v1, v28, v20
	s_mov_b32 s2, 0x3fb8aa3b
	v_mul_f32_e32 v10, 0x3fb8aa3b, v1
	v_fma_f32 v28, v1, s2, -v10
	v_rndne_f32_e32 v29, v10
	v_fmamk_f32 v28, v1, 0x32a5705f, v28
	v_sub_f32_e32 v10, v10, v29
	v_add_f32_e32 v10, v10, v28
	v_exp_f32_e32 v10, v10
	v_cvt_i32_f32_e32 v28, v29
	s_mov_b32 s2, 0xc2ce8ed0
	v_cmp_ngt_f32_e32 vcc, s2, v1
	s_mov_b32 s2, 0x42b17218
	v_ldexp_f32 v10, v10, v28
	v_cndmask_b32_e32 v10, 0, v10, vcc
	v_mov_b32_e32 v28, 0x7f800000
	v_cmp_nlt_f32_e32 vcc, s2, v1
	s_mov_b32 s2, 0x3f2aaaab
	s_mov_b32 s3, 0x7f800000
	v_cndmask_b32_e32 v42, v28, v10, vcc
	v_add_f32_e32 v1, 1.0, v42
	v_add_f32_e32 v10, -1.0, v1
	v_sub_f32_e32 v28, v10, v1
	v_add_f32_e32 v28, 1.0, v28
	v_sub_f32_e32 v10, v42, v10
	v_add_f32_e32 v10, v10, v28
	v_frexp_mant_f32_e32 v30, v1
	v_cvt_f64_f32_e32 v[28:29], v1
	v_frexp_exp_i32_f64_e32 v28, v[28:29]
	v_cmp_gt_f32_e32 vcc, s2, v30
	s_mov_b32 s2, 0x3f317218
	s_nop 0
	v_subbrev_co_u32_e32 v36, vcc, 0, v28, vcc
	v_sub_u32_e32 v28, 0, v36
	v_ldexp_f32 v1, v1, v28
	v_ldexp_f32 v10, v10, v28
	v_add_f32_e32 v28, -1.0, v1
	v_add_f32_e32 v29, 1.0, v28
	v_sub_f32_e32 v29, v1, v29
	v_add_f32_e32 v30, v10, v29
	v_add_f32_e32 v29, 1.0, v1
	v_add_f32_e32 v31, -1.0, v29
	v_sub_f32_e32 v1, v1, v31
	v_add_f32_e32 v1, v10, v1
	v_add_f32_e32 v10, v29, v1
	v_rcp_f32_e32 v37, v10
	v_sub_f32_e32 v29, v29, v10
	v_add_f32_e32 v1, v1, v29
	v_add_f32_e32 v29, v28, v30
	v_sub_f32_e32 v28, v28, v29
	v_mul_f32_e32 v39, v29, v37
	v_add_f32_e32 v38, v30, v28
	v_mul_f32_e32 v30, v10, v39
	s_waitcnt lgkmcnt(0)
	v_fma_f32 v32, v39, v10, -v30
	v_fmac_f32_e32 v32, v39, v1
	v_add_f32_e32 v28, v30, v32
	v_sub_f32_e32 v31, v29, v28
	v_pk_add_f32 v[34:35], v[28:29], v[30:31] neg_lo:[0,1] neg_hi:[0,1]
	v_mov_b32_e32 v33, v28
	v_pk_add_f32 v[28:29], v[34:35], v[32:33] neg_lo:[0,1] neg_hi:[0,1]
	v_cmp_eq_f32_e32 vcc, s3, v42
	v_add_f32_e32 v29, v38, v29
	v_add_f32_e32 v28, v28, v29
	;; [unrolled: 1-line block ×3, first 2 shown]
	v_mul_f32_e32 v38, v37, v29
	v_mul_f32_e32 v30, v10, v38
	v_fma_f32 v32, v38, v10, -v30
	v_fmac_f32_e32 v32, v38, v1
	v_sub_f32_e32 v1, v31, v29
	v_add_f32_e32 v1, v28, v1
	v_add_f32_e32 v28, v30, v32
	v_sub_f32_e32 v31, v29, v28
	v_pk_add_f32 v[34:35], v[28:29], v[30:31] neg_lo:[0,1] neg_hi:[0,1]
	v_mov_b32_e32 v33, v28
	v_pk_add_f32 v[28:29], v[34:35], v[32:33] neg_lo:[0,1] neg_hi:[0,1]
	v_add_f32_e32 v10, v39, v38
	v_add_f32_e32 v1, v1, v29
	;; [unrolled: 1-line block ×4, first 2 shown]
	v_sub_f32_e32 v28, v10, v39
	v_mul_f32_e32 v1, v37, v1
	v_sub_f32_e32 v28, v38, v28
	v_add_f32_e32 v1, v28, v1
	v_add_f32_e32 v28, v10, v1
	v_cvt_f32_i32_e32 v30, v36
	v_mul_f32_e32 v31, v28, v28
	v_mov_b32_e32 v29, 0x3ecc95a3
	v_fmac_f32_e32 v29, 0x3e9b6dac, v31
	v_fmaak_f32 v29, v31, v29, 0x3f2aaada
	v_sub_f32_e32 v10, v28, v10
	v_ldexp_f32 v33, v28, 1
	v_mul_f32_e32 v31, v28, v31
	v_mov_b32_e32 v28, 0x3f317218
	v_pk_mul_f32 v[28:29], v[30:31], v[28:29]
	v_sub_f32_e32 v1, v1, v10
	v_fma_f32 v10, v30, s2, -v28
	v_fmamk_f32 v32, v30, 0xb102e308, v10
	v_pk_add_f32 v[30:31], v[28:29], v[32:33]
	v_ldexp_f32 v1, v1, 1
	v_sub_f32_e32 v10, v31, v33
	v_sub_f32_e32 v10, v29, v10
	v_add_f32_e32 v35, v1, v10
	v_mov_b32_e32 v34, v28
	v_pk_add_f32 v[28:29], v[30:31], v[28:29] neg_lo:[0,1] neg_hi:[0,1]
	v_pk_add_f32 v[36:37], v[30:31], v[34:35]
	v_mov_b32_e32 v33, v30
	v_mov_b32_e32 v29, v37
	v_pk_add_f32 v[38:39], v[32:33], v[28:29] neg_lo:[0,1] neg_hi:[0,1]
	v_pk_add_f32 v[28:29], v[32:33], v[28:29]
	s_mov_b32 s2, 0x33800000
	v_mov_b32_e32 v10, v29
	v_pk_add_f32 v[32:33], v[10:11], v[30:31] neg_lo:[0,1] neg_hi:[0,1]
	v_mov_b32_e32 v28, v37
	v_mov_b32_e32 v1, v32
	v_pk_add_f32 v[40:41], v[36:37], v[0:1] neg_lo:[0,1] neg_hi:[0,1]
	v_mov_b32_e32 v36, v31
	v_mov_b32_e32 v37, v32
	;; [unrolled: 1-line block ×3, first 2 shown]
	v_pk_add_f32 v[28:29], v[28:29], v[36:37] neg_lo:[0,1] neg_hi:[0,1]
	v_mov_b32_e32 v32, v35
	v_mov_b32_e32 v33, v30
	v_pk_add_f32 v[28:29], v[32:33], v[28:29] neg_lo:[0,1] neg_hi:[0,1]
	v_mov_b32_e32 v40, v38
	v_pk_add_f32 v[30:31], v[40:41], v[28:29]
	v_cmp_lt_f32_e64 s[2:3], |v42|, s2
	v_mov_b32_e32 v32, v31
	v_pk_add_f32 v[32:33], v[30:31], v[32:33]
	s_or_b64 vcc, vcc, s[2:3]
	v_pk_add_f32 v[34:35], v[10:11], v[32:33]
	v_mov_b32_e32 v29, v32
	v_mov_b32_e32 v31, v34
	v_pk_add_f32 v[36:37], v[30:31], v[38:39] neg_lo:[0,1] neg_hi:[0,1]
	s_nop 0
	v_sub_f32_e32 v1, v30, v36
	v_pk_add_f32 v[28:29], v[28:29], v[36:37] neg_lo:[0,1] neg_hi:[0,1]
	v_sub_f32_e32 v1, v38, v1
	v_add_f32_e32 v1, v28, v1
	v_add_f32_e32 v1, v1, v29
	v_add_f32_e32 v1, v34, v1
	v_cndmask_b32_e32 v1, v1, v42, vcc
	v_add_f32_e32 v1, v20, v1
	v_cvt_f16_f32_e32 v31, v1
	v_cvt_f32_f16_e32 v1, v31
	v_mov_b32_e32 v10, v31
.LBB438_158:
	s_or_b64 exec, exec, s[0:1]
	v_max_f32_e32 v20, v21, v21
	v_max_f32_e32 v29, v1, v1
	v_min_f32_e32 v28, v29, v20
	v_cmp_u_f16_e32 vcc, v31, v31
	v_max_f32_e32 v20, v29, v20
	s_nop 0
	v_cndmask_b32_e32 v28, v28, v1, vcc
	v_cndmask_b32_e32 v20, v20, v1, vcc
	v_cndmask_b32_e64 v28, v28, v21, s[68:69]
	v_cndmask_b32_e64 v21, v20, v21, s[68:69]
	v_cmp_neq_f32_e32 vcc, v28, v21
	v_cmp_class_f32_e64 s[0:1], v28, s33
	s_or_b64 s[2:3], vcc, s[0:1]
	v_mov_b32_e32 v20, v10
	s_and_saveexec_b64 s[0:1], s[2:3]
	s_cbranch_execz .LBB438_160
; %bb.159:
	v_sub_f32_e32 v1, v28, v21
	s_mov_b32 s2, 0x3fb8aa3b
	v_mul_f32_e32 v20, 0x3fb8aa3b, v1
	v_fma_f32 v28, v1, s2, -v20
	v_rndne_f32_e32 v29, v20
	v_fmamk_f32 v28, v1, 0x32a5705f, v28
	v_sub_f32_e32 v20, v20, v29
	v_add_f32_e32 v20, v20, v28
	v_exp_f32_e32 v20, v20
	v_cvt_i32_f32_e32 v28, v29
	s_mov_b32 s2, 0xc2ce8ed0
	v_cmp_ngt_f32_e32 vcc, s2, v1
	s_mov_b32 s2, 0x42b17218
	v_ldexp_f32 v20, v20, v28
	v_cndmask_b32_e32 v20, 0, v20, vcc
	v_mov_b32_e32 v28, 0x7f800000
	v_cmp_nlt_f32_e32 vcc, s2, v1
	s_mov_b32 s2, 0x3f2aaaab
	s_mov_b32 s3, 0x7f800000
	v_cndmask_b32_e32 v42, v28, v20, vcc
	v_add_f32_e32 v1, 1.0, v42
	v_add_f32_e32 v20, -1.0, v1
	v_sub_f32_e32 v28, v20, v1
	v_add_f32_e32 v28, 1.0, v28
	v_sub_f32_e32 v20, v42, v20
	v_add_f32_e32 v20, v20, v28
	v_frexp_mant_f32_e32 v30, v1
	v_cvt_f64_f32_e32 v[28:29], v1
	v_frexp_exp_i32_f64_e32 v28, v[28:29]
	v_cmp_gt_f32_e32 vcc, s2, v30
	s_mov_b32 s2, 0x3f317218
	s_nop 0
	v_subbrev_co_u32_e32 v36, vcc, 0, v28, vcc
	v_sub_u32_e32 v28, 0, v36
	v_ldexp_f32 v1, v1, v28
	v_ldexp_f32 v20, v20, v28
	v_add_f32_e32 v28, -1.0, v1
	v_add_f32_e32 v29, 1.0, v28
	v_sub_f32_e32 v29, v1, v29
	v_add_f32_e32 v30, v20, v29
	v_add_f32_e32 v29, 1.0, v1
	v_add_f32_e32 v31, -1.0, v29
	v_sub_f32_e32 v1, v1, v31
	v_add_f32_e32 v1, v20, v1
	v_add_f32_e32 v20, v29, v1
	v_rcp_f32_e32 v37, v20
	v_sub_f32_e32 v29, v29, v20
	v_add_f32_e32 v1, v1, v29
	v_add_f32_e32 v29, v28, v30
	v_sub_f32_e32 v28, v28, v29
	v_mul_f32_e32 v39, v29, v37
	v_add_f32_e32 v38, v30, v28
	v_mul_f32_e32 v30, v20, v39
	s_waitcnt lgkmcnt(0)
	v_fma_f32 v32, v39, v20, -v30
	v_fmac_f32_e32 v32, v39, v1
	v_add_f32_e32 v28, v30, v32
	v_sub_f32_e32 v31, v29, v28
	v_pk_add_f32 v[34:35], v[28:29], v[30:31] neg_lo:[0,1] neg_hi:[0,1]
	v_mov_b32_e32 v33, v28
	v_pk_add_f32 v[28:29], v[34:35], v[32:33] neg_lo:[0,1] neg_hi:[0,1]
	v_cmp_eq_f32_e32 vcc, s3, v42
	v_add_f32_e32 v29, v38, v29
	v_add_f32_e32 v28, v28, v29
	;; [unrolled: 1-line block ×3, first 2 shown]
	v_mul_f32_e32 v38, v37, v29
	v_mul_f32_e32 v30, v20, v38
	v_fma_f32 v32, v38, v20, -v30
	v_fmac_f32_e32 v32, v38, v1
	v_sub_f32_e32 v1, v31, v29
	v_add_f32_e32 v1, v28, v1
	v_add_f32_e32 v28, v30, v32
	v_sub_f32_e32 v31, v29, v28
	v_pk_add_f32 v[34:35], v[28:29], v[30:31] neg_lo:[0,1] neg_hi:[0,1]
	v_mov_b32_e32 v33, v28
	v_pk_add_f32 v[28:29], v[34:35], v[32:33] neg_lo:[0,1] neg_hi:[0,1]
	v_add_f32_e32 v20, v39, v38
	v_add_f32_e32 v1, v1, v29
	;; [unrolled: 1-line block ×4, first 2 shown]
	v_sub_f32_e32 v28, v20, v39
	v_mul_f32_e32 v1, v37, v1
	v_sub_f32_e32 v28, v38, v28
	v_add_f32_e32 v1, v28, v1
	v_add_f32_e32 v28, v20, v1
	v_cvt_f32_i32_e32 v30, v36
	v_mul_f32_e32 v31, v28, v28
	v_mov_b32_e32 v29, 0x3ecc95a3
	v_fmac_f32_e32 v29, 0x3e9b6dac, v31
	v_fmaak_f32 v29, v31, v29, 0x3f2aaada
	v_sub_f32_e32 v20, v28, v20
	v_ldexp_f32 v33, v28, 1
	v_mul_f32_e32 v31, v28, v31
	v_mov_b32_e32 v28, 0x3f317218
	v_pk_mul_f32 v[28:29], v[30:31], v[28:29]
	v_sub_f32_e32 v1, v1, v20
	v_fma_f32 v20, v30, s2, -v28
	v_fmamk_f32 v32, v30, 0xb102e308, v20
	v_pk_add_f32 v[30:31], v[28:29], v[32:33]
	v_ldexp_f32 v1, v1, 1
	v_sub_f32_e32 v20, v31, v33
	v_sub_f32_e32 v20, v29, v20
	v_add_f32_e32 v35, v1, v20
	v_mov_b32_e32 v34, v28
	v_pk_add_f32 v[28:29], v[30:31], v[28:29] neg_lo:[0,1] neg_hi:[0,1]
	v_pk_add_f32 v[36:37], v[30:31], v[34:35]
	v_mov_b32_e32 v33, v30
	v_mov_b32_e32 v29, v37
	v_pk_add_f32 v[38:39], v[32:33], v[28:29] neg_lo:[0,1] neg_hi:[0,1]
	v_pk_add_f32 v[28:29], v[32:33], v[28:29]
	s_mov_b32 s2, 0x33800000
	v_mov_b32_e32 v20, v29
	v_pk_add_f32 v[32:33], v[20:21], v[30:31] neg_lo:[0,1] neg_hi:[0,1]
	v_mov_b32_e32 v28, v37
	v_mov_b32_e32 v1, v32
	v_pk_add_f32 v[40:41], v[36:37], v[0:1] neg_lo:[0,1] neg_hi:[0,1]
	v_mov_b32_e32 v36, v31
	v_mov_b32_e32 v37, v32
	;; [unrolled: 1-line block ×3, first 2 shown]
	v_pk_add_f32 v[28:29], v[28:29], v[36:37] neg_lo:[0,1] neg_hi:[0,1]
	v_mov_b32_e32 v32, v35
	v_mov_b32_e32 v33, v30
	v_pk_add_f32 v[28:29], v[32:33], v[28:29] neg_lo:[0,1] neg_hi:[0,1]
	v_mov_b32_e32 v40, v38
	v_pk_add_f32 v[30:31], v[40:41], v[28:29]
	v_cmp_lt_f32_e64 s[2:3], |v42|, s2
	v_mov_b32_e32 v32, v31
	v_pk_add_f32 v[32:33], v[30:31], v[32:33]
	s_or_b64 vcc, vcc, s[2:3]
	v_pk_add_f32 v[34:35], v[20:21], v[32:33]
	v_mov_b32_e32 v29, v32
	v_mov_b32_e32 v31, v34
	v_pk_add_f32 v[36:37], v[30:31], v[38:39] neg_lo:[0,1] neg_hi:[0,1]
	s_nop 0
	v_sub_f32_e32 v1, v30, v36
	v_pk_add_f32 v[28:29], v[28:29], v[36:37] neg_lo:[0,1] neg_hi:[0,1]
	v_sub_f32_e32 v1, v38, v1
	v_add_f32_e32 v1, v28, v1
	v_add_f32_e32 v1, v1, v29
	;; [unrolled: 1-line block ×3, first 2 shown]
	v_cndmask_b32_e32 v1, v1, v42, vcc
	v_add_f32_e32 v1, v21, v1
	v_cvt_f16_f32_e32 v31, v1
	v_cvt_f32_f16_e32 v1, v31
	v_mov_b32_e32 v20, v31
.LBB438_160:
	s_or_b64 exec, exec, s[0:1]
	v_max_f32_e32 v21, v11, v11
	v_max_f32_e32 v29, v1, v1
	v_min_f32_e32 v28, v29, v21
	v_cmp_u_f16_e32 vcc, v31, v31
	v_max_f32_e32 v21, v29, v21
	s_nop 0
	v_cndmask_b32_e32 v28, v28, v1, vcc
	v_cndmask_b32_e32 v21, v21, v1, vcc
	v_cndmask_b32_e64 v28, v28, v11, s[70:71]
	v_cndmask_b32_e64 v21, v21, v11, s[70:71]
	v_cmp_neq_f32_e32 vcc, v28, v21
	v_cmp_class_f32_e64 s[0:1], v28, s33
	s_or_b64 s[2:3], vcc, s[0:1]
	v_mov_b32_e32 v11, v20
	s_and_saveexec_b64 s[0:1], s[2:3]
	s_cbranch_execz .LBB438_162
; %bb.161:
	v_sub_f32_e32 v1, v28, v21
	s_mov_b32 s2, 0x3fb8aa3b
	v_mul_f32_e32 v11, 0x3fb8aa3b, v1
	v_fma_f32 v28, v1, s2, -v11
	v_rndne_f32_e32 v29, v11
	v_fmamk_f32 v28, v1, 0x32a5705f, v28
	v_sub_f32_e32 v11, v11, v29
	v_add_f32_e32 v11, v11, v28
	v_exp_f32_e32 v11, v11
	v_cvt_i32_f32_e32 v28, v29
	s_mov_b32 s2, 0xc2ce8ed0
	v_cmp_ngt_f32_e32 vcc, s2, v1
	s_mov_b32 s2, 0x42b17218
	v_ldexp_f32 v11, v11, v28
	v_cndmask_b32_e32 v11, 0, v11, vcc
	v_mov_b32_e32 v28, 0x7f800000
	v_cmp_nlt_f32_e32 vcc, s2, v1
	s_mov_b32 s2, 0x3f2aaaab
	s_mov_b32 s3, 0x7f800000
	v_cndmask_b32_e32 v11, v28, v11, vcc
	v_add_f32_e32 v1, 1.0, v11
	v_add_f32_e32 v28, -1.0, v1
	v_sub_f32_e32 v29, v28, v1
	v_add_f32_e32 v29, 1.0, v29
	v_sub_f32_e32 v28, v11, v28
	v_add_f32_e32 v30, v28, v29
	v_frexp_mant_f32_e32 v31, v1
	v_cvt_f64_f32_e32 v[28:29], v1
	v_frexp_exp_i32_f64_e32 v28, v[28:29]
	v_cmp_gt_f32_e32 vcc, s2, v31
	s_mov_b32 s2, 0x3f317218
	s_nop 0
	v_subbrev_co_u32_e32 v36, vcc, 0, v28, vcc
	v_sub_u32_e32 v28, 0, v36
	v_ldexp_f32 v1, v1, v28
	v_ldexp_f32 v28, v30, v28
	v_add_f32_e32 v30, -1.0, v1
	v_add_f32_e32 v29, 1.0, v30
	v_sub_f32_e32 v29, v1, v29
	v_add_f32_e32 v31, v28, v29
	v_add_f32_e32 v29, 1.0, v1
	s_waitcnt lgkmcnt(0)
	v_add_f32_e32 v32, -1.0, v29
	v_sub_f32_e32 v1, v1, v32
	v_add_f32_e32 v1, v28, v1
	v_add_f32_e32 v37, v29, v1
	v_rcp_f32_e32 v38, v37
	v_sub_f32_e32 v28, v29, v37
	v_add_f32_e32 v29, v30, v31
	v_add_f32_e32 v1, v1, v28
	v_mul_f32_e32 v40, v29, v38
	v_sub_f32_e32 v28, v30, v29
	v_mul_f32_e32 v30, v37, v40
	v_fma_f32 v32, v40, v37, -v30
	v_fmac_f32_e32 v32, v40, v1
	v_add_f32_e32 v39, v31, v28
	v_add_f32_e32 v28, v30, v32
	v_sub_f32_e32 v31, v29, v28
	v_pk_add_f32 v[34:35], v[28:29], v[30:31] neg_lo:[0,1] neg_hi:[0,1]
	v_mov_b32_e32 v33, v28
	v_pk_add_f32 v[28:29], v[34:35], v[32:33] neg_lo:[0,1] neg_hi:[0,1]
	v_cmp_eq_f32_e32 vcc, s3, v11
	v_add_f32_e32 v29, v39, v29
	v_add_f32_e32 v28, v28, v29
	;; [unrolled: 1-line block ×3, first 2 shown]
	v_mul_f32_e32 v39, v38, v29
	v_mul_f32_e32 v30, v37, v39
	v_fma_f32 v32, v39, v37, -v30
	v_fmac_f32_e32 v32, v39, v1
	v_sub_f32_e32 v1, v31, v29
	v_add_f32_e32 v1, v28, v1
	v_add_f32_e32 v28, v30, v32
	v_sub_f32_e32 v31, v29, v28
	v_pk_add_f32 v[34:35], v[28:29], v[30:31] neg_lo:[0,1] neg_hi:[0,1]
	v_mov_b32_e32 v33, v28
	v_pk_add_f32 v[28:29], v[34:35], v[32:33] neg_lo:[0,1] neg_hi:[0,1]
	v_cvt_f32_i32_e32 v30, v36
	v_add_f32_e32 v1, v1, v29
	v_add_f32_e32 v1, v28, v1
	;; [unrolled: 1-line block ×4, first 2 shown]
	v_sub_f32_e32 v29, v28, v40
	v_mul_f32_e32 v1, v38, v1
	v_sub_f32_e32 v29, v39, v29
	v_add_f32_e32 v1, v29, v1
	v_add_f32_e32 v31, v28, v1
	v_mul_f32_e32 v32, v31, v31
	v_mov_b32_e32 v29, 0x3ecc95a3
	v_fmac_f32_e32 v29, 0x3e9b6dac, v32
	v_sub_f32_e32 v28, v31, v28
	v_fmaak_f32 v29, v32, v29, 0x3f2aaada
	v_sub_f32_e32 v1, v1, v28
	v_ldexp_f32 v33, v31, 1
	v_mul_f32_e32 v31, v31, v32
	v_mov_b32_e32 v28, 0x3f317218
	v_pk_mul_f32 v[28:29], v[30:31], v[28:29]
	v_ldexp_f32 v1, v1, 1
	v_fma_f32 v31, v30, s2, -v28
	v_fmamk_f32 v32, v30, 0xb102e308, v31
	v_pk_add_f32 v[30:31], v[28:29], v[32:33]
	v_mov_b32_e32 v34, v28
	v_sub_f32_e32 v33, v31, v33
	v_sub_f32_e32 v33, v29, v33
	v_add_f32_e32 v35, v1, v33
	v_pk_add_f32 v[28:29], v[30:31], v[28:29] neg_lo:[0,1] neg_hi:[0,1]
	v_pk_add_f32 v[36:37], v[30:31], v[34:35]
	v_mov_b32_e32 v33, v30
	v_mov_b32_e32 v29, v37
	v_pk_add_f32 v[38:39], v[32:33], v[28:29] neg_lo:[0,1] neg_hi:[0,1]
	v_pk_add_f32 v[28:29], v[32:33], v[28:29]
	v_mov_b32_e32 v34, v35
	v_mov_b32_e32 v32, v29
	v_pk_add_f32 v[40:41], v[32:33], v[30:31] neg_lo:[0,1] neg_hi:[0,1]
	v_mov_b32_e32 v28, v37
	v_mov_b32_e32 v1, v40
	v_pk_add_f32 v[42:43], v[36:37], v[0:1] neg_lo:[0,1] neg_hi:[0,1]
	v_mov_b32_e32 v36, v31
	v_mov_b32_e32 v37, v40
	;; [unrolled: 1-line block ×3, first 2 shown]
	v_pk_add_f32 v[28:29], v[28:29], v[36:37] neg_lo:[0,1] neg_hi:[0,1]
	v_mov_b32_e32 v35, v30
	v_pk_add_f32 v[28:29], v[34:35], v[28:29] neg_lo:[0,1] neg_hi:[0,1]
	v_mov_b32_e32 v42, v38
	v_pk_add_f32 v[30:31], v[42:43], v[28:29]
	s_mov_b32 s2, 0x33800000
	v_mov_b32_e32 v34, v31
	v_pk_add_f32 v[34:35], v[30:31], v[34:35]
	v_cmp_lt_f32_e64 s[2:3], |v11|, s2
	v_pk_add_f32 v[32:33], v[32:33], v[34:35]
	v_mov_b32_e32 v29, v34
	v_mov_b32_e32 v31, v32
	v_pk_add_f32 v[36:37], v[30:31], v[38:39] neg_lo:[0,1] neg_hi:[0,1]
	s_or_b64 vcc, vcc, s[2:3]
	v_sub_f32_e32 v1, v30, v36
	v_pk_add_f32 v[28:29], v[28:29], v[36:37] neg_lo:[0,1] neg_hi:[0,1]
	v_sub_f32_e32 v1, v38, v1
	v_add_f32_e32 v1, v28, v1
	v_add_f32_e32 v1, v1, v29
	;; [unrolled: 1-line block ×3, first 2 shown]
	v_cndmask_b32_e32 v1, v1, v11, vcc
	v_add_f32_e32 v1, v21, v1
	v_cvt_f16_f32_e32 v31, v1
	v_cvt_f32_f16_e32 v1, v31
	v_mov_b32_e32 v11, v31
.LBB438_162:
	s_or_b64 exec, exec, s[0:1]
	v_max_f32_e32 v21, v22, v22
	v_max_f32_e32 v29, v1, v1
	v_min_f32_e32 v28, v29, v21
	v_cmp_u_f16_e32 vcc, v31, v31
	v_max_f32_e32 v21, v29, v21
	s_nop 0
	v_cndmask_b32_e32 v28, v28, v1, vcc
	v_cndmask_b32_e32 v21, v21, v1, vcc
	v_cndmask_b32_e64 v28, v28, v22, s[72:73]
	v_cndmask_b32_e64 v22, v21, v22, s[72:73]
	v_cmp_neq_f32_e32 vcc, v28, v22
	v_cmp_class_f32_e64 s[0:1], v28, s33
	s_or_b64 s[2:3], vcc, s[0:1]
	v_mov_b32_e32 v21, v11
	s_and_saveexec_b64 s[0:1], s[2:3]
	s_cbranch_execz .LBB438_164
; %bb.163:
	v_sub_f32_e32 v1, v28, v22
	s_mov_b32 s2, 0x3fb8aa3b
	v_mul_f32_e32 v21, 0x3fb8aa3b, v1
	v_fma_f32 v28, v1, s2, -v21
	v_rndne_f32_e32 v29, v21
	v_fmamk_f32 v28, v1, 0x32a5705f, v28
	v_sub_f32_e32 v21, v21, v29
	v_add_f32_e32 v21, v21, v28
	v_exp_f32_e32 v21, v21
	v_cvt_i32_f32_e32 v28, v29
	s_mov_b32 s2, 0xc2ce8ed0
	v_cmp_ngt_f32_e32 vcc, s2, v1
	s_mov_b32 s2, 0x42b17218
	v_ldexp_f32 v21, v21, v28
	v_cndmask_b32_e32 v21, 0, v21, vcc
	v_mov_b32_e32 v28, 0x7f800000
	v_cmp_nlt_f32_e32 vcc, s2, v1
	s_mov_b32 s2, 0x3f2aaaab
	s_mov_b32 s3, 0x7f800000
	v_cndmask_b32_e32 v21, v28, v21, vcc
	v_add_f32_e32 v1, 1.0, v21
	v_add_f32_e32 v28, -1.0, v1
	v_sub_f32_e32 v29, v28, v1
	v_add_f32_e32 v29, 1.0, v29
	v_sub_f32_e32 v28, v21, v28
	v_add_f32_e32 v30, v28, v29
	v_frexp_mant_f32_e32 v31, v1
	v_cvt_f64_f32_e32 v[28:29], v1
	v_frexp_exp_i32_f64_e32 v28, v[28:29]
	v_cmp_gt_f32_e32 vcc, s2, v31
	s_mov_b32 s2, 0x3f317218
	s_nop 0
	v_subbrev_co_u32_e32 v36, vcc, 0, v28, vcc
	v_sub_u32_e32 v28, 0, v36
	v_ldexp_f32 v1, v1, v28
	v_ldexp_f32 v28, v30, v28
	v_add_f32_e32 v30, -1.0, v1
	v_add_f32_e32 v29, 1.0, v30
	v_sub_f32_e32 v29, v1, v29
	v_add_f32_e32 v31, v28, v29
	v_add_f32_e32 v29, 1.0, v1
	s_waitcnt lgkmcnt(0)
	v_add_f32_e32 v32, -1.0, v29
	v_sub_f32_e32 v1, v1, v32
	v_add_f32_e32 v1, v28, v1
	v_add_f32_e32 v37, v29, v1
	v_rcp_f32_e32 v38, v37
	v_sub_f32_e32 v28, v29, v37
	v_add_f32_e32 v29, v30, v31
	v_add_f32_e32 v1, v1, v28
	v_mul_f32_e32 v40, v29, v38
	v_sub_f32_e32 v28, v30, v29
	v_mul_f32_e32 v30, v37, v40
	v_fma_f32 v32, v40, v37, -v30
	v_fmac_f32_e32 v32, v40, v1
	v_add_f32_e32 v39, v31, v28
	v_add_f32_e32 v28, v30, v32
	v_sub_f32_e32 v31, v29, v28
	v_pk_add_f32 v[34:35], v[28:29], v[30:31] neg_lo:[0,1] neg_hi:[0,1]
	v_mov_b32_e32 v33, v28
	v_pk_add_f32 v[28:29], v[34:35], v[32:33] neg_lo:[0,1] neg_hi:[0,1]
	v_cmp_eq_f32_e32 vcc, s3, v21
	v_add_f32_e32 v29, v39, v29
	v_add_f32_e32 v28, v28, v29
	;; [unrolled: 1-line block ×3, first 2 shown]
	v_mul_f32_e32 v39, v38, v29
	v_mul_f32_e32 v30, v37, v39
	v_fma_f32 v32, v39, v37, -v30
	v_fmac_f32_e32 v32, v39, v1
	v_sub_f32_e32 v1, v31, v29
	v_add_f32_e32 v1, v28, v1
	v_add_f32_e32 v28, v30, v32
	v_sub_f32_e32 v31, v29, v28
	v_pk_add_f32 v[34:35], v[28:29], v[30:31] neg_lo:[0,1] neg_hi:[0,1]
	v_mov_b32_e32 v33, v28
	v_pk_add_f32 v[28:29], v[34:35], v[32:33] neg_lo:[0,1] neg_hi:[0,1]
	v_cvt_f32_i32_e32 v30, v36
	v_add_f32_e32 v1, v1, v29
	v_add_f32_e32 v1, v28, v1
	;; [unrolled: 1-line block ×4, first 2 shown]
	v_sub_f32_e32 v29, v28, v40
	v_mul_f32_e32 v1, v38, v1
	v_sub_f32_e32 v29, v39, v29
	v_add_f32_e32 v1, v29, v1
	v_add_f32_e32 v31, v28, v1
	v_mul_f32_e32 v32, v31, v31
	v_mov_b32_e32 v29, 0x3ecc95a3
	v_fmac_f32_e32 v29, 0x3e9b6dac, v32
	v_sub_f32_e32 v28, v31, v28
	v_fmaak_f32 v29, v32, v29, 0x3f2aaada
	v_sub_f32_e32 v1, v1, v28
	v_ldexp_f32 v33, v31, 1
	v_mul_f32_e32 v31, v31, v32
	v_mov_b32_e32 v28, 0x3f317218
	v_pk_mul_f32 v[28:29], v[30:31], v[28:29]
	v_ldexp_f32 v1, v1, 1
	v_fma_f32 v31, v30, s2, -v28
	v_fmamk_f32 v32, v30, 0xb102e308, v31
	v_pk_add_f32 v[30:31], v[28:29], v[32:33]
	v_mov_b32_e32 v34, v28
	v_sub_f32_e32 v33, v31, v33
	v_sub_f32_e32 v33, v29, v33
	v_add_f32_e32 v35, v1, v33
	v_pk_add_f32 v[28:29], v[30:31], v[28:29] neg_lo:[0,1] neg_hi:[0,1]
	v_pk_add_f32 v[36:37], v[30:31], v[34:35]
	v_mov_b32_e32 v33, v30
	v_mov_b32_e32 v29, v37
	v_pk_add_f32 v[38:39], v[32:33], v[28:29] neg_lo:[0,1] neg_hi:[0,1]
	v_pk_add_f32 v[28:29], v[32:33], v[28:29]
	v_mov_b32_e32 v34, v35
	v_mov_b32_e32 v32, v29
	v_pk_add_f32 v[40:41], v[32:33], v[30:31] neg_lo:[0,1] neg_hi:[0,1]
	v_mov_b32_e32 v28, v37
	v_mov_b32_e32 v1, v40
	v_pk_add_f32 v[42:43], v[36:37], v[0:1] neg_lo:[0,1] neg_hi:[0,1]
	v_mov_b32_e32 v36, v31
	v_mov_b32_e32 v37, v40
	;; [unrolled: 1-line block ×3, first 2 shown]
	v_pk_add_f32 v[28:29], v[28:29], v[36:37] neg_lo:[0,1] neg_hi:[0,1]
	v_mov_b32_e32 v35, v30
	v_pk_add_f32 v[28:29], v[34:35], v[28:29] neg_lo:[0,1] neg_hi:[0,1]
	v_mov_b32_e32 v42, v38
	v_pk_add_f32 v[30:31], v[42:43], v[28:29]
	s_mov_b32 s2, 0x33800000
	v_mov_b32_e32 v34, v31
	v_pk_add_f32 v[34:35], v[30:31], v[34:35]
	v_cmp_lt_f32_e64 s[2:3], |v21|, s2
	v_pk_add_f32 v[32:33], v[32:33], v[34:35]
	v_mov_b32_e32 v29, v34
	v_mov_b32_e32 v31, v32
	v_pk_add_f32 v[36:37], v[30:31], v[38:39] neg_lo:[0,1] neg_hi:[0,1]
	s_or_b64 vcc, vcc, s[2:3]
	v_sub_f32_e32 v1, v30, v36
	v_pk_add_f32 v[28:29], v[28:29], v[36:37] neg_lo:[0,1] neg_hi:[0,1]
	v_sub_f32_e32 v1, v38, v1
	v_add_f32_e32 v1, v28, v1
	v_add_f32_e32 v1, v1, v29
	;; [unrolled: 1-line block ×3, first 2 shown]
	v_cndmask_b32_e32 v1, v1, v21, vcc
	v_add_f32_e32 v1, v22, v1
	v_cvt_f16_f32_e32 v31, v1
	v_cvt_f32_f16_e32 v1, v31
	v_mov_b32_e32 v21, v31
.LBB438_164:
	s_or_b64 exec, exec, s[0:1]
	v_max_f32_e32 v22, v12, v12
	v_max_f32_e32 v29, v1, v1
	v_min_f32_e32 v28, v29, v22
	v_cmp_u_f16_e32 vcc, v31, v31
	v_max_f32_e32 v22, v29, v22
	s_nop 0
	v_cndmask_b32_e32 v28, v28, v1, vcc
	v_cndmask_b32_e32 v22, v22, v1, vcc
	v_cndmask_b32_e64 v28, v28, v12, s[74:75]
	v_cndmask_b32_e64 v22, v22, v12, s[74:75]
	v_cmp_neq_f32_e32 vcc, v28, v22
	v_cmp_class_f32_e64 s[0:1], v28, s33
	s_or_b64 s[2:3], vcc, s[0:1]
	v_mov_b32_e32 v12, v21
	s_and_saveexec_b64 s[0:1], s[2:3]
	s_cbranch_execz .LBB438_166
; %bb.165:
	v_sub_f32_e32 v1, v28, v22
	s_mov_b32 s2, 0x3fb8aa3b
	v_mul_f32_e32 v12, 0x3fb8aa3b, v1
	v_fma_f32 v28, v1, s2, -v12
	v_rndne_f32_e32 v29, v12
	v_fmamk_f32 v28, v1, 0x32a5705f, v28
	v_sub_f32_e32 v12, v12, v29
	v_add_f32_e32 v12, v12, v28
	v_exp_f32_e32 v12, v12
	v_cvt_i32_f32_e32 v28, v29
	s_mov_b32 s2, 0xc2ce8ed0
	v_cmp_ngt_f32_e32 vcc, s2, v1
	s_mov_b32 s2, 0x42b17218
	v_ldexp_f32 v12, v12, v28
	v_cndmask_b32_e32 v12, 0, v12, vcc
	v_mov_b32_e32 v28, 0x7f800000
	v_cmp_nlt_f32_e32 vcc, s2, v1
	s_mov_b32 s2, 0x3f2aaaab
	s_mov_b32 s3, 0x7f800000
	v_cndmask_b32_e32 v42, v28, v12, vcc
	v_add_f32_e32 v1, 1.0, v42
	v_add_f32_e32 v12, -1.0, v1
	v_sub_f32_e32 v28, v12, v1
	v_add_f32_e32 v28, 1.0, v28
	v_sub_f32_e32 v12, v42, v12
	v_add_f32_e32 v12, v12, v28
	v_frexp_mant_f32_e32 v30, v1
	v_cvt_f64_f32_e32 v[28:29], v1
	v_frexp_exp_i32_f64_e32 v28, v[28:29]
	v_cmp_gt_f32_e32 vcc, s2, v30
	s_mov_b32 s2, 0x3f317218
	s_nop 0
	v_subbrev_co_u32_e32 v36, vcc, 0, v28, vcc
	v_sub_u32_e32 v28, 0, v36
	v_ldexp_f32 v1, v1, v28
	v_ldexp_f32 v12, v12, v28
	v_add_f32_e32 v28, -1.0, v1
	v_add_f32_e32 v29, 1.0, v28
	v_sub_f32_e32 v29, v1, v29
	v_add_f32_e32 v30, v12, v29
	v_add_f32_e32 v29, 1.0, v1
	v_add_f32_e32 v31, -1.0, v29
	v_sub_f32_e32 v1, v1, v31
	v_add_f32_e32 v1, v12, v1
	v_add_f32_e32 v12, v29, v1
	v_rcp_f32_e32 v37, v12
	v_sub_f32_e32 v29, v29, v12
	v_add_f32_e32 v1, v1, v29
	v_add_f32_e32 v29, v28, v30
	v_sub_f32_e32 v28, v28, v29
	v_mul_f32_e32 v39, v29, v37
	v_add_f32_e32 v38, v30, v28
	v_mul_f32_e32 v30, v12, v39
	s_waitcnt lgkmcnt(0)
	v_fma_f32 v32, v39, v12, -v30
	v_fmac_f32_e32 v32, v39, v1
	v_add_f32_e32 v28, v30, v32
	v_sub_f32_e32 v31, v29, v28
	v_pk_add_f32 v[34:35], v[28:29], v[30:31] neg_lo:[0,1] neg_hi:[0,1]
	v_mov_b32_e32 v33, v28
	v_pk_add_f32 v[28:29], v[34:35], v[32:33] neg_lo:[0,1] neg_hi:[0,1]
	v_cmp_eq_f32_e32 vcc, s3, v42
	v_add_f32_e32 v29, v38, v29
	v_add_f32_e32 v28, v28, v29
	;; [unrolled: 1-line block ×3, first 2 shown]
	v_mul_f32_e32 v38, v37, v29
	v_mul_f32_e32 v30, v12, v38
	v_fma_f32 v32, v38, v12, -v30
	v_fmac_f32_e32 v32, v38, v1
	v_sub_f32_e32 v1, v31, v29
	v_add_f32_e32 v1, v28, v1
	v_add_f32_e32 v28, v30, v32
	v_sub_f32_e32 v31, v29, v28
	v_pk_add_f32 v[34:35], v[28:29], v[30:31] neg_lo:[0,1] neg_hi:[0,1]
	v_mov_b32_e32 v33, v28
	v_pk_add_f32 v[28:29], v[34:35], v[32:33] neg_lo:[0,1] neg_hi:[0,1]
	v_add_f32_e32 v12, v39, v38
	v_add_f32_e32 v1, v1, v29
	;; [unrolled: 1-line block ×4, first 2 shown]
	v_sub_f32_e32 v28, v12, v39
	v_mul_f32_e32 v1, v37, v1
	v_sub_f32_e32 v28, v38, v28
	v_add_f32_e32 v1, v28, v1
	v_add_f32_e32 v28, v12, v1
	v_cvt_f32_i32_e32 v30, v36
	v_mul_f32_e32 v31, v28, v28
	v_mov_b32_e32 v29, 0x3ecc95a3
	v_fmac_f32_e32 v29, 0x3e9b6dac, v31
	v_fmaak_f32 v29, v31, v29, 0x3f2aaada
	v_sub_f32_e32 v12, v28, v12
	v_ldexp_f32 v33, v28, 1
	v_mul_f32_e32 v31, v28, v31
	v_mov_b32_e32 v28, 0x3f317218
	v_pk_mul_f32 v[28:29], v[30:31], v[28:29]
	v_sub_f32_e32 v1, v1, v12
	v_fma_f32 v12, v30, s2, -v28
	v_fmamk_f32 v32, v30, 0xb102e308, v12
	v_pk_add_f32 v[30:31], v[28:29], v[32:33]
	v_ldexp_f32 v1, v1, 1
	v_sub_f32_e32 v12, v31, v33
	v_sub_f32_e32 v12, v29, v12
	v_add_f32_e32 v35, v1, v12
	v_mov_b32_e32 v34, v28
	v_pk_add_f32 v[28:29], v[30:31], v[28:29] neg_lo:[0,1] neg_hi:[0,1]
	v_pk_add_f32 v[36:37], v[30:31], v[34:35]
	v_mov_b32_e32 v33, v30
	v_mov_b32_e32 v29, v37
	v_pk_add_f32 v[38:39], v[32:33], v[28:29] neg_lo:[0,1] neg_hi:[0,1]
	v_pk_add_f32 v[28:29], v[32:33], v[28:29]
	s_mov_b32 s2, 0x33800000
	v_mov_b32_e32 v12, v29
	v_pk_add_f32 v[32:33], v[12:13], v[30:31] neg_lo:[0,1] neg_hi:[0,1]
	v_mov_b32_e32 v28, v37
	v_mov_b32_e32 v1, v32
	v_pk_add_f32 v[40:41], v[36:37], v[0:1] neg_lo:[0,1] neg_hi:[0,1]
	v_mov_b32_e32 v36, v31
	v_mov_b32_e32 v37, v32
	;; [unrolled: 1-line block ×3, first 2 shown]
	v_pk_add_f32 v[28:29], v[28:29], v[36:37] neg_lo:[0,1] neg_hi:[0,1]
	v_mov_b32_e32 v32, v35
	v_mov_b32_e32 v33, v30
	v_pk_add_f32 v[28:29], v[32:33], v[28:29] neg_lo:[0,1] neg_hi:[0,1]
	v_mov_b32_e32 v40, v38
	v_pk_add_f32 v[30:31], v[40:41], v[28:29]
	v_cmp_lt_f32_e64 s[2:3], |v42|, s2
	v_mov_b32_e32 v32, v31
	v_pk_add_f32 v[32:33], v[30:31], v[32:33]
	s_or_b64 vcc, vcc, s[2:3]
	v_pk_add_f32 v[34:35], v[12:13], v[32:33]
	v_mov_b32_e32 v29, v32
	v_mov_b32_e32 v31, v34
	v_pk_add_f32 v[36:37], v[30:31], v[38:39] neg_lo:[0,1] neg_hi:[0,1]
	s_nop 0
	v_sub_f32_e32 v1, v30, v36
	v_pk_add_f32 v[28:29], v[28:29], v[36:37] neg_lo:[0,1] neg_hi:[0,1]
	v_sub_f32_e32 v1, v38, v1
	v_add_f32_e32 v1, v28, v1
	v_add_f32_e32 v1, v1, v29
	;; [unrolled: 1-line block ×3, first 2 shown]
	v_cndmask_b32_e32 v1, v1, v42, vcc
	v_add_f32_e32 v1, v22, v1
	v_cvt_f16_f32_e32 v31, v1
	v_cvt_f32_f16_e32 v1, v31
	v_mov_b32_e32 v12, v31
.LBB438_166:
	s_or_b64 exec, exec, s[0:1]
	v_max_f32_e32 v22, v23, v23
	v_max_f32_e32 v29, v1, v1
	v_min_f32_e32 v28, v29, v22
	v_cmp_u_f16_e32 vcc, v31, v31
	v_max_f32_e32 v22, v29, v22
	s_nop 0
	v_cndmask_b32_e32 v28, v28, v1, vcc
	v_cndmask_b32_e32 v22, v22, v1, vcc
	v_cndmask_b32_e64 v28, v28, v23, s[76:77]
	v_cndmask_b32_e64 v23, v22, v23, s[76:77]
	v_cmp_neq_f32_e32 vcc, v28, v23
	v_cmp_class_f32_e64 s[0:1], v28, s33
	s_or_b64 s[2:3], vcc, s[0:1]
	v_mov_b32_e32 v22, v12
	s_and_saveexec_b64 s[0:1], s[2:3]
	s_cbranch_execz .LBB438_168
; %bb.167:
	v_sub_f32_e32 v1, v28, v23
	s_mov_b32 s2, 0x3fb8aa3b
	v_mul_f32_e32 v22, 0x3fb8aa3b, v1
	v_fma_f32 v28, v1, s2, -v22
	v_rndne_f32_e32 v29, v22
	v_fmamk_f32 v28, v1, 0x32a5705f, v28
	v_sub_f32_e32 v22, v22, v29
	v_add_f32_e32 v22, v22, v28
	v_exp_f32_e32 v22, v22
	v_cvt_i32_f32_e32 v28, v29
	s_mov_b32 s2, 0xc2ce8ed0
	v_cmp_ngt_f32_e32 vcc, s2, v1
	s_mov_b32 s2, 0x42b17218
	v_ldexp_f32 v22, v22, v28
	v_cndmask_b32_e32 v22, 0, v22, vcc
	v_mov_b32_e32 v28, 0x7f800000
	v_cmp_nlt_f32_e32 vcc, s2, v1
	s_mov_b32 s2, 0x3f2aaaab
	s_mov_b32 s3, 0x7f800000
	v_cndmask_b32_e32 v42, v28, v22, vcc
	v_add_f32_e32 v1, 1.0, v42
	v_add_f32_e32 v22, -1.0, v1
	v_sub_f32_e32 v28, v22, v1
	v_add_f32_e32 v28, 1.0, v28
	v_sub_f32_e32 v22, v42, v22
	v_add_f32_e32 v22, v22, v28
	v_frexp_mant_f32_e32 v30, v1
	v_cvt_f64_f32_e32 v[28:29], v1
	v_frexp_exp_i32_f64_e32 v28, v[28:29]
	v_cmp_gt_f32_e32 vcc, s2, v30
	s_mov_b32 s2, 0x3f317218
	s_nop 0
	v_subbrev_co_u32_e32 v36, vcc, 0, v28, vcc
	v_sub_u32_e32 v28, 0, v36
	v_ldexp_f32 v1, v1, v28
	v_ldexp_f32 v22, v22, v28
	v_add_f32_e32 v28, -1.0, v1
	v_add_f32_e32 v29, 1.0, v28
	v_sub_f32_e32 v29, v1, v29
	v_add_f32_e32 v30, v22, v29
	v_add_f32_e32 v29, 1.0, v1
	v_add_f32_e32 v31, -1.0, v29
	v_sub_f32_e32 v1, v1, v31
	v_add_f32_e32 v1, v22, v1
	v_add_f32_e32 v22, v29, v1
	v_rcp_f32_e32 v37, v22
	v_sub_f32_e32 v29, v29, v22
	v_add_f32_e32 v1, v1, v29
	v_add_f32_e32 v29, v28, v30
	v_sub_f32_e32 v28, v28, v29
	v_mul_f32_e32 v39, v29, v37
	v_add_f32_e32 v38, v30, v28
	v_mul_f32_e32 v30, v22, v39
	s_waitcnt lgkmcnt(0)
	v_fma_f32 v32, v39, v22, -v30
	v_fmac_f32_e32 v32, v39, v1
	v_add_f32_e32 v28, v30, v32
	v_sub_f32_e32 v31, v29, v28
	v_pk_add_f32 v[34:35], v[28:29], v[30:31] neg_lo:[0,1] neg_hi:[0,1]
	v_mov_b32_e32 v33, v28
	v_pk_add_f32 v[28:29], v[34:35], v[32:33] neg_lo:[0,1] neg_hi:[0,1]
	v_cmp_eq_f32_e32 vcc, s3, v42
	v_add_f32_e32 v29, v38, v29
	v_add_f32_e32 v28, v28, v29
	;; [unrolled: 1-line block ×3, first 2 shown]
	v_mul_f32_e32 v38, v37, v29
	v_mul_f32_e32 v30, v22, v38
	v_fma_f32 v32, v38, v22, -v30
	v_fmac_f32_e32 v32, v38, v1
	v_sub_f32_e32 v1, v31, v29
	v_add_f32_e32 v1, v28, v1
	v_add_f32_e32 v28, v30, v32
	v_sub_f32_e32 v31, v29, v28
	v_pk_add_f32 v[34:35], v[28:29], v[30:31] neg_lo:[0,1] neg_hi:[0,1]
	v_mov_b32_e32 v33, v28
	v_pk_add_f32 v[28:29], v[34:35], v[32:33] neg_lo:[0,1] neg_hi:[0,1]
	v_add_f32_e32 v22, v39, v38
	v_add_f32_e32 v1, v1, v29
	;; [unrolled: 1-line block ×4, first 2 shown]
	v_sub_f32_e32 v28, v22, v39
	v_mul_f32_e32 v1, v37, v1
	v_sub_f32_e32 v28, v38, v28
	v_add_f32_e32 v1, v28, v1
	v_add_f32_e32 v28, v22, v1
	v_cvt_f32_i32_e32 v30, v36
	v_mul_f32_e32 v31, v28, v28
	v_mov_b32_e32 v29, 0x3ecc95a3
	v_fmac_f32_e32 v29, 0x3e9b6dac, v31
	v_fmaak_f32 v29, v31, v29, 0x3f2aaada
	v_sub_f32_e32 v22, v28, v22
	v_ldexp_f32 v33, v28, 1
	v_mul_f32_e32 v31, v28, v31
	v_mov_b32_e32 v28, 0x3f317218
	v_pk_mul_f32 v[28:29], v[30:31], v[28:29]
	v_sub_f32_e32 v1, v1, v22
	v_fma_f32 v22, v30, s2, -v28
	v_fmamk_f32 v32, v30, 0xb102e308, v22
	v_pk_add_f32 v[30:31], v[28:29], v[32:33]
	v_ldexp_f32 v1, v1, 1
	v_sub_f32_e32 v22, v31, v33
	v_sub_f32_e32 v22, v29, v22
	v_add_f32_e32 v35, v1, v22
	v_mov_b32_e32 v34, v28
	v_pk_add_f32 v[28:29], v[30:31], v[28:29] neg_lo:[0,1] neg_hi:[0,1]
	v_pk_add_f32 v[36:37], v[30:31], v[34:35]
	v_mov_b32_e32 v33, v30
	v_mov_b32_e32 v29, v37
	v_pk_add_f32 v[38:39], v[32:33], v[28:29] neg_lo:[0,1] neg_hi:[0,1]
	v_pk_add_f32 v[28:29], v[32:33], v[28:29]
	s_mov_b32 s2, 0x33800000
	v_mov_b32_e32 v22, v29
	v_pk_add_f32 v[32:33], v[22:23], v[30:31] neg_lo:[0,1] neg_hi:[0,1]
	v_mov_b32_e32 v28, v37
	v_mov_b32_e32 v1, v32
	v_pk_add_f32 v[40:41], v[36:37], v[0:1] neg_lo:[0,1] neg_hi:[0,1]
	v_mov_b32_e32 v36, v31
	v_mov_b32_e32 v37, v32
	;; [unrolled: 1-line block ×3, first 2 shown]
	v_pk_add_f32 v[28:29], v[28:29], v[36:37] neg_lo:[0,1] neg_hi:[0,1]
	v_mov_b32_e32 v32, v35
	v_mov_b32_e32 v33, v30
	v_pk_add_f32 v[28:29], v[32:33], v[28:29] neg_lo:[0,1] neg_hi:[0,1]
	v_mov_b32_e32 v40, v38
	v_pk_add_f32 v[30:31], v[40:41], v[28:29]
	v_cmp_lt_f32_e64 s[2:3], |v42|, s2
	v_mov_b32_e32 v32, v31
	v_pk_add_f32 v[32:33], v[30:31], v[32:33]
	s_or_b64 vcc, vcc, s[2:3]
	v_pk_add_f32 v[34:35], v[22:23], v[32:33]
	v_mov_b32_e32 v29, v32
	v_mov_b32_e32 v31, v34
	v_pk_add_f32 v[36:37], v[30:31], v[38:39] neg_lo:[0,1] neg_hi:[0,1]
	s_nop 0
	v_sub_f32_e32 v1, v30, v36
	v_pk_add_f32 v[28:29], v[28:29], v[36:37] neg_lo:[0,1] neg_hi:[0,1]
	v_sub_f32_e32 v1, v38, v1
	v_add_f32_e32 v1, v28, v1
	v_add_f32_e32 v1, v1, v29
	;; [unrolled: 1-line block ×3, first 2 shown]
	v_cndmask_b32_e32 v1, v1, v42, vcc
	v_add_f32_e32 v1, v23, v1
	v_cvt_f16_f32_e32 v31, v1
	v_cvt_f32_f16_e32 v1, v31
	v_mov_b32_e32 v22, v31
.LBB438_168:
	s_or_b64 exec, exec, s[0:1]
	v_max_f32_e32 v23, v13, v13
	v_max_f32_e32 v29, v1, v1
	v_min_f32_e32 v28, v29, v23
	v_cmp_u_f16_e32 vcc, v31, v31
	v_max_f32_e32 v23, v29, v23
	s_nop 0
	v_cndmask_b32_e32 v28, v28, v1, vcc
	v_cndmask_b32_e32 v23, v23, v1, vcc
	v_cndmask_b32_e64 v28, v28, v13, s[78:79]
	v_cndmask_b32_e64 v23, v23, v13, s[78:79]
	v_cmp_neq_f32_e32 vcc, v28, v23
	v_cmp_class_f32_e64 s[0:1], v28, s33
	s_or_b64 s[2:3], vcc, s[0:1]
	v_mov_b32_e32 v13, v22
	s_and_saveexec_b64 s[0:1], s[2:3]
	s_cbranch_execz .LBB438_170
; %bb.169:
	v_sub_f32_e32 v1, v28, v23
	s_mov_b32 s2, 0x3fb8aa3b
	v_mul_f32_e32 v13, 0x3fb8aa3b, v1
	v_fma_f32 v28, v1, s2, -v13
	v_rndne_f32_e32 v29, v13
	v_fmamk_f32 v28, v1, 0x32a5705f, v28
	v_sub_f32_e32 v13, v13, v29
	v_add_f32_e32 v13, v13, v28
	v_exp_f32_e32 v13, v13
	v_cvt_i32_f32_e32 v28, v29
	s_mov_b32 s2, 0xc2ce8ed0
	v_cmp_ngt_f32_e32 vcc, s2, v1
	s_mov_b32 s2, 0x42b17218
	v_ldexp_f32 v13, v13, v28
	v_cndmask_b32_e32 v13, 0, v13, vcc
	v_mov_b32_e32 v28, 0x7f800000
	v_cmp_nlt_f32_e32 vcc, s2, v1
	s_mov_b32 s2, 0x3f2aaaab
	s_mov_b32 s3, 0x7f800000
	v_cndmask_b32_e32 v13, v28, v13, vcc
	v_add_f32_e32 v1, 1.0, v13
	v_add_f32_e32 v28, -1.0, v1
	v_sub_f32_e32 v29, v28, v1
	v_add_f32_e32 v29, 1.0, v29
	v_sub_f32_e32 v28, v13, v28
	v_add_f32_e32 v30, v28, v29
	v_frexp_mant_f32_e32 v31, v1
	v_cvt_f64_f32_e32 v[28:29], v1
	v_frexp_exp_i32_f64_e32 v28, v[28:29]
	v_cmp_gt_f32_e32 vcc, s2, v31
	s_mov_b32 s2, 0x3f317218
	s_nop 0
	v_subbrev_co_u32_e32 v36, vcc, 0, v28, vcc
	v_sub_u32_e32 v28, 0, v36
	v_ldexp_f32 v1, v1, v28
	v_ldexp_f32 v28, v30, v28
	v_add_f32_e32 v30, -1.0, v1
	v_add_f32_e32 v29, 1.0, v30
	v_sub_f32_e32 v29, v1, v29
	v_add_f32_e32 v31, v28, v29
	v_add_f32_e32 v29, 1.0, v1
	s_waitcnt lgkmcnt(0)
	v_add_f32_e32 v32, -1.0, v29
	v_sub_f32_e32 v1, v1, v32
	v_add_f32_e32 v1, v28, v1
	v_add_f32_e32 v37, v29, v1
	v_rcp_f32_e32 v38, v37
	v_sub_f32_e32 v28, v29, v37
	v_add_f32_e32 v29, v30, v31
	v_add_f32_e32 v1, v1, v28
	v_mul_f32_e32 v40, v29, v38
	v_sub_f32_e32 v28, v30, v29
	v_mul_f32_e32 v30, v37, v40
	v_fma_f32 v32, v40, v37, -v30
	v_fmac_f32_e32 v32, v40, v1
	v_add_f32_e32 v39, v31, v28
	v_add_f32_e32 v28, v30, v32
	v_sub_f32_e32 v31, v29, v28
	v_pk_add_f32 v[34:35], v[28:29], v[30:31] neg_lo:[0,1] neg_hi:[0,1]
	v_mov_b32_e32 v33, v28
	v_pk_add_f32 v[28:29], v[34:35], v[32:33] neg_lo:[0,1] neg_hi:[0,1]
	v_cmp_eq_f32_e32 vcc, s3, v13
	v_add_f32_e32 v29, v39, v29
	v_add_f32_e32 v28, v28, v29
	;; [unrolled: 1-line block ×3, first 2 shown]
	v_mul_f32_e32 v39, v38, v29
	v_mul_f32_e32 v30, v37, v39
	v_fma_f32 v32, v39, v37, -v30
	v_fmac_f32_e32 v32, v39, v1
	v_sub_f32_e32 v1, v31, v29
	v_add_f32_e32 v1, v28, v1
	v_add_f32_e32 v28, v30, v32
	v_sub_f32_e32 v31, v29, v28
	v_pk_add_f32 v[34:35], v[28:29], v[30:31] neg_lo:[0,1] neg_hi:[0,1]
	v_mov_b32_e32 v33, v28
	v_pk_add_f32 v[28:29], v[34:35], v[32:33] neg_lo:[0,1] neg_hi:[0,1]
	v_cvt_f32_i32_e32 v30, v36
	v_add_f32_e32 v1, v1, v29
	v_add_f32_e32 v1, v28, v1
	;; [unrolled: 1-line block ×4, first 2 shown]
	v_sub_f32_e32 v29, v28, v40
	v_mul_f32_e32 v1, v38, v1
	v_sub_f32_e32 v29, v39, v29
	v_add_f32_e32 v1, v29, v1
	v_add_f32_e32 v31, v28, v1
	v_mul_f32_e32 v32, v31, v31
	v_mov_b32_e32 v29, 0x3ecc95a3
	v_fmac_f32_e32 v29, 0x3e9b6dac, v32
	v_sub_f32_e32 v28, v31, v28
	v_fmaak_f32 v29, v32, v29, 0x3f2aaada
	v_sub_f32_e32 v1, v1, v28
	v_ldexp_f32 v33, v31, 1
	v_mul_f32_e32 v31, v31, v32
	v_mov_b32_e32 v28, 0x3f317218
	v_pk_mul_f32 v[28:29], v[30:31], v[28:29]
	v_ldexp_f32 v1, v1, 1
	v_fma_f32 v31, v30, s2, -v28
	v_fmamk_f32 v32, v30, 0xb102e308, v31
	v_pk_add_f32 v[30:31], v[28:29], v[32:33]
	v_mov_b32_e32 v34, v28
	v_sub_f32_e32 v33, v31, v33
	v_sub_f32_e32 v33, v29, v33
	v_add_f32_e32 v35, v1, v33
	v_pk_add_f32 v[28:29], v[30:31], v[28:29] neg_lo:[0,1] neg_hi:[0,1]
	v_pk_add_f32 v[36:37], v[30:31], v[34:35]
	v_mov_b32_e32 v33, v30
	v_mov_b32_e32 v29, v37
	v_pk_add_f32 v[38:39], v[32:33], v[28:29] neg_lo:[0,1] neg_hi:[0,1]
	v_pk_add_f32 v[28:29], v[32:33], v[28:29]
	v_mov_b32_e32 v34, v35
	v_mov_b32_e32 v32, v29
	v_pk_add_f32 v[40:41], v[32:33], v[30:31] neg_lo:[0,1] neg_hi:[0,1]
	v_mov_b32_e32 v28, v37
	v_mov_b32_e32 v1, v40
	v_pk_add_f32 v[42:43], v[36:37], v[0:1] neg_lo:[0,1] neg_hi:[0,1]
	v_mov_b32_e32 v36, v31
	v_mov_b32_e32 v37, v40
	;; [unrolled: 1-line block ×3, first 2 shown]
	v_pk_add_f32 v[28:29], v[28:29], v[36:37] neg_lo:[0,1] neg_hi:[0,1]
	v_mov_b32_e32 v35, v30
	v_pk_add_f32 v[28:29], v[34:35], v[28:29] neg_lo:[0,1] neg_hi:[0,1]
	v_mov_b32_e32 v42, v38
	v_pk_add_f32 v[30:31], v[42:43], v[28:29]
	s_mov_b32 s2, 0x33800000
	v_mov_b32_e32 v34, v31
	v_pk_add_f32 v[34:35], v[30:31], v[34:35]
	v_cmp_lt_f32_e64 s[2:3], |v13|, s2
	v_pk_add_f32 v[32:33], v[32:33], v[34:35]
	v_mov_b32_e32 v29, v34
	v_mov_b32_e32 v31, v32
	v_pk_add_f32 v[36:37], v[30:31], v[38:39] neg_lo:[0,1] neg_hi:[0,1]
	s_or_b64 vcc, vcc, s[2:3]
	v_sub_f32_e32 v1, v30, v36
	v_pk_add_f32 v[28:29], v[28:29], v[36:37] neg_lo:[0,1] neg_hi:[0,1]
	v_sub_f32_e32 v1, v38, v1
	v_add_f32_e32 v1, v28, v1
	v_add_f32_e32 v1, v1, v29
	;; [unrolled: 1-line block ×3, first 2 shown]
	v_cndmask_b32_e32 v1, v1, v13, vcc
	v_add_f32_e32 v1, v23, v1
	v_cvt_f16_f32_e32 v31, v1
	v_cvt_f32_f16_e32 v1, v31
	v_mov_b32_e32 v13, v31
.LBB438_170:
	s_or_b64 exec, exec, s[0:1]
	v_max_f32_e32 v23, v24, v24
	v_max_f32_e32 v29, v1, v1
	v_min_f32_e32 v28, v29, v23
	v_cmp_u_f16_e32 vcc, v31, v31
	v_max_f32_e32 v23, v29, v23
	s_nop 0
	v_cndmask_b32_e32 v28, v28, v1, vcc
	v_cndmask_b32_e32 v23, v23, v1, vcc
	v_cndmask_b32_e64 v28, v28, v24, s[80:81]
	v_cndmask_b32_e64 v24, v23, v24, s[80:81]
	v_cmp_neq_f32_e32 vcc, v28, v24
	v_cmp_class_f32_e64 s[0:1], v28, s33
	s_or_b64 s[2:3], vcc, s[0:1]
	v_mov_b32_e32 v23, v13
	s_and_saveexec_b64 s[0:1], s[2:3]
	s_cbranch_execz .LBB438_172
; %bb.171:
	v_sub_f32_e32 v1, v28, v24
	s_mov_b32 s2, 0x3fb8aa3b
	v_mul_f32_e32 v23, 0x3fb8aa3b, v1
	v_fma_f32 v28, v1, s2, -v23
	v_rndne_f32_e32 v29, v23
	v_fmamk_f32 v28, v1, 0x32a5705f, v28
	v_sub_f32_e32 v23, v23, v29
	v_add_f32_e32 v23, v23, v28
	v_exp_f32_e32 v23, v23
	v_cvt_i32_f32_e32 v28, v29
	s_mov_b32 s2, 0xc2ce8ed0
	v_cmp_ngt_f32_e32 vcc, s2, v1
	s_mov_b32 s2, 0x42b17218
	v_ldexp_f32 v23, v23, v28
	v_cndmask_b32_e32 v23, 0, v23, vcc
	v_mov_b32_e32 v28, 0x7f800000
	v_cmp_nlt_f32_e32 vcc, s2, v1
	s_mov_b32 s2, 0x3f2aaaab
	s_mov_b32 s3, 0x7f800000
	v_cndmask_b32_e32 v23, v28, v23, vcc
	v_add_f32_e32 v1, 1.0, v23
	v_add_f32_e32 v28, -1.0, v1
	v_sub_f32_e32 v29, v28, v1
	v_add_f32_e32 v29, 1.0, v29
	v_sub_f32_e32 v28, v23, v28
	v_add_f32_e32 v30, v28, v29
	v_frexp_mant_f32_e32 v31, v1
	v_cvt_f64_f32_e32 v[28:29], v1
	v_frexp_exp_i32_f64_e32 v28, v[28:29]
	v_cmp_gt_f32_e32 vcc, s2, v31
	s_mov_b32 s2, 0x3f317218
	s_nop 0
	v_subbrev_co_u32_e32 v36, vcc, 0, v28, vcc
	v_sub_u32_e32 v28, 0, v36
	v_ldexp_f32 v1, v1, v28
	v_ldexp_f32 v28, v30, v28
	v_add_f32_e32 v30, -1.0, v1
	v_add_f32_e32 v29, 1.0, v30
	v_sub_f32_e32 v29, v1, v29
	v_add_f32_e32 v31, v28, v29
	v_add_f32_e32 v29, 1.0, v1
	s_waitcnt lgkmcnt(0)
	v_add_f32_e32 v32, -1.0, v29
	v_sub_f32_e32 v1, v1, v32
	v_add_f32_e32 v1, v28, v1
	v_add_f32_e32 v37, v29, v1
	v_rcp_f32_e32 v38, v37
	v_sub_f32_e32 v28, v29, v37
	v_add_f32_e32 v29, v30, v31
	v_add_f32_e32 v1, v1, v28
	v_mul_f32_e32 v40, v29, v38
	v_sub_f32_e32 v28, v30, v29
	v_mul_f32_e32 v30, v37, v40
	v_fma_f32 v32, v40, v37, -v30
	v_fmac_f32_e32 v32, v40, v1
	v_add_f32_e32 v39, v31, v28
	v_add_f32_e32 v28, v30, v32
	v_sub_f32_e32 v31, v29, v28
	v_pk_add_f32 v[34:35], v[28:29], v[30:31] neg_lo:[0,1] neg_hi:[0,1]
	v_mov_b32_e32 v33, v28
	v_pk_add_f32 v[28:29], v[34:35], v[32:33] neg_lo:[0,1] neg_hi:[0,1]
	v_cmp_eq_f32_e32 vcc, s3, v23
	v_add_f32_e32 v29, v39, v29
	v_add_f32_e32 v28, v28, v29
	;; [unrolled: 1-line block ×3, first 2 shown]
	v_mul_f32_e32 v39, v38, v29
	v_mul_f32_e32 v30, v37, v39
	v_fma_f32 v32, v39, v37, -v30
	v_fmac_f32_e32 v32, v39, v1
	v_sub_f32_e32 v1, v31, v29
	v_add_f32_e32 v1, v28, v1
	v_add_f32_e32 v28, v30, v32
	v_sub_f32_e32 v31, v29, v28
	v_pk_add_f32 v[34:35], v[28:29], v[30:31] neg_lo:[0,1] neg_hi:[0,1]
	v_mov_b32_e32 v33, v28
	v_pk_add_f32 v[28:29], v[34:35], v[32:33] neg_lo:[0,1] neg_hi:[0,1]
	v_cvt_f32_i32_e32 v30, v36
	v_add_f32_e32 v1, v1, v29
	v_add_f32_e32 v1, v28, v1
	;; [unrolled: 1-line block ×4, first 2 shown]
	v_sub_f32_e32 v29, v28, v40
	v_mul_f32_e32 v1, v38, v1
	v_sub_f32_e32 v29, v39, v29
	v_add_f32_e32 v1, v29, v1
	v_add_f32_e32 v31, v28, v1
	v_mul_f32_e32 v32, v31, v31
	v_mov_b32_e32 v29, 0x3ecc95a3
	v_fmac_f32_e32 v29, 0x3e9b6dac, v32
	v_sub_f32_e32 v28, v31, v28
	v_fmaak_f32 v29, v32, v29, 0x3f2aaada
	v_sub_f32_e32 v1, v1, v28
	v_ldexp_f32 v33, v31, 1
	v_mul_f32_e32 v31, v31, v32
	v_mov_b32_e32 v28, 0x3f317218
	v_pk_mul_f32 v[28:29], v[30:31], v[28:29]
	v_ldexp_f32 v1, v1, 1
	v_fma_f32 v31, v30, s2, -v28
	v_fmamk_f32 v32, v30, 0xb102e308, v31
	v_pk_add_f32 v[30:31], v[28:29], v[32:33]
	v_mov_b32_e32 v34, v28
	v_sub_f32_e32 v33, v31, v33
	v_sub_f32_e32 v33, v29, v33
	v_add_f32_e32 v35, v1, v33
	v_pk_add_f32 v[28:29], v[30:31], v[28:29] neg_lo:[0,1] neg_hi:[0,1]
	v_pk_add_f32 v[36:37], v[30:31], v[34:35]
	v_mov_b32_e32 v33, v30
	v_mov_b32_e32 v29, v37
	v_pk_add_f32 v[38:39], v[32:33], v[28:29] neg_lo:[0,1] neg_hi:[0,1]
	v_pk_add_f32 v[28:29], v[32:33], v[28:29]
	v_mov_b32_e32 v34, v35
	v_mov_b32_e32 v32, v29
	v_pk_add_f32 v[40:41], v[32:33], v[30:31] neg_lo:[0,1] neg_hi:[0,1]
	v_mov_b32_e32 v28, v37
	v_mov_b32_e32 v1, v40
	v_pk_add_f32 v[42:43], v[36:37], v[0:1] neg_lo:[0,1] neg_hi:[0,1]
	v_mov_b32_e32 v36, v31
	v_mov_b32_e32 v37, v40
	;; [unrolled: 1-line block ×3, first 2 shown]
	v_pk_add_f32 v[28:29], v[28:29], v[36:37] neg_lo:[0,1] neg_hi:[0,1]
	v_mov_b32_e32 v35, v30
	v_pk_add_f32 v[28:29], v[34:35], v[28:29] neg_lo:[0,1] neg_hi:[0,1]
	v_mov_b32_e32 v42, v38
	v_pk_add_f32 v[30:31], v[42:43], v[28:29]
	s_mov_b32 s2, 0x33800000
	v_mov_b32_e32 v34, v31
	v_pk_add_f32 v[34:35], v[30:31], v[34:35]
	v_cmp_lt_f32_e64 s[2:3], |v23|, s2
	v_pk_add_f32 v[32:33], v[32:33], v[34:35]
	v_mov_b32_e32 v29, v34
	v_mov_b32_e32 v31, v32
	v_pk_add_f32 v[36:37], v[30:31], v[38:39] neg_lo:[0,1] neg_hi:[0,1]
	s_or_b64 vcc, vcc, s[2:3]
	v_sub_f32_e32 v1, v30, v36
	v_pk_add_f32 v[28:29], v[28:29], v[36:37] neg_lo:[0,1] neg_hi:[0,1]
	v_sub_f32_e32 v1, v38, v1
	v_add_f32_e32 v1, v28, v1
	v_add_f32_e32 v1, v1, v29
	;; [unrolled: 1-line block ×3, first 2 shown]
	v_cndmask_b32_e32 v1, v1, v23, vcc
	v_add_f32_e32 v1, v24, v1
	v_cvt_f16_f32_e32 v31, v1
	v_cvt_f32_f16_e32 v1, v31
	v_mov_b32_e32 v23, v31
.LBB438_172:
	s_or_b64 exec, exec, s[0:1]
	v_max_f32_e32 v24, v6, v6
	v_max_f32_e32 v29, v1, v1
	v_min_f32_e32 v28, v29, v24
	v_cmp_u_f16_e32 vcc, v31, v31
	v_max_f32_e32 v24, v29, v24
	s_nop 0
	v_cndmask_b32_e32 v28, v28, v1, vcc
	v_cndmask_b32_e32 v24, v24, v1, vcc
	v_cndmask_b32_e64 v28, v28, v6, s[82:83]
	v_cndmask_b32_e64 v24, v24, v6, s[82:83]
	v_cmp_neq_f32_e32 vcc, v28, v24
	v_cmp_class_f32_e64 s[0:1], v28, s33
	s_or_b64 s[2:3], vcc, s[0:1]
	v_mov_b32_e32 v6, v23
	s_and_saveexec_b64 s[0:1], s[2:3]
	s_cbranch_execz .LBB438_174
; %bb.173:
	v_sub_f32_e32 v1, v28, v24
	s_mov_b32 s2, 0x3fb8aa3b
	v_mul_f32_e32 v6, 0x3fb8aa3b, v1
	v_fma_f32 v28, v1, s2, -v6
	v_rndne_f32_e32 v29, v6
	v_fmamk_f32 v28, v1, 0x32a5705f, v28
	v_sub_f32_e32 v6, v6, v29
	v_add_f32_e32 v6, v6, v28
	v_exp_f32_e32 v6, v6
	v_cvt_i32_f32_e32 v28, v29
	s_mov_b32 s2, 0xc2ce8ed0
	v_cmp_ngt_f32_e32 vcc, s2, v1
	s_mov_b32 s2, 0x42b17218
	v_ldexp_f32 v6, v6, v28
	v_cndmask_b32_e32 v6, 0, v6, vcc
	v_mov_b32_e32 v28, 0x7f800000
	v_cmp_nlt_f32_e32 vcc, s2, v1
	s_mov_b32 s2, 0x3f2aaaab
	s_mov_b32 s3, 0x7f800000
	v_cndmask_b32_e32 v42, v28, v6, vcc
	v_add_f32_e32 v1, 1.0, v42
	v_add_f32_e32 v6, -1.0, v1
	v_sub_f32_e32 v28, v6, v1
	v_add_f32_e32 v28, 1.0, v28
	v_sub_f32_e32 v6, v42, v6
	v_add_f32_e32 v6, v6, v28
	v_frexp_mant_f32_e32 v30, v1
	v_cvt_f64_f32_e32 v[28:29], v1
	v_frexp_exp_i32_f64_e32 v28, v[28:29]
	v_cmp_gt_f32_e32 vcc, s2, v30
	s_mov_b32 s2, 0x3f317218
	s_nop 0
	v_subbrev_co_u32_e32 v36, vcc, 0, v28, vcc
	v_sub_u32_e32 v28, 0, v36
	v_ldexp_f32 v1, v1, v28
	v_ldexp_f32 v6, v6, v28
	v_add_f32_e32 v28, -1.0, v1
	v_add_f32_e32 v29, 1.0, v28
	v_sub_f32_e32 v29, v1, v29
	v_add_f32_e32 v30, v6, v29
	v_add_f32_e32 v29, 1.0, v1
	v_add_f32_e32 v31, -1.0, v29
	v_sub_f32_e32 v1, v1, v31
	v_add_f32_e32 v1, v6, v1
	v_add_f32_e32 v6, v29, v1
	v_rcp_f32_e32 v37, v6
	v_sub_f32_e32 v29, v29, v6
	v_add_f32_e32 v1, v1, v29
	v_add_f32_e32 v29, v28, v30
	v_sub_f32_e32 v28, v28, v29
	v_mul_f32_e32 v39, v29, v37
	v_add_f32_e32 v38, v30, v28
	v_mul_f32_e32 v30, v6, v39
	s_waitcnt lgkmcnt(0)
	v_fma_f32 v32, v39, v6, -v30
	v_fmac_f32_e32 v32, v39, v1
	v_add_f32_e32 v28, v30, v32
	v_sub_f32_e32 v31, v29, v28
	v_pk_add_f32 v[34:35], v[28:29], v[30:31] neg_lo:[0,1] neg_hi:[0,1]
	v_mov_b32_e32 v33, v28
	v_pk_add_f32 v[28:29], v[34:35], v[32:33] neg_lo:[0,1] neg_hi:[0,1]
	v_cmp_eq_f32_e32 vcc, s3, v42
	v_add_f32_e32 v29, v38, v29
	v_add_f32_e32 v28, v28, v29
	;; [unrolled: 1-line block ×3, first 2 shown]
	v_mul_f32_e32 v38, v37, v29
	v_mul_f32_e32 v30, v6, v38
	v_fma_f32 v32, v38, v6, -v30
	v_fmac_f32_e32 v32, v38, v1
	v_sub_f32_e32 v1, v31, v29
	v_add_f32_e32 v1, v28, v1
	v_add_f32_e32 v28, v30, v32
	v_sub_f32_e32 v31, v29, v28
	v_pk_add_f32 v[34:35], v[28:29], v[30:31] neg_lo:[0,1] neg_hi:[0,1]
	v_mov_b32_e32 v33, v28
	v_pk_add_f32 v[28:29], v[34:35], v[32:33] neg_lo:[0,1] neg_hi:[0,1]
	v_add_f32_e32 v6, v39, v38
	v_add_f32_e32 v1, v1, v29
	;; [unrolled: 1-line block ×4, first 2 shown]
	v_sub_f32_e32 v28, v6, v39
	v_mul_f32_e32 v1, v37, v1
	v_sub_f32_e32 v28, v38, v28
	v_add_f32_e32 v1, v28, v1
	v_add_f32_e32 v28, v6, v1
	v_cvt_f32_i32_e32 v30, v36
	v_mul_f32_e32 v31, v28, v28
	v_mov_b32_e32 v29, 0x3ecc95a3
	v_fmac_f32_e32 v29, 0x3e9b6dac, v31
	v_fmaak_f32 v29, v31, v29, 0x3f2aaada
	v_sub_f32_e32 v6, v28, v6
	v_ldexp_f32 v33, v28, 1
	v_mul_f32_e32 v31, v28, v31
	v_mov_b32_e32 v28, 0x3f317218
	v_pk_mul_f32 v[28:29], v[30:31], v[28:29]
	v_sub_f32_e32 v1, v1, v6
	v_fma_f32 v6, v30, s2, -v28
	v_fmamk_f32 v32, v30, 0xb102e308, v6
	v_pk_add_f32 v[30:31], v[28:29], v[32:33]
	v_ldexp_f32 v1, v1, 1
	v_sub_f32_e32 v6, v31, v33
	v_sub_f32_e32 v6, v29, v6
	v_add_f32_e32 v35, v1, v6
	v_mov_b32_e32 v34, v28
	v_pk_add_f32 v[28:29], v[30:31], v[28:29] neg_lo:[0,1] neg_hi:[0,1]
	v_pk_add_f32 v[36:37], v[30:31], v[34:35]
	v_mov_b32_e32 v33, v30
	v_mov_b32_e32 v29, v37
	v_pk_add_f32 v[38:39], v[32:33], v[28:29] neg_lo:[0,1] neg_hi:[0,1]
	v_pk_add_f32 v[28:29], v[32:33], v[28:29]
	s_mov_b32 s2, 0x33800000
	v_mov_b32_e32 v6, v29
	v_pk_add_f32 v[32:33], v[6:7], v[30:31] neg_lo:[0,1] neg_hi:[0,1]
	v_mov_b32_e32 v28, v37
	v_mov_b32_e32 v1, v32
	v_pk_add_f32 v[40:41], v[36:37], v[0:1] neg_lo:[0,1] neg_hi:[0,1]
	v_mov_b32_e32 v36, v31
	v_mov_b32_e32 v37, v32
	v_mov_b32_e32 v39, v29
	v_pk_add_f32 v[28:29], v[28:29], v[36:37] neg_lo:[0,1] neg_hi:[0,1]
	v_mov_b32_e32 v32, v35
	v_mov_b32_e32 v33, v30
	v_pk_add_f32 v[28:29], v[32:33], v[28:29] neg_lo:[0,1] neg_hi:[0,1]
	v_mov_b32_e32 v40, v38
	v_pk_add_f32 v[30:31], v[40:41], v[28:29]
	v_cmp_lt_f32_e64 s[2:3], |v42|, s2
	v_mov_b32_e32 v32, v31
	v_pk_add_f32 v[32:33], v[30:31], v[32:33]
	s_or_b64 vcc, vcc, s[2:3]
	v_pk_add_f32 v[34:35], v[6:7], v[32:33]
	v_mov_b32_e32 v29, v32
	v_mov_b32_e32 v31, v34
	v_pk_add_f32 v[36:37], v[30:31], v[38:39] neg_lo:[0,1] neg_hi:[0,1]
	s_nop 0
	v_sub_f32_e32 v1, v30, v36
	v_pk_add_f32 v[28:29], v[28:29], v[36:37] neg_lo:[0,1] neg_hi:[0,1]
	v_sub_f32_e32 v1, v38, v1
	v_add_f32_e32 v1, v28, v1
	v_add_f32_e32 v1, v1, v29
	;; [unrolled: 1-line block ×3, first 2 shown]
	v_cndmask_b32_e32 v1, v1, v42, vcc
	v_add_f32_e32 v1, v24, v1
	v_cvt_f16_f32_e32 v31, v1
	v_cvt_f32_f16_e32 v1, v31
	v_mov_b32_e32 v6, v31
.LBB438_174:
	s_or_b64 exec, exec, s[0:1]
	v_max_f32_e32 v24, v25, v25
	v_max_f32_e32 v29, v1, v1
	v_min_f32_e32 v28, v29, v24
	v_cmp_u_f16_e32 vcc, v31, v31
	v_max_f32_e32 v24, v29, v24
	s_nop 0
	v_cndmask_b32_e32 v28, v28, v1, vcc
	v_cndmask_b32_e32 v24, v24, v1, vcc
	v_cndmask_b32_e64 v28, v28, v25, s[84:85]
	v_cndmask_b32_e64 v25, v24, v25, s[84:85]
	v_cmp_neq_f32_e32 vcc, v28, v25
	v_cmp_class_f32_e64 s[0:1], v28, s33
	s_or_b64 s[2:3], vcc, s[0:1]
	v_mov_b32_e32 v24, v6
	s_and_saveexec_b64 s[0:1], s[2:3]
	s_cbranch_execz .LBB438_176
; %bb.175:
	v_sub_f32_e32 v1, v28, v25
	s_mov_b32 s2, 0x3fb8aa3b
	v_mul_f32_e32 v24, 0x3fb8aa3b, v1
	v_fma_f32 v28, v1, s2, -v24
	v_rndne_f32_e32 v29, v24
	v_fmamk_f32 v28, v1, 0x32a5705f, v28
	v_sub_f32_e32 v24, v24, v29
	v_add_f32_e32 v24, v24, v28
	v_exp_f32_e32 v24, v24
	v_cvt_i32_f32_e32 v28, v29
	s_mov_b32 s2, 0xc2ce8ed0
	v_cmp_ngt_f32_e32 vcc, s2, v1
	s_mov_b32 s2, 0x42b17218
	v_ldexp_f32 v24, v24, v28
	v_cndmask_b32_e32 v24, 0, v24, vcc
	v_mov_b32_e32 v28, 0x7f800000
	v_cmp_nlt_f32_e32 vcc, s2, v1
	s_mov_b32 s2, 0x3f2aaaab
	s_mov_b32 s3, 0x7f800000
	v_cndmask_b32_e32 v42, v28, v24, vcc
	v_add_f32_e32 v1, 1.0, v42
	v_add_f32_e32 v24, -1.0, v1
	v_sub_f32_e32 v28, v24, v1
	v_add_f32_e32 v28, 1.0, v28
	v_sub_f32_e32 v24, v42, v24
	v_add_f32_e32 v24, v24, v28
	v_frexp_mant_f32_e32 v30, v1
	v_cvt_f64_f32_e32 v[28:29], v1
	v_frexp_exp_i32_f64_e32 v28, v[28:29]
	v_cmp_gt_f32_e32 vcc, s2, v30
	s_mov_b32 s2, 0x3f317218
	s_nop 0
	v_subbrev_co_u32_e32 v36, vcc, 0, v28, vcc
	v_sub_u32_e32 v28, 0, v36
	v_ldexp_f32 v1, v1, v28
	v_ldexp_f32 v24, v24, v28
	v_add_f32_e32 v28, -1.0, v1
	v_add_f32_e32 v29, 1.0, v28
	v_sub_f32_e32 v29, v1, v29
	v_add_f32_e32 v30, v24, v29
	v_add_f32_e32 v29, 1.0, v1
	v_add_f32_e32 v31, -1.0, v29
	v_sub_f32_e32 v1, v1, v31
	v_add_f32_e32 v1, v24, v1
	v_add_f32_e32 v24, v29, v1
	v_rcp_f32_e32 v37, v24
	v_sub_f32_e32 v29, v29, v24
	v_add_f32_e32 v1, v1, v29
	v_add_f32_e32 v29, v28, v30
	v_sub_f32_e32 v28, v28, v29
	v_mul_f32_e32 v39, v29, v37
	v_add_f32_e32 v38, v30, v28
	v_mul_f32_e32 v30, v24, v39
	s_waitcnt lgkmcnt(0)
	v_fma_f32 v32, v39, v24, -v30
	v_fmac_f32_e32 v32, v39, v1
	v_add_f32_e32 v28, v30, v32
	v_sub_f32_e32 v31, v29, v28
	v_pk_add_f32 v[34:35], v[28:29], v[30:31] neg_lo:[0,1] neg_hi:[0,1]
	v_mov_b32_e32 v33, v28
	v_pk_add_f32 v[28:29], v[34:35], v[32:33] neg_lo:[0,1] neg_hi:[0,1]
	v_cmp_eq_f32_e32 vcc, s3, v42
	v_add_f32_e32 v29, v38, v29
	v_add_f32_e32 v28, v28, v29
	;; [unrolled: 1-line block ×3, first 2 shown]
	v_mul_f32_e32 v38, v37, v29
	v_mul_f32_e32 v30, v24, v38
	v_fma_f32 v32, v38, v24, -v30
	v_fmac_f32_e32 v32, v38, v1
	v_sub_f32_e32 v1, v31, v29
	v_add_f32_e32 v1, v28, v1
	v_add_f32_e32 v28, v30, v32
	v_sub_f32_e32 v31, v29, v28
	v_pk_add_f32 v[34:35], v[28:29], v[30:31] neg_lo:[0,1] neg_hi:[0,1]
	v_mov_b32_e32 v33, v28
	v_pk_add_f32 v[28:29], v[34:35], v[32:33] neg_lo:[0,1] neg_hi:[0,1]
	v_add_f32_e32 v24, v39, v38
	v_add_f32_e32 v1, v1, v29
	;; [unrolled: 1-line block ×4, first 2 shown]
	v_sub_f32_e32 v28, v24, v39
	v_mul_f32_e32 v1, v37, v1
	v_sub_f32_e32 v28, v38, v28
	v_add_f32_e32 v1, v28, v1
	v_add_f32_e32 v28, v24, v1
	v_cvt_f32_i32_e32 v30, v36
	v_mul_f32_e32 v31, v28, v28
	v_mov_b32_e32 v29, 0x3ecc95a3
	v_fmac_f32_e32 v29, 0x3e9b6dac, v31
	v_fmaak_f32 v29, v31, v29, 0x3f2aaada
	v_sub_f32_e32 v24, v28, v24
	v_ldexp_f32 v33, v28, 1
	v_mul_f32_e32 v31, v28, v31
	v_mov_b32_e32 v28, 0x3f317218
	v_pk_mul_f32 v[28:29], v[30:31], v[28:29]
	v_sub_f32_e32 v1, v1, v24
	v_fma_f32 v24, v30, s2, -v28
	v_fmamk_f32 v32, v30, 0xb102e308, v24
	v_pk_add_f32 v[30:31], v[28:29], v[32:33]
	v_ldexp_f32 v1, v1, 1
	v_sub_f32_e32 v24, v31, v33
	v_sub_f32_e32 v24, v29, v24
	v_add_f32_e32 v35, v1, v24
	v_mov_b32_e32 v34, v28
	v_pk_add_f32 v[28:29], v[30:31], v[28:29] neg_lo:[0,1] neg_hi:[0,1]
	v_pk_add_f32 v[36:37], v[30:31], v[34:35]
	v_mov_b32_e32 v33, v30
	v_mov_b32_e32 v29, v37
	v_pk_add_f32 v[38:39], v[32:33], v[28:29] neg_lo:[0,1] neg_hi:[0,1]
	v_pk_add_f32 v[28:29], v[32:33], v[28:29]
	s_mov_b32 s2, 0x33800000
	v_mov_b32_e32 v24, v29
	v_pk_add_f32 v[32:33], v[24:25], v[30:31] neg_lo:[0,1] neg_hi:[0,1]
	v_mov_b32_e32 v28, v37
	v_mov_b32_e32 v1, v32
	v_pk_add_f32 v[40:41], v[36:37], v[0:1] neg_lo:[0,1] neg_hi:[0,1]
	v_mov_b32_e32 v36, v31
	v_mov_b32_e32 v37, v32
	;; [unrolled: 1-line block ×3, first 2 shown]
	v_pk_add_f32 v[28:29], v[28:29], v[36:37] neg_lo:[0,1] neg_hi:[0,1]
	v_mov_b32_e32 v32, v35
	v_mov_b32_e32 v33, v30
	v_pk_add_f32 v[28:29], v[32:33], v[28:29] neg_lo:[0,1] neg_hi:[0,1]
	v_mov_b32_e32 v40, v38
	v_pk_add_f32 v[30:31], v[40:41], v[28:29]
	v_cmp_lt_f32_e64 s[2:3], |v42|, s2
	v_mov_b32_e32 v32, v31
	v_pk_add_f32 v[32:33], v[30:31], v[32:33]
	s_or_b64 vcc, vcc, s[2:3]
	v_pk_add_f32 v[34:35], v[24:25], v[32:33]
	v_mov_b32_e32 v29, v32
	v_mov_b32_e32 v31, v34
	v_pk_add_f32 v[36:37], v[30:31], v[38:39] neg_lo:[0,1] neg_hi:[0,1]
	s_nop 0
	v_sub_f32_e32 v1, v30, v36
	v_pk_add_f32 v[28:29], v[28:29], v[36:37] neg_lo:[0,1] neg_hi:[0,1]
	v_sub_f32_e32 v1, v38, v1
	v_add_f32_e32 v1, v28, v1
	v_add_f32_e32 v1, v1, v29
	;; [unrolled: 1-line block ×3, first 2 shown]
	v_cndmask_b32_e32 v1, v1, v42, vcc
	v_add_f32_e32 v1, v25, v1
	v_cvt_f16_f32_e32 v31, v1
	v_cvt_f32_f16_e32 v1, v31
	v_mov_b32_e32 v24, v31
.LBB438_176:
	s_or_b64 exec, exec, s[0:1]
	v_max_f32_e32 v25, v7, v7
	v_max_f32_e32 v29, v1, v1
	v_min_f32_e32 v28, v29, v25
	v_cmp_u_f16_e32 vcc, v31, v31
	v_max_f32_e32 v25, v29, v25
	s_nop 0
	v_cndmask_b32_e32 v28, v28, v1, vcc
	v_cndmask_b32_e32 v25, v25, v1, vcc
	v_cndmask_b32_e64 v28, v28, v7, s[86:87]
	v_cndmask_b32_e64 v25, v25, v7, s[86:87]
	v_cmp_neq_f32_e32 vcc, v28, v25
	v_cmp_class_f32_e64 s[0:1], v28, s33
	s_or_b64 s[2:3], vcc, s[0:1]
	v_mov_b32_e32 v7, v24
	s_and_saveexec_b64 s[0:1], s[2:3]
	s_cbranch_execz .LBB438_178
; %bb.177:
	v_sub_f32_e32 v1, v28, v25
	s_mov_b32 s2, 0x3fb8aa3b
	v_mul_f32_e32 v7, 0x3fb8aa3b, v1
	v_fma_f32 v28, v1, s2, -v7
	v_rndne_f32_e32 v29, v7
	v_fmamk_f32 v28, v1, 0x32a5705f, v28
	v_sub_f32_e32 v7, v7, v29
	v_add_f32_e32 v7, v7, v28
	v_exp_f32_e32 v7, v7
	v_cvt_i32_f32_e32 v28, v29
	s_mov_b32 s2, 0xc2ce8ed0
	v_cmp_ngt_f32_e32 vcc, s2, v1
	s_mov_b32 s2, 0x42b17218
	v_ldexp_f32 v7, v7, v28
	v_cndmask_b32_e32 v7, 0, v7, vcc
	v_mov_b32_e32 v28, 0x7f800000
	v_cmp_nlt_f32_e32 vcc, s2, v1
	s_mov_b32 s2, 0x3f2aaaab
	s_mov_b32 s3, 0x7f800000
	v_cndmask_b32_e32 v7, v28, v7, vcc
	v_add_f32_e32 v1, 1.0, v7
	v_add_f32_e32 v28, -1.0, v1
	v_sub_f32_e32 v29, v28, v1
	v_add_f32_e32 v29, 1.0, v29
	v_sub_f32_e32 v28, v7, v28
	v_add_f32_e32 v30, v28, v29
	v_frexp_mant_f32_e32 v31, v1
	v_cvt_f64_f32_e32 v[28:29], v1
	v_frexp_exp_i32_f64_e32 v28, v[28:29]
	v_cmp_gt_f32_e32 vcc, s2, v31
	s_mov_b32 s2, 0x3f317218
	s_nop 0
	v_subbrev_co_u32_e32 v36, vcc, 0, v28, vcc
	v_sub_u32_e32 v28, 0, v36
	v_ldexp_f32 v1, v1, v28
	v_ldexp_f32 v28, v30, v28
	v_add_f32_e32 v30, -1.0, v1
	v_add_f32_e32 v29, 1.0, v30
	v_sub_f32_e32 v29, v1, v29
	v_add_f32_e32 v31, v28, v29
	v_add_f32_e32 v29, 1.0, v1
	s_waitcnt lgkmcnt(0)
	v_add_f32_e32 v32, -1.0, v29
	v_sub_f32_e32 v1, v1, v32
	v_add_f32_e32 v1, v28, v1
	v_add_f32_e32 v37, v29, v1
	v_rcp_f32_e32 v38, v37
	v_sub_f32_e32 v28, v29, v37
	v_add_f32_e32 v29, v30, v31
	v_add_f32_e32 v1, v1, v28
	v_mul_f32_e32 v40, v29, v38
	v_sub_f32_e32 v28, v30, v29
	v_mul_f32_e32 v30, v37, v40
	v_fma_f32 v32, v40, v37, -v30
	v_fmac_f32_e32 v32, v40, v1
	v_add_f32_e32 v39, v31, v28
	v_add_f32_e32 v28, v30, v32
	v_sub_f32_e32 v31, v29, v28
	v_pk_add_f32 v[34:35], v[28:29], v[30:31] neg_lo:[0,1] neg_hi:[0,1]
	v_mov_b32_e32 v33, v28
	v_pk_add_f32 v[28:29], v[34:35], v[32:33] neg_lo:[0,1] neg_hi:[0,1]
	v_cmp_eq_f32_e32 vcc, s3, v7
	v_add_f32_e32 v29, v39, v29
	v_add_f32_e32 v28, v28, v29
	;; [unrolled: 1-line block ×3, first 2 shown]
	v_mul_f32_e32 v39, v38, v29
	v_mul_f32_e32 v30, v37, v39
	v_fma_f32 v32, v39, v37, -v30
	v_fmac_f32_e32 v32, v39, v1
	v_sub_f32_e32 v1, v31, v29
	v_add_f32_e32 v1, v28, v1
	v_add_f32_e32 v28, v30, v32
	v_sub_f32_e32 v31, v29, v28
	v_pk_add_f32 v[34:35], v[28:29], v[30:31] neg_lo:[0,1] neg_hi:[0,1]
	v_mov_b32_e32 v33, v28
	v_pk_add_f32 v[28:29], v[34:35], v[32:33] neg_lo:[0,1] neg_hi:[0,1]
	v_cvt_f32_i32_e32 v30, v36
	v_add_f32_e32 v1, v1, v29
	v_add_f32_e32 v1, v28, v1
	;; [unrolled: 1-line block ×4, first 2 shown]
	v_sub_f32_e32 v29, v28, v40
	v_mul_f32_e32 v1, v38, v1
	v_sub_f32_e32 v29, v39, v29
	v_add_f32_e32 v1, v29, v1
	v_add_f32_e32 v31, v28, v1
	v_mul_f32_e32 v32, v31, v31
	v_mov_b32_e32 v29, 0x3ecc95a3
	v_fmac_f32_e32 v29, 0x3e9b6dac, v32
	v_sub_f32_e32 v28, v31, v28
	v_fmaak_f32 v29, v32, v29, 0x3f2aaada
	v_sub_f32_e32 v1, v1, v28
	v_ldexp_f32 v33, v31, 1
	v_mul_f32_e32 v31, v31, v32
	v_mov_b32_e32 v28, 0x3f317218
	v_pk_mul_f32 v[28:29], v[30:31], v[28:29]
	v_ldexp_f32 v1, v1, 1
	v_fma_f32 v31, v30, s2, -v28
	v_fmamk_f32 v32, v30, 0xb102e308, v31
	v_pk_add_f32 v[30:31], v[28:29], v[32:33]
	v_mov_b32_e32 v34, v28
	v_sub_f32_e32 v33, v31, v33
	v_sub_f32_e32 v33, v29, v33
	v_add_f32_e32 v35, v1, v33
	v_pk_add_f32 v[28:29], v[30:31], v[28:29] neg_lo:[0,1] neg_hi:[0,1]
	v_pk_add_f32 v[36:37], v[30:31], v[34:35]
	v_mov_b32_e32 v33, v30
	v_mov_b32_e32 v29, v37
	v_pk_add_f32 v[38:39], v[32:33], v[28:29] neg_lo:[0,1] neg_hi:[0,1]
	v_pk_add_f32 v[28:29], v[32:33], v[28:29]
	v_mov_b32_e32 v34, v35
	v_mov_b32_e32 v32, v29
	v_pk_add_f32 v[40:41], v[32:33], v[30:31] neg_lo:[0,1] neg_hi:[0,1]
	v_mov_b32_e32 v28, v37
	v_mov_b32_e32 v1, v40
	v_pk_add_f32 v[42:43], v[36:37], v[0:1] neg_lo:[0,1] neg_hi:[0,1]
	v_mov_b32_e32 v36, v31
	v_mov_b32_e32 v37, v40
	v_mov_b32_e32 v39, v29
	v_pk_add_f32 v[28:29], v[28:29], v[36:37] neg_lo:[0,1] neg_hi:[0,1]
	v_mov_b32_e32 v35, v30
	v_pk_add_f32 v[28:29], v[34:35], v[28:29] neg_lo:[0,1] neg_hi:[0,1]
	v_mov_b32_e32 v42, v38
	v_pk_add_f32 v[30:31], v[42:43], v[28:29]
	s_mov_b32 s2, 0x33800000
	v_mov_b32_e32 v34, v31
	v_pk_add_f32 v[34:35], v[30:31], v[34:35]
	v_cmp_lt_f32_e64 s[2:3], |v7|, s2
	v_pk_add_f32 v[32:33], v[32:33], v[34:35]
	v_mov_b32_e32 v29, v34
	v_mov_b32_e32 v31, v32
	v_pk_add_f32 v[36:37], v[30:31], v[38:39] neg_lo:[0,1] neg_hi:[0,1]
	s_or_b64 vcc, vcc, s[2:3]
	v_sub_f32_e32 v1, v30, v36
	v_pk_add_f32 v[28:29], v[28:29], v[36:37] neg_lo:[0,1] neg_hi:[0,1]
	v_sub_f32_e32 v1, v38, v1
	v_add_f32_e32 v1, v28, v1
	v_add_f32_e32 v1, v1, v29
	;; [unrolled: 1-line block ×3, first 2 shown]
	v_cndmask_b32_e32 v1, v1, v7, vcc
	v_add_f32_e32 v1, v25, v1
	v_cvt_f16_f32_e32 v31, v1
	v_cvt_f32_f16_e32 v1, v31
	v_mov_b32_e32 v7, v31
.LBB438_178:
	s_or_b64 exec, exec, s[0:1]
	v_max_f32_e32 v25, v26, v26
	v_max_f32_e32 v29, v1, v1
	v_min_f32_e32 v28, v29, v25
	v_cmp_u_f16_e32 vcc, v31, v31
	v_max_f32_e32 v25, v29, v25
	s_nop 0
	v_cndmask_b32_e32 v28, v28, v1, vcc
	v_cndmask_b32_e32 v25, v25, v1, vcc
	v_cndmask_b32_e64 v28, v28, v26, s[88:89]
	v_cndmask_b32_e64 v26, v25, v26, s[88:89]
	v_cmp_neq_f32_e32 vcc, v28, v26
	v_cmp_class_f32_e64 s[0:1], v28, s33
	s_or_b64 s[2:3], vcc, s[0:1]
	v_mov_b32_e32 v25, v7
	s_and_saveexec_b64 s[0:1], s[2:3]
	s_cbranch_execz .LBB438_180
; %bb.179:
	v_sub_f32_e32 v1, v28, v26
	s_mov_b32 s2, 0x3fb8aa3b
	v_mul_f32_e32 v25, 0x3fb8aa3b, v1
	v_fma_f32 v28, v1, s2, -v25
	v_rndne_f32_e32 v29, v25
	v_fmamk_f32 v28, v1, 0x32a5705f, v28
	v_sub_f32_e32 v25, v25, v29
	v_add_f32_e32 v25, v25, v28
	v_exp_f32_e32 v25, v25
	v_cvt_i32_f32_e32 v28, v29
	s_mov_b32 s2, 0xc2ce8ed0
	v_cmp_ngt_f32_e32 vcc, s2, v1
	s_mov_b32 s2, 0x42b17218
	v_ldexp_f32 v25, v25, v28
	v_cndmask_b32_e32 v25, 0, v25, vcc
	v_mov_b32_e32 v28, 0x7f800000
	v_cmp_nlt_f32_e32 vcc, s2, v1
	s_mov_b32 s2, 0x3f2aaaab
	s_mov_b32 s3, 0x7f800000
	v_cndmask_b32_e32 v25, v28, v25, vcc
	v_add_f32_e32 v1, 1.0, v25
	v_add_f32_e32 v28, -1.0, v1
	v_sub_f32_e32 v29, v28, v1
	v_add_f32_e32 v29, 1.0, v29
	v_sub_f32_e32 v28, v25, v28
	v_add_f32_e32 v30, v28, v29
	v_frexp_mant_f32_e32 v31, v1
	v_cvt_f64_f32_e32 v[28:29], v1
	v_frexp_exp_i32_f64_e32 v28, v[28:29]
	v_cmp_gt_f32_e32 vcc, s2, v31
	s_mov_b32 s2, 0x3f317218
	s_nop 0
	v_subbrev_co_u32_e32 v36, vcc, 0, v28, vcc
	v_sub_u32_e32 v28, 0, v36
	v_ldexp_f32 v1, v1, v28
	v_ldexp_f32 v28, v30, v28
	v_add_f32_e32 v30, -1.0, v1
	v_add_f32_e32 v29, 1.0, v30
	v_sub_f32_e32 v29, v1, v29
	v_add_f32_e32 v31, v28, v29
	v_add_f32_e32 v29, 1.0, v1
	s_waitcnt lgkmcnt(0)
	v_add_f32_e32 v32, -1.0, v29
	v_sub_f32_e32 v1, v1, v32
	v_add_f32_e32 v1, v28, v1
	v_add_f32_e32 v37, v29, v1
	v_rcp_f32_e32 v38, v37
	v_sub_f32_e32 v28, v29, v37
	v_add_f32_e32 v29, v30, v31
	v_add_f32_e32 v1, v1, v28
	v_mul_f32_e32 v40, v29, v38
	v_sub_f32_e32 v28, v30, v29
	v_mul_f32_e32 v30, v37, v40
	v_fma_f32 v32, v40, v37, -v30
	v_fmac_f32_e32 v32, v40, v1
	v_add_f32_e32 v39, v31, v28
	v_add_f32_e32 v28, v30, v32
	v_sub_f32_e32 v31, v29, v28
	v_pk_add_f32 v[34:35], v[28:29], v[30:31] neg_lo:[0,1] neg_hi:[0,1]
	v_mov_b32_e32 v33, v28
	v_pk_add_f32 v[28:29], v[34:35], v[32:33] neg_lo:[0,1] neg_hi:[0,1]
	v_cmp_eq_f32_e32 vcc, s3, v25
	v_add_f32_e32 v29, v39, v29
	v_add_f32_e32 v28, v28, v29
	;; [unrolled: 1-line block ×3, first 2 shown]
	v_mul_f32_e32 v39, v38, v29
	v_mul_f32_e32 v30, v37, v39
	v_fma_f32 v32, v39, v37, -v30
	v_fmac_f32_e32 v32, v39, v1
	v_sub_f32_e32 v1, v31, v29
	v_add_f32_e32 v1, v28, v1
	v_add_f32_e32 v28, v30, v32
	v_sub_f32_e32 v31, v29, v28
	v_pk_add_f32 v[34:35], v[28:29], v[30:31] neg_lo:[0,1] neg_hi:[0,1]
	v_mov_b32_e32 v33, v28
	v_pk_add_f32 v[28:29], v[34:35], v[32:33] neg_lo:[0,1] neg_hi:[0,1]
	v_cvt_f32_i32_e32 v30, v36
	v_add_f32_e32 v1, v1, v29
	v_add_f32_e32 v1, v28, v1
	;; [unrolled: 1-line block ×4, first 2 shown]
	v_sub_f32_e32 v29, v28, v40
	v_mul_f32_e32 v1, v38, v1
	v_sub_f32_e32 v29, v39, v29
	v_add_f32_e32 v1, v29, v1
	v_add_f32_e32 v31, v28, v1
	v_mul_f32_e32 v32, v31, v31
	v_mov_b32_e32 v29, 0x3ecc95a3
	v_fmac_f32_e32 v29, 0x3e9b6dac, v32
	v_sub_f32_e32 v28, v31, v28
	v_fmaak_f32 v29, v32, v29, 0x3f2aaada
	v_sub_f32_e32 v1, v1, v28
	v_ldexp_f32 v33, v31, 1
	v_mul_f32_e32 v31, v31, v32
	v_mov_b32_e32 v28, 0x3f317218
	v_pk_mul_f32 v[28:29], v[30:31], v[28:29]
	v_ldexp_f32 v1, v1, 1
	v_fma_f32 v31, v30, s2, -v28
	v_fmamk_f32 v32, v30, 0xb102e308, v31
	v_pk_add_f32 v[30:31], v[28:29], v[32:33]
	v_mov_b32_e32 v34, v28
	v_sub_f32_e32 v33, v31, v33
	v_sub_f32_e32 v33, v29, v33
	v_add_f32_e32 v35, v1, v33
	v_pk_add_f32 v[28:29], v[30:31], v[28:29] neg_lo:[0,1] neg_hi:[0,1]
	v_pk_add_f32 v[36:37], v[30:31], v[34:35]
	v_mov_b32_e32 v33, v30
	v_mov_b32_e32 v29, v37
	v_pk_add_f32 v[38:39], v[32:33], v[28:29] neg_lo:[0,1] neg_hi:[0,1]
	v_pk_add_f32 v[28:29], v[32:33], v[28:29]
	v_mov_b32_e32 v34, v35
	v_mov_b32_e32 v32, v29
	v_pk_add_f32 v[40:41], v[32:33], v[30:31] neg_lo:[0,1] neg_hi:[0,1]
	v_mov_b32_e32 v28, v37
	v_mov_b32_e32 v1, v40
	v_pk_add_f32 v[42:43], v[36:37], v[0:1] neg_lo:[0,1] neg_hi:[0,1]
	v_mov_b32_e32 v36, v31
	v_mov_b32_e32 v37, v40
	;; [unrolled: 1-line block ×3, first 2 shown]
	v_pk_add_f32 v[28:29], v[28:29], v[36:37] neg_lo:[0,1] neg_hi:[0,1]
	v_mov_b32_e32 v35, v30
	v_pk_add_f32 v[28:29], v[34:35], v[28:29] neg_lo:[0,1] neg_hi:[0,1]
	v_mov_b32_e32 v42, v38
	v_pk_add_f32 v[30:31], v[42:43], v[28:29]
	s_mov_b32 s2, 0x33800000
	v_mov_b32_e32 v34, v31
	v_pk_add_f32 v[34:35], v[30:31], v[34:35]
	v_cmp_lt_f32_e64 s[2:3], |v25|, s2
	v_pk_add_f32 v[32:33], v[32:33], v[34:35]
	v_mov_b32_e32 v29, v34
	v_mov_b32_e32 v31, v32
	v_pk_add_f32 v[36:37], v[30:31], v[38:39] neg_lo:[0,1] neg_hi:[0,1]
	s_or_b64 vcc, vcc, s[2:3]
	v_sub_f32_e32 v1, v30, v36
	v_pk_add_f32 v[28:29], v[28:29], v[36:37] neg_lo:[0,1] neg_hi:[0,1]
	v_sub_f32_e32 v1, v38, v1
	v_add_f32_e32 v1, v28, v1
	v_add_f32_e32 v1, v1, v29
	v_add_f32_e32 v1, v32, v1
	v_cndmask_b32_e32 v1, v1, v25, vcc
	v_add_f32_e32 v1, v26, v1
	v_cvt_f16_f32_e32 v31, v1
	v_cvt_f32_f16_e32 v1, v31
	v_mov_b32_e32 v25, v31
.LBB438_180:
	s_or_b64 exec, exec, s[0:1]
	v_max_f32_e32 v26, v8, v8
	v_max_f32_e32 v29, v1, v1
	v_min_f32_e32 v28, v29, v26
	v_cmp_u_f16_e32 vcc, v31, v31
	v_max_f32_e32 v26, v29, v26
	s_nop 0
	v_cndmask_b32_e32 v28, v28, v1, vcc
	v_cndmask_b32_e32 v26, v26, v1, vcc
	v_cndmask_b32_e64 v28, v28, v8, s[90:91]
	v_cndmask_b32_e64 v26, v26, v8, s[90:91]
	v_cmp_neq_f32_e32 vcc, v28, v26
	v_cmp_class_f32_e64 s[0:1], v28, s33
	s_or_b64 s[2:3], vcc, s[0:1]
	v_mov_b32_e32 v8, v25
	s_and_saveexec_b64 s[0:1], s[2:3]
	s_cbranch_execz .LBB438_182
; %bb.181:
	v_sub_f32_e32 v1, v28, v26
	s_mov_b32 s2, 0x3fb8aa3b
	v_mul_f32_e32 v8, 0x3fb8aa3b, v1
	v_fma_f32 v28, v1, s2, -v8
	v_rndne_f32_e32 v29, v8
	v_fmamk_f32 v28, v1, 0x32a5705f, v28
	v_sub_f32_e32 v8, v8, v29
	v_add_f32_e32 v8, v8, v28
	v_exp_f32_e32 v8, v8
	v_cvt_i32_f32_e32 v28, v29
	s_mov_b32 s2, 0xc2ce8ed0
	v_cmp_ngt_f32_e32 vcc, s2, v1
	s_mov_b32 s2, 0x42b17218
	v_ldexp_f32 v8, v8, v28
	v_cndmask_b32_e32 v8, 0, v8, vcc
	v_mov_b32_e32 v28, 0x7f800000
	v_cmp_nlt_f32_e32 vcc, s2, v1
	s_mov_b32 s2, 0x3f2aaaab
	s_mov_b32 s3, 0x7f800000
	v_cndmask_b32_e32 v42, v28, v8, vcc
	v_add_f32_e32 v1, 1.0, v42
	v_add_f32_e32 v8, -1.0, v1
	v_sub_f32_e32 v28, v8, v1
	v_add_f32_e32 v28, 1.0, v28
	v_sub_f32_e32 v8, v42, v8
	v_add_f32_e32 v8, v8, v28
	v_frexp_mant_f32_e32 v30, v1
	v_cvt_f64_f32_e32 v[28:29], v1
	v_frexp_exp_i32_f64_e32 v28, v[28:29]
	v_cmp_gt_f32_e32 vcc, s2, v30
	s_mov_b32 s2, 0x3f317218
	s_nop 0
	v_subbrev_co_u32_e32 v36, vcc, 0, v28, vcc
	v_sub_u32_e32 v28, 0, v36
	v_ldexp_f32 v1, v1, v28
	v_ldexp_f32 v8, v8, v28
	v_add_f32_e32 v28, -1.0, v1
	v_add_f32_e32 v29, 1.0, v28
	v_sub_f32_e32 v29, v1, v29
	v_add_f32_e32 v30, v8, v29
	v_add_f32_e32 v29, 1.0, v1
	v_add_f32_e32 v31, -1.0, v29
	v_sub_f32_e32 v1, v1, v31
	v_add_f32_e32 v1, v8, v1
	v_add_f32_e32 v8, v29, v1
	v_rcp_f32_e32 v37, v8
	v_sub_f32_e32 v29, v29, v8
	v_add_f32_e32 v1, v1, v29
	v_add_f32_e32 v29, v28, v30
	v_sub_f32_e32 v28, v28, v29
	v_mul_f32_e32 v39, v29, v37
	v_add_f32_e32 v38, v30, v28
	v_mul_f32_e32 v30, v8, v39
	s_waitcnt lgkmcnt(0)
	v_fma_f32 v32, v39, v8, -v30
	v_fmac_f32_e32 v32, v39, v1
	v_add_f32_e32 v28, v30, v32
	v_sub_f32_e32 v31, v29, v28
	v_pk_add_f32 v[34:35], v[28:29], v[30:31] neg_lo:[0,1] neg_hi:[0,1]
	v_mov_b32_e32 v33, v28
	v_pk_add_f32 v[28:29], v[34:35], v[32:33] neg_lo:[0,1] neg_hi:[0,1]
	v_cmp_eq_f32_e32 vcc, s3, v42
	v_add_f32_e32 v29, v38, v29
	v_add_f32_e32 v28, v28, v29
	;; [unrolled: 1-line block ×3, first 2 shown]
	v_mul_f32_e32 v38, v37, v29
	v_mul_f32_e32 v30, v8, v38
	v_fma_f32 v32, v38, v8, -v30
	v_fmac_f32_e32 v32, v38, v1
	v_sub_f32_e32 v1, v31, v29
	v_add_f32_e32 v1, v28, v1
	v_add_f32_e32 v28, v30, v32
	v_sub_f32_e32 v31, v29, v28
	v_pk_add_f32 v[34:35], v[28:29], v[30:31] neg_lo:[0,1] neg_hi:[0,1]
	v_mov_b32_e32 v33, v28
	v_pk_add_f32 v[28:29], v[34:35], v[32:33] neg_lo:[0,1] neg_hi:[0,1]
	v_add_f32_e32 v8, v39, v38
	v_add_f32_e32 v1, v1, v29
	;; [unrolled: 1-line block ×4, first 2 shown]
	v_sub_f32_e32 v28, v8, v39
	v_mul_f32_e32 v1, v37, v1
	v_sub_f32_e32 v28, v38, v28
	v_add_f32_e32 v1, v28, v1
	v_add_f32_e32 v28, v8, v1
	v_cvt_f32_i32_e32 v30, v36
	v_mul_f32_e32 v31, v28, v28
	v_mov_b32_e32 v29, 0x3ecc95a3
	v_fmac_f32_e32 v29, 0x3e9b6dac, v31
	v_fmaak_f32 v29, v31, v29, 0x3f2aaada
	v_sub_f32_e32 v8, v28, v8
	v_ldexp_f32 v33, v28, 1
	v_mul_f32_e32 v31, v28, v31
	v_mov_b32_e32 v28, 0x3f317218
	v_pk_mul_f32 v[28:29], v[30:31], v[28:29]
	v_sub_f32_e32 v1, v1, v8
	v_fma_f32 v8, v30, s2, -v28
	v_fmamk_f32 v32, v30, 0xb102e308, v8
	v_pk_add_f32 v[30:31], v[28:29], v[32:33]
	v_ldexp_f32 v1, v1, 1
	v_sub_f32_e32 v8, v31, v33
	v_sub_f32_e32 v8, v29, v8
	v_add_f32_e32 v35, v1, v8
	v_mov_b32_e32 v34, v28
	v_pk_add_f32 v[28:29], v[30:31], v[28:29] neg_lo:[0,1] neg_hi:[0,1]
	v_pk_add_f32 v[36:37], v[30:31], v[34:35]
	v_mov_b32_e32 v33, v30
	v_mov_b32_e32 v29, v37
	v_pk_add_f32 v[38:39], v[32:33], v[28:29] neg_lo:[0,1] neg_hi:[0,1]
	v_pk_add_f32 v[28:29], v[32:33], v[28:29]
	s_mov_b32 s2, 0x33800000
	v_mov_b32_e32 v8, v29
	v_pk_add_f32 v[32:33], v[8:9], v[30:31] neg_lo:[0,1] neg_hi:[0,1]
	v_mov_b32_e32 v28, v37
	v_mov_b32_e32 v1, v32
	v_pk_add_f32 v[40:41], v[36:37], v[0:1] neg_lo:[0,1] neg_hi:[0,1]
	v_mov_b32_e32 v36, v31
	v_mov_b32_e32 v37, v32
	;; [unrolled: 1-line block ×3, first 2 shown]
	v_pk_add_f32 v[28:29], v[28:29], v[36:37] neg_lo:[0,1] neg_hi:[0,1]
	v_mov_b32_e32 v32, v35
	v_mov_b32_e32 v33, v30
	v_pk_add_f32 v[28:29], v[32:33], v[28:29] neg_lo:[0,1] neg_hi:[0,1]
	v_mov_b32_e32 v40, v38
	v_pk_add_f32 v[30:31], v[40:41], v[28:29]
	v_cmp_lt_f32_e64 s[2:3], |v42|, s2
	v_mov_b32_e32 v32, v31
	v_pk_add_f32 v[32:33], v[30:31], v[32:33]
	s_or_b64 vcc, vcc, s[2:3]
	v_pk_add_f32 v[34:35], v[8:9], v[32:33]
	v_mov_b32_e32 v29, v32
	v_mov_b32_e32 v31, v34
	v_pk_add_f32 v[36:37], v[30:31], v[38:39] neg_lo:[0,1] neg_hi:[0,1]
	s_nop 0
	v_sub_f32_e32 v1, v30, v36
	v_pk_add_f32 v[28:29], v[28:29], v[36:37] neg_lo:[0,1] neg_hi:[0,1]
	v_sub_f32_e32 v1, v38, v1
	v_add_f32_e32 v1, v28, v1
	v_add_f32_e32 v1, v1, v29
	;; [unrolled: 1-line block ×3, first 2 shown]
	v_cndmask_b32_e32 v1, v1, v42, vcc
	v_add_f32_e32 v1, v26, v1
	v_cvt_f16_f32_e32 v31, v1
	v_cvt_f32_f16_e32 v1, v31
	v_mov_b32_e32 v8, v31
.LBB438_182:
	s_or_b64 exec, exec, s[0:1]
	v_max_f32_e32 v26, v27, v27
	v_max_f32_e32 v29, v1, v1
	v_min_f32_e32 v28, v29, v26
	v_cmp_u_f16_e32 vcc, v31, v31
	v_max_f32_e32 v26, v29, v26
	s_movk_i32 s0, 0x1f8
	v_cndmask_b32_e32 v28, v28, v1, vcc
	v_cndmask_b32_e32 v1, v26, v1, vcc
	v_cndmask_b32_e64 v28, v28, v27, s[92:93]
	v_cndmask_b32_e64 v1, v1, v27, s[92:93]
	v_cmp_neq_f32_e32 vcc, v28, v1
	v_cmp_class_f32_e64 s[0:1], v28, s0
	s_or_b64 s[2:3], vcc, s[0:1]
	v_mov_b32_e32 v26, v8
	s_and_saveexec_b64 s[0:1], s[2:3]
	s_cbranch_execz .LBB438_184
; %bb.183:
	v_sub_f32_e32 v26, v28, v1
	s_mov_b32 s2, 0x3fb8aa3b
	v_mul_f32_e32 v27, 0x3fb8aa3b, v26
	v_fma_f32 v28, v26, s2, -v27
	v_rndne_f32_e32 v29, v27
	v_fmamk_f32 v28, v26, 0x32a5705f, v28
	v_sub_f32_e32 v27, v27, v29
	v_add_f32_e32 v27, v27, v28
	v_exp_f32_e32 v27, v27
	v_cvt_i32_f32_e32 v28, v29
	s_mov_b32 s2, 0xc2ce8ed0
	v_cmp_ngt_f32_e32 vcc, s2, v26
	s_mov_b32 s2, 0x42b17218
	v_ldexp_f32 v27, v27, v28
	v_cndmask_b32_e32 v27, 0, v27, vcc
	v_mov_b32_e32 v28, 0x7f800000
	v_cmp_nlt_f32_e32 vcc, s2, v26
	s_mov_b32 s2, 0x3f2aaaab
	s_mov_b32 s3, 0x7f800000
	v_cndmask_b32_e32 v42, v28, v27, vcc
	v_add_f32_e32 v28, 1.0, v42
	v_add_f32_e32 v26, -1.0, v28
	v_sub_f32_e32 v27, v26, v28
	v_add_f32_e32 v27, 1.0, v27
	v_sub_f32_e32 v26, v42, v26
	v_add_f32_e32 v29, v26, v27
	v_frexp_mant_f32_e32 v30, v28
	v_cvt_f64_f32_e32 v[26:27], v28
	v_frexp_exp_i32_f64_e32 v26, v[26:27]
	v_cmp_gt_f32_e32 vcc, s2, v30
	s_mov_b32 s2, 0x3f317218
	s_nop 0
	v_subbrev_co_u32_e32 v34, vcc, 0, v26, vcc
	v_sub_u32_e32 v26, 0, v34
	v_ldexp_f32 v27, v28, v26
	v_add_f32_e32 v28, -1.0, v27
	v_add_f32_e32 v30, 1.0, v27
	v_ldexp_f32 v26, v29, v26
	v_add_f32_e32 v29, 1.0, v28
	v_add_f32_e32 v31, -1.0, v30
	v_sub_f32_e32 v29, v27, v29
	v_sub_f32_e32 v27, v27, v31
	v_add_f32_e32 v29, v26, v29
	v_add_f32_e32 v26, v26, v27
	;; [unrolled: 1-line block ×3, first 2 shown]
	v_rcp_f32_e32 v37, v35
	v_sub_f32_e32 v27, v30, v35
	v_add_f32_e32 v36, v26, v27
	v_add_f32_e32 v27, v28, v29
	v_mul_f32_e32 v39, v27, v37
	v_sub_f32_e32 v26, v28, v27
	v_mul_f32_e32 v28, v35, v39
	v_fma_f32 v30, v39, v35, -v28
	v_fmac_f32_e32 v30, v39, v36
	v_add_f32_e32 v38, v29, v26
	v_add_f32_e32 v26, v28, v30
	v_sub_f32_e32 v29, v27, v26
	s_waitcnt lgkmcnt(0)
	v_pk_add_f32 v[32:33], v[26:27], v[28:29] neg_lo:[0,1] neg_hi:[0,1]
	v_mov_b32_e32 v31, v26
	v_pk_add_f32 v[26:27], v[32:33], v[30:31] neg_lo:[0,1] neg_hi:[0,1]
	v_cmp_eq_f32_e32 vcc, s3, v42
	v_add_f32_e32 v27, v38, v27
	v_add_f32_e32 v26, v26, v27
	v_add_f32_e32 v27, v29, v26
	v_mul_f32_e32 v38, v37, v27
	v_mul_f32_e32 v28, v35, v38
	v_fma_f32 v30, v38, v35, -v28
	v_fmac_f32_e32 v30, v38, v36
	v_sub_f32_e32 v29, v29, v27
	v_add_f32_e32 v35, v26, v29
	v_add_f32_e32 v26, v28, v30
	v_sub_f32_e32 v29, v27, v26
	v_pk_add_f32 v[32:33], v[26:27], v[28:29] neg_lo:[0,1] neg_hi:[0,1]
	v_mov_b32_e32 v31, v26
	v_pk_add_f32 v[26:27], v[32:33], v[30:31] neg_lo:[0,1] neg_hi:[0,1]
	v_cvt_f32_i32_e32 v28, v34
	v_add_f32_e32 v27, v35, v27
	v_add_f32_e32 v26, v26, v27
	;; [unrolled: 1-line block ×4, first 2 shown]
	v_sub_f32_e32 v27, v29, v39
	v_mul_f32_e32 v26, v37, v26
	v_sub_f32_e32 v27, v38, v27
	v_add_f32_e32 v26, v27, v26
	v_add_f32_e32 v30, v29, v26
	v_mul_f32_e32 v32, v30, v30
	v_mov_b32_e32 v27, 0x3ecc95a3
	v_sub_f32_e32 v29, v30, v29
	v_fmac_f32_e32 v27, 0x3e9b6dac, v32
	v_sub_f32_e32 v26, v26, v29
	v_fmaak_f32 v27, v32, v27, 0x3f2aaada
	v_ldexp_f32 v33, v26, 1
	v_mul_f32_e32 v29, v30, v32
	v_mov_b32_e32 v26, 0x3f317218
	v_pk_mul_f32 v[26:27], v[28:29], v[26:27]
	v_ldexp_f32 v31, v30, 1
	v_fma_f32 v29, v28, s2, -v26
	v_fmamk_f32 v30, v28, 0xb102e308, v29
	v_pk_add_f32 v[28:29], v[26:27], v[30:31]
	v_mov_b32_e32 v32, v26
	v_sub_f32_e32 v31, v29, v31
	v_sub_f32_e32 v31, v27, v31
	v_add_f32_e32 v33, v33, v31
	v_pk_add_f32 v[26:27], v[28:29], v[26:27] neg_lo:[0,1] neg_hi:[0,1]
	v_pk_add_f32 v[34:35], v[28:29], v[32:33]
	v_mov_b32_e32 v31, v28
	v_mov_b32_e32 v27, v35
	v_pk_add_f32 v[36:37], v[30:31], v[26:27] neg_lo:[0,1] neg_hi:[0,1]
	v_pk_add_f32 v[26:27], v[30:31], v[26:27]
	v_mov_b32_e32 v32, v33
	v_mov_b32_e32 v30, v27
	v_pk_add_f32 v[38:39], v[30:31], v[28:29] neg_lo:[0,1] neg_hi:[0,1]
	v_mov_b32_e32 v26, v35
	v_mov_b32_e32 v31, v38
	v_pk_add_f32 v[40:41], v[34:35], v[30:31] neg_lo:[0,1] neg_hi:[0,1]
	v_mov_b32_e32 v34, v29
	v_mov_b32_e32 v35, v38
	;; [unrolled: 1-line block ×3, first 2 shown]
	v_pk_add_f32 v[26:27], v[26:27], v[34:35] neg_lo:[0,1] neg_hi:[0,1]
	v_mov_b32_e32 v33, v28
	v_pk_add_f32 v[26:27], v[32:33], v[26:27] neg_lo:[0,1] neg_hi:[0,1]
	v_mov_b32_e32 v40, v36
	v_pk_add_f32 v[28:29], v[40:41], v[26:27]
	s_mov_b32 s2, 0x33800000
	v_mov_b32_e32 v32, v29
	v_pk_add_f32 v[32:33], v[28:29], v[32:33]
	v_cmp_lt_f32_e64 s[2:3], |v42|, s2
	v_pk_add_f32 v[30:31], v[30:31], v[32:33]
	v_mov_b32_e32 v27, v32
	v_mov_b32_e32 v29, v30
	v_pk_add_f32 v[34:35], v[28:29], v[36:37] neg_lo:[0,1] neg_hi:[0,1]
	s_or_b64 vcc, vcc, s[2:3]
	v_sub_f32_e32 v28, v28, v34
	v_pk_add_f32 v[26:27], v[26:27], v[34:35] neg_lo:[0,1] neg_hi:[0,1]
	v_sub_f32_e32 v28, v36, v28
	v_add_f32_e32 v26, v26, v28
	v_add_f32_e32 v26, v26, v27
	;; [unrolled: 1-line block ×3, first 2 shown]
	v_cndmask_b32_e32 v26, v26, v42, vcc
	v_add_f32_e32 v1, v1, v26
	v_cvt_f16_f32_e32 v26, v1
.LBB438_184:
	s_or_b64 exec, exec, s[0:1]
	s_mov_b32 s0, 0x5040100
	v_add_u32_e32 v9, v14, v9
	v_perm_b32 v30, v17, v3, s0
	v_perm_b32 v28, v0, v2, s0
	;; [unrolled: 1-line block ×6, first 2 shown]
	s_waitcnt lgkmcnt(0)
	s_barrier
	v_perm_b32 v31, v18, v4, s0
	v_perm_b32 v29, v16, v15, s0
	ds_write_b128 v9, v[0:3] offset:16
	v_perm_b32 v3, v26, v8, s0
	v_perm_b32 v2, v25, v7, s0
	;; [unrolled: 1-line block ×4, first 2 shown]
	ds_write_b128 v9, v[28:31]
	ds_write_b128 v9, v[0:3] offset:32
	s_waitcnt lgkmcnt(0)
	s_barrier
	ds_read_u16 v26, v14 offset:512
	ds_read_u16 v25, v14 offset:1024
	;; [unrolled: 1-line block ×23, first 2 shown]
	v_readlane_b32 s0, v53, 6
	v_mov_b32_e32 v15, 0
	v_readlane_b32 s1, v53, 7
	s_nop 1
	v_lshl_add_u64 v[0:1], s[0:1], 0, v[14:15]
	s_mov_b64 s[0:1], exec
	v_readlane_b32 s2, v53, 0
	v_readlane_b32 s3, v53, 1
	s_and_b64 s[2:3], s[0:1], s[2:3]
	s_mov_b64 exec, s[2:3]
	s_cbranch_execz .LBB438_186
; %bb.185:
	ds_read_u16 v14, v14
	s_waitcnt lgkmcnt(0)
	global_store_short v[0:1], v14, off
.LBB438_186:
	s_or_b64 exec, exec, s[0:1]
	s_mov_b64 s[0:1], exec
	v_readlane_b32 s2, v53, 2
	v_readlane_b32 s3, v53, 3
	s_and_b64 s[2:3], s[0:1], s[2:3]
	s_mov_b64 exec, s[2:3]
	s_cbranch_execz .LBB438_188
; %bb.187:
	s_waitcnt lgkmcnt(14)
	global_store_short v[0:1], v26, off offset:512
.LBB438_188:
	s_or_b64 exec, exec, s[0:1]
	s_mov_b64 s[0:1], exec
	v_readlane_b32 s2, v53, 4
	v_readlane_b32 s3, v53, 5
	s_and_b64 s[2:3], s[0:1], s[2:3]
	s_mov_b64 exec, s[2:3]
	s_cbranch_execnz .LBB438_211
; %bb.189:
	s_or_b64 exec, exec, s[0:1]
	s_and_saveexec_b64 s[0:1], s[4:5]
	s_cbranch_execnz .LBB438_212
.LBB438_190:
	s_or_b64 exec, exec, s[0:1]
	s_and_saveexec_b64 s[0:1], s[6:7]
	s_cbranch_execnz .LBB438_213
.LBB438_191:
	s_or_b64 exec, exec, s[0:1]
	s_and_saveexec_b64 s[0:1], s[8:9]
	s_cbranch_execnz .LBB438_214
.LBB438_192:
	s_or_b64 exec, exec, s[0:1]
	s_and_saveexec_b64 s[0:1], s[10:11]
	s_cbranch_execnz .LBB438_215
.LBB438_193:
	s_or_b64 exec, exec, s[0:1]
	s_and_saveexec_b64 s[0:1], s[12:13]
	s_cbranch_execnz .LBB438_216
.LBB438_194:
	s_or_b64 exec, exec, s[0:1]
	s_and_saveexec_b64 s[0:1], s[14:15]
	s_cbranch_execnz .LBB438_217
.LBB438_195:
	s_or_b64 exec, exec, s[0:1]
	s_and_saveexec_b64 s[0:1], s[16:17]
	s_cbranch_execnz .LBB438_218
.LBB438_196:
	s_or_b64 exec, exec, s[0:1]
	s_and_saveexec_b64 s[0:1], s[18:19]
	s_cbranch_execnz .LBB438_219
.LBB438_197:
	s_or_b64 exec, exec, s[0:1]
	s_and_saveexec_b64 s[0:1], s[20:21]
	s_cbranch_execnz .LBB438_220
.LBB438_198:
	s_or_b64 exec, exec, s[0:1]
	s_and_saveexec_b64 s[0:1], s[22:23]
	s_cbranch_execnz .LBB438_221
.LBB438_199:
	s_or_b64 exec, exec, s[0:1]
	s_and_saveexec_b64 s[0:1], s[24:25]
	s_cbranch_execnz .LBB438_222
.LBB438_200:
	s_or_b64 exec, exec, s[0:1]
	s_and_saveexec_b64 s[0:1], s[26:27]
	s_cbranch_execnz .LBB438_223
.LBB438_201:
	s_or_b64 exec, exec, s[0:1]
	s_and_saveexec_b64 s[0:1], s[28:29]
	s_cbranch_execnz .LBB438_224
.LBB438_202:
	s_or_b64 exec, exec, s[0:1]
	s_and_saveexec_b64 s[0:1], s[30:31]
	s_cbranch_execnz .LBB438_225
.LBB438_203:
	s_or_b64 exec, exec, s[0:1]
	s_and_saveexec_b64 s[0:1], s[34:35]
	s_cbranch_execnz .LBB438_226
.LBB438_204:
	s_or_b64 exec, exec, s[0:1]
	s_and_saveexec_b64 s[0:1], s[36:37]
	s_cbranch_execnz .LBB438_227
.LBB438_205:
	s_or_b64 exec, exec, s[0:1]
	s_and_saveexec_b64 s[0:1], s[38:39]
	s_cbranch_execnz .LBB438_228
.LBB438_206:
	s_or_b64 exec, exec, s[0:1]
	s_and_saveexec_b64 s[0:1], s[40:41]
	s_cbranch_execnz .LBB438_229
.LBB438_207:
	s_or_b64 exec, exec, s[0:1]
	s_and_saveexec_b64 s[0:1], s[42:43]
	s_cbranch_execnz .LBB438_230
.LBB438_208:
	s_or_b64 exec, exec, s[0:1]
	s_and_saveexec_b64 s[0:1], s[44:45]
	s_cbranch_execnz .LBB438_231
.LBB438_209:
	s_or_b64 exec, exec, s[0:1]
	s_and_saveexec_b64 s[0:1], s[46:47]
	s_cbranch_execnz .LBB438_232
.LBB438_210:
	s_endpgm
.LBB438_211:
	s_waitcnt lgkmcnt(14)
	global_store_short v[0:1], v25, off offset:1024
	s_or_b64 exec, exec, s[0:1]
	s_and_saveexec_b64 s[0:1], s[4:5]
	s_cbranch_execz .LBB438_190
.LBB438_212:
	s_waitcnt lgkmcnt(14)
	global_store_short v[0:1], v24, off offset:1536
	s_or_b64 exec, exec, s[0:1]
	s_and_saveexec_b64 s[0:1], s[6:7]
	s_cbranch_execz .LBB438_191
.LBB438_213:
	s_waitcnt lgkmcnt(14)
	global_store_short v[0:1], v23, off offset:2048
	s_or_b64 exec, exec, s[0:1]
	s_and_saveexec_b64 s[0:1], s[8:9]
	s_cbranch_execz .LBB438_192
.LBB438_214:
	s_waitcnt lgkmcnt(14)
	global_store_short v[0:1], v22, off offset:2560
	s_or_b64 exec, exec, s[0:1]
	s_and_saveexec_b64 s[0:1], s[10:11]
	s_cbranch_execz .LBB438_193
.LBB438_215:
	s_waitcnt lgkmcnt(14)
	global_store_short v[0:1], v21, off offset:3072
	s_or_b64 exec, exec, s[0:1]
	s_and_saveexec_b64 s[0:1], s[12:13]
	s_cbranch_execz .LBB438_194
.LBB438_216:
	s_waitcnt lgkmcnt(14)
	global_store_short v[0:1], v20, off offset:3584
	s_or_b64 exec, exec, s[0:1]
	s_and_saveexec_b64 s[0:1], s[14:15]
	s_cbranch_execz .LBB438_195
.LBB438_217:
	v_add_co_u32_e32 v14, vcc, 0x1000, v0
	s_nop 1
	v_addc_co_u32_e32 v15, vcc, 0, v1, vcc
	s_waitcnt lgkmcnt(14)
	global_store_short v[14:15], v19, off
	s_or_b64 exec, exec, s[0:1]
	s_and_saveexec_b64 s[0:1], s[16:17]
	s_cbranch_execz .LBB438_196
.LBB438_218:
	v_add_co_u32_e32 v14, vcc, 0x1000, v0
	s_nop 1
	v_addc_co_u32_e32 v15, vcc, 0, v1, vcc
	s_waitcnt lgkmcnt(14)
	global_store_short v[14:15], v18, off offset:512
	s_or_b64 exec, exec, s[0:1]
	s_and_saveexec_b64 s[0:1], s[18:19]
	s_cbranch_execz .LBB438_197
.LBB438_219:
	v_add_co_u32_e32 v14, vcc, 0x1000, v0
	s_nop 1
	v_addc_co_u32_e32 v15, vcc, 0, v1, vcc
	s_waitcnt lgkmcnt(13)
	global_store_short v[14:15], v17, off offset:1024
	s_or_b64 exec, exec, s[0:1]
	s_and_saveexec_b64 s[0:1], s[20:21]
	s_cbranch_execz .LBB438_198
.LBB438_220:
	v_add_co_u32_e32 v14, vcc, 0x1000, v0
	s_nop 1
	v_addc_co_u32_e32 v15, vcc, 0, v1, vcc
	s_waitcnt lgkmcnt(12)
	global_store_short v[14:15], v16, off offset:1536
	s_or_b64 exec, exec, s[0:1]
	s_and_saveexec_b64 s[0:1], s[22:23]
	s_cbranch_execz .LBB438_199
.LBB438_221:
	v_add_co_u32_e32 v14, vcc, 0x1000, v0
	s_nop 1
	v_addc_co_u32_e32 v15, vcc, 0, v1, vcc
	s_waitcnt lgkmcnt(11)
	global_store_short v[14:15], v13, off offset:2048
	s_or_b64 exec, exec, s[0:1]
	s_and_saveexec_b64 s[0:1], s[24:25]
	s_cbranch_execz .LBB438_200
.LBB438_222:
	v_add_co_u32_e32 v14, vcc, 0x1000, v0
	s_nop 1
	v_addc_co_u32_e32 v15, vcc, 0, v1, vcc
	s_waitcnt lgkmcnt(10)
	global_store_short v[14:15], v12, off offset:2560
	s_or_b64 exec, exec, s[0:1]
	s_and_saveexec_b64 s[0:1], s[26:27]
	s_cbranch_execz .LBB438_201
.LBB438_223:
	s_waitcnt lgkmcnt(10)
	v_add_co_u32_e32 v12, vcc, 0x1000, v0
	s_nop 1
	v_addc_co_u32_e32 v13, vcc, 0, v1, vcc
	s_waitcnt lgkmcnt(9)
	global_store_short v[12:13], v11, off offset:3072
	s_or_b64 exec, exec, s[0:1]
	s_and_saveexec_b64 s[0:1], s[28:29]
	s_cbranch_execz .LBB438_202
.LBB438_224:
	s_waitcnt lgkmcnt(10)
	v_add_co_u32_e32 v12, vcc, 0x1000, v0
	s_nop 1
	v_addc_co_u32_e32 v13, vcc, 0, v1, vcc
	s_waitcnt lgkmcnt(8)
	global_store_short v[12:13], v10, off offset:3584
	s_or_b64 exec, exec, s[0:1]
	s_and_saveexec_b64 s[0:1], s[30:31]
	s_cbranch_execz .LBB438_203
.LBB438_225:
	s_waitcnt lgkmcnt(8)
	v_add_co_u32_e32 v10, vcc, 0x2000, v0
	s_nop 1
	v_addc_co_u32_e32 v11, vcc, 0, v1, vcc
	s_waitcnt lgkmcnt(7)
	global_store_short v[10:11], v9, off
	s_or_b64 exec, exec, s[0:1]
	s_and_saveexec_b64 s[0:1], s[34:35]
	s_cbranch_execz .LBB438_204
.LBB438_226:
	s_waitcnt lgkmcnt(8)
	v_add_co_u32_e32 v10, vcc, 0x2000, v0
	s_nop 1
	v_addc_co_u32_e32 v11, vcc, 0, v1, vcc
	s_waitcnt lgkmcnt(6)
	global_store_short v[10:11], v8, off offset:512
	s_or_b64 exec, exec, s[0:1]
	s_and_saveexec_b64 s[0:1], s[36:37]
	s_cbranch_execz .LBB438_205
.LBB438_227:
	s_waitcnt lgkmcnt(6)
	v_add_co_u32_e32 v8, vcc, 0x2000, v0
	s_nop 1
	v_addc_co_u32_e32 v9, vcc, 0, v1, vcc
	s_waitcnt lgkmcnt(5)
	global_store_short v[8:9], v7, off offset:1024
	s_or_b64 exec, exec, s[0:1]
	s_and_saveexec_b64 s[0:1], s[38:39]
	s_cbranch_execz .LBB438_206
.LBB438_228:
	s_waitcnt lgkmcnt(6)
	v_add_co_u32_e32 v8, vcc, 0x2000, v0
	s_nop 1
	v_addc_co_u32_e32 v9, vcc, 0, v1, vcc
	s_waitcnt lgkmcnt(4)
	global_store_short v[8:9], v6, off offset:1536
	s_or_b64 exec, exec, s[0:1]
	s_and_saveexec_b64 s[0:1], s[40:41]
	s_cbranch_execz .LBB438_207
.LBB438_229:
	s_waitcnt lgkmcnt(4)
	v_add_co_u32_e32 v6, vcc, 0x2000, v0
	s_nop 1
	v_addc_co_u32_e32 v7, vcc, 0, v1, vcc
	s_waitcnt lgkmcnt(3)
	global_store_short v[6:7], v5, off offset:2048
	s_or_b64 exec, exec, s[0:1]
	s_and_saveexec_b64 s[0:1], s[42:43]
	s_cbranch_execz .LBB438_208
.LBB438_230:
	s_waitcnt lgkmcnt(4)
	v_add_co_u32_e32 v6, vcc, 0x2000, v0
	s_nop 1
	v_addc_co_u32_e32 v7, vcc, 0, v1, vcc
	s_waitcnt lgkmcnt(2)
	global_store_short v[6:7], v4, off offset:2560
	s_or_b64 exec, exec, s[0:1]
	s_and_saveexec_b64 s[0:1], s[44:45]
	s_cbranch_execz .LBB438_209
.LBB438_231:
	s_waitcnt lgkmcnt(2)
	v_add_co_u32_e32 v4, vcc, 0x2000, v0
	s_nop 1
	v_addc_co_u32_e32 v5, vcc, 0, v1, vcc
	s_waitcnt lgkmcnt(1)
	global_store_short v[4:5], v3, off offset:3072
	s_or_b64 exec, exec, s[0:1]
	s_and_saveexec_b64 s[0:1], s[46:47]
	s_cbranch_execz .LBB438_210
.LBB438_232:
	v_add_co_u32_e32 v0, vcc, 0x2000, v0
	s_nop 1
	v_addc_co_u32_e32 v1, vcc, 0, v1, vcc
	s_waitcnt lgkmcnt(0)
	global_store_short v[0:1], v2, off offset:3584
	s_endpgm
	.section	.rodata,"a",@progbits
	.p2align	6, 0x0
	.amdhsa_kernel _ZN7rocprim17ROCPRIM_400000_NS6detail17trampoline_kernelINS0_14default_configENS1_20scan_config_selectorIN3c104HalfEEEZZNS1_9scan_implILNS1_25lookback_scan_determinismE0ELb0ELb0ES3_PKS6_PS6_S6_ZZZN2at6native31launch_logcumsumexp_cuda_kernelERKNSD_10TensorBaseESH_lENKUlvE_clEvENKUlvE3_clEvEUlS6_S6_E_S6_EEDaPvRmT3_T4_T5_mT6_P12ihipStream_tbENKUlT_T0_E_clISt17integral_constantIbLb0EESX_IbLb1EEEEDaST_SU_EUlST_E0_NS1_11comp_targetILNS1_3genE5ELNS1_11target_archE942ELNS1_3gpuE9ELNS1_3repE0EEENS1_30default_config_static_selectorELNS0_4arch9wavefront6targetE1EEEvT1_
		.amdhsa_group_segment_fixed_size 12288
		.amdhsa_private_segment_fixed_size 0
		.amdhsa_kernarg_size 32
		.amdhsa_user_sgpr_count 2
		.amdhsa_user_sgpr_dispatch_ptr 0
		.amdhsa_user_sgpr_queue_ptr 0
		.amdhsa_user_sgpr_kernarg_segment_ptr 1
		.amdhsa_user_sgpr_dispatch_id 0
		.amdhsa_user_sgpr_kernarg_preload_length 0
		.amdhsa_user_sgpr_kernarg_preload_offset 0
		.amdhsa_user_sgpr_private_segment_size 0
		.amdhsa_uses_dynamic_stack 0
		.amdhsa_enable_private_segment 0
		.amdhsa_system_sgpr_workgroup_id_x 1
		.amdhsa_system_sgpr_workgroup_id_y 0
		.amdhsa_system_sgpr_workgroup_id_z 0
		.amdhsa_system_sgpr_workgroup_info 0
		.amdhsa_system_vgpr_workitem_id 0
		.amdhsa_next_free_vgpr 54
		.amdhsa_next_free_sgpr 100
		.amdhsa_accum_offset 56
		.amdhsa_reserve_vcc 1
		.amdhsa_float_round_mode_32 0
		.amdhsa_float_round_mode_16_64 0
		.amdhsa_float_denorm_mode_32 3
		.amdhsa_float_denorm_mode_16_64 3
		.amdhsa_dx10_clamp 1
		.amdhsa_ieee_mode 1
		.amdhsa_fp16_overflow 0
		.amdhsa_tg_split 0
		.amdhsa_exception_fp_ieee_invalid_op 0
		.amdhsa_exception_fp_denorm_src 0
		.amdhsa_exception_fp_ieee_div_zero 0
		.amdhsa_exception_fp_ieee_overflow 0
		.amdhsa_exception_fp_ieee_underflow 0
		.amdhsa_exception_fp_ieee_inexact 0
		.amdhsa_exception_int_div_zero 0
	.end_amdhsa_kernel
	.section	.text._ZN7rocprim17ROCPRIM_400000_NS6detail17trampoline_kernelINS0_14default_configENS1_20scan_config_selectorIN3c104HalfEEEZZNS1_9scan_implILNS1_25lookback_scan_determinismE0ELb0ELb0ES3_PKS6_PS6_S6_ZZZN2at6native31launch_logcumsumexp_cuda_kernelERKNSD_10TensorBaseESH_lENKUlvE_clEvENKUlvE3_clEvEUlS6_S6_E_S6_EEDaPvRmT3_T4_T5_mT6_P12ihipStream_tbENKUlT_T0_E_clISt17integral_constantIbLb0EESX_IbLb1EEEEDaST_SU_EUlST_E0_NS1_11comp_targetILNS1_3genE5ELNS1_11target_archE942ELNS1_3gpuE9ELNS1_3repE0EEENS1_30default_config_static_selectorELNS0_4arch9wavefront6targetE1EEEvT1_,"axG",@progbits,_ZN7rocprim17ROCPRIM_400000_NS6detail17trampoline_kernelINS0_14default_configENS1_20scan_config_selectorIN3c104HalfEEEZZNS1_9scan_implILNS1_25lookback_scan_determinismE0ELb0ELb0ES3_PKS6_PS6_S6_ZZZN2at6native31launch_logcumsumexp_cuda_kernelERKNSD_10TensorBaseESH_lENKUlvE_clEvENKUlvE3_clEvEUlS6_S6_E_S6_EEDaPvRmT3_T4_T5_mT6_P12ihipStream_tbENKUlT_T0_E_clISt17integral_constantIbLb0EESX_IbLb1EEEEDaST_SU_EUlST_E0_NS1_11comp_targetILNS1_3genE5ELNS1_11target_archE942ELNS1_3gpuE9ELNS1_3repE0EEENS1_30default_config_static_selectorELNS0_4arch9wavefront6targetE1EEEvT1_,comdat
.Lfunc_end438:
	.size	_ZN7rocprim17ROCPRIM_400000_NS6detail17trampoline_kernelINS0_14default_configENS1_20scan_config_selectorIN3c104HalfEEEZZNS1_9scan_implILNS1_25lookback_scan_determinismE0ELb0ELb0ES3_PKS6_PS6_S6_ZZZN2at6native31launch_logcumsumexp_cuda_kernelERKNSD_10TensorBaseESH_lENKUlvE_clEvENKUlvE3_clEvEUlS6_S6_E_S6_EEDaPvRmT3_T4_T5_mT6_P12ihipStream_tbENKUlT_T0_E_clISt17integral_constantIbLb0EESX_IbLb1EEEEDaST_SU_EUlST_E0_NS1_11comp_targetILNS1_3genE5ELNS1_11target_archE942ELNS1_3gpuE9ELNS1_3repE0EEENS1_30default_config_static_selectorELNS0_4arch9wavefront6targetE1EEEvT1_, .Lfunc_end438-_ZN7rocprim17ROCPRIM_400000_NS6detail17trampoline_kernelINS0_14default_configENS1_20scan_config_selectorIN3c104HalfEEEZZNS1_9scan_implILNS1_25lookback_scan_determinismE0ELb0ELb0ES3_PKS6_PS6_S6_ZZZN2at6native31launch_logcumsumexp_cuda_kernelERKNSD_10TensorBaseESH_lENKUlvE_clEvENKUlvE3_clEvEUlS6_S6_E_S6_EEDaPvRmT3_T4_T5_mT6_P12ihipStream_tbENKUlT_T0_E_clISt17integral_constantIbLb0EESX_IbLb1EEEEDaST_SU_EUlST_E0_NS1_11comp_targetILNS1_3genE5ELNS1_11target_archE942ELNS1_3gpuE9ELNS1_3repE0EEENS1_30default_config_static_selectorELNS0_4arch9wavefront6targetE1EEEvT1_
                                        ; -- End function
	.section	.AMDGPU.csdata,"",@progbits
; Kernel info:
; codeLenInByte = 51128
; NumSgprs: 106
; NumVgprs: 54
; NumAgprs: 0
; TotalNumVgprs: 54
; ScratchSize: 0
; MemoryBound: 0
; FloatMode: 240
; IeeeMode: 1
; LDSByteSize: 12288 bytes/workgroup (compile time only)
; SGPRBlocks: 13
; VGPRBlocks: 6
; NumSGPRsForWavesPerEU: 106
; NumVGPRsForWavesPerEU: 54
; AccumOffset: 56
; Occupancy: 5
; WaveLimiterHint : 0
; COMPUTE_PGM_RSRC2:SCRATCH_EN: 0
; COMPUTE_PGM_RSRC2:USER_SGPR: 2
; COMPUTE_PGM_RSRC2:TRAP_HANDLER: 0
; COMPUTE_PGM_RSRC2:TGID_X_EN: 1
; COMPUTE_PGM_RSRC2:TGID_Y_EN: 0
; COMPUTE_PGM_RSRC2:TGID_Z_EN: 0
; COMPUTE_PGM_RSRC2:TIDIG_COMP_CNT: 0
; COMPUTE_PGM_RSRC3_GFX90A:ACCUM_OFFSET: 13
; COMPUTE_PGM_RSRC3_GFX90A:TG_SPLIT: 0
	.section	.text._ZN7rocprim17ROCPRIM_400000_NS6detail17trampoline_kernelINS0_14default_configENS1_20scan_config_selectorIN3c104HalfEEEZZNS1_9scan_implILNS1_25lookback_scan_determinismE0ELb0ELb0ES3_PKS6_PS6_S6_ZZZN2at6native31launch_logcumsumexp_cuda_kernelERKNSD_10TensorBaseESH_lENKUlvE_clEvENKUlvE3_clEvEUlS6_S6_E_S6_EEDaPvRmT3_T4_T5_mT6_P12ihipStream_tbENKUlT_T0_E_clISt17integral_constantIbLb0EESX_IbLb1EEEEDaST_SU_EUlST_E0_NS1_11comp_targetILNS1_3genE4ELNS1_11target_archE910ELNS1_3gpuE8ELNS1_3repE0EEENS1_30default_config_static_selectorELNS0_4arch9wavefront6targetE1EEEvT1_,"axG",@progbits,_ZN7rocprim17ROCPRIM_400000_NS6detail17trampoline_kernelINS0_14default_configENS1_20scan_config_selectorIN3c104HalfEEEZZNS1_9scan_implILNS1_25lookback_scan_determinismE0ELb0ELb0ES3_PKS6_PS6_S6_ZZZN2at6native31launch_logcumsumexp_cuda_kernelERKNSD_10TensorBaseESH_lENKUlvE_clEvENKUlvE3_clEvEUlS6_S6_E_S6_EEDaPvRmT3_T4_T5_mT6_P12ihipStream_tbENKUlT_T0_E_clISt17integral_constantIbLb0EESX_IbLb1EEEEDaST_SU_EUlST_E0_NS1_11comp_targetILNS1_3genE4ELNS1_11target_archE910ELNS1_3gpuE8ELNS1_3repE0EEENS1_30default_config_static_selectorELNS0_4arch9wavefront6targetE1EEEvT1_,comdat
	.globl	_ZN7rocprim17ROCPRIM_400000_NS6detail17trampoline_kernelINS0_14default_configENS1_20scan_config_selectorIN3c104HalfEEEZZNS1_9scan_implILNS1_25lookback_scan_determinismE0ELb0ELb0ES3_PKS6_PS6_S6_ZZZN2at6native31launch_logcumsumexp_cuda_kernelERKNSD_10TensorBaseESH_lENKUlvE_clEvENKUlvE3_clEvEUlS6_S6_E_S6_EEDaPvRmT3_T4_T5_mT6_P12ihipStream_tbENKUlT_T0_E_clISt17integral_constantIbLb0EESX_IbLb1EEEEDaST_SU_EUlST_E0_NS1_11comp_targetILNS1_3genE4ELNS1_11target_archE910ELNS1_3gpuE8ELNS1_3repE0EEENS1_30default_config_static_selectorELNS0_4arch9wavefront6targetE1EEEvT1_ ; -- Begin function _ZN7rocprim17ROCPRIM_400000_NS6detail17trampoline_kernelINS0_14default_configENS1_20scan_config_selectorIN3c104HalfEEEZZNS1_9scan_implILNS1_25lookback_scan_determinismE0ELb0ELb0ES3_PKS6_PS6_S6_ZZZN2at6native31launch_logcumsumexp_cuda_kernelERKNSD_10TensorBaseESH_lENKUlvE_clEvENKUlvE3_clEvEUlS6_S6_E_S6_EEDaPvRmT3_T4_T5_mT6_P12ihipStream_tbENKUlT_T0_E_clISt17integral_constantIbLb0EESX_IbLb1EEEEDaST_SU_EUlST_E0_NS1_11comp_targetILNS1_3genE4ELNS1_11target_archE910ELNS1_3gpuE8ELNS1_3repE0EEENS1_30default_config_static_selectorELNS0_4arch9wavefront6targetE1EEEvT1_
	.p2align	8
	.type	_ZN7rocprim17ROCPRIM_400000_NS6detail17trampoline_kernelINS0_14default_configENS1_20scan_config_selectorIN3c104HalfEEEZZNS1_9scan_implILNS1_25lookback_scan_determinismE0ELb0ELb0ES3_PKS6_PS6_S6_ZZZN2at6native31launch_logcumsumexp_cuda_kernelERKNSD_10TensorBaseESH_lENKUlvE_clEvENKUlvE3_clEvEUlS6_S6_E_S6_EEDaPvRmT3_T4_T5_mT6_P12ihipStream_tbENKUlT_T0_E_clISt17integral_constantIbLb0EESX_IbLb1EEEEDaST_SU_EUlST_E0_NS1_11comp_targetILNS1_3genE4ELNS1_11target_archE910ELNS1_3gpuE8ELNS1_3repE0EEENS1_30default_config_static_selectorELNS0_4arch9wavefront6targetE1EEEvT1_,@function
_ZN7rocprim17ROCPRIM_400000_NS6detail17trampoline_kernelINS0_14default_configENS1_20scan_config_selectorIN3c104HalfEEEZZNS1_9scan_implILNS1_25lookback_scan_determinismE0ELb0ELb0ES3_PKS6_PS6_S6_ZZZN2at6native31launch_logcumsumexp_cuda_kernelERKNSD_10TensorBaseESH_lENKUlvE_clEvENKUlvE3_clEvEUlS6_S6_E_S6_EEDaPvRmT3_T4_T5_mT6_P12ihipStream_tbENKUlT_T0_E_clISt17integral_constantIbLb0EESX_IbLb1EEEEDaST_SU_EUlST_E0_NS1_11comp_targetILNS1_3genE4ELNS1_11target_archE910ELNS1_3gpuE8ELNS1_3repE0EEENS1_30default_config_static_selectorELNS0_4arch9wavefront6targetE1EEEvT1_: ; @_ZN7rocprim17ROCPRIM_400000_NS6detail17trampoline_kernelINS0_14default_configENS1_20scan_config_selectorIN3c104HalfEEEZZNS1_9scan_implILNS1_25lookback_scan_determinismE0ELb0ELb0ES3_PKS6_PS6_S6_ZZZN2at6native31launch_logcumsumexp_cuda_kernelERKNSD_10TensorBaseESH_lENKUlvE_clEvENKUlvE3_clEvEUlS6_S6_E_S6_EEDaPvRmT3_T4_T5_mT6_P12ihipStream_tbENKUlT_T0_E_clISt17integral_constantIbLb0EESX_IbLb1EEEEDaST_SU_EUlST_E0_NS1_11comp_targetILNS1_3genE4ELNS1_11target_archE910ELNS1_3gpuE8ELNS1_3repE0EEENS1_30default_config_static_selectorELNS0_4arch9wavefront6targetE1EEEvT1_
; %bb.0:
	.section	.rodata,"a",@progbits
	.p2align	6, 0x0
	.amdhsa_kernel _ZN7rocprim17ROCPRIM_400000_NS6detail17trampoline_kernelINS0_14default_configENS1_20scan_config_selectorIN3c104HalfEEEZZNS1_9scan_implILNS1_25lookback_scan_determinismE0ELb0ELb0ES3_PKS6_PS6_S6_ZZZN2at6native31launch_logcumsumexp_cuda_kernelERKNSD_10TensorBaseESH_lENKUlvE_clEvENKUlvE3_clEvEUlS6_S6_E_S6_EEDaPvRmT3_T4_T5_mT6_P12ihipStream_tbENKUlT_T0_E_clISt17integral_constantIbLb0EESX_IbLb1EEEEDaST_SU_EUlST_E0_NS1_11comp_targetILNS1_3genE4ELNS1_11target_archE910ELNS1_3gpuE8ELNS1_3repE0EEENS1_30default_config_static_selectorELNS0_4arch9wavefront6targetE1EEEvT1_
		.amdhsa_group_segment_fixed_size 0
		.amdhsa_private_segment_fixed_size 0
		.amdhsa_kernarg_size 32
		.amdhsa_user_sgpr_count 2
		.amdhsa_user_sgpr_dispatch_ptr 0
		.amdhsa_user_sgpr_queue_ptr 0
		.amdhsa_user_sgpr_kernarg_segment_ptr 1
		.amdhsa_user_sgpr_dispatch_id 0
		.amdhsa_user_sgpr_kernarg_preload_length 0
		.amdhsa_user_sgpr_kernarg_preload_offset 0
		.amdhsa_user_sgpr_private_segment_size 0
		.amdhsa_uses_dynamic_stack 0
		.amdhsa_enable_private_segment 0
		.amdhsa_system_sgpr_workgroup_id_x 1
		.amdhsa_system_sgpr_workgroup_id_y 0
		.amdhsa_system_sgpr_workgroup_id_z 0
		.amdhsa_system_sgpr_workgroup_info 0
		.amdhsa_system_vgpr_workitem_id 0
		.amdhsa_next_free_vgpr 1
		.amdhsa_next_free_sgpr 0
		.amdhsa_accum_offset 4
		.amdhsa_reserve_vcc 0
		.amdhsa_float_round_mode_32 0
		.amdhsa_float_round_mode_16_64 0
		.amdhsa_float_denorm_mode_32 3
		.amdhsa_float_denorm_mode_16_64 3
		.amdhsa_dx10_clamp 1
		.amdhsa_ieee_mode 1
		.amdhsa_fp16_overflow 0
		.amdhsa_tg_split 0
		.amdhsa_exception_fp_ieee_invalid_op 0
		.amdhsa_exception_fp_denorm_src 0
		.amdhsa_exception_fp_ieee_div_zero 0
		.amdhsa_exception_fp_ieee_overflow 0
		.amdhsa_exception_fp_ieee_underflow 0
		.amdhsa_exception_fp_ieee_inexact 0
		.amdhsa_exception_int_div_zero 0
	.end_amdhsa_kernel
	.section	.text._ZN7rocprim17ROCPRIM_400000_NS6detail17trampoline_kernelINS0_14default_configENS1_20scan_config_selectorIN3c104HalfEEEZZNS1_9scan_implILNS1_25lookback_scan_determinismE0ELb0ELb0ES3_PKS6_PS6_S6_ZZZN2at6native31launch_logcumsumexp_cuda_kernelERKNSD_10TensorBaseESH_lENKUlvE_clEvENKUlvE3_clEvEUlS6_S6_E_S6_EEDaPvRmT3_T4_T5_mT6_P12ihipStream_tbENKUlT_T0_E_clISt17integral_constantIbLb0EESX_IbLb1EEEEDaST_SU_EUlST_E0_NS1_11comp_targetILNS1_3genE4ELNS1_11target_archE910ELNS1_3gpuE8ELNS1_3repE0EEENS1_30default_config_static_selectorELNS0_4arch9wavefront6targetE1EEEvT1_,"axG",@progbits,_ZN7rocprim17ROCPRIM_400000_NS6detail17trampoline_kernelINS0_14default_configENS1_20scan_config_selectorIN3c104HalfEEEZZNS1_9scan_implILNS1_25lookback_scan_determinismE0ELb0ELb0ES3_PKS6_PS6_S6_ZZZN2at6native31launch_logcumsumexp_cuda_kernelERKNSD_10TensorBaseESH_lENKUlvE_clEvENKUlvE3_clEvEUlS6_S6_E_S6_EEDaPvRmT3_T4_T5_mT6_P12ihipStream_tbENKUlT_T0_E_clISt17integral_constantIbLb0EESX_IbLb1EEEEDaST_SU_EUlST_E0_NS1_11comp_targetILNS1_3genE4ELNS1_11target_archE910ELNS1_3gpuE8ELNS1_3repE0EEENS1_30default_config_static_selectorELNS0_4arch9wavefront6targetE1EEEvT1_,comdat
.Lfunc_end439:
	.size	_ZN7rocprim17ROCPRIM_400000_NS6detail17trampoline_kernelINS0_14default_configENS1_20scan_config_selectorIN3c104HalfEEEZZNS1_9scan_implILNS1_25lookback_scan_determinismE0ELb0ELb0ES3_PKS6_PS6_S6_ZZZN2at6native31launch_logcumsumexp_cuda_kernelERKNSD_10TensorBaseESH_lENKUlvE_clEvENKUlvE3_clEvEUlS6_S6_E_S6_EEDaPvRmT3_T4_T5_mT6_P12ihipStream_tbENKUlT_T0_E_clISt17integral_constantIbLb0EESX_IbLb1EEEEDaST_SU_EUlST_E0_NS1_11comp_targetILNS1_3genE4ELNS1_11target_archE910ELNS1_3gpuE8ELNS1_3repE0EEENS1_30default_config_static_selectorELNS0_4arch9wavefront6targetE1EEEvT1_, .Lfunc_end439-_ZN7rocprim17ROCPRIM_400000_NS6detail17trampoline_kernelINS0_14default_configENS1_20scan_config_selectorIN3c104HalfEEEZZNS1_9scan_implILNS1_25lookback_scan_determinismE0ELb0ELb0ES3_PKS6_PS6_S6_ZZZN2at6native31launch_logcumsumexp_cuda_kernelERKNSD_10TensorBaseESH_lENKUlvE_clEvENKUlvE3_clEvEUlS6_S6_E_S6_EEDaPvRmT3_T4_T5_mT6_P12ihipStream_tbENKUlT_T0_E_clISt17integral_constantIbLb0EESX_IbLb1EEEEDaST_SU_EUlST_E0_NS1_11comp_targetILNS1_3genE4ELNS1_11target_archE910ELNS1_3gpuE8ELNS1_3repE0EEENS1_30default_config_static_selectorELNS0_4arch9wavefront6targetE1EEEvT1_
                                        ; -- End function
	.section	.AMDGPU.csdata,"",@progbits
; Kernel info:
; codeLenInByte = 0
; NumSgprs: 6
; NumVgprs: 0
; NumAgprs: 0
; TotalNumVgprs: 0
; ScratchSize: 0
; MemoryBound: 0
; FloatMode: 240
; IeeeMode: 1
; LDSByteSize: 0 bytes/workgroup (compile time only)
; SGPRBlocks: 0
; VGPRBlocks: 0
; NumSGPRsForWavesPerEU: 6
; NumVGPRsForWavesPerEU: 1
; AccumOffset: 4
; Occupancy: 8
; WaveLimiterHint : 0
; COMPUTE_PGM_RSRC2:SCRATCH_EN: 0
; COMPUTE_PGM_RSRC2:USER_SGPR: 2
; COMPUTE_PGM_RSRC2:TRAP_HANDLER: 0
; COMPUTE_PGM_RSRC2:TGID_X_EN: 1
; COMPUTE_PGM_RSRC2:TGID_Y_EN: 0
; COMPUTE_PGM_RSRC2:TGID_Z_EN: 0
; COMPUTE_PGM_RSRC2:TIDIG_COMP_CNT: 0
; COMPUTE_PGM_RSRC3_GFX90A:ACCUM_OFFSET: 0
; COMPUTE_PGM_RSRC3_GFX90A:TG_SPLIT: 0
	.section	.text._ZN7rocprim17ROCPRIM_400000_NS6detail17trampoline_kernelINS0_14default_configENS1_20scan_config_selectorIN3c104HalfEEEZZNS1_9scan_implILNS1_25lookback_scan_determinismE0ELb0ELb0ES3_PKS6_PS6_S6_ZZZN2at6native31launch_logcumsumexp_cuda_kernelERKNSD_10TensorBaseESH_lENKUlvE_clEvENKUlvE3_clEvEUlS6_S6_E_S6_EEDaPvRmT3_T4_T5_mT6_P12ihipStream_tbENKUlT_T0_E_clISt17integral_constantIbLb0EESX_IbLb1EEEEDaST_SU_EUlST_E0_NS1_11comp_targetILNS1_3genE3ELNS1_11target_archE908ELNS1_3gpuE7ELNS1_3repE0EEENS1_30default_config_static_selectorELNS0_4arch9wavefront6targetE1EEEvT1_,"axG",@progbits,_ZN7rocprim17ROCPRIM_400000_NS6detail17trampoline_kernelINS0_14default_configENS1_20scan_config_selectorIN3c104HalfEEEZZNS1_9scan_implILNS1_25lookback_scan_determinismE0ELb0ELb0ES3_PKS6_PS6_S6_ZZZN2at6native31launch_logcumsumexp_cuda_kernelERKNSD_10TensorBaseESH_lENKUlvE_clEvENKUlvE3_clEvEUlS6_S6_E_S6_EEDaPvRmT3_T4_T5_mT6_P12ihipStream_tbENKUlT_T0_E_clISt17integral_constantIbLb0EESX_IbLb1EEEEDaST_SU_EUlST_E0_NS1_11comp_targetILNS1_3genE3ELNS1_11target_archE908ELNS1_3gpuE7ELNS1_3repE0EEENS1_30default_config_static_selectorELNS0_4arch9wavefront6targetE1EEEvT1_,comdat
	.globl	_ZN7rocprim17ROCPRIM_400000_NS6detail17trampoline_kernelINS0_14default_configENS1_20scan_config_selectorIN3c104HalfEEEZZNS1_9scan_implILNS1_25lookback_scan_determinismE0ELb0ELb0ES3_PKS6_PS6_S6_ZZZN2at6native31launch_logcumsumexp_cuda_kernelERKNSD_10TensorBaseESH_lENKUlvE_clEvENKUlvE3_clEvEUlS6_S6_E_S6_EEDaPvRmT3_T4_T5_mT6_P12ihipStream_tbENKUlT_T0_E_clISt17integral_constantIbLb0EESX_IbLb1EEEEDaST_SU_EUlST_E0_NS1_11comp_targetILNS1_3genE3ELNS1_11target_archE908ELNS1_3gpuE7ELNS1_3repE0EEENS1_30default_config_static_selectorELNS0_4arch9wavefront6targetE1EEEvT1_ ; -- Begin function _ZN7rocprim17ROCPRIM_400000_NS6detail17trampoline_kernelINS0_14default_configENS1_20scan_config_selectorIN3c104HalfEEEZZNS1_9scan_implILNS1_25lookback_scan_determinismE0ELb0ELb0ES3_PKS6_PS6_S6_ZZZN2at6native31launch_logcumsumexp_cuda_kernelERKNSD_10TensorBaseESH_lENKUlvE_clEvENKUlvE3_clEvEUlS6_S6_E_S6_EEDaPvRmT3_T4_T5_mT6_P12ihipStream_tbENKUlT_T0_E_clISt17integral_constantIbLb0EESX_IbLb1EEEEDaST_SU_EUlST_E0_NS1_11comp_targetILNS1_3genE3ELNS1_11target_archE908ELNS1_3gpuE7ELNS1_3repE0EEENS1_30default_config_static_selectorELNS0_4arch9wavefront6targetE1EEEvT1_
	.p2align	8
	.type	_ZN7rocprim17ROCPRIM_400000_NS6detail17trampoline_kernelINS0_14default_configENS1_20scan_config_selectorIN3c104HalfEEEZZNS1_9scan_implILNS1_25lookback_scan_determinismE0ELb0ELb0ES3_PKS6_PS6_S6_ZZZN2at6native31launch_logcumsumexp_cuda_kernelERKNSD_10TensorBaseESH_lENKUlvE_clEvENKUlvE3_clEvEUlS6_S6_E_S6_EEDaPvRmT3_T4_T5_mT6_P12ihipStream_tbENKUlT_T0_E_clISt17integral_constantIbLb0EESX_IbLb1EEEEDaST_SU_EUlST_E0_NS1_11comp_targetILNS1_3genE3ELNS1_11target_archE908ELNS1_3gpuE7ELNS1_3repE0EEENS1_30default_config_static_selectorELNS0_4arch9wavefront6targetE1EEEvT1_,@function
_ZN7rocprim17ROCPRIM_400000_NS6detail17trampoline_kernelINS0_14default_configENS1_20scan_config_selectorIN3c104HalfEEEZZNS1_9scan_implILNS1_25lookback_scan_determinismE0ELb0ELb0ES3_PKS6_PS6_S6_ZZZN2at6native31launch_logcumsumexp_cuda_kernelERKNSD_10TensorBaseESH_lENKUlvE_clEvENKUlvE3_clEvEUlS6_S6_E_S6_EEDaPvRmT3_T4_T5_mT6_P12ihipStream_tbENKUlT_T0_E_clISt17integral_constantIbLb0EESX_IbLb1EEEEDaST_SU_EUlST_E0_NS1_11comp_targetILNS1_3genE3ELNS1_11target_archE908ELNS1_3gpuE7ELNS1_3repE0EEENS1_30default_config_static_selectorELNS0_4arch9wavefront6targetE1EEEvT1_: ; @_ZN7rocprim17ROCPRIM_400000_NS6detail17trampoline_kernelINS0_14default_configENS1_20scan_config_selectorIN3c104HalfEEEZZNS1_9scan_implILNS1_25lookback_scan_determinismE0ELb0ELb0ES3_PKS6_PS6_S6_ZZZN2at6native31launch_logcumsumexp_cuda_kernelERKNSD_10TensorBaseESH_lENKUlvE_clEvENKUlvE3_clEvEUlS6_S6_E_S6_EEDaPvRmT3_T4_T5_mT6_P12ihipStream_tbENKUlT_T0_E_clISt17integral_constantIbLb0EESX_IbLb1EEEEDaST_SU_EUlST_E0_NS1_11comp_targetILNS1_3genE3ELNS1_11target_archE908ELNS1_3gpuE7ELNS1_3repE0EEENS1_30default_config_static_selectorELNS0_4arch9wavefront6targetE1EEEvT1_
; %bb.0:
	.section	.rodata,"a",@progbits
	.p2align	6, 0x0
	.amdhsa_kernel _ZN7rocprim17ROCPRIM_400000_NS6detail17trampoline_kernelINS0_14default_configENS1_20scan_config_selectorIN3c104HalfEEEZZNS1_9scan_implILNS1_25lookback_scan_determinismE0ELb0ELb0ES3_PKS6_PS6_S6_ZZZN2at6native31launch_logcumsumexp_cuda_kernelERKNSD_10TensorBaseESH_lENKUlvE_clEvENKUlvE3_clEvEUlS6_S6_E_S6_EEDaPvRmT3_T4_T5_mT6_P12ihipStream_tbENKUlT_T0_E_clISt17integral_constantIbLb0EESX_IbLb1EEEEDaST_SU_EUlST_E0_NS1_11comp_targetILNS1_3genE3ELNS1_11target_archE908ELNS1_3gpuE7ELNS1_3repE0EEENS1_30default_config_static_selectorELNS0_4arch9wavefront6targetE1EEEvT1_
		.amdhsa_group_segment_fixed_size 0
		.amdhsa_private_segment_fixed_size 0
		.amdhsa_kernarg_size 32
		.amdhsa_user_sgpr_count 2
		.amdhsa_user_sgpr_dispatch_ptr 0
		.amdhsa_user_sgpr_queue_ptr 0
		.amdhsa_user_sgpr_kernarg_segment_ptr 1
		.amdhsa_user_sgpr_dispatch_id 0
		.amdhsa_user_sgpr_kernarg_preload_length 0
		.amdhsa_user_sgpr_kernarg_preload_offset 0
		.amdhsa_user_sgpr_private_segment_size 0
		.amdhsa_uses_dynamic_stack 0
		.amdhsa_enable_private_segment 0
		.amdhsa_system_sgpr_workgroup_id_x 1
		.amdhsa_system_sgpr_workgroup_id_y 0
		.amdhsa_system_sgpr_workgroup_id_z 0
		.amdhsa_system_sgpr_workgroup_info 0
		.amdhsa_system_vgpr_workitem_id 0
		.amdhsa_next_free_vgpr 1
		.amdhsa_next_free_sgpr 0
		.amdhsa_accum_offset 4
		.amdhsa_reserve_vcc 0
		.amdhsa_float_round_mode_32 0
		.amdhsa_float_round_mode_16_64 0
		.amdhsa_float_denorm_mode_32 3
		.amdhsa_float_denorm_mode_16_64 3
		.amdhsa_dx10_clamp 1
		.amdhsa_ieee_mode 1
		.amdhsa_fp16_overflow 0
		.amdhsa_tg_split 0
		.amdhsa_exception_fp_ieee_invalid_op 0
		.amdhsa_exception_fp_denorm_src 0
		.amdhsa_exception_fp_ieee_div_zero 0
		.amdhsa_exception_fp_ieee_overflow 0
		.amdhsa_exception_fp_ieee_underflow 0
		.amdhsa_exception_fp_ieee_inexact 0
		.amdhsa_exception_int_div_zero 0
	.end_amdhsa_kernel
	.section	.text._ZN7rocprim17ROCPRIM_400000_NS6detail17trampoline_kernelINS0_14default_configENS1_20scan_config_selectorIN3c104HalfEEEZZNS1_9scan_implILNS1_25lookback_scan_determinismE0ELb0ELb0ES3_PKS6_PS6_S6_ZZZN2at6native31launch_logcumsumexp_cuda_kernelERKNSD_10TensorBaseESH_lENKUlvE_clEvENKUlvE3_clEvEUlS6_S6_E_S6_EEDaPvRmT3_T4_T5_mT6_P12ihipStream_tbENKUlT_T0_E_clISt17integral_constantIbLb0EESX_IbLb1EEEEDaST_SU_EUlST_E0_NS1_11comp_targetILNS1_3genE3ELNS1_11target_archE908ELNS1_3gpuE7ELNS1_3repE0EEENS1_30default_config_static_selectorELNS0_4arch9wavefront6targetE1EEEvT1_,"axG",@progbits,_ZN7rocprim17ROCPRIM_400000_NS6detail17trampoline_kernelINS0_14default_configENS1_20scan_config_selectorIN3c104HalfEEEZZNS1_9scan_implILNS1_25lookback_scan_determinismE0ELb0ELb0ES3_PKS6_PS6_S6_ZZZN2at6native31launch_logcumsumexp_cuda_kernelERKNSD_10TensorBaseESH_lENKUlvE_clEvENKUlvE3_clEvEUlS6_S6_E_S6_EEDaPvRmT3_T4_T5_mT6_P12ihipStream_tbENKUlT_T0_E_clISt17integral_constantIbLb0EESX_IbLb1EEEEDaST_SU_EUlST_E0_NS1_11comp_targetILNS1_3genE3ELNS1_11target_archE908ELNS1_3gpuE7ELNS1_3repE0EEENS1_30default_config_static_selectorELNS0_4arch9wavefront6targetE1EEEvT1_,comdat
.Lfunc_end440:
	.size	_ZN7rocprim17ROCPRIM_400000_NS6detail17trampoline_kernelINS0_14default_configENS1_20scan_config_selectorIN3c104HalfEEEZZNS1_9scan_implILNS1_25lookback_scan_determinismE0ELb0ELb0ES3_PKS6_PS6_S6_ZZZN2at6native31launch_logcumsumexp_cuda_kernelERKNSD_10TensorBaseESH_lENKUlvE_clEvENKUlvE3_clEvEUlS6_S6_E_S6_EEDaPvRmT3_T4_T5_mT6_P12ihipStream_tbENKUlT_T0_E_clISt17integral_constantIbLb0EESX_IbLb1EEEEDaST_SU_EUlST_E0_NS1_11comp_targetILNS1_3genE3ELNS1_11target_archE908ELNS1_3gpuE7ELNS1_3repE0EEENS1_30default_config_static_selectorELNS0_4arch9wavefront6targetE1EEEvT1_, .Lfunc_end440-_ZN7rocprim17ROCPRIM_400000_NS6detail17trampoline_kernelINS0_14default_configENS1_20scan_config_selectorIN3c104HalfEEEZZNS1_9scan_implILNS1_25lookback_scan_determinismE0ELb0ELb0ES3_PKS6_PS6_S6_ZZZN2at6native31launch_logcumsumexp_cuda_kernelERKNSD_10TensorBaseESH_lENKUlvE_clEvENKUlvE3_clEvEUlS6_S6_E_S6_EEDaPvRmT3_T4_T5_mT6_P12ihipStream_tbENKUlT_T0_E_clISt17integral_constantIbLb0EESX_IbLb1EEEEDaST_SU_EUlST_E0_NS1_11comp_targetILNS1_3genE3ELNS1_11target_archE908ELNS1_3gpuE7ELNS1_3repE0EEENS1_30default_config_static_selectorELNS0_4arch9wavefront6targetE1EEEvT1_
                                        ; -- End function
	.section	.AMDGPU.csdata,"",@progbits
; Kernel info:
; codeLenInByte = 0
; NumSgprs: 6
; NumVgprs: 0
; NumAgprs: 0
; TotalNumVgprs: 0
; ScratchSize: 0
; MemoryBound: 0
; FloatMode: 240
; IeeeMode: 1
; LDSByteSize: 0 bytes/workgroup (compile time only)
; SGPRBlocks: 0
; VGPRBlocks: 0
; NumSGPRsForWavesPerEU: 6
; NumVGPRsForWavesPerEU: 1
; AccumOffset: 4
; Occupancy: 8
; WaveLimiterHint : 0
; COMPUTE_PGM_RSRC2:SCRATCH_EN: 0
; COMPUTE_PGM_RSRC2:USER_SGPR: 2
; COMPUTE_PGM_RSRC2:TRAP_HANDLER: 0
; COMPUTE_PGM_RSRC2:TGID_X_EN: 1
; COMPUTE_PGM_RSRC2:TGID_Y_EN: 0
; COMPUTE_PGM_RSRC2:TGID_Z_EN: 0
; COMPUTE_PGM_RSRC2:TIDIG_COMP_CNT: 0
; COMPUTE_PGM_RSRC3_GFX90A:ACCUM_OFFSET: 0
; COMPUTE_PGM_RSRC3_GFX90A:TG_SPLIT: 0
	.section	.text._ZN7rocprim17ROCPRIM_400000_NS6detail17trampoline_kernelINS0_14default_configENS1_20scan_config_selectorIN3c104HalfEEEZZNS1_9scan_implILNS1_25lookback_scan_determinismE0ELb0ELb0ES3_PKS6_PS6_S6_ZZZN2at6native31launch_logcumsumexp_cuda_kernelERKNSD_10TensorBaseESH_lENKUlvE_clEvENKUlvE3_clEvEUlS6_S6_E_S6_EEDaPvRmT3_T4_T5_mT6_P12ihipStream_tbENKUlT_T0_E_clISt17integral_constantIbLb0EESX_IbLb1EEEEDaST_SU_EUlST_E0_NS1_11comp_targetILNS1_3genE2ELNS1_11target_archE906ELNS1_3gpuE6ELNS1_3repE0EEENS1_30default_config_static_selectorELNS0_4arch9wavefront6targetE1EEEvT1_,"axG",@progbits,_ZN7rocprim17ROCPRIM_400000_NS6detail17trampoline_kernelINS0_14default_configENS1_20scan_config_selectorIN3c104HalfEEEZZNS1_9scan_implILNS1_25lookback_scan_determinismE0ELb0ELb0ES3_PKS6_PS6_S6_ZZZN2at6native31launch_logcumsumexp_cuda_kernelERKNSD_10TensorBaseESH_lENKUlvE_clEvENKUlvE3_clEvEUlS6_S6_E_S6_EEDaPvRmT3_T4_T5_mT6_P12ihipStream_tbENKUlT_T0_E_clISt17integral_constantIbLb0EESX_IbLb1EEEEDaST_SU_EUlST_E0_NS1_11comp_targetILNS1_3genE2ELNS1_11target_archE906ELNS1_3gpuE6ELNS1_3repE0EEENS1_30default_config_static_selectorELNS0_4arch9wavefront6targetE1EEEvT1_,comdat
	.globl	_ZN7rocprim17ROCPRIM_400000_NS6detail17trampoline_kernelINS0_14default_configENS1_20scan_config_selectorIN3c104HalfEEEZZNS1_9scan_implILNS1_25lookback_scan_determinismE0ELb0ELb0ES3_PKS6_PS6_S6_ZZZN2at6native31launch_logcumsumexp_cuda_kernelERKNSD_10TensorBaseESH_lENKUlvE_clEvENKUlvE3_clEvEUlS6_S6_E_S6_EEDaPvRmT3_T4_T5_mT6_P12ihipStream_tbENKUlT_T0_E_clISt17integral_constantIbLb0EESX_IbLb1EEEEDaST_SU_EUlST_E0_NS1_11comp_targetILNS1_3genE2ELNS1_11target_archE906ELNS1_3gpuE6ELNS1_3repE0EEENS1_30default_config_static_selectorELNS0_4arch9wavefront6targetE1EEEvT1_ ; -- Begin function _ZN7rocprim17ROCPRIM_400000_NS6detail17trampoline_kernelINS0_14default_configENS1_20scan_config_selectorIN3c104HalfEEEZZNS1_9scan_implILNS1_25lookback_scan_determinismE0ELb0ELb0ES3_PKS6_PS6_S6_ZZZN2at6native31launch_logcumsumexp_cuda_kernelERKNSD_10TensorBaseESH_lENKUlvE_clEvENKUlvE3_clEvEUlS6_S6_E_S6_EEDaPvRmT3_T4_T5_mT6_P12ihipStream_tbENKUlT_T0_E_clISt17integral_constantIbLb0EESX_IbLb1EEEEDaST_SU_EUlST_E0_NS1_11comp_targetILNS1_3genE2ELNS1_11target_archE906ELNS1_3gpuE6ELNS1_3repE0EEENS1_30default_config_static_selectorELNS0_4arch9wavefront6targetE1EEEvT1_
	.p2align	8
	.type	_ZN7rocprim17ROCPRIM_400000_NS6detail17trampoline_kernelINS0_14default_configENS1_20scan_config_selectorIN3c104HalfEEEZZNS1_9scan_implILNS1_25lookback_scan_determinismE0ELb0ELb0ES3_PKS6_PS6_S6_ZZZN2at6native31launch_logcumsumexp_cuda_kernelERKNSD_10TensorBaseESH_lENKUlvE_clEvENKUlvE3_clEvEUlS6_S6_E_S6_EEDaPvRmT3_T4_T5_mT6_P12ihipStream_tbENKUlT_T0_E_clISt17integral_constantIbLb0EESX_IbLb1EEEEDaST_SU_EUlST_E0_NS1_11comp_targetILNS1_3genE2ELNS1_11target_archE906ELNS1_3gpuE6ELNS1_3repE0EEENS1_30default_config_static_selectorELNS0_4arch9wavefront6targetE1EEEvT1_,@function
_ZN7rocprim17ROCPRIM_400000_NS6detail17trampoline_kernelINS0_14default_configENS1_20scan_config_selectorIN3c104HalfEEEZZNS1_9scan_implILNS1_25lookback_scan_determinismE0ELb0ELb0ES3_PKS6_PS6_S6_ZZZN2at6native31launch_logcumsumexp_cuda_kernelERKNSD_10TensorBaseESH_lENKUlvE_clEvENKUlvE3_clEvEUlS6_S6_E_S6_EEDaPvRmT3_T4_T5_mT6_P12ihipStream_tbENKUlT_T0_E_clISt17integral_constantIbLb0EESX_IbLb1EEEEDaST_SU_EUlST_E0_NS1_11comp_targetILNS1_3genE2ELNS1_11target_archE906ELNS1_3gpuE6ELNS1_3repE0EEENS1_30default_config_static_selectorELNS0_4arch9wavefront6targetE1EEEvT1_: ; @_ZN7rocprim17ROCPRIM_400000_NS6detail17trampoline_kernelINS0_14default_configENS1_20scan_config_selectorIN3c104HalfEEEZZNS1_9scan_implILNS1_25lookback_scan_determinismE0ELb0ELb0ES3_PKS6_PS6_S6_ZZZN2at6native31launch_logcumsumexp_cuda_kernelERKNSD_10TensorBaseESH_lENKUlvE_clEvENKUlvE3_clEvEUlS6_S6_E_S6_EEDaPvRmT3_T4_T5_mT6_P12ihipStream_tbENKUlT_T0_E_clISt17integral_constantIbLb0EESX_IbLb1EEEEDaST_SU_EUlST_E0_NS1_11comp_targetILNS1_3genE2ELNS1_11target_archE906ELNS1_3gpuE6ELNS1_3repE0EEENS1_30default_config_static_selectorELNS0_4arch9wavefront6targetE1EEEvT1_
; %bb.0:
	.section	.rodata,"a",@progbits
	.p2align	6, 0x0
	.amdhsa_kernel _ZN7rocprim17ROCPRIM_400000_NS6detail17trampoline_kernelINS0_14default_configENS1_20scan_config_selectorIN3c104HalfEEEZZNS1_9scan_implILNS1_25lookback_scan_determinismE0ELb0ELb0ES3_PKS6_PS6_S6_ZZZN2at6native31launch_logcumsumexp_cuda_kernelERKNSD_10TensorBaseESH_lENKUlvE_clEvENKUlvE3_clEvEUlS6_S6_E_S6_EEDaPvRmT3_T4_T5_mT6_P12ihipStream_tbENKUlT_T0_E_clISt17integral_constantIbLb0EESX_IbLb1EEEEDaST_SU_EUlST_E0_NS1_11comp_targetILNS1_3genE2ELNS1_11target_archE906ELNS1_3gpuE6ELNS1_3repE0EEENS1_30default_config_static_selectorELNS0_4arch9wavefront6targetE1EEEvT1_
		.amdhsa_group_segment_fixed_size 0
		.amdhsa_private_segment_fixed_size 0
		.amdhsa_kernarg_size 32
		.amdhsa_user_sgpr_count 2
		.amdhsa_user_sgpr_dispatch_ptr 0
		.amdhsa_user_sgpr_queue_ptr 0
		.amdhsa_user_sgpr_kernarg_segment_ptr 1
		.amdhsa_user_sgpr_dispatch_id 0
		.amdhsa_user_sgpr_kernarg_preload_length 0
		.amdhsa_user_sgpr_kernarg_preload_offset 0
		.amdhsa_user_sgpr_private_segment_size 0
		.amdhsa_uses_dynamic_stack 0
		.amdhsa_enable_private_segment 0
		.amdhsa_system_sgpr_workgroup_id_x 1
		.amdhsa_system_sgpr_workgroup_id_y 0
		.amdhsa_system_sgpr_workgroup_id_z 0
		.amdhsa_system_sgpr_workgroup_info 0
		.amdhsa_system_vgpr_workitem_id 0
		.amdhsa_next_free_vgpr 1
		.amdhsa_next_free_sgpr 0
		.amdhsa_accum_offset 4
		.amdhsa_reserve_vcc 0
		.amdhsa_float_round_mode_32 0
		.amdhsa_float_round_mode_16_64 0
		.amdhsa_float_denorm_mode_32 3
		.amdhsa_float_denorm_mode_16_64 3
		.amdhsa_dx10_clamp 1
		.amdhsa_ieee_mode 1
		.amdhsa_fp16_overflow 0
		.amdhsa_tg_split 0
		.amdhsa_exception_fp_ieee_invalid_op 0
		.amdhsa_exception_fp_denorm_src 0
		.amdhsa_exception_fp_ieee_div_zero 0
		.amdhsa_exception_fp_ieee_overflow 0
		.amdhsa_exception_fp_ieee_underflow 0
		.amdhsa_exception_fp_ieee_inexact 0
		.amdhsa_exception_int_div_zero 0
	.end_amdhsa_kernel
	.section	.text._ZN7rocprim17ROCPRIM_400000_NS6detail17trampoline_kernelINS0_14default_configENS1_20scan_config_selectorIN3c104HalfEEEZZNS1_9scan_implILNS1_25lookback_scan_determinismE0ELb0ELb0ES3_PKS6_PS6_S6_ZZZN2at6native31launch_logcumsumexp_cuda_kernelERKNSD_10TensorBaseESH_lENKUlvE_clEvENKUlvE3_clEvEUlS6_S6_E_S6_EEDaPvRmT3_T4_T5_mT6_P12ihipStream_tbENKUlT_T0_E_clISt17integral_constantIbLb0EESX_IbLb1EEEEDaST_SU_EUlST_E0_NS1_11comp_targetILNS1_3genE2ELNS1_11target_archE906ELNS1_3gpuE6ELNS1_3repE0EEENS1_30default_config_static_selectorELNS0_4arch9wavefront6targetE1EEEvT1_,"axG",@progbits,_ZN7rocprim17ROCPRIM_400000_NS6detail17trampoline_kernelINS0_14default_configENS1_20scan_config_selectorIN3c104HalfEEEZZNS1_9scan_implILNS1_25lookback_scan_determinismE0ELb0ELb0ES3_PKS6_PS6_S6_ZZZN2at6native31launch_logcumsumexp_cuda_kernelERKNSD_10TensorBaseESH_lENKUlvE_clEvENKUlvE3_clEvEUlS6_S6_E_S6_EEDaPvRmT3_T4_T5_mT6_P12ihipStream_tbENKUlT_T0_E_clISt17integral_constantIbLb0EESX_IbLb1EEEEDaST_SU_EUlST_E0_NS1_11comp_targetILNS1_3genE2ELNS1_11target_archE906ELNS1_3gpuE6ELNS1_3repE0EEENS1_30default_config_static_selectorELNS0_4arch9wavefront6targetE1EEEvT1_,comdat
.Lfunc_end441:
	.size	_ZN7rocprim17ROCPRIM_400000_NS6detail17trampoline_kernelINS0_14default_configENS1_20scan_config_selectorIN3c104HalfEEEZZNS1_9scan_implILNS1_25lookback_scan_determinismE0ELb0ELb0ES3_PKS6_PS6_S6_ZZZN2at6native31launch_logcumsumexp_cuda_kernelERKNSD_10TensorBaseESH_lENKUlvE_clEvENKUlvE3_clEvEUlS6_S6_E_S6_EEDaPvRmT3_T4_T5_mT6_P12ihipStream_tbENKUlT_T0_E_clISt17integral_constantIbLb0EESX_IbLb1EEEEDaST_SU_EUlST_E0_NS1_11comp_targetILNS1_3genE2ELNS1_11target_archE906ELNS1_3gpuE6ELNS1_3repE0EEENS1_30default_config_static_selectorELNS0_4arch9wavefront6targetE1EEEvT1_, .Lfunc_end441-_ZN7rocprim17ROCPRIM_400000_NS6detail17trampoline_kernelINS0_14default_configENS1_20scan_config_selectorIN3c104HalfEEEZZNS1_9scan_implILNS1_25lookback_scan_determinismE0ELb0ELb0ES3_PKS6_PS6_S6_ZZZN2at6native31launch_logcumsumexp_cuda_kernelERKNSD_10TensorBaseESH_lENKUlvE_clEvENKUlvE3_clEvEUlS6_S6_E_S6_EEDaPvRmT3_T4_T5_mT6_P12ihipStream_tbENKUlT_T0_E_clISt17integral_constantIbLb0EESX_IbLb1EEEEDaST_SU_EUlST_E0_NS1_11comp_targetILNS1_3genE2ELNS1_11target_archE906ELNS1_3gpuE6ELNS1_3repE0EEENS1_30default_config_static_selectorELNS0_4arch9wavefront6targetE1EEEvT1_
                                        ; -- End function
	.section	.AMDGPU.csdata,"",@progbits
; Kernel info:
; codeLenInByte = 0
; NumSgprs: 6
; NumVgprs: 0
; NumAgprs: 0
; TotalNumVgprs: 0
; ScratchSize: 0
; MemoryBound: 0
; FloatMode: 240
; IeeeMode: 1
; LDSByteSize: 0 bytes/workgroup (compile time only)
; SGPRBlocks: 0
; VGPRBlocks: 0
; NumSGPRsForWavesPerEU: 6
; NumVGPRsForWavesPerEU: 1
; AccumOffset: 4
; Occupancy: 8
; WaveLimiterHint : 0
; COMPUTE_PGM_RSRC2:SCRATCH_EN: 0
; COMPUTE_PGM_RSRC2:USER_SGPR: 2
; COMPUTE_PGM_RSRC2:TRAP_HANDLER: 0
; COMPUTE_PGM_RSRC2:TGID_X_EN: 1
; COMPUTE_PGM_RSRC2:TGID_Y_EN: 0
; COMPUTE_PGM_RSRC2:TGID_Z_EN: 0
; COMPUTE_PGM_RSRC2:TIDIG_COMP_CNT: 0
; COMPUTE_PGM_RSRC3_GFX90A:ACCUM_OFFSET: 0
; COMPUTE_PGM_RSRC3_GFX90A:TG_SPLIT: 0
	.section	.text._ZN7rocprim17ROCPRIM_400000_NS6detail17trampoline_kernelINS0_14default_configENS1_20scan_config_selectorIN3c104HalfEEEZZNS1_9scan_implILNS1_25lookback_scan_determinismE0ELb0ELb0ES3_PKS6_PS6_S6_ZZZN2at6native31launch_logcumsumexp_cuda_kernelERKNSD_10TensorBaseESH_lENKUlvE_clEvENKUlvE3_clEvEUlS6_S6_E_S6_EEDaPvRmT3_T4_T5_mT6_P12ihipStream_tbENKUlT_T0_E_clISt17integral_constantIbLb0EESX_IbLb1EEEEDaST_SU_EUlST_E0_NS1_11comp_targetILNS1_3genE10ELNS1_11target_archE1201ELNS1_3gpuE5ELNS1_3repE0EEENS1_30default_config_static_selectorELNS0_4arch9wavefront6targetE1EEEvT1_,"axG",@progbits,_ZN7rocprim17ROCPRIM_400000_NS6detail17trampoline_kernelINS0_14default_configENS1_20scan_config_selectorIN3c104HalfEEEZZNS1_9scan_implILNS1_25lookback_scan_determinismE0ELb0ELb0ES3_PKS6_PS6_S6_ZZZN2at6native31launch_logcumsumexp_cuda_kernelERKNSD_10TensorBaseESH_lENKUlvE_clEvENKUlvE3_clEvEUlS6_S6_E_S6_EEDaPvRmT3_T4_T5_mT6_P12ihipStream_tbENKUlT_T0_E_clISt17integral_constantIbLb0EESX_IbLb1EEEEDaST_SU_EUlST_E0_NS1_11comp_targetILNS1_3genE10ELNS1_11target_archE1201ELNS1_3gpuE5ELNS1_3repE0EEENS1_30default_config_static_selectorELNS0_4arch9wavefront6targetE1EEEvT1_,comdat
	.globl	_ZN7rocprim17ROCPRIM_400000_NS6detail17trampoline_kernelINS0_14default_configENS1_20scan_config_selectorIN3c104HalfEEEZZNS1_9scan_implILNS1_25lookback_scan_determinismE0ELb0ELb0ES3_PKS6_PS6_S6_ZZZN2at6native31launch_logcumsumexp_cuda_kernelERKNSD_10TensorBaseESH_lENKUlvE_clEvENKUlvE3_clEvEUlS6_S6_E_S6_EEDaPvRmT3_T4_T5_mT6_P12ihipStream_tbENKUlT_T0_E_clISt17integral_constantIbLb0EESX_IbLb1EEEEDaST_SU_EUlST_E0_NS1_11comp_targetILNS1_3genE10ELNS1_11target_archE1201ELNS1_3gpuE5ELNS1_3repE0EEENS1_30default_config_static_selectorELNS0_4arch9wavefront6targetE1EEEvT1_ ; -- Begin function _ZN7rocprim17ROCPRIM_400000_NS6detail17trampoline_kernelINS0_14default_configENS1_20scan_config_selectorIN3c104HalfEEEZZNS1_9scan_implILNS1_25lookback_scan_determinismE0ELb0ELb0ES3_PKS6_PS6_S6_ZZZN2at6native31launch_logcumsumexp_cuda_kernelERKNSD_10TensorBaseESH_lENKUlvE_clEvENKUlvE3_clEvEUlS6_S6_E_S6_EEDaPvRmT3_T4_T5_mT6_P12ihipStream_tbENKUlT_T0_E_clISt17integral_constantIbLb0EESX_IbLb1EEEEDaST_SU_EUlST_E0_NS1_11comp_targetILNS1_3genE10ELNS1_11target_archE1201ELNS1_3gpuE5ELNS1_3repE0EEENS1_30default_config_static_selectorELNS0_4arch9wavefront6targetE1EEEvT1_
	.p2align	8
	.type	_ZN7rocprim17ROCPRIM_400000_NS6detail17trampoline_kernelINS0_14default_configENS1_20scan_config_selectorIN3c104HalfEEEZZNS1_9scan_implILNS1_25lookback_scan_determinismE0ELb0ELb0ES3_PKS6_PS6_S6_ZZZN2at6native31launch_logcumsumexp_cuda_kernelERKNSD_10TensorBaseESH_lENKUlvE_clEvENKUlvE3_clEvEUlS6_S6_E_S6_EEDaPvRmT3_T4_T5_mT6_P12ihipStream_tbENKUlT_T0_E_clISt17integral_constantIbLb0EESX_IbLb1EEEEDaST_SU_EUlST_E0_NS1_11comp_targetILNS1_3genE10ELNS1_11target_archE1201ELNS1_3gpuE5ELNS1_3repE0EEENS1_30default_config_static_selectorELNS0_4arch9wavefront6targetE1EEEvT1_,@function
_ZN7rocprim17ROCPRIM_400000_NS6detail17trampoline_kernelINS0_14default_configENS1_20scan_config_selectorIN3c104HalfEEEZZNS1_9scan_implILNS1_25lookback_scan_determinismE0ELb0ELb0ES3_PKS6_PS6_S6_ZZZN2at6native31launch_logcumsumexp_cuda_kernelERKNSD_10TensorBaseESH_lENKUlvE_clEvENKUlvE3_clEvEUlS6_S6_E_S6_EEDaPvRmT3_T4_T5_mT6_P12ihipStream_tbENKUlT_T0_E_clISt17integral_constantIbLb0EESX_IbLb1EEEEDaST_SU_EUlST_E0_NS1_11comp_targetILNS1_3genE10ELNS1_11target_archE1201ELNS1_3gpuE5ELNS1_3repE0EEENS1_30default_config_static_selectorELNS0_4arch9wavefront6targetE1EEEvT1_: ; @_ZN7rocprim17ROCPRIM_400000_NS6detail17trampoline_kernelINS0_14default_configENS1_20scan_config_selectorIN3c104HalfEEEZZNS1_9scan_implILNS1_25lookback_scan_determinismE0ELb0ELb0ES3_PKS6_PS6_S6_ZZZN2at6native31launch_logcumsumexp_cuda_kernelERKNSD_10TensorBaseESH_lENKUlvE_clEvENKUlvE3_clEvEUlS6_S6_E_S6_EEDaPvRmT3_T4_T5_mT6_P12ihipStream_tbENKUlT_T0_E_clISt17integral_constantIbLb0EESX_IbLb1EEEEDaST_SU_EUlST_E0_NS1_11comp_targetILNS1_3genE10ELNS1_11target_archE1201ELNS1_3gpuE5ELNS1_3repE0EEENS1_30default_config_static_selectorELNS0_4arch9wavefront6targetE1EEEvT1_
; %bb.0:
	.section	.rodata,"a",@progbits
	.p2align	6, 0x0
	.amdhsa_kernel _ZN7rocprim17ROCPRIM_400000_NS6detail17trampoline_kernelINS0_14default_configENS1_20scan_config_selectorIN3c104HalfEEEZZNS1_9scan_implILNS1_25lookback_scan_determinismE0ELb0ELb0ES3_PKS6_PS6_S6_ZZZN2at6native31launch_logcumsumexp_cuda_kernelERKNSD_10TensorBaseESH_lENKUlvE_clEvENKUlvE3_clEvEUlS6_S6_E_S6_EEDaPvRmT3_T4_T5_mT6_P12ihipStream_tbENKUlT_T0_E_clISt17integral_constantIbLb0EESX_IbLb1EEEEDaST_SU_EUlST_E0_NS1_11comp_targetILNS1_3genE10ELNS1_11target_archE1201ELNS1_3gpuE5ELNS1_3repE0EEENS1_30default_config_static_selectorELNS0_4arch9wavefront6targetE1EEEvT1_
		.amdhsa_group_segment_fixed_size 0
		.amdhsa_private_segment_fixed_size 0
		.amdhsa_kernarg_size 32
		.amdhsa_user_sgpr_count 2
		.amdhsa_user_sgpr_dispatch_ptr 0
		.amdhsa_user_sgpr_queue_ptr 0
		.amdhsa_user_sgpr_kernarg_segment_ptr 1
		.amdhsa_user_sgpr_dispatch_id 0
		.amdhsa_user_sgpr_kernarg_preload_length 0
		.amdhsa_user_sgpr_kernarg_preload_offset 0
		.amdhsa_user_sgpr_private_segment_size 0
		.amdhsa_uses_dynamic_stack 0
		.amdhsa_enable_private_segment 0
		.amdhsa_system_sgpr_workgroup_id_x 1
		.amdhsa_system_sgpr_workgroup_id_y 0
		.amdhsa_system_sgpr_workgroup_id_z 0
		.amdhsa_system_sgpr_workgroup_info 0
		.amdhsa_system_vgpr_workitem_id 0
		.amdhsa_next_free_vgpr 1
		.amdhsa_next_free_sgpr 0
		.amdhsa_accum_offset 4
		.amdhsa_reserve_vcc 0
		.amdhsa_float_round_mode_32 0
		.amdhsa_float_round_mode_16_64 0
		.amdhsa_float_denorm_mode_32 3
		.amdhsa_float_denorm_mode_16_64 3
		.amdhsa_dx10_clamp 1
		.amdhsa_ieee_mode 1
		.amdhsa_fp16_overflow 0
		.amdhsa_tg_split 0
		.amdhsa_exception_fp_ieee_invalid_op 0
		.amdhsa_exception_fp_denorm_src 0
		.amdhsa_exception_fp_ieee_div_zero 0
		.amdhsa_exception_fp_ieee_overflow 0
		.amdhsa_exception_fp_ieee_underflow 0
		.amdhsa_exception_fp_ieee_inexact 0
		.amdhsa_exception_int_div_zero 0
	.end_amdhsa_kernel
	.section	.text._ZN7rocprim17ROCPRIM_400000_NS6detail17trampoline_kernelINS0_14default_configENS1_20scan_config_selectorIN3c104HalfEEEZZNS1_9scan_implILNS1_25lookback_scan_determinismE0ELb0ELb0ES3_PKS6_PS6_S6_ZZZN2at6native31launch_logcumsumexp_cuda_kernelERKNSD_10TensorBaseESH_lENKUlvE_clEvENKUlvE3_clEvEUlS6_S6_E_S6_EEDaPvRmT3_T4_T5_mT6_P12ihipStream_tbENKUlT_T0_E_clISt17integral_constantIbLb0EESX_IbLb1EEEEDaST_SU_EUlST_E0_NS1_11comp_targetILNS1_3genE10ELNS1_11target_archE1201ELNS1_3gpuE5ELNS1_3repE0EEENS1_30default_config_static_selectorELNS0_4arch9wavefront6targetE1EEEvT1_,"axG",@progbits,_ZN7rocprim17ROCPRIM_400000_NS6detail17trampoline_kernelINS0_14default_configENS1_20scan_config_selectorIN3c104HalfEEEZZNS1_9scan_implILNS1_25lookback_scan_determinismE0ELb0ELb0ES3_PKS6_PS6_S6_ZZZN2at6native31launch_logcumsumexp_cuda_kernelERKNSD_10TensorBaseESH_lENKUlvE_clEvENKUlvE3_clEvEUlS6_S6_E_S6_EEDaPvRmT3_T4_T5_mT6_P12ihipStream_tbENKUlT_T0_E_clISt17integral_constantIbLb0EESX_IbLb1EEEEDaST_SU_EUlST_E0_NS1_11comp_targetILNS1_3genE10ELNS1_11target_archE1201ELNS1_3gpuE5ELNS1_3repE0EEENS1_30default_config_static_selectorELNS0_4arch9wavefront6targetE1EEEvT1_,comdat
.Lfunc_end442:
	.size	_ZN7rocprim17ROCPRIM_400000_NS6detail17trampoline_kernelINS0_14default_configENS1_20scan_config_selectorIN3c104HalfEEEZZNS1_9scan_implILNS1_25lookback_scan_determinismE0ELb0ELb0ES3_PKS6_PS6_S6_ZZZN2at6native31launch_logcumsumexp_cuda_kernelERKNSD_10TensorBaseESH_lENKUlvE_clEvENKUlvE3_clEvEUlS6_S6_E_S6_EEDaPvRmT3_T4_T5_mT6_P12ihipStream_tbENKUlT_T0_E_clISt17integral_constantIbLb0EESX_IbLb1EEEEDaST_SU_EUlST_E0_NS1_11comp_targetILNS1_3genE10ELNS1_11target_archE1201ELNS1_3gpuE5ELNS1_3repE0EEENS1_30default_config_static_selectorELNS0_4arch9wavefront6targetE1EEEvT1_, .Lfunc_end442-_ZN7rocprim17ROCPRIM_400000_NS6detail17trampoline_kernelINS0_14default_configENS1_20scan_config_selectorIN3c104HalfEEEZZNS1_9scan_implILNS1_25lookback_scan_determinismE0ELb0ELb0ES3_PKS6_PS6_S6_ZZZN2at6native31launch_logcumsumexp_cuda_kernelERKNSD_10TensorBaseESH_lENKUlvE_clEvENKUlvE3_clEvEUlS6_S6_E_S6_EEDaPvRmT3_T4_T5_mT6_P12ihipStream_tbENKUlT_T0_E_clISt17integral_constantIbLb0EESX_IbLb1EEEEDaST_SU_EUlST_E0_NS1_11comp_targetILNS1_3genE10ELNS1_11target_archE1201ELNS1_3gpuE5ELNS1_3repE0EEENS1_30default_config_static_selectorELNS0_4arch9wavefront6targetE1EEEvT1_
                                        ; -- End function
	.section	.AMDGPU.csdata,"",@progbits
; Kernel info:
; codeLenInByte = 0
; NumSgprs: 6
; NumVgprs: 0
; NumAgprs: 0
; TotalNumVgprs: 0
; ScratchSize: 0
; MemoryBound: 0
; FloatMode: 240
; IeeeMode: 1
; LDSByteSize: 0 bytes/workgroup (compile time only)
; SGPRBlocks: 0
; VGPRBlocks: 0
; NumSGPRsForWavesPerEU: 6
; NumVGPRsForWavesPerEU: 1
; AccumOffset: 4
; Occupancy: 8
; WaveLimiterHint : 0
; COMPUTE_PGM_RSRC2:SCRATCH_EN: 0
; COMPUTE_PGM_RSRC2:USER_SGPR: 2
; COMPUTE_PGM_RSRC2:TRAP_HANDLER: 0
; COMPUTE_PGM_RSRC2:TGID_X_EN: 1
; COMPUTE_PGM_RSRC2:TGID_Y_EN: 0
; COMPUTE_PGM_RSRC2:TGID_Z_EN: 0
; COMPUTE_PGM_RSRC2:TIDIG_COMP_CNT: 0
; COMPUTE_PGM_RSRC3_GFX90A:ACCUM_OFFSET: 0
; COMPUTE_PGM_RSRC3_GFX90A:TG_SPLIT: 0
	.section	.text._ZN7rocprim17ROCPRIM_400000_NS6detail17trampoline_kernelINS0_14default_configENS1_20scan_config_selectorIN3c104HalfEEEZZNS1_9scan_implILNS1_25lookback_scan_determinismE0ELb0ELb0ES3_PKS6_PS6_S6_ZZZN2at6native31launch_logcumsumexp_cuda_kernelERKNSD_10TensorBaseESH_lENKUlvE_clEvENKUlvE3_clEvEUlS6_S6_E_S6_EEDaPvRmT3_T4_T5_mT6_P12ihipStream_tbENKUlT_T0_E_clISt17integral_constantIbLb0EESX_IbLb1EEEEDaST_SU_EUlST_E0_NS1_11comp_targetILNS1_3genE10ELNS1_11target_archE1200ELNS1_3gpuE4ELNS1_3repE0EEENS1_30default_config_static_selectorELNS0_4arch9wavefront6targetE1EEEvT1_,"axG",@progbits,_ZN7rocprim17ROCPRIM_400000_NS6detail17trampoline_kernelINS0_14default_configENS1_20scan_config_selectorIN3c104HalfEEEZZNS1_9scan_implILNS1_25lookback_scan_determinismE0ELb0ELb0ES3_PKS6_PS6_S6_ZZZN2at6native31launch_logcumsumexp_cuda_kernelERKNSD_10TensorBaseESH_lENKUlvE_clEvENKUlvE3_clEvEUlS6_S6_E_S6_EEDaPvRmT3_T4_T5_mT6_P12ihipStream_tbENKUlT_T0_E_clISt17integral_constantIbLb0EESX_IbLb1EEEEDaST_SU_EUlST_E0_NS1_11comp_targetILNS1_3genE10ELNS1_11target_archE1200ELNS1_3gpuE4ELNS1_3repE0EEENS1_30default_config_static_selectorELNS0_4arch9wavefront6targetE1EEEvT1_,comdat
	.globl	_ZN7rocprim17ROCPRIM_400000_NS6detail17trampoline_kernelINS0_14default_configENS1_20scan_config_selectorIN3c104HalfEEEZZNS1_9scan_implILNS1_25lookback_scan_determinismE0ELb0ELb0ES3_PKS6_PS6_S6_ZZZN2at6native31launch_logcumsumexp_cuda_kernelERKNSD_10TensorBaseESH_lENKUlvE_clEvENKUlvE3_clEvEUlS6_S6_E_S6_EEDaPvRmT3_T4_T5_mT6_P12ihipStream_tbENKUlT_T0_E_clISt17integral_constantIbLb0EESX_IbLb1EEEEDaST_SU_EUlST_E0_NS1_11comp_targetILNS1_3genE10ELNS1_11target_archE1200ELNS1_3gpuE4ELNS1_3repE0EEENS1_30default_config_static_selectorELNS0_4arch9wavefront6targetE1EEEvT1_ ; -- Begin function _ZN7rocprim17ROCPRIM_400000_NS6detail17trampoline_kernelINS0_14default_configENS1_20scan_config_selectorIN3c104HalfEEEZZNS1_9scan_implILNS1_25lookback_scan_determinismE0ELb0ELb0ES3_PKS6_PS6_S6_ZZZN2at6native31launch_logcumsumexp_cuda_kernelERKNSD_10TensorBaseESH_lENKUlvE_clEvENKUlvE3_clEvEUlS6_S6_E_S6_EEDaPvRmT3_T4_T5_mT6_P12ihipStream_tbENKUlT_T0_E_clISt17integral_constantIbLb0EESX_IbLb1EEEEDaST_SU_EUlST_E0_NS1_11comp_targetILNS1_3genE10ELNS1_11target_archE1200ELNS1_3gpuE4ELNS1_3repE0EEENS1_30default_config_static_selectorELNS0_4arch9wavefront6targetE1EEEvT1_
	.p2align	8
	.type	_ZN7rocprim17ROCPRIM_400000_NS6detail17trampoline_kernelINS0_14default_configENS1_20scan_config_selectorIN3c104HalfEEEZZNS1_9scan_implILNS1_25lookback_scan_determinismE0ELb0ELb0ES3_PKS6_PS6_S6_ZZZN2at6native31launch_logcumsumexp_cuda_kernelERKNSD_10TensorBaseESH_lENKUlvE_clEvENKUlvE3_clEvEUlS6_S6_E_S6_EEDaPvRmT3_T4_T5_mT6_P12ihipStream_tbENKUlT_T0_E_clISt17integral_constantIbLb0EESX_IbLb1EEEEDaST_SU_EUlST_E0_NS1_11comp_targetILNS1_3genE10ELNS1_11target_archE1200ELNS1_3gpuE4ELNS1_3repE0EEENS1_30default_config_static_selectorELNS0_4arch9wavefront6targetE1EEEvT1_,@function
_ZN7rocprim17ROCPRIM_400000_NS6detail17trampoline_kernelINS0_14default_configENS1_20scan_config_selectorIN3c104HalfEEEZZNS1_9scan_implILNS1_25lookback_scan_determinismE0ELb0ELb0ES3_PKS6_PS6_S6_ZZZN2at6native31launch_logcumsumexp_cuda_kernelERKNSD_10TensorBaseESH_lENKUlvE_clEvENKUlvE3_clEvEUlS6_S6_E_S6_EEDaPvRmT3_T4_T5_mT6_P12ihipStream_tbENKUlT_T0_E_clISt17integral_constantIbLb0EESX_IbLb1EEEEDaST_SU_EUlST_E0_NS1_11comp_targetILNS1_3genE10ELNS1_11target_archE1200ELNS1_3gpuE4ELNS1_3repE0EEENS1_30default_config_static_selectorELNS0_4arch9wavefront6targetE1EEEvT1_: ; @_ZN7rocprim17ROCPRIM_400000_NS6detail17trampoline_kernelINS0_14default_configENS1_20scan_config_selectorIN3c104HalfEEEZZNS1_9scan_implILNS1_25lookback_scan_determinismE0ELb0ELb0ES3_PKS6_PS6_S6_ZZZN2at6native31launch_logcumsumexp_cuda_kernelERKNSD_10TensorBaseESH_lENKUlvE_clEvENKUlvE3_clEvEUlS6_S6_E_S6_EEDaPvRmT3_T4_T5_mT6_P12ihipStream_tbENKUlT_T0_E_clISt17integral_constantIbLb0EESX_IbLb1EEEEDaST_SU_EUlST_E0_NS1_11comp_targetILNS1_3genE10ELNS1_11target_archE1200ELNS1_3gpuE4ELNS1_3repE0EEENS1_30default_config_static_selectorELNS0_4arch9wavefront6targetE1EEEvT1_
; %bb.0:
	.section	.rodata,"a",@progbits
	.p2align	6, 0x0
	.amdhsa_kernel _ZN7rocprim17ROCPRIM_400000_NS6detail17trampoline_kernelINS0_14default_configENS1_20scan_config_selectorIN3c104HalfEEEZZNS1_9scan_implILNS1_25lookback_scan_determinismE0ELb0ELb0ES3_PKS6_PS6_S6_ZZZN2at6native31launch_logcumsumexp_cuda_kernelERKNSD_10TensorBaseESH_lENKUlvE_clEvENKUlvE3_clEvEUlS6_S6_E_S6_EEDaPvRmT3_T4_T5_mT6_P12ihipStream_tbENKUlT_T0_E_clISt17integral_constantIbLb0EESX_IbLb1EEEEDaST_SU_EUlST_E0_NS1_11comp_targetILNS1_3genE10ELNS1_11target_archE1200ELNS1_3gpuE4ELNS1_3repE0EEENS1_30default_config_static_selectorELNS0_4arch9wavefront6targetE1EEEvT1_
		.amdhsa_group_segment_fixed_size 0
		.amdhsa_private_segment_fixed_size 0
		.amdhsa_kernarg_size 32
		.amdhsa_user_sgpr_count 2
		.amdhsa_user_sgpr_dispatch_ptr 0
		.amdhsa_user_sgpr_queue_ptr 0
		.amdhsa_user_sgpr_kernarg_segment_ptr 1
		.amdhsa_user_sgpr_dispatch_id 0
		.amdhsa_user_sgpr_kernarg_preload_length 0
		.amdhsa_user_sgpr_kernarg_preload_offset 0
		.amdhsa_user_sgpr_private_segment_size 0
		.amdhsa_uses_dynamic_stack 0
		.amdhsa_enable_private_segment 0
		.amdhsa_system_sgpr_workgroup_id_x 1
		.amdhsa_system_sgpr_workgroup_id_y 0
		.amdhsa_system_sgpr_workgroup_id_z 0
		.amdhsa_system_sgpr_workgroup_info 0
		.amdhsa_system_vgpr_workitem_id 0
		.amdhsa_next_free_vgpr 1
		.amdhsa_next_free_sgpr 0
		.amdhsa_accum_offset 4
		.amdhsa_reserve_vcc 0
		.amdhsa_float_round_mode_32 0
		.amdhsa_float_round_mode_16_64 0
		.amdhsa_float_denorm_mode_32 3
		.amdhsa_float_denorm_mode_16_64 3
		.amdhsa_dx10_clamp 1
		.amdhsa_ieee_mode 1
		.amdhsa_fp16_overflow 0
		.amdhsa_tg_split 0
		.amdhsa_exception_fp_ieee_invalid_op 0
		.amdhsa_exception_fp_denorm_src 0
		.amdhsa_exception_fp_ieee_div_zero 0
		.amdhsa_exception_fp_ieee_overflow 0
		.amdhsa_exception_fp_ieee_underflow 0
		.amdhsa_exception_fp_ieee_inexact 0
		.amdhsa_exception_int_div_zero 0
	.end_amdhsa_kernel
	.section	.text._ZN7rocprim17ROCPRIM_400000_NS6detail17trampoline_kernelINS0_14default_configENS1_20scan_config_selectorIN3c104HalfEEEZZNS1_9scan_implILNS1_25lookback_scan_determinismE0ELb0ELb0ES3_PKS6_PS6_S6_ZZZN2at6native31launch_logcumsumexp_cuda_kernelERKNSD_10TensorBaseESH_lENKUlvE_clEvENKUlvE3_clEvEUlS6_S6_E_S6_EEDaPvRmT3_T4_T5_mT6_P12ihipStream_tbENKUlT_T0_E_clISt17integral_constantIbLb0EESX_IbLb1EEEEDaST_SU_EUlST_E0_NS1_11comp_targetILNS1_3genE10ELNS1_11target_archE1200ELNS1_3gpuE4ELNS1_3repE0EEENS1_30default_config_static_selectorELNS0_4arch9wavefront6targetE1EEEvT1_,"axG",@progbits,_ZN7rocprim17ROCPRIM_400000_NS6detail17trampoline_kernelINS0_14default_configENS1_20scan_config_selectorIN3c104HalfEEEZZNS1_9scan_implILNS1_25lookback_scan_determinismE0ELb0ELb0ES3_PKS6_PS6_S6_ZZZN2at6native31launch_logcumsumexp_cuda_kernelERKNSD_10TensorBaseESH_lENKUlvE_clEvENKUlvE3_clEvEUlS6_S6_E_S6_EEDaPvRmT3_T4_T5_mT6_P12ihipStream_tbENKUlT_T0_E_clISt17integral_constantIbLb0EESX_IbLb1EEEEDaST_SU_EUlST_E0_NS1_11comp_targetILNS1_3genE10ELNS1_11target_archE1200ELNS1_3gpuE4ELNS1_3repE0EEENS1_30default_config_static_selectorELNS0_4arch9wavefront6targetE1EEEvT1_,comdat
.Lfunc_end443:
	.size	_ZN7rocprim17ROCPRIM_400000_NS6detail17trampoline_kernelINS0_14default_configENS1_20scan_config_selectorIN3c104HalfEEEZZNS1_9scan_implILNS1_25lookback_scan_determinismE0ELb0ELb0ES3_PKS6_PS6_S6_ZZZN2at6native31launch_logcumsumexp_cuda_kernelERKNSD_10TensorBaseESH_lENKUlvE_clEvENKUlvE3_clEvEUlS6_S6_E_S6_EEDaPvRmT3_T4_T5_mT6_P12ihipStream_tbENKUlT_T0_E_clISt17integral_constantIbLb0EESX_IbLb1EEEEDaST_SU_EUlST_E0_NS1_11comp_targetILNS1_3genE10ELNS1_11target_archE1200ELNS1_3gpuE4ELNS1_3repE0EEENS1_30default_config_static_selectorELNS0_4arch9wavefront6targetE1EEEvT1_, .Lfunc_end443-_ZN7rocprim17ROCPRIM_400000_NS6detail17trampoline_kernelINS0_14default_configENS1_20scan_config_selectorIN3c104HalfEEEZZNS1_9scan_implILNS1_25lookback_scan_determinismE0ELb0ELb0ES3_PKS6_PS6_S6_ZZZN2at6native31launch_logcumsumexp_cuda_kernelERKNSD_10TensorBaseESH_lENKUlvE_clEvENKUlvE3_clEvEUlS6_S6_E_S6_EEDaPvRmT3_T4_T5_mT6_P12ihipStream_tbENKUlT_T0_E_clISt17integral_constantIbLb0EESX_IbLb1EEEEDaST_SU_EUlST_E0_NS1_11comp_targetILNS1_3genE10ELNS1_11target_archE1200ELNS1_3gpuE4ELNS1_3repE0EEENS1_30default_config_static_selectorELNS0_4arch9wavefront6targetE1EEEvT1_
                                        ; -- End function
	.section	.AMDGPU.csdata,"",@progbits
; Kernel info:
; codeLenInByte = 0
; NumSgprs: 6
; NumVgprs: 0
; NumAgprs: 0
; TotalNumVgprs: 0
; ScratchSize: 0
; MemoryBound: 0
; FloatMode: 240
; IeeeMode: 1
; LDSByteSize: 0 bytes/workgroup (compile time only)
; SGPRBlocks: 0
; VGPRBlocks: 0
; NumSGPRsForWavesPerEU: 6
; NumVGPRsForWavesPerEU: 1
; AccumOffset: 4
; Occupancy: 8
; WaveLimiterHint : 0
; COMPUTE_PGM_RSRC2:SCRATCH_EN: 0
; COMPUTE_PGM_RSRC2:USER_SGPR: 2
; COMPUTE_PGM_RSRC2:TRAP_HANDLER: 0
; COMPUTE_PGM_RSRC2:TGID_X_EN: 1
; COMPUTE_PGM_RSRC2:TGID_Y_EN: 0
; COMPUTE_PGM_RSRC2:TGID_Z_EN: 0
; COMPUTE_PGM_RSRC2:TIDIG_COMP_CNT: 0
; COMPUTE_PGM_RSRC3_GFX90A:ACCUM_OFFSET: 0
; COMPUTE_PGM_RSRC3_GFX90A:TG_SPLIT: 0
	.section	.text._ZN7rocprim17ROCPRIM_400000_NS6detail17trampoline_kernelINS0_14default_configENS1_20scan_config_selectorIN3c104HalfEEEZZNS1_9scan_implILNS1_25lookback_scan_determinismE0ELb0ELb0ES3_PKS6_PS6_S6_ZZZN2at6native31launch_logcumsumexp_cuda_kernelERKNSD_10TensorBaseESH_lENKUlvE_clEvENKUlvE3_clEvEUlS6_S6_E_S6_EEDaPvRmT3_T4_T5_mT6_P12ihipStream_tbENKUlT_T0_E_clISt17integral_constantIbLb0EESX_IbLb1EEEEDaST_SU_EUlST_E0_NS1_11comp_targetILNS1_3genE9ELNS1_11target_archE1100ELNS1_3gpuE3ELNS1_3repE0EEENS1_30default_config_static_selectorELNS0_4arch9wavefront6targetE1EEEvT1_,"axG",@progbits,_ZN7rocprim17ROCPRIM_400000_NS6detail17trampoline_kernelINS0_14default_configENS1_20scan_config_selectorIN3c104HalfEEEZZNS1_9scan_implILNS1_25lookback_scan_determinismE0ELb0ELb0ES3_PKS6_PS6_S6_ZZZN2at6native31launch_logcumsumexp_cuda_kernelERKNSD_10TensorBaseESH_lENKUlvE_clEvENKUlvE3_clEvEUlS6_S6_E_S6_EEDaPvRmT3_T4_T5_mT6_P12ihipStream_tbENKUlT_T0_E_clISt17integral_constantIbLb0EESX_IbLb1EEEEDaST_SU_EUlST_E0_NS1_11comp_targetILNS1_3genE9ELNS1_11target_archE1100ELNS1_3gpuE3ELNS1_3repE0EEENS1_30default_config_static_selectorELNS0_4arch9wavefront6targetE1EEEvT1_,comdat
	.globl	_ZN7rocprim17ROCPRIM_400000_NS6detail17trampoline_kernelINS0_14default_configENS1_20scan_config_selectorIN3c104HalfEEEZZNS1_9scan_implILNS1_25lookback_scan_determinismE0ELb0ELb0ES3_PKS6_PS6_S6_ZZZN2at6native31launch_logcumsumexp_cuda_kernelERKNSD_10TensorBaseESH_lENKUlvE_clEvENKUlvE3_clEvEUlS6_S6_E_S6_EEDaPvRmT3_T4_T5_mT6_P12ihipStream_tbENKUlT_T0_E_clISt17integral_constantIbLb0EESX_IbLb1EEEEDaST_SU_EUlST_E0_NS1_11comp_targetILNS1_3genE9ELNS1_11target_archE1100ELNS1_3gpuE3ELNS1_3repE0EEENS1_30default_config_static_selectorELNS0_4arch9wavefront6targetE1EEEvT1_ ; -- Begin function _ZN7rocprim17ROCPRIM_400000_NS6detail17trampoline_kernelINS0_14default_configENS1_20scan_config_selectorIN3c104HalfEEEZZNS1_9scan_implILNS1_25lookback_scan_determinismE0ELb0ELb0ES3_PKS6_PS6_S6_ZZZN2at6native31launch_logcumsumexp_cuda_kernelERKNSD_10TensorBaseESH_lENKUlvE_clEvENKUlvE3_clEvEUlS6_S6_E_S6_EEDaPvRmT3_T4_T5_mT6_P12ihipStream_tbENKUlT_T0_E_clISt17integral_constantIbLb0EESX_IbLb1EEEEDaST_SU_EUlST_E0_NS1_11comp_targetILNS1_3genE9ELNS1_11target_archE1100ELNS1_3gpuE3ELNS1_3repE0EEENS1_30default_config_static_selectorELNS0_4arch9wavefront6targetE1EEEvT1_
	.p2align	8
	.type	_ZN7rocprim17ROCPRIM_400000_NS6detail17trampoline_kernelINS0_14default_configENS1_20scan_config_selectorIN3c104HalfEEEZZNS1_9scan_implILNS1_25lookback_scan_determinismE0ELb0ELb0ES3_PKS6_PS6_S6_ZZZN2at6native31launch_logcumsumexp_cuda_kernelERKNSD_10TensorBaseESH_lENKUlvE_clEvENKUlvE3_clEvEUlS6_S6_E_S6_EEDaPvRmT3_T4_T5_mT6_P12ihipStream_tbENKUlT_T0_E_clISt17integral_constantIbLb0EESX_IbLb1EEEEDaST_SU_EUlST_E0_NS1_11comp_targetILNS1_3genE9ELNS1_11target_archE1100ELNS1_3gpuE3ELNS1_3repE0EEENS1_30default_config_static_selectorELNS0_4arch9wavefront6targetE1EEEvT1_,@function
_ZN7rocprim17ROCPRIM_400000_NS6detail17trampoline_kernelINS0_14default_configENS1_20scan_config_selectorIN3c104HalfEEEZZNS1_9scan_implILNS1_25lookback_scan_determinismE0ELb0ELb0ES3_PKS6_PS6_S6_ZZZN2at6native31launch_logcumsumexp_cuda_kernelERKNSD_10TensorBaseESH_lENKUlvE_clEvENKUlvE3_clEvEUlS6_S6_E_S6_EEDaPvRmT3_T4_T5_mT6_P12ihipStream_tbENKUlT_T0_E_clISt17integral_constantIbLb0EESX_IbLb1EEEEDaST_SU_EUlST_E0_NS1_11comp_targetILNS1_3genE9ELNS1_11target_archE1100ELNS1_3gpuE3ELNS1_3repE0EEENS1_30default_config_static_selectorELNS0_4arch9wavefront6targetE1EEEvT1_: ; @_ZN7rocprim17ROCPRIM_400000_NS6detail17trampoline_kernelINS0_14default_configENS1_20scan_config_selectorIN3c104HalfEEEZZNS1_9scan_implILNS1_25lookback_scan_determinismE0ELb0ELb0ES3_PKS6_PS6_S6_ZZZN2at6native31launch_logcumsumexp_cuda_kernelERKNSD_10TensorBaseESH_lENKUlvE_clEvENKUlvE3_clEvEUlS6_S6_E_S6_EEDaPvRmT3_T4_T5_mT6_P12ihipStream_tbENKUlT_T0_E_clISt17integral_constantIbLb0EESX_IbLb1EEEEDaST_SU_EUlST_E0_NS1_11comp_targetILNS1_3genE9ELNS1_11target_archE1100ELNS1_3gpuE3ELNS1_3repE0EEENS1_30default_config_static_selectorELNS0_4arch9wavefront6targetE1EEEvT1_
; %bb.0:
	.section	.rodata,"a",@progbits
	.p2align	6, 0x0
	.amdhsa_kernel _ZN7rocprim17ROCPRIM_400000_NS6detail17trampoline_kernelINS0_14default_configENS1_20scan_config_selectorIN3c104HalfEEEZZNS1_9scan_implILNS1_25lookback_scan_determinismE0ELb0ELb0ES3_PKS6_PS6_S6_ZZZN2at6native31launch_logcumsumexp_cuda_kernelERKNSD_10TensorBaseESH_lENKUlvE_clEvENKUlvE3_clEvEUlS6_S6_E_S6_EEDaPvRmT3_T4_T5_mT6_P12ihipStream_tbENKUlT_T0_E_clISt17integral_constantIbLb0EESX_IbLb1EEEEDaST_SU_EUlST_E0_NS1_11comp_targetILNS1_3genE9ELNS1_11target_archE1100ELNS1_3gpuE3ELNS1_3repE0EEENS1_30default_config_static_selectorELNS0_4arch9wavefront6targetE1EEEvT1_
		.amdhsa_group_segment_fixed_size 0
		.amdhsa_private_segment_fixed_size 0
		.amdhsa_kernarg_size 32
		.amdhsa_user_sgpr_count 2
		.amdhsa_user_sgpr_dispatch_ptr 0
		.amdhsa_user_sgpr_queue_ptr 0
		.amdhsa_user_sgpr_kernarg_segment_ptr 1
		.amdhsa_user_sgpr_dispatch_id 0
		.amdhsa_user_sgpr_kernarg_preload_length 0
		.amdhsa_user_sgpr_kernarg_preload_offset 0
		.amdhsa_user_sgpr_private_segment_size 0
		.amdhsa_uses_dynamic_stack 0
		.amdhsa_enable_private_segment 0
		.amdhsa_system_sgpr_workgroup_id_x 1
		.amdhsa_system_sgpr_workgroup_id_y 0
		.amdhsa_system_sgpr_workgroup_id_z 0
		.amdhsa_system_sgpr_workgroup_info 0
		.amdhsa_system_vgpr_workitem_id 0
		.amdhsa_next_free_vgpr 1
		.amdhsa_next_free_sgpr 0
		.amdhsa_accum_offset 4
		.amdhsa_reserve_vcc 0
		.amdhsa_float_round_mode_32 0
		.amdhsa_float_round_mode_16_64 0
		.amdhsa_float_denorm_mode_32 3
		.amdhsa_float_denorm_mode_16_64 3
		.amdhsa_dx10_clamp 1
		.amdhsa_ieee_mode 1
		.amdhsa_fp16_overflow 0
		.amdhsa_tg_split 0
		.amdhsa_exception_fp_ieee_invalid_op 0
		.amdhsa_exception_fp_denorm_src 0
		.amdhsa_exception_fp_ieee_div_zero 0
		.amdhsa_exception_fp_ieee_overflow 0
		.amdhsa_exception_fp_ieee_underflow 0
		.amdhsa_exception_fp_ieee_inexact 0
		.amdhsa_exception_int_div_zero 0
	.end_amdhsa_kernel
	.section	.text._ZN7rocprim17ROCPRIM_400000_NS6detail17trampoline_kernelINS0_14default_configENS1_20scan_config_selectorIN3c104HalfEEEZZNS1_9scan_implILNS1_25lookback_scan_determinismE0ELb0ELb0ES3_PKS6_PS6_S6_ZZZN2at6native31launch_logcumsumexp_cuda_kernelERKNSD_10TensorBaseESH_lENKUlvE_clEvENKUlvE3_clEvEUlS6_S6_E_S6_EEDaPvRmT3_T4_T5_mT6_P12ihipStream_tbENKUlT_T0_E_clISt17integral_constantIbLb0EESX_IbLb1EEEEDaST_SU_EUlST_E0_NS1_11comp_targetILNS1_3genE9ELNS1_11target_archE1100ELNS1_3gpuE3ELNS1_3repE0EEENS1_30default_config_static_selectorELNS0_4arch9wavefront6targetE1EEEvT1_,"axG",@progbits,_ZN7rocprim17ROCPRIM_400000_NS6detail17trampoline_kernelINS0_14default_configENS1_20scan_config_selectorIN3c104HalfEEEZZNS1_9scan_implILNS1_25lookback_scan_determinismE0ELb0ELb0ES3_PKS6_PS6_S6_ZZZN2at6native31launch_logcumsumexp_cuda_kernelERKNSD_10TensorBaseESH_lENKUlvE_clEvENKUlvE3_clEvEUlS6_S6_E_S6_EEDaPvRmT3_T4_T5_mT6_P12ihipStream_tbENKUlT_T0_E_clISt17integral_constantIbLb0EESX_IbLb1EEEEDaST_SU_EUlST_E0_NS1_11comp_targetILNS1_3genE9ELNS1_11target_archE1100ELNS1_3gpuE3ELNS1_3repE0EEENS1_30default_config_static_selectorELNS0_4arch9wavefront6targetE1EEEvT1_,comdat
.Lfunc_end444:
	.size	_ZN7rocprim17ROCPRIM_400000_NS6detail17trampoline_kernelINS0_14default_configENS1_20scan_config_selectorIN3c104HalfEEEZZNS1_9scan_implILNS1_25lookback_scan_determinismE0ELb0ELb0ES3_PKS6_PS6_S6_ZZZN2at6native31launch_logcumsumexp_cuda_kernelERKNSD_10TensorBaseESH_lENKUlvE_clEvENKUlvE3_clEvEUlS6_S6_E_S6_EEDaPvRmT3_T4_T5_mT6_P12ihipStream_tbENKUlT_T0_E_clISt17integral_constantIbLb0EESX_IbLb1EEEEDaST_SU_EUlST_E0_NS1_11comp_targetILNS1_3genE9ELNS1_11target_archE1100ELNS1_3gpuE3ELNS1_3repE0EEENS1_30default_config_static_selectorELNS0_4arch9wavefront6targetE1EEEvT1_, .Lfunc_end444-_ZN7rocprim17ROCPRIM_400000_NS6detail17trampoline_kernelINS0_14default_configENS1_20scan_config_selectorIN3c104HalfEEEZZNS1_9scan_implILNS1_25lookback_scan_determinismE0ELb0ELb0ES3_PKS6_PS6_S6_ZZZN2at6native31launch_logcumsumexp_cuda_kernelERKNSD_10TensorBaseESH_lENKUlvE_clEvENKUlvE3_clEvEUlS6_S6_E_S6_EEDaPvRmT3_T4_T5_mT6_P12ihipStream_tbENKUlT_T0_E_clISt17integral_constantIbLb0EESX_IbLb1EEEEDaST_SU_EUlST_E0_NS1_11comp_targetILNS1_3genE9ELNS1_11target_archE1100ELNS1_3gpuE3ELNS1_3repE0EEENS1_30default_config_static_selectorELNS0_4arch9wavefront6targetE1EEEvT1_
                                        ; -- End function
	.section	.AMDGPU.csdata,"",@progbits
; Kernel info:
; codeLenInByte = 0
; NumSgprs: 6
; NumVgprs: 0
; NumAgprs: 0
; TotalNumVgprs: 0
; ScratchSize: 0
; MemoryBound: 0
; FloatMode: 240
; IeeeMode: 1
; LDSByteSize: 0 bytes/workgroup (compile time only)
; SGPRBlocks: 0
; VGPRBlocks: 0
; NumSGPRsForWavesPerEU: 6
; NumVGPRsForWavesPerEU: 1
; AccumOffset: 4
; Occupancy: 8
; WaveLimiterHint : 0
; COMPUTE_PGM_RSRC2:SCRATCH_EN: 0
; COMPUTE_PGM_RSRC2:USER_SGPR: 2
; COMPUTE_PGM_RSRC2:TRAP_HANDLER: 0
; COMPUTE_PGM_RSRC2:TGID_X_EN: 1
; COMPUTE_PGM_RSRC2:TGID_Y_EN: 0
; COMPUTE_PGM_RSRC2:TGID_Z_EN: 0
; COMPUTE_PGM_RSRC2:TIDIG_COMP_CNT: 0
; COMPUTE_PGM_RSRC3_GFX90A:ACCUM_OFFSET: 0
; COMPUTE_PGM_RSRC3_GFX90A:TG_SPLIT: 0
	.section	.text._ZN7rocprim17ROCPRIM_400000_NS6detail17trampoline_kernelINS0_14default_configENS1_20scan_config_selectorIN3c104HalfEEEZZNS1_9scan_implILNS1_25lookback_scan_determinismE0ELb0ELb0ES3_PKS6_PS6_S6_ZZZN2at6native31launch_logcumsumexp_cuda_kernelERKNSD_10TensorBaseESH_lENKUlvE_clEvENKUlvE3_clEvEUlS6_S6_E_S6_EEDaPvRmT3_T4_T5_mT6_P12ihipStream_tbENKUlT_T0_E_clISt17integral_constantIbLb0EESX_IbLb1EEEEDaST_SU_EUlST_E0_NS1_11comp_targetILNS1_3genE8ELNS1_11target_archE1030ELNS1_3gpuE2ELNS1_3repE0EEENS1_30default_config_static_selectorELNS0_4arch9wavefront6targetE1EEEvT1_,"axG",@progbits,_ZN7rocprim17ROCPRIM_400000_NS6detail17trampoline_kernelINS0_14default_configENS1_20scan_config_selectorIN3c104HalfEEEZZNS1_9scan_implILNS1_25lookback_scan_determinismE0ELb0ELb0ES3_PKS6_PS6_S6_ZZZN2at6native31launch_logcumsumexp_cuda_kernelERKNSD_10TensorBaseESH_lENKUlvE_clEvENKUlvE3_clEvEUlS6_S6_E_S6_EEDaPvRmT3_T4_T5_mT6_P12ihipStream_tbENKUlT_T0_E_clISt17integral_constantIbLb0EESX_IbLb1EEEEDaST_SU_EUlST_E0_NS1_11comp_targetILNS1_3genE8ELNS1_11target_archE1030ELNS1_3gpuE2ELNS1_3repE0EEENS1_30default_config_static_selectorELNS0_4arch9wavefront6targetE1EEEvT1_,comdat
	.globl	_ZN7rocprim17ROCPRIM_400000_NS6detail17trampoline_kernelINS0_14default_configENS1_20scan_config_selectorIN3c104HalfEEEZZNS1_9scan_implILNS1_25lookback_scan_determinismE0ELb0ELb0ES3_PKS6_PS6_S6_ZZZN2at6native31launch_logcumsumexp_cuda_kernelERKNSD_10TensorBaseESH_lENKUlvE_clEvENKUlvE3_clEvEUlS6_S6_E_S6_EEDaPvRmT3_T4_T5_mT6_P12ihipStream_tbENKUlT_T0_E_clISt17integral_constantIbLb0EESX_IbLb1EEEEDaST_SU_EUlST_E0_NS1_11comp_targetILNS1_3genE8ELNS1_11target_archE1030ELNS1_3gpuE2ELNS1_3repE0EEENS1_30default_config_static_selectorELNS0_4arch9wavefront6targetE1EEEvT1_ ; -- Begin function _ZN7rocprim17ROCPRIM_400000_NS6detail17trampoline_kernelINS0_14default_configENS1_20scan_config_selectorIN3c104HalfEEEZZNS1_9scan_implILNS1_25lookback_scan_determinismE0ELb0ELb0ES3_PKS6_PS6_S6_ZZZN2at6native31launch_logcumsumexp_cuda_kernelERKNSD_10TensorBaseESH_lENKUlvE_clEvENKUlvE3_clEvEUlS6_S6_E_S6_EEDaPvRmT3_T4_T5_mT6_P12ihipStream_tbENKUlT_T0_E_clISt17integral_constantIbLb0EESX_IbLb1EEEEDaST_SU_EUlST_E0_NS1_11comp_targetILNS1_3genE8ELNS1_11target_archE1030ELNS1_3gpuE2ELNS1_3repE0EEENS1_30default_config_static_selectorELNS0_4arch9wavefront6targetE1EEEvT1_
	.p2align	8
	.type	_ZN7rocprim17ROCPRIM_400000_NS6detail17trampoline_kernelINS0_14default_configENS1_20scan_config_selectorIN3c104HalfEEEZZNS1_9scan_implILNS1_25lookback_scan_determinismE0ELb0ELb0ES3_PKS6_PS6_S6_ZZZN2at6native31launch_logcumsumexp_cuda_kernelERKNSD_10TensorBaseESH_lENKUlvE_clEvENKUlvE3_clEvEUlS6_S6_E_S6_EEDaPvRmT3_T4_T5_mT6_P12ihipStream_tbENKUlT_T0_E_clISt17integral_constantIbLb0EESX_IbLb1EEEEDaST_SU_EUlST_E0_NS1_11comp_targetILNS1_3genE8ELNS1_11target_archE1030ELNS1_3gpuE2ELNS1_3repE0EEENS1_30default_config_static_selectorELNS0_4arch9wavefront6targetE1EEEvT1_,@function
_ZN7rocprim17ROCPRIM_400000_NS6detail17trampoline_kernelINS0_14default_configENS1_20scan_config_selectorIN3c104HalfEEEZZNS1_9scan_implILNS1_25lookback_scan_determinismE0ELb0ELb0ES3_PKS6_PS6_S6_ZZZN2at6native31launch_logcumsumexp_cuda_kernelERKNSD_10TensorBaseESH_lENKUlvE_clEvENKUlvE3_clEvEUlS6_S6_E_S6_EEDaPvRmT3_T4_T5_mT6_P12ihipStream_tbENKUlT_T0_E_clISt17integral_constantIbLb0EESX_IbLb1EEEEDaST_SU_EUlST_E0_NS1_11comp_targetILNS1_3genE8ELNS1_11target_archE1030ELNS1_3gpuE2ELNS1_3repE0EEENS1_30default_config_static_selectorELNS0_4arch9wavefront6targetE1EEEvT1_: ; @_ZN7rocprim17ROCPRIM_400000_NS6detail17trampoline_kernelINS0_14default_configENS1_20scan_config_selectorIN3c104HalfEEEZZNS1_9scan_implILNS1_25lookback_scan_determinismE0ELb0ELb0ES3_PKS6_PS6_S6_ZZZN2at6native31launch_logcumsumexp_cuda_kernelERKNSD_10TensorBaseESH_lENKUlvE_clEvENKUlvE3_clEvEUlS6_S6_E_S6_EEDaPvRmT3_T4_T5_mT6_P12ihipStream_tbENKUlT_T0_E_clISt17integral_constantIbLb0EESX_IbLb1EEEEDaST_SU_EUlST_E0_NS1_11comp_targetILNS1_3genE8ELNS1_11target_archE1030ELNS1_3gpuE2ELNS1_3repE0EEENS1_30default_config_static_selectorELNS0_4arch9wavefront6targetE1EEEvT1_
; %bb.0:
	.section	.rodata,"a",@progbits
	.p2align	6, 0x0
	.amdhsa_kernel _ZN7rocprim17ROCPRIM_400000_NS6detail17trampoline_kernelINS0_14default_configENS1_20scan_config_selectorIN3c104HalfEEEZZNS1_9scan_implILNS1_25lookback_scan_determinismE0ELb0ELb0ES3_PKS6_PS6_S6_ZZZN2at6native31launch_logcumsumexp_cuda_kernelERKNSD_10TensorBaseESH_lENKUlvE_clEvENKUlvE3_clEvEUlS6_S6_E_S6_EEDaPvRmT3_T4_T5_mT6_P12ihipStream_tbENKUlT_T0_E_clISt17integral_constantIbLb0EESX_IbLb1EEEEDaST_SU_EUlST_E0_NS1_11comp_targetILNS1_3genE8ELNS1_11target_archE1030ELNS1_3gpuE2ELNS1_3repE0EEENS1_30default_config_static_selectorELNS0_4arch9wavefront6targetE1EEEvT1_
		.amdhsa_group_segment_fixed_size 0
		.amdhsa_private_segment_fixed_size 0
		.amdhsa_kernarg_size 32
		.amdhsa_user_sgpr_count 2
		.amdhsa_user_sgpr_dispatch_ptr 0
		.amdhsa_user_sgpr_queue_ptr 0
		.amdhsa_user_sgpr_kernarg_segment_ptr 1
		.amdhsa_user_sgpr_dispatch_id 0
		.amdhsa_user_sgpr_kernarg_preload_length 0
		.amdhsa_user_sgpr_kernarg_preload_offset 0
		.amdhsa_user_sgpr_private_segment_size 0
		.amdhsa_uses_dynamic_stack 0
		.amdhsa_enable_private_segment 0
		.amdhsa_system_sgpr_workgroup_id_x 1
		.amdhsa_system_sgpr_workgroup_id_y 0
		.amdhsa_system_sgpr_workgroup_id_z 0
		.amdhsa_system_sgpr_workgroup_info 0
		.amdhsa_system_vgpr_workitem_id 0
		.amdhsa_next_free_vgpr 1
		.amdhsa_next_free_sgpr 0
		.amdhsa_accum_offset 4
		.amdhsa_reserve_vcc 0
		.amdhsa_float_round_mode_32 0
		.amdhsa_float_round_mode_16_64 0
		.amdhsa_float_denorm_mode_32 3
		.amdhsa_float_denorm_mode_16_64 3
		.amdhsa_dx10_clamp 1
		.amdhsa_ieee_mode 1
		.amdhsa_fp16_overflow 0
		.amdhsa_tg_split 0
		.amdhsa_exception_fp_ieee_invalid_op 0
		.amdhsa_exception_fp_denorm_src 0
		.amdhsa_exception_fp_ieee_div_zero 0
		.amdhsa_exception_fp_ieee_overflow 0
		.amdhsa_exception_fp_ieee_underflow 0
		.amdhsa_exception_fp_ieee_inexact 0
		.amdhsa_exception_int_div_zero 0
	.end_amdhsa_kernel
	.section	.text._ZN7rocprim17ROCPRIM_400000_NS6detail17trampoline_kernelINS0_14default_configENS1_20scan_config_selectorIN3c104HalfEEEZZNS1_9scan_implILNS1_25lookback_scan_determinismE0ELb0ELb0ES3_PKS6_PS6_S6_ZZZN2at6native31launch_logcumsumexp_cuda_kernelERKNSD_10TensorBaseESH_lENKUlvE_clEvENKUlvE3_clEvEUlS6_S6_E_S6_EEDaPvRmT3_T4_T5_mT6_P12ihipStream_tbENKUlT_T0_E_clISt17integral_constantIbLb0EESX_IbLb1EEEEDaST_SU_EUlST_E0_NS1_11comp_targetILNS1_3genE8ELNS1_11target_archE1030ELNS1_3gpuE2ELNS1_3repE0EEENS1_30default_config_static_selectorELNS0_4arch9wavefront6targetE1EEEvT1_,"axG",@progbits,_ZN7rocprim17ROCPRIM_400000_NS6detail17trampoline_kernelINS0_14default_configENS1_20scan_config_selectorIN3c104HalfEEEZZNS1_9scan_implILNS1_25lookback_scan_determinismE0ELb0ELb0ES3_PKS6_PS6_S6_ZZZN2at6native31launch_logcumsumexp_cuda_kernelERKNSD_10TensorBaseESH_lENKUlvE_clEvENKUlvE3_clEvEUlS6_S6_E_S6_EEDaPvRmT3_T4_T5_mT6_P12ihipStream_tbENKUlT_T0_E_clISt17integral_constantIbLb0EESX_IbLb1EEEEDaST_SU_EUlST_E0_NS1_11comp_targetILNS1_3genE8ELNS1_11target_archE1030ELNS1_3gpuE2ELNS1_3repE0EEENS1_30default_config_static_selectorELNS0_4arch9wavefront6targetE1EEEvT1_,comdat
.Lfunc_end445:
	.size	_ZN7rocprim17ROCPRIM_400000_NS6detail17trampoline_kernelINS0_14default_configENS1_20scan_config_selectorIN3c104HalfEEEZZNS1_9scan_implILNS1_25lookback_scan_determinismE0ELb0ELb0ES3_PKS6_PS6_S6_ZZZN2at6native31launch_logcumsumexp_cuda_kernelERKNSD_10TensorBaseESH_lENKUlvE_clEvENKUlvE3_clEvEUlS6_S6_E_S6_EEDaPvRmT3_T4_T5_mT6_P12ihipStream_tbENKUlT_T0_E_clISt17integral_constantIbLb0EESX_IbLb1EEEEDaST_SU_EUlST_E0_NS1_11comp_targetILNS1_3genE8ELNS1_11target_archE1030ELNS1_3gpuE2ELNS1_3repE0EEENS1_30default_config_static_selectorELNS0_4arch9wavefront6targetE1EEEvT1_, .Lfunc_end445-_ZN7rocprim17ROCPRIM_400000_NS6detail17trampoline_kernelINS0_14default_configENS1_20scan_config_selectorIN3c104HalfEEEZZNS1_9scan_implILNS1_25lookback_scan_determinismE0ELb0ELb0ES3_PKS6_PS6_S6_ZZZN2at6native31launch_logcumsumexp_cuda_kernelERKNSD_10TensorBaseESH_lENKUlvE_clEvENKUlvE3_clEvEUlS6_S6_E_S6_EEDaPvRmT3_T4_T5_mT6_P12ihipStream_tbENKUlT_T0_E_clISt17integral_constantIbLb0EESX_IbLb1EEEEDaST_SU_EUlST_E0_NS1_11comp_targetILNS1_3genE8ELNS1_11target_archE1030ELNS1_3gpuE2ELNS1_3repE0EEENS1_30default_config_static_selectorELNS0_4arch9wavefront6targetE1EEEvT1_
                                        ; -- End function
	.section	.AMDGPU.csdata,"",@progbits
; Kernel info:
; codeLenInByte = 0
; NumSgprs: 6
; NumVgprs: 0
; NumAgprs: 0
; TotalNumVgprs: 0
; ScratchSize: 0
; MemoryBound: 0
; FloatMode: 240
; IeeeMode: 1
; LDSByteSize: 0 bytes/workgroup (compile time only)
; SGPRBlocks: 0
; VGPRBlocks: 0
; NumSGPRsForWavesPerEU: 6
; NumVGPRsForWavesPerEU: 1
; AccumOffset: 4
; Occupancy: 8
; WaveLimiterHint : 0
; COMPUTE_PGM_RSRC2:SCRATCH_EN: 0
; COMPUTE_PGM_RSRC2:USER_SGPR: 2
; COMPUTE_PGM_RSRC2:TRAP_HANDLER: 0
; COMPUTE_PGM_RSRC2:TGID_X_EN: 1
; COMPUTE_PGM_RSRC2:TGID_Y_EN: 0
; COMPUTE_PGM_RSRC2:TGID_Z_EN: 0
; COMPUTE_PGM_RSRC2:TIDIG_COMP_CNT: 0
; COMPUTE_PGM_RSRC3_GFX90A:ACCUM_OFFSET: 0
; COMPUTE_PGM_RSRC3_GFX90A:TG_SPLIT: 0
	.section	.text._ZN2at6native32tensor_kernel_scan_innermost_dimIN3c104HalfEZZZNS0_31launch_logcumsumexp_cuda_kernelERKNS_10TensorBaseES6_lENKUlvE_clEvENKUlvE3_clEvEUlS3_S3_E_EEvPT_PKSA_jjjSA_T0_,"axG",@progbits,_ZN2at6native32tensor_kernel_scan_innermost_dimIN3c104HalfEZZZNS0_31launch_logcumsumexp_cuda_kernelERKNS_10TensorBaseES6_lENKUlvE_clEvENKUlvE3_clEvEUlS3_S3_E_EEvPT_PKSA_jjjSA_T0_,comdat
	.globl	_ZN2at6native32tensor_kernel_scan_innermost_dimIN3c104HalfEZZZNS0_31launch_logcumsumexp_cuda_kernelERKNS_10TensorBaseES6_lENKUlvE_clEvENKUlvE3_clEvEUlS3_S3_E_EEvPT_PKSA_jjjSA_T0_ ; -- Begin function _ZN2at6native32tensor_kernel_scan_innermost_dimIN3c104HalfEZZZNS0_31launch_logcumsumexp_cuda_kernelERKNS_10TensorBaseES6_lENKUlvE_clEvENKUlvE3_clEvEUlS3_S3_E_EEvPT_PKSA_jjjSA_T0_
	.p2align	8
	.type	_ZN2at6native32tensor_kernel_scan_innermost_dimIN3c104HalfEZZZNS0_31launch_logcumsumexp_cuda_kernelERKNS_10TensorBaseES6_lENKUlvE_clEvENKUlvE3_clEvEUlS3_S3_E_EEvPT_PKSA_jjjSA_T0_,@function
_ZN2at6native32tensor_kernel_scan_innermost_dimIN3c104HalfEZZZNS0_31launch_logcumsumexp_cuda_kernelERKNS_10TensorBaseES6_lENKUlvE_clEvENKUlvE3_clEvEUlS3_S3_E_EEvPT_PKSA_jjjSA_T0_: ; @_ZN2at6native32tensor_kernel_scan_innermost_dimIN3c104HalfEZZZNS0_31launch_logcumsumexp_cuda_kernelERKNS_10TensorBaseES6_lENKUlvE_clEvENKUlvE3_clEvEUlS3_S3_E_EEvPT_PKSA_jjjSA_T0_
; %bb.0:
	s_load_dwordx8 s[16:23], s[0:1], 0x0
	v_bfe_u32 v2, v0, 10, 10
	s_waitcnt lgkmcnt(0)
	s_lshl_b32 s3, 2, s22
	v_mul_lo_u32 v1, s3, v2
	s_mul_hi_u32 s4, s20, s21
	s_mov_b32 s14, s20
	v_lshl_add_u32 v18, v1, 1, 0
	s_cmp_lg_u32 s4, 0
	s_mov_b64 s[4:5], -1
	s_cbranch_scc1 .LBB446_30
; %bb.1:
	s_load_dword s6, s[0:1], 0x2c
	s_add_u32 s4, s0, 32
	s_addc_u32 s5, s1, 0
	s_waitcnt lgkmcnt(0)
	s_lshr_b32 s6, s6, 16
	s_mul_i32 s15, s2, s6
	s_cmp_ge_u32 s15, s20
	s_cbranch_scc1 .LBB446_29
; %bb.2:
	s_load_dword s29, s[4:5], 0x0
	s_lshl_b32 s28, 1, s22
	s_cmp_lg_u32 s21, 0
	v_and_b32_e32 v1, 0x3ff, v0
	s_cselect_b64 s[4:5], -1, 0
	v_lshl_add_u32 v3, v1, 1, v18
	v_add_u32_e32 v15, -2, v18
	v_cndmask_b32_e64 v4, 0, 1, s[4:5]
	v_lshl_add_u32 v14, s28, 1, v3
	v_cmp_eq_u32_e64 s[8:9], 0, v1
	v_lshl_add_u32 v16, s3, 1, v15
	s_waitcnt lgkmcnt(0)
	s_mul_i32 s29, s29, s6
	s_add_i32 s30, s22, 1
	v_cmp_ne_u32_e64 s[4:5], 1, v4
	v_mov_b32_e32 v5, 0
	s_movk_i32 s31, 0x1f8
	s_mov_b32 s33, 0x3fb8aa3b
	s_mov_b32 s34, 0xc2ce8ed0
	;; [unrolled: 1-line block ×5, first 2 shown]
	v_mov_b32_e32 v17, 0x3ecc95a3
	s_mov_b32 s38, 0x3f317218
	s_mov_b32 s39, 0x33800000
	v_mov_b32_e32 v19, 0x7f800000
	v_mov_b32_e32 v6, 0x3f317218
                                        ; implicit-def: $vgpr4
	s_branch .LBB446_4
.LBB446_3:                              ;   in Loop: Header=BB446_4 Depth=1
	s_add_i32 s15, s15, s29
	s_cmp_ge_u32 s15, s20
	s_cbranch_scc1 .LBB446_29
.LBB446_4:                              ; =>This Loop Header: Depth=1
                                        ;     Child Loop BB446_7 Depth 2
                                        ;       Child Loop BB446_19 Depth 3
	s_and_b64 vcc, exec, s[4:5]
	s_cbranch_vccnz .LBB446_3
; %bb.5:                                ;   in Loop: Header=BB446_4 Depth=1
	v_add_u32_e32 v7, s15, v2
	v_mul_lo_u32 v4, v7, s21
	v_lshlrev_b64 v[10:11], 1, v[4:5]
	v_lshl_add_u64 v[8:9], s[18:19], 0, v[10:11]
	v_lshl_add_u64 v[10:11], s[16:17], 0, v[10:11]
	v_cmp_gt_u32_e32 vcc, s20, v7
	v_cmp_le_u32_e64 s[6:7], s20, v7
	s_mov_b32 s40, 0
	v_mov_b32_e32 v7, s23
	s_branch .LBB446_7
.LBB446_6:                              ;   in Loop: Header=BB446_7 Depth=2
	s_or_b64 exec, exec, s[12:13]
	ds_read_u16 v7, v16
	s_add_i32 s40, s40, s3
	s_cmp_ge_u32 s40, s21
	s_waitcnt lgkmcnt(0)
	s_barrier
	s_cbranch_scc1 .LBB446_3
.LBB446_7:                              ;   Parent Loop BB446_4 Depth=1
                                        ; =>  This Loop Header: Depth=2
                                        ;       Child Loop BB446_19 Depth 3
	v_add_u32_e32 v4, s40, v1
	v_add_u32_e32 v12, s28, v4
	s_and_saveexec_b64 s[12:13], vcc
	s_cbranch_execz .LBB446_16
; %bb.8:                                ;   in Loop: Header=BB446_7 Depth=2
	v_cmp_gt_u32_e64 s[10:11], s21, v4
	v_mov_b32_e32 v13, s23
	s_and_saveexec_b64 s[24:25], s[10:11]
	s_cbranch_execz .LBB446_10
; %bb.9:                                ;   in Loop: Header=BB446_7 Depth=2
	v_lshl_add_u64 v[20:21], v[4:5], 1, v[8:9]
	global_load_ushort v13, v[20:21], off
.LBB446_10:                             ;   in Loop: Header=BB446_7 Depth=2
	s_or_b64 exec, exec, s[24:25]
	s_waitcnt vmcnt(0)
	ds_write_b16 v3, v13
	v_cmp_gt_u32_e64 s[10:11], s21, v12
	v_mov_b32_e32 v13, s23
	s_and_saveexec_b64 s[24:25], s[10:11]
	s_cbranch_execz .LBB446_12
; %bb.11:                               ;   in Loop: Header=BB446_7 Depth=2
	v_mov_b32_e32 v13, v5
	v_lshl_add_u64 v[20:21], v[12:13], 1, v[8:9]
	global_load_ushort v13, v[20:21], off
.LBB446_12:                             ;   in Loop: Header=BB446_7 Depth=2
	s_or_b64 exec, exec, s[24:25]
	s_waitcnt vmcnt(0)
	ds_write_b16 v14, v13
	s_and_b64 exec, exec, s[8:9]
	s_cbranch_execz .LBB446_16
; %bb.13:                               ;   in Loop: Header=BB446_7 Depth=2
	ds_read_u16 v20, v18
	v_cvt_f32_f16_e32 v13, v7
	s_waitcnt lgkmcnt(0)
	v_cvt_f32_f16_e32 v21, v20
	v_cmp_u_f16_e64 s[10:11], v20, v20
	v_min_f32_e32 v22, v21, v13
	v_max_f32_e32 v23, v21, v13
	v_cndmask_b32_e64 v22, v22, v21, s[10:11]
	v_cndmask_b32_e64 v21, v23, v21, s[10:11]
	v_cmp_u_f16_e64 s[10:11], v7, v7
	s_nop 1
	v_cndmask_b32_e64 v7, v22, v13, s[10:11]
	v_cndmask_b32_e64 v13, v21, v13, s[10:11]
	v_cmp_neq_f32_e64 s[10:11], v7, v13
	v_cmp_class_f32_e64 s[24:25], v7, s31
	s_or_b64 s[10:11], s[10:11], s[24:25]
	s_and_saveexec_b64 s[24:25], s[10:11]
	s_cbranch_execz .LBB446_15
; %bb.14:                               ;   in Loop: Header=BB446_7 Depth=2
	v_sub_f32_e32 v7, v7, v13
	v_mul_f32_e32 v20, 0x3fb8aa3b, v7
	v_fma_f32 v21, v7, s33, -v20
	v_rndne_f32_e32 v22, v20
	v_fmac_f32_e32 v21, 0x32a5705f, v7
	v_sub_f32_e32 v20, v20, v22
	v_add_f32_e32 v20, v20, v21
	v_cvt_i32_f32_e32 v21, v22
	v_exp_f32_e32 v20, v20
	v_cmp_ngt_f32_e64 s[10:11], s34, v7
	v_ldexp_f32 v20, v20, v21
	s_nop 0
	v_cndmask_b32_e64 v20, 0, v20, s[10:11]
	v_cmp_nlt_f32_e64 s[10:11], s35, v7
	s_nop 1
	v_cndmask_b32_e64 v36, v19, v20, s[10:11]
	v_add_f32_e32 v7, 1.0, v36
	v_add_f32_e32 v20, -1.0, v7
	v_sub_f32_e32 v21, v20, v7
	v_add_f32_e32 v21, 1.0, v21
	v_sub_f32_e32 v20, v36, v20
	v_add_f32_e32 v22, v20, v21
	v_frexp_mant_f32_e32 v23, v7
	v_cvt_f64_f32_e32 v[20:21], v7
	v_frexp_exp_i32_f64_e32 v20, v[20:21]
	v_cmp_gt_f32_e64 s[10:11], s37, v23
	v_cmp_lt_f32_e64 s[26:27], |v36|, s39
	s_nop 0
	v_subbrev_co_u32_e64 v28, s[10:11], 0, v20, s[10:11]
	v_sub_u32_e32 v20, 0, v28
	v_ldexp_f32 v7, v7, v20
	v_ldexp_f32 v20, v22, v20
	v_add_f32_e32 v22, -1.0, v7
	v_add_f32_e32 v21, 1.0, v22
	v_sub_f32_e32 v21, v7, v21
	v_add_f32_e32 v23, v20, v21
	v_add_f32_e32 v21, 1.0, v7
	v_add_f32_e32 v24, -1.0, v21
	v_sub_f32_e32 v7, v7, v24
	v_add_f32_e32 v7, v20, v7
	v_add_f32_e32 v29, v21, v7
	v_rcp_f32_e32 v30, v29
	v_sub_f32_e32 v20, v21, v29
	v_add_f32_e32 v21, v22, v23
	v_add_f32_e32 v7, v7, v20
	v_mul_f32_e32 v32, v21, v30
	v_sub_f32_e32 v20, v22, v21
	v_mul_f32_e32 v22, v29, v32
	v_fma_f32 v24, v32, v29, -v22
	v_fmac_f32_e32 v24, v32, v7
	v_add_f32_e32 v31, v23, v20
	v_add_f32_e32 v20, v22, v24
	v_sub_f32_e32 v23, v21, v20
	v_pk_add_f32 v[26:27], v[20:21], v[22:23] neg_lo:[0,1] neg_hi:[0,1]
	v_mov_b32_e32 v25, v20
	v_pk_add_f32 v[20:21], v[26:27], v[24:25] neg_lo:[0,1] neg_hi:[0,1]
	v_cmp_eq_f32_e64 s[10:11], s36, v36
	v_add_f32_e32 v21, v31, v21
	v_add_f32_e32 v20, v20, v21
	;; [unrolled: 1-line block ×3, first 2 shown]
	v_mul_f32_e32 v31, v30, v21
	v_mul_f32_e32 v22, v29, v31
	v_fma_f32 v24, v31, v29, -v22
	v_fmac_f32_e32 v24, v31, v7
	v_sub_f32_e32 v7, v23, v21
	v_add_f32_e32 v7, v20, v7
	v_add_f32_e32 v20, v22, v24
	v_sub_f32_e32 v23, v21, v20
	v_pk_add_f32 v[26:27], v[20:21], v[22:23] neg_lo:[0,1] neg_hi:[0,1]
	v_mov_b32_e32 v25, v20
	v_pk_add_f32 v[20:21], v[26:27], v[24:25] neg_lo:[0,1] neg_hi:[0,1]
	s_or_b64 s[10:11], s[10:11], s[26:27]
	v_add_f32_e32 v7, v7, v21
	v_add_f32_e32 v7, v20, v7
	;; [unrolled: 1-line block ×4, first 2 shown]
	v_sub_f32_e32 v20, v21, v32
	v_mul_f32_e32 v7, v30, v7
	v_sub_f32_e32 v20, v31, v20
	v_add_f32_e32 v22, v20, v7
	v_add_f32_e32 v24, v21, v22
	v_cvt_f32_i32_e32 v20, v28
	v_mul_f32_e32 v25, v24, v24
	v_sub_f32_e32 v21, v24, v21
	v_fmamk_f32 v7, v25, 0x3e9b6dac, v17
	v_sub_f32_e32 v21, v22, v21
	v_fmaak_f32 v7, v25, v7, 0x3f2aaada
	v_ldexp_f32 v26, v21, 1
	v_mul_f32_e32 v21, v24, v25
	v_ldexp_f32 v23, v24, 1
	v_pk_mul_f32 v[24:25], v[20:21], v[6:7]
	s_nop 0
	v_fma_f32 v22, v20, s38, -v24
	v_fmac_f32_e32 v22, 0xb102e308, v20
	v_pk_add_f32 v[20:21], v[24:25], v[22:23]
	s_nop 0
	v_sub_f32_e32 v7, v21, v23
	v_sub_f32_e32 v7, v25, v7
	v_add_f32_e32 v27, v26, v7
	v_mov_b32_e32 v26, v24
	v_pk_add_f32 v[24:25], v[20:21], v[24:25] neg_lo:[0,1] neg_hi:[0,1]
	v_pk_add_f32 v[28:29], v[20:21], v[26:27]
	v_mov_b32_e32 v23, v20
	v_mov_b32_e32 v25, v29
	v_pk_add_f32 v[30:31], v[22:23], v[24:25] neg_lo:[0,1] neg_hi:[0,1]
	v_pk_add_f32 v[22:23], v[22:23], v[24:25]
	v_mov_b32_e32 v26, v27
	v_mov_b32_e32 v24, v23
	v_pk_add_f32 v[32:33], v[24:25], v[20:21] neg_lo:[0,1] neg_hi:[0,1]
	v_mov_b32_e32 v22, v29
	v_mov_b32_e32 v7, v32
	v_pk_add_f32 v[34:35], v[28:29], v[6:7] neg_lo:[0,1] neg_hi:[0,1]
	v_mov_b32_e32 v28, v21
	v_mov_b32_e32 v29, v32
	;; [unrolled: 1-line block ×3, first 2 shown]
	v_pk_add_f32 v[22:23], v[22:23], v[28:29] neg_lo:[0,1] neg_hi:[0,1]
	v_mov_b32_e32 v27, v20
	v_pk_add_f32 v[20:21], v[26:27], v[22:23] neg_lo:[0,1] neg_hi:[0,1]
	v_mov_b32_e32 v34, v30
	v_pk_add_f32 v[22:23], v[34:35], v[20:21]
	s_nop 0
	v_mov_b32_e32 v26, v23
	v_pk_add_f32 v[26:27], v[22:23], v[26:27]
	s_nop 0
	v_pk_add_f32 v[24:25], v[24:25], v[26:27]
	v_mov_b32_e32 v21, v26
	v_mov_b32_e32 v23, v24
	v_pk_add_f32 v[28:29], v[22:23], v[30:31] neg_lo:[0,1] neg_hi:[0,1]
	s_nop 0
	v_sub_f32_e32 v7, v22, v28
	v_pk_add_f32 v[20:21], v[20:21], v[28:29] neg_lo:[0,1] neg_hi:[0,1]
	v_sub_f32_e32 v7, v30, v7
	v_add_f32_e32 v7, v20, v7
	v_add_f32_e32 v7, v7, v21
	;; [unrolled: 1-line block ×3, first 2 shown]
	v_cndmask_b32_e64 v7, v7, v36, s[10:11]
	v_add_f32_e32 v7, v13, v7
	v_cvt_f16_f32_e32 v20, v7
.LBB446_15:                             ;   in Loop: Header=BB446_7 Depth=2
	s_or_b64 exec, exec, s[24:25]
	ds_write_b16 v18, v20
.LBB446_16:                             ;   in Loop: Header=BB446_7 Depth=2
	s_or_b64 exec, exec, s[12:13]
	s_mov_b64 s[24:25], 0
	v_mov_b32_e32 v7, 0
	s_waitcnt lgkmcnt(0)
	s_barrier
	s_branch .LBB446_19
.LBB446_17:                             ;   in Loop: Header=BB446_19 Depth=3
	s_or_b64 exec, exec, s[12:13]
	ds_write_b16 v20, v7
.LBB446_18:                             ;   in Loop: Header=BB446_19 Depth=3
	s_or_b64 exec, exec, s[26:27]
	v_cmp_eq_u32_e64 s[10:11], s30, v13
	s_or_b64 s[24:25], s[10:11], s[24:25]
	v_mov_b32_e32 v7, v13
	s_waitcnt lgkmcnt(0)
	s_barrier
	s_andn2_b64 exec, exec, s[24:25]
	s_cbranch_execz .LBB446_24
.LBB446_19:                             ;   Parent Loop BB446_4 Depth=1
                                        ;     Parent Loop BB446_7 Depth=2
                                        ; =>    This Inner Loop Header: Depth=3
	v_add_u32_e32 v13, 1, v7
	s_and_saveexec_b64 s[10:11], s[6:7]
	s_xor_b64 s[10:11], exec, s[10:11]
; %bb.20:                               ;   in Loop: Header=BB446_19 Depth=3
	v_add_u32_e32 v13, 1, v7
                                        ; implicit-def: $vgpr7
; %bb.21:                               ;   in Loop: Header=BB446_19 Depth=3
	s_andn2_saveexec_b64 s[26:27], s[10:11]
	s_cbranch_execz .LBB446_18
; %bb.22:                               ;   in Loop: Header=BB446_19 Depth=3
	v_lshlrev_b32_e64 v20, v7, 1
	v_lshrrev_b32_e32 v21, v7, v1
	v_bfm_b32 v7, v7, 0
	v_lshl_or_b32 v20, v21, v13, v20
	v_and_b32_e32 v7, v7, v1
	v_lshlrev_b32_e32 v21, 1, v20
	v_lshlrev_b32_e32 v7, 1, v7
	v_add3_u32 v20, v18, v21, v7
	v_add_u32_e32 v21, v15, v21
	ds_read_u16 v7, v20
	ds_read_u16 v21, v21
	s_waitcnt lgkmcnt(1)
	v_cvt_f32_f16_e32 v23, v7
	s_waitcnt lgkmcnt(0)
	v_cvt_f32_f16_e32 v24, v21
	v_cmp_u_f16_e64 s[10:11], v7, v7
	v_cmp_u_f16_e64 s[12:13], v21, v21
	v_min_f32_e32 v22, v23, v24
	v_max_f32_e32 v21, v23, v24
	v_cndmask_b32_e64 v22, v22, v23, s[10:11]
	v_cndmask_b32_e64 v21, v21, v23, s[10:11]
	;; [unrolled: 1-line block ×4, first 2 shown]
	v_cmp_neq_f32_e64 s[10:11], v22, v21
	v_cmp_class_f32_e64 s[12:13], v22, s31
	s_or_b64 s[10:11], s[10:11], s[12:13]
	s_and_saveexec_b64 s[12:13], s[10:11]
	s_cbranch_execz .LBB446_17
; %bb.23:                               ;   in Loop: Header=BB446_19 Depth=3
	v_sub_f32_e32 v7, v22, v21
	v_mul_f32_e32 v22, 0x3fb8aa3b, v7
	v_fma_f32 v23, v7, s33, -v22
	v_rndne_f32_e32 v24, v22
	v_fmac_f32_e32 v23, 0x32a5705f, v7
	v_sub_f32_e32 v22, v22, v24
	v_add_f32_e32 v22, v22, v23
	v_cvt_i32_f32_e32 v23, v24
	v_exp_f32_e32 v22, v22
	v_cmp_ngt_f32_e64 s[10:11], s34, v7
	v_ldexp_f32 v22, v22, v23
	s_nop 0
	v_cndmask_b32_e64 v22, 0, v22, s[10:11]
	v_cmp_nlt_f32_e64 s[10:11], s35, v7
	s_nop 1
	v_cndmask_b32_e64 v38, v19, v22, s[10:11]
	v_add_f32_e32 v7, 1.0, v38
	v_add_f32_e32 v22, -1.0, v7
	v_sub_f32_e32 v23, v22, v7
	v_add_f32_e32 v23, 1.0, v23
	v_sub_f32_e32 v22, v38, v22
	v_add_f32_e32 v24, v22, v23
	v_frexp_mant_f32_e32 v25, v7
	v_cvt_f64_f32_e32 v[22:23], v7
	v_frexp_exp_i32_f64_e32 v22, v[22:23]
	v_cmp_gt_f32_e64 s[10:11], s37, v25
	v_cmp_lt_f32_e64 s[42:43], |v38|, s39
	s_nop 0
	v_subbrev_co_u32_e64 v30, s[10:11], 0, v22, s[10:11]
	v_sub_u32_e32 v22, 0, v30
	v_ldexp_f32 v7, v7, v22
	v_ldexp_f32 v22, v24, v22
	v_add_f32_e32 v24, -1.0, v7
	v_add_f32_e32 v23, 1.0, v24
	v_sub_f32_e32 v23, v7, v23
	v_add_f32_e32 v25, v22, v23
	v_add_f32_e32 v23, 1.0, v7
	v_add_f32_e32 v26, -1.0, v23
	v_sub_f32_e32 v7, v7, v26
	v_add_f32_e32 v7, v22, v7
	v_add_f32_e32 v31, v23, v7
	v_rcp_f32_e32 v32, v31
	v_sub_f32_e32 v22, v23, v31
	v_add_f32_e32 v23, v24, v25
	v_add_f32_e32 v7, v7, v22
	v_mul_f32_e32 v34, v23, v32
	v_sub_f32_e32 v22, v24, v23
	v_mul_f32_e32 v24, v31, v34
	v_fma_f32 v26, v34, v31, -v24
	v_fmac_f32_e32 v26, v34, v7
	v_add_f32_e32 v33, v25, v22
	v_add_f32_e32 v22, v24, v26
	v_sub_f32_e32 v25, v23, v22
	v_pk_add_f32 v[28:29], v[22:23], v[24:25] neg_lo:[0,1] neg_hi:[0,1]
	v_mov_b32_e32 v27, v22
	v_pk_add_f32 v[22:23], v[28:29], v[26:27] neg_lo:[0,1] neg_hi:[0,1]
	v_cmp_eq_f32_e64 s[10:11], s36, v38
	v_add_f32_e32 v23, v33, v23
	v_add_f32_e32 v22, v22, v23
	;; [unrolled: 1-line block ×3, first 2 shown]
	v_mul_f32_e32 v33, v32, v23
	v_mul_f32_e32 v24, v31, v33
	v_fma_f32 v26, v33, v31, -v24
	v_fmac_f32_e32 v26, v33, v7
	v_sub_f32_e32 v7, v25, v23
	v_add_f32_e32 v7, v22, v7
	v_add_f32_e32 v22, v24, v26
	v_sub_f32_e32 v25, v23, v22
	v_pk_add_f32 v[28:29], v[22:23], v[24:25] neg_lo:[0,1] neg_hi:[0,1]
	v_mov_b32_e32 v27, v22
	v_pk_add_f32 v[22:23], v[28:29], v[26:27] neg_lo:[0,1] neg_hi:[0,1]
	s_or_b64 s[10:11], s[10:11], s[42:43]
	v_add_f32_e32 v7, v7, v23
	v_add_f32_e32 v7, v22, v7
	;; [unrolled: 1-line block ×4, first 2 shown]
	v_sub_f32_e32 v22, v23, v34
	v_mul_f32_e32 v7, v32, v7
	v_sub_f32_e32 v22, v33, v22
	v_add_f32_e32 v24, v22, v7
	v_add_f32_e32 v26, v23, v24
	v_cvt_f32_i32_e32 v22, v30
	v_mul_f32_e32 v27, v26, v26
	v_sub_f32_e32 v23, v26, v23
	v_fmamk_f32 v7, v27, 0x3e9b6dac, v17
	v_sub_f32_e32 v23, v24, v23
	v_fmaak_f32 v7, v27, v7, 0x3f2aaada
	v_ldexp_f32 v28, v23, 1
	v_mul_f32_e32 v23, v26, v27
	v_ldexp_f32 v25, v26, 1
	v_pk_mul_f32 v[26:27], v[22:23], v[6:7]
	s_nop 0
	v_fma_f32 v24, v22, s38, -v26
	v_fmac_f32_e32 v24, 0xb102e308, v22
	v_pk_add_f32 v[22:23], v[26:27], v[24:25]
	s_nop 0
	v_sub_f32_e32 v7, v23, v25
	v_sub_f32_e32 v7, v27, v7
	v_add_f32_e32 v29, v28, v7
	v_mov_b32_e32 v28, v26
	v_pk_add_f32 v[26:27], v[22:23], v[26:27] neg_lo:[0,1] neg_hi:[0,1]
	v_pk_add_f32 v[30:31], v[22:23], v[28:29]
	v_mov_b32_e32 v25, v22
	v_mov_b32_e32 v27, v31
	v_pk_add_f32 v[32:33], v[24:25], v[26:27] neg_lo:[0,1] neg_hi:[0,1]
	v_pk_add_f32 v[24:25], v[24:25], v[26:27]
	v_mov_b32_e32 v28, v29
	v_mov_b32_e32 v26, v25
	v_pk_add_f32 v[34:35], v[26:27], v[22:23] neg_lo:[0,1] neg_hi:[0,1]
	v_mov_b32_e32 v24, v31
	v_mov_b32_e32 v7, v34
	v_pk_add_f32 v[36:37], v[30:31], v[6:7] neg_lo:[0,1] neg_hi:[0,1]
	v_mov_b32_e32 v30, v23
	v_mov_b32_e32 v31, v34
	;; [unrolled: 1-line block ×3, first 2 shown]
	v_pk_add_f32 v[24:25], v[24:25], v[30:31] neg_lo:[0,1] neg_hi:[0,1]
	v_mov_b32_e32 v29, v22
	v_pk_add_f32 v[22:23], v[28:29], v[24:25] neg_lo:[0,1] neg_hi:[0,1]
	v_mov_b32_e32 v36, v32
	v_pk_add_f32 v[24:25], v[36:37], v[22:23]
	s_nop 0
	v_mov_b32_e32 v28, v25
	v_pk_add_f32 v[28:29], v[24:25], v[28:29]
	s_nop 0
	v_pk_add_f32 v[26:27], v[26:27], v[28:29]
	v_mov_b32_e32 v23, v28
	v_mov_b32_e32 v25, v26
	v_pk_add_f32 v[30:31], v[24:25], v[32:33] neg_lo:[0,1] neg_hi:[0,1]
	s_nop 0
	v_sub_f32_e32 v7, v24, v30
	v_pk_add_f32 v[22:23], v[22:23], v[30:31] neg_lo:[0,1] neg_hi:[0,1]
	v_sub_f32_e32 v7, v32, v7
	v_add_f32_e32 v7, v22, v7
	v_add_f32_e32 v7, v7, v23
	;; [unrolled: 1-line block ×3, first 2 shown]
	v_cndmask_b32_e64 v7, v7, v38, s[10:11]
	v_add_f32_e32 v7, v21, v7
	v_cvt_f16_f32_e32 v7, v7
	s_branch .LBB446_17
.LBB446_24:                             ;   in Loop: Header=BB446_7 Depth=2
	s_or_b64 exec, exec, s[24:25]
	s_and_saveexec_b64 s[12:13], vcc
	s_cbranch_execz .LBB446_6
; %bb.25:                               ;   in Loop: Header=BB446_7 Depth=2
	v_cmp_gt_u32_e64 s[10:11], s21, v4
	s_and_saveexec_b64 s[24:25], s[10:11]
	s_cbranch_execz .LBB446_27
; %bb.26:                               ;   in Loop: Header=BB446_7 Depth=2
	ds_read_u16 v7, v3
	v_lshl_add_u64 v[20:21], v[4:5], 1, v[10:11]
	s_waitcnt lgkmcnt(0)
	global_store_short v[20:21], v7, off
.LBB446_27:                             ;   in Loop: Header=BB446_7 Depth=2
	s_or_b64 exec, exec, s[24:25]
	v_cmp_gt_u32_e64 s[10:11], s21, v12
	s_and_b64 exec, exec, s[10:11]
	s_cbranch_execz .LBB446_6
; %bb.28:                               ;   in Loop: Header=BB446_7 Depth=2
	ds_read_u16 v4, v14
	v_mov_b32_e32 v13, v5
	v_lshl_add_u64 v[12:13], v[12:13], 1, v[10:11]
	s_waitcnt lgkmcnt(0)
	global_store_short v[12:13], v4, off
	s_branch .LBB446_6
.LBB446_29:
	s_mov_b64 s[4:5], 0
.LBB446_30:
	s_andn2_b64 vcc, exec, s[4:5]
	s_cbranch_vccnz .LBB446_61
; %bb.31:
	s_load_dword s3, s[0:1], 0x2c
	s_add_u32 s4, s0, 32
	s_mov_b32 s15, 0
	s_addc_u32 s5, s1, 0
	v_mov_b64_e32 v[4:5], s[14:15]
	s_waitcnt lgkmcnt(0)
	s_lshr_b32 s0, s3, 16
	s_mul_hi_u32 s9, s0, s2
	s_mul_i32 s8, s0, s2
	v_cmp_ge_u64_e32 vcc, s[8:9], v[4:5]
	s_cbranch_vccnz .LBB446_61
; %bb.32:
	s_lshl_b32 s10, 1, s22
	s_and_b32 s6, 0xffff, s0
	s_ashr_i32 s11, s10, 31
	s_load_dword s4, s[4:5], 0x0
	s_cmp_lg_u32 s21, 0
	s_cselect_b64 s[2:3], -1, 0
	s_mov_b32 s12, s21
	v_and_b32_e32 v0, 0x3ff, v0
	s_lshl_b64 s[20:21], s[10:11], 1
	v_cndmask_b32_e64 v4, 0, 1, s[2:3]
	v_mov_b32_e32 v3, 0
	v_lshl_add_u32 v19, v0, 1, v18
	s_lshl_b32 s5, s20, 1
	v_cmp_ne_u32_e64 s[2:3], 1, v4
                                        ; implicit-def: $vgpr4
	s_mov_b32 s13, s15
	v_mov_b32_e32 v1, v3
	v_lshl_add_u32 v20, s10, 1, v19
	v_cmp_eq_u32_e64 s[0:1], 0, v0
	v_add3_u32 v21, v18, s5, -2
	s_waitcnt lgkmcnt(0)
	s_mul_i32 s33, s4, s6
	s_add_i32 s22, s22, 1
	s_movk_i32 s34, 0x1f8
	s_mov_b32 s35, 0x3fb8aa3b
	s_mov_b32 s36, 0xc2ce8ed0
	;; [unrolled: 1-line block ×5, first 2 shown]
	v_mov_b32_e32 v22, 0x3ecc95a3
	s_mov_b32 s40, 0x3f317218
	s_mov_b32 s41, 0x33800000
	v_mov_b32_e32 v23, 0x7f800000
	v_mov_b32_e32 v4, 0x3f317218
	s_branch .LBB446_34
.LBB446_33:                             ;   in Loop: Header=BB446_34 Depth=1
	s_add_u32 s8, s8, s33
	s_addc_u32 s9, s9, 0
	v_mov_b64_e32 v[6:7], s[14:15]
	v_cmp_ge_u64_e32 vcc, s[8:9], v[6:7]
	s_cbranch_vccnz .LBB446_61
.LBB446_34:                             ; =>This Loop Header: Depth=1
                                        ;     Child Loop BB446_37 Depth 2
                                        ;       Child Loop BB446_49 Depth 3
	s_and_b64 vcc, exec, s[2:3]
	s_cbranch_vccnz .LBB446_33
; %bb.35:                               ;   in Loop: Header=BB446_34 Depth=1
	v_lshl_add_u64 v[10:11], s[8:9], 0, v[2:3]
	v_mad_u64_u32 v[6:7], s[4:5], v10, s12, 0
	v_mov_b32_e32 v8, v7
	v_mad_u64_u32 v[8:9], s[4:5], v11, s12, v[8:9]
	v_mov_b32_e32 v7, v8
	v_lshlrev_b64 v[8:9], 1, v[6:7]
	v_lshl_add_u64 v[6:7], s[18:19], 0, v[8:9]
	v_lshl_add_u64 v[8:9], s[16:17], 0, v[8:9]
	v_cmp_gt_u64_e64 s[4:5], s[14:15], v[10:11]
	v_cmp_le_u64_e64 s[6:7], s[14:15], v[10:11]
	s_mov_b64 s[24:25], 0
	v_mov_b32_e32 v5, s23
	s_branch .LBB446_37
.LBB446_36:                             ;   in Loop: Header=BB446_37 Depth=2
	s_or_b64 exec, exec, s[26:27]
	ds_read_u16 v5, v21
	s_add_u32 s24, s24, s20
	s_addc_u32 s25, s25, s21
	v_mov_b64_e32 v[10:11], s[12:13]
	v_cmp_ge_u64_e32 vcc, s[24:25], v[10:11]
	s_waitcnt lgkmcnt(0)
	s_barrier
	s_cbranch_vccnz .LBB446_33
.LBB446_37:                             ;   Parent Loop BB446_34 Depth=1
                                        ; =>  This Loop Header: Depth=2
                                        ;       Child Loop BB446_49 Depth 3
	v_lshl_add_u64 v[12:13], s[24:25], 0, v[0:1]
	v_lshl_add_u64 v[10:11], v[12:13], 0, s[10:11]
	s_and_saveexec_b64 s[26:27], s[4:5]
	s_cbranch_execz .LBB446_46
; %bb.38:                               ;   in Loop: Header=BB446_37 Depth=2
	v_cmp_gt_u64_e32 vcc, s[12:13], v[12:13]
	v_mov_b32_e32 v14, s23
	s_and_saveexec_b64 s[28:29], vcc
	s_cbranch_execz .LBB446_40
; %bb.39:                               ;   in Loop: Header=BB446_37 Depth=2
	v_lshl_add_u64 v[14:15], v[12:13], 1, v[6:7]
	global_load_ushort v14, v[14:15], off
.LBB446_40:                             ;   in Loop: Header=BB446_37 Depth=2
	s_or_b64 exec, exec, s[28:29]
	s_waitcnt vmcnt(0)
	ds_write_b16 v19, v14
	v_cmp_gt_u64_e32 vcc, s[12:13], v[10:11]
	v_mov_b32_e32 v14, s23
	s_and_saveexec_b64 s[28:29], vcc
	s_cbranch_execz .LBB446_42
; %bb.41:                               ;   in Loop: Header=BB446_37 Depth=2
	v_lshl_add_u64 v[14:15], v[10:11], 1, v[6:7]
	global_load_ushort v14, v[14:15], off
.LBB446_42:                             ;   in Loop: Header=BB446_37 Depth=2
	s_or_b64 exec, exec, s[28:29]
	s_waitcnt vmcnt(0)
	ds_write_b16 v20, v14
	s_and_b64 exec, exec, s[0:1]
	s_cbranch_execz .LBB446_46
; %bb.43:                               ;   in Loop: Header=BB446_37 Depth=2
	ds_read_u16 v15, v18
	v_cvt_f32_f16_e32 v14, v5
	s_waitcnt lgkmcnt(0)
	v_cvt_f32_f16_e32 v16, v15
	v_cmp_u_f16_e32 vcc, v15, v15
	v_min_f32_e32 v17, v16, v14
	v_max_f32_e32 v24, v16, v14
	v_cndmask_b32_e32 v17, v17, v16, vcc
	v_cndmask_b32_e32 v16, v24, v16, vcc
	v_cmp_u_f16_e32 vcc, v5, v5
	s_nop 1
	v_cndmask_b32_e32 v5, v17, v14, vcc
	v_cndmask_b32_e32 v14, v16, v14, vcc
	v_cmp_neq_f32_e32 vcc, v5, v14
	v_cmp_class_f32_e64 s[28:29], v5, s34
	s_or_b64 s[30:31], vcc, s[28:29]
	s_and_saveexec_b64 s[28:29], s[30:31]
	s_cbranch_execz .LBB446_45
; %bb.44:                               ;   in Loop: Header=BB446_37 Depth=2
	v_sub_f32_e32 v5, v5, v14
	v_mul_f32_e32 v15, 0x3fb8aa3b, v5
	v_fma_f32 v16, v5, s35, -v15
	v_rndne_f32_e32 v17, v15
	v_fmac_f32_e32 v16, 0x32a5705f, v5
	v_sub_f32_e32 v15, v15, v17
	v_add_f32_e32 v15, v15, v16
	v_cvt_i32_f32_e32 v16, v17
	v_exp_f32_e32 v15, v15
	v_cmp_ngt_f32_e32 vcc, s36, v5
	v_ldexp_f32 v15, v15, v16
	s_nop 0
	v_cndmask_b32_e32 v15, 0, v15, vcc
	v_cmp_nlt_f32_e32 vcc, s37, v5
	s_nop 1
	v_cndmask_b32_e32 v15, v23, v15, vcc
	v_add_f32_e32 v5, 1.0, v15
	v_add_f32_e32 v16, -1.0, v5
	v_sub_f32_e32 v17, v16, v5
	v_add_f32_e32 v17, 1.0, v17
	v_sub_f32_e32 v16, v15, v16
	v_add_f32_e32 v24, v16, v17
	v_frexp_mant_f32_e32 v25, v5
	v_cvt_f64_f32_e32 v[16:17], v5
	v_frexp_exp_i32_f64_e32 v16, v[16:17]
	v_cmp_gt_f32_e32 vcc, s39, v25
	v_cmp_lt_f32_e64 s[30:31], |v15|, s41
	s_nop 0
	v_subbrev_co_u32_e32 v30, vcc, 0, v16, vcc
	v_sub_u32_e32 v16, 0, v30
	v_ldexp_f32 v5, v5, v16
	v_ldexp_f32 v16, v24, v16
	v_add_f32_e32 v24, -1.0, v5
	v_add_f32_e32 v17, 1.0, v24
	v_sub_f32_e32 v17, v5, v17
	v_add_f32_e32 v25, v16, v17
	v_add_f32_e32 v17, 1.0, v5
	v_add_f32_e32 v26, -1.0, v17
	v_sub_f32_e32 v5, v5, v26
	v_add_f32_e32 v5, v16, v5
	v_add_f32_e32 v31, v17, v5
	v_rcp_f32_e32 v32, v31
	v_sub_f32_e32 v16, v17, v31
	v_add_f32_e32 v17, v24, v25
	v_add_f32_e32 v5, v5, v16
	v_mul_f32_e32 v34, v17, v32
	v_sub_f32_e32 v16, v24, v17
	v_mul_f32_e32 v24, v31, v34
	v_fma_f32 v26, v34, v31, -v24
	v_fmac_f32_e32 v26, v34, v5
	v_add_f32_e32 v33, v25, v16
	v_add_f32_e32 v16, v24, v26
	v_sub_f32_e32 v25, v17, v16
	v_pk_add_f32 v[28:29], v[16:17], v[24:25] neg_lo:[0,1] neg_hi:[0,1]
	v_mov_b32_e32 v27, v16
	v_pk_add_f32 v[16:17], v[28:29], v[26:27] neg_lo:[0,1] neg_hi:[0,1]
	v_cmp_eq_f32_e32 vcc, s38, v15
	v_add_f32_e32 v17, v33, v17
	v_add_f32_e32 v16, v16, v17
	;; [unrolled: 1-line block ×3, first 2 shown]
	v_mul_f32_e32 v33, v32, v17
	v_mul_f32_e32 v24, v31, v33
	v_fma_f32 v26, v33, v31, -v24
	v_fmac_f32_e32 v26, v33, v5
	v_sub_f32_e32 v5, v25, v17
	v_add_f32_e32 v5, v16, v5
	v_add_f32_e32 v16, v24, v26
	v_sub_f32_e32 v25, v17, v16
	v_pk_add_f32 v[28:29], v[16:17], v[24:25] neg_lo:[0,1] neg_hi:[0,1]
	v_mov_b32_e32 v27, v16
	v_pk_add_f32 v[16:17], v[28:29], v[26:27] neg_lo:[0,1] neg_hi:[0,1]
	s_or_b64 vcc, vcc, s[30:31]
	v_add_f32_e32 v5, v5, v17
	v_add_f32_e32 v5, v16, v5
	;; [unrolled: 1-line block ×4, first 2 shown]
	v_sub_f32_e32 v16, v17, v34
	v_mul_f32_e32 v5, v32, v5
	v_sub_f32_e32 v16, v33, v16
	v_add_f32_e32 v24, v16, v5
	v_add_f32_e32 v26, v17, v24
	v_cvt_f32_i32_e32 v16, v30
	v_mul_f32_e32 v27, v26, v26
	v_sub_f32_e32 v17, v26, v17
	v_fmamk_f32 v5, v27, 0x3e9b6dac, v22
	v_sub_f32_e32 v17, v24, v17
	v_fmaak_f32 v5, v27, v5, 0x3f2aaada
	v_ldexp_f32 v28, v17, 1
	v_mul_f32_e32 v17, v26, v27
	v_ldexp_f32 v25, v26, 1
	v_pk_mul_f32 v[26:27], v[16:17], v[4:5]
	s_nop 0
	v_fma_f32 v24, v16, s40, -v26
	v_fmac_f32_e32 v24, 0xb102e308, v16
	v_pk_add_f32 v[16:17], v[26:27], v[24:25]
	s_nop 0
	v_sub_f32_e32 v5, v17, v25
	v_sub_f32_e32 v5, v27, v5
	v_add_f32_e32 v29, v28, v5
	v_mov_b32_e32 v28, v26
	v_pk_add_f32 v[26:27], v[16:17], v[26:27] neg_lo:[0,1] neg_hi:[0,1]
	v_pk_add_f32 v[30:31], v[16:17], v[28:29]
	v_mov_b32_e32 v25, v16
	v_mov_b32_e32 v27, v31
	v_pk_add_f32 v[32:33], v[24:25], v[26:27] neg_lo:[0,1] neg_hi:[0,1]
	v_pk_add_f32 v[24:25], v[24:25], v[26:27]
	v_mov_b32_e32 v28, v29
	v_mov_b32_e32 v26, v25
	v_pk_add_f32 v[34:35], v[26:27], v[16:17] neg_lo:[0,1] neg_hi:[0,1]
	v_mov_b32_e32 v24, v31
	v_mov_b32_e32 v5, v34
	v_pk_add_f32 v[36:37], v[30:31], v[4:5] neg_lo:[0,1] neg_hi:[0,1]
	v_mov_b32_e32 v30, v17
	v_mov_b32_e32 v31, v34
	;; [unrolled: 1-line block ×3, first 2 shown]
	v_pk_add_f32 v[24:25], v[24:25], v[30:31] neg_lo:[0,1] neg_hi:[0,1]
	v_mov_b32_e32 v29, v16
	v_pk_add_f32 v[16:17], v[28:29], v[24:25] neg_lo:[0,1] neg_hi:[0,1]
	v_mov_b32_e32 v36, v32
	v_pk_add_f32 v[24:25], v[36:37], v[16:17]
	s_nop 0
	v_mov_b32_e32 v28, v25
	v_pk_add_f32 v[28:29], v[24:25], v[28:29]
	s_nop 0
	v_pk_add_f32 v[26:27], v[26:27], v[28:29]
	v_mov_b32_e32 v17, v28
	v_mov_b32_e32 v25, v26
	v_pk_add_f32 v[30:31], v[24:25], v[32:33] neg_lo:[0,1] neg_hi:[0,1]
	s_nop 0
	v_sub_f32_e32 v5, v24, v30
	v_pk_add_f32 v[16:17], v[16:17], v[30:31] neg_lo:[0,1] neg_hi:[0,1]
	v_sub_f32_e32 v5, v32, v5
	v_add_f32_e32 v5, v16, v5
	v_add_f32_e32 v5, v5, v17
	;; [unrolled: 1-line block ×3, first 2 shown]
	v_cndmask_b32_e32 v5, v5, v15, vcc
	v_add_f32_e32 v5, v14, v5
	v_cvt_f16_f32_e32 v15, v5
.LBB446_45:                             ;   in Loop: Header=BB446_37 Depth=2
	s_or_b64 exec, exec, s[28:29]
	ds_write_b16 v18, v15
.LBB446_46:                             ;   in Loop: Header=BB446_37 Depth=2
	s_or_b64 exec, exec, s[26:27]
	s_mov_b64 s[26:27], 0
	v_mov_b32_e32 v5, 0
	s_waitcnt lgkmcnt(0)
	s_barrier
	s_branch .LBB446_49
.LBB446_47:                             ;   in Loop: Header=BB446_49 Depth=3
	s_or_b64 exec, exec, s[30:31]
	ds_write_b16 v14, v5
.LBB446_48:                             ;   in Loop: Header=BB446_49 Depth=3
	s_or_b64 exec, exec, s[28:29]
	v_cmp_eq_u32_e32 vcc, s22, v24
	s_or_b64 s[26:27], vcc, s[26:27]
	v_mov_b32_e32 v5, v24
	s_waitcnt lgkmcnt(0)
	s_barrier
	s_andn2_b64 exec, exec, s[26:27]
	s_cbranch_execz .LBB446_56
.LBB446_49:                             ;   Parent Loop BB446_34 Depth=1
                                        ;     Parent Loop BB446_37 Depth=2
                                        ; =>    This Inner Loop Header: Depth=3
	v_add_u32_e32 v24, 1, v5
	s_and_saveexec_b64 s[28:29], s[6:7]
	s_xor_b64 s[28:29], exec, s[28:29]
; %bb.50:                               ;   in Loop: Header=BB446_49 Depth=3
	v_add_u32_e32 v24, 1, v5
                                        ; implicit-def: $vgpr5
; %bb.51:                               ;   in Loop: Header=BB446_49 Depth=3
	s_andn2_saveexec_b64 s[28:29], s[28:29]
	s_cbranch_execz .LBB446_48
; %bb.52:                               ;   in Loop: Header=BB446_49 Depth=3
	v_lshlrev_b32_e64 v14, v5, 1
	v_ashrrev_i32_e32 v15, 31, v14
	v_cmp_ge_u64_e32 vcc, v[0:1], v[14:15]
	v_mov_b64_e32 v[16:17], v[0:1]
	s_and_saveexec_b64 s[30:31], vcc
	s_cbranch_execz .LBB446_54
; %bb.53:                               ;   in Loop: Header=BB446_49 Depth=3
	v_cvt_f32_u32_e32 v15, v14
	v_sub_u32_e32 v16, 0, v14
	v_rcp_iflag_f32_e32 v15, v15
	s_nop 0
	v_mul_f32_e32 v15, 0x4f7ffffe, v15
	v_cvt_u32_f32_e32 v15, v15
	v_mul_lo_u32 v16, v16, v15
	v_mul_hi_u32 v16, v15, v16
	v_add_u32_e32 v15, v15, v16
	v_mul_hi_u32 v15, v0, v15
	v_mul_lo_u32 v15, v15, v14
	v_sub_u32_e32 v15, v0, v15
	v_sub_u32_e32 v16, v15, v14
	v_cmp_ge_u32_e32 vcc, v15, v14
	s_nop 1
	v_cndmask_b32_e32 v15, v15, v16, vcc
	v_sub_u32_e32 v16, v15, v14
	v_cmp_ge_u32_e32 vcc, v15, v14
	s_nop 1
	v_cndmask_b32_e32 v16, v15, v16, vcc
.LBB446_54:                             ;   in Loop: Header=BB446_49 Depth=3
	s_or_b64 exec, exec, s[30:31]
	v_lshrrev_b32_e32 v5, v5, v0
	v_lshl_or_b32 v5, v5, v24, v14
	v_lshl_add_u32 v5, v5, 1, v18
	v_lshl_add_u32 v14, v16, 1, v5
	v_add_u32_e32 v15, -2, v5
	ds_read_u16 v5, v14
	ds_read_u16 v15, v15
	s_waitcnt lgkmcnt(1)
	v_cvt_f32_f16_e32 v16, v5
	s_waitcnt lgkmcnt(0)
	v_cvt_f32_f16_e32 v17, v15
	v_cmp_u_f16_e32 vcc, v5, v5
	v_min_f32_e32 v25, v16, v17
	v_max_f32_e32 v26, v16, v17
	v_cndmask_b32_e32 v25, v25, v16, vcc
	v_cndmask_b32_e32 v26, v26, v16, vcc
	v_cmp_u_f16_e32 vcc, v15, v15
	s_nop 1
	v_cndmask_b32_e32 v16, v25, v17, vcc
	v_cndmask_b32_e32 v15, v26, v17, vcc
	v_cmp_neq_f32_e32 vcc, v16, v15
	v_cmp_class_f32_e64 s[30:31], v16, s34
	s_or_b64 s[42:43], vcc, s[30:31]
	s_and_saveexec_b64 s[30:31], s[42:43]
	s_cbranch_execz .LBB446_47
; %bb.55:                               ;   in Loop: Header=BB446_49 Depth=3
	v_sub_f32_e32 v5, v16, v15
	v_mul_f32_e32 v16, 0x3fb8aa3b, v5
	v_fma_f32 v17, v5, s35, -v16
	v_rndne_f32_e32 v25, v16
	v_fmac_f32_e32 v17, 0x32a5705f, v5
	v_sub_f32_e32 v16, v16, v25
	v_add_f32_e32 v16, v16, v17
	v_cvt_i32_f32_e32 v17, v25
	v_exp_f32_e32 v16, v16
	v_cmp_ngt_f32_e32 vcc, s36, v5
	v_ldexp_f32 v16, v16, v17
	s_nop 0
	v_cndmask_b32_e32 v16, 0, v16, vcc
	v_cmp_nlt_f32_e32 vcc, s37, v5
	s_nop 1
	v_cndmask_b32_e32 v25, v23, v16, vcc
	v_add_f32_e32 v5, 1.0, v25
	v_add_f32_e32 v16, -1.0, v5
	v_sub_f32_e32 v17, v16, v5
	v_add_f32_e32 v17, 1.0, v17
	v_sub_f32_e32 v16, v25, v16
	v_add_f32_e32 v26, v16, v17
	v_frexp_mant_f32_e32 v27, v5
	v_cvt_f64_f32_e32 v[16:17], v5
	v_frexp_exp_i32_f64_e32 v16, v[16:17]
	v_cmp_gt_f32_e32 vcc, s39, v27
	v_cmp_lt_f32_e64 s[42:43], |v25|, s41
	s_nop 0
	v_subbrev_co_u32_e32 v32, vcc, 0, v16, vcc
	v_sub_u32_e32 v16, 0, v32
	v_ldexp_f32 v5, v5, v16
	v_ldexp_f32 v16, v26, v16
	v_add_f32_e32 v26, -1.0, v5
	v_add_f32_e32 v17, 1.0, v26
	v_sub_f32_e32 v17, v5, v17
	v_add_f32_e32 v27, v16, v17
	v_add_f32_e32 v17, 1.0, v5
	v_add_f32_e32 v28, -1.0, v17
	v_sub_f32_e32 v5, v5, v28
	v_add_f32_e32 v5, v16, v5
	v_add_f32_e32 v33, v17, v5
	v_rcp_f32_e32 v34, v33
	v_sub_f32_e32 v16, v17, v33
	v_add_f32_e32 v17, v26, v27
	v_add_f32_e32 v5, v5, v16
	v_mul_f32_e32 v36, v17, v34
	v_sub_f32_e32 v16, v26, v17
	v_mul_f32_e32 v26, v33, v36
	v_fma_f32 v28, v36, v33, -v26
	v_fmac_f32_e32 v28, v36, v5
	v_add_f32_e32 v35, v27, v16
	v_add_f32_e32 v16, v26, v28
	v_sub_f32_e32 v27, v17, v16
	v_pk_add_f32 v[30:31], v[16:17], v[26:27] neg_lo:[0,1] neg_hi:[0,1]
	v_mov_b32_e32 v29, v16
	v_pk_add_f32 v[16:17], v[30:31], v[28:29] neg_lo:[0,1] neg_hi:[0,1]
	v_cmp_eq_f32_e32 vcc, s38, v25
	v_add_f32_e32 v17, v35, v17
	v_add_f32_e32 v16, v16, v17
	;; [unrolled: 1-line block ×3, first 2 shown]
	v_mul_f32_e32 v35, v34, v17
	v_mul_f32_e32 v26, v33, v35
	v_fma_f32 v28, v35, v33, -v26
	v_fmac_f32_e32 v28, v35, v5
	v_sub_f32_e32 v5, v27, v17
	v_add_f32_e32 v5, v16, v5
	v_add_f32_e32 v16, v26, v28
	v_sub_f32_e32 v27, v17, v16
	v_pk_add_f32 v[30:31], v[16:17], v[26:27] neg_lo:[0,1] neg_hi:[0,1]
	v_mov_b32_e32 v29, v16
	v_pk_add_f32 v[16:17], v[30:31], v[28:29] neg_lo:[0,1] neg_hi:[0,1]
	s_or_b64 vcc, vcc, s[42:43]
	v_add_f32_e32 v5, v5, v17
	v_add_f32_e32 v5, v16, v5
	;; [unrolled: 1-line block ×4, first 2 shown]
	v_sub_f32_e32 v16, v17, v36
	v_mul_f32_e32 v5, v34, v5
	v_sub_f32_e32 v16, v35, v16
	v_add_f32_e32 v26, v16, v5
	v_add_f32_e32 v28, v17, v26
	v_cvt_f32_i32_e32 v16, v32
	v_mul_f32_e32 v29, v28, v28
	v_sub_f32_e32 v17, v28, v17
	v_fmamk_f32 v5, v29, 0x3e9b6dac, v22
	v_sub_f32_e32 v17, v26, v17
	v_fmaak_f32 v5, v29, v5, 0x3f2aaada
	v_ldexp_f32 v30, v17, 1
	v_mul_f32_e32 v17, v28, v29
	v_ldexp_f32 v27, v28, 1
	v_pk_mul_f32 v[28:29], v[16:17], v[4:5]
	s_nop 0
	v_fma_f32 v26, v16, s40, -v28
	v_fmac_f32_e32 v26, 0xb102e308, v16
	v_pk_add_f32 v[16:17], v[28:29], v[26:27]
	s_nop 0
	v_sub_f32_e32 v5, v17, v27
	v_sub_f32_e32 v5, v29, v5
	v_add_f32_e32 v31, v30, v5
	v_mov_b32_e32 v30, v28
	v_pk_add_f32 v[28:29], v[16:17], v[28:29] neg_lo:[0,1] neg_hi:[0,1]
	v_pk_add_f32 v[32:33], v[16:17], v[30:31]
	v_mov_b32_e32 v27, v16
	v_mov_b32_e32 v29, v33
	v_pk_add_f32 v[34:35], v[26:27], v[28:29] neg_lo:[0,1] neg_hi:[0,1]
	v_pk_add_f32 v[26:27], v[26:27], v[28:29]
	v_mov_b32_e32 v30, v31
	v_mov_b32_e32 v28, v27
	v_pk_add_f32 v[36:37], v[28:29], v[16:17] neg_lo:[0,1] neg_hi:[0,1]
	v_mov_b32_e32 v26, v33
	v_mov_b32_e32 v5, v36
	v_pk_add_f32 v[38:39], v[32:33], v[4:5] neg_lo:[0,1] neg_hi:[0,1]
	v_mov_b32_e32 v32, v17
	v_mov_b32_e32 v33, v36
	;; [unrolled: 1-line block ×3, first 2 shown]
	v_pk_add_f32 v[26:27], v[26:27], v[32:33] neg_lo:[0,1] neg_hi:[0,1]
	v_mov_b32_e32 v31, v16
	v_pk_add_f32 v[16:17], v[30:31], v[26:27] neg_lo:[0,1] neg_hi:[0,1]
	v_mov_b32_e32 v38, v34
	v_pk_add_f32 v[26:27], v[38:39], v[16:17]
	s_nop 0
	v_mov_b32_e32 v30, v27
	v_pk_add_f32 v[30:31], v[26:27], v[30:31]
	s_nop 0
	v_pk_add_f32 v[28:29], v[28:29], v[30:31]
	v_mov_b32_e32 v17, v30
	v_mov_b32_e32 v27, v28
	v_pk_add_f32 v[32:33], v[26:27], v[34:35] neg_lo:[0,1] neg_hi:[0,1]
	s_nop 0
	v_sub_f32_e32 v5, v26, v32
	v_pk_add_f32 v[16:17], v[16:17], v[32:33] neg_lo:[0,1] neg_hi:[0,1]
	v_sub_f32_e32 v5, v34, v5
	v_add_f32_e32 v5, v16, v5
	v_add_f32_e32 v5, v5, v17
	;; [unrolled: 1-line block ×3, first 2 shown]
	v_cndmask_b32_e32 v5, v5, v25, vcc
	v_add_f32_e32 v5, v15, v5
	v_cvt_f16_f32_e32 v5, v5
	s_branch .LBB446_47
.LBB446_56:                             ;   in Loop: Header=BB446_37 Depth=2
	s_or_b64 exec, exec, s[26:27]
	s_and_saveexec_b64 s[26:27], s[4:5]
	s_cbranch_execz .LBB446_36
; %bb.57:                               ;   in Loop: Header=BB446_37 Depth=2
	v_cmp_gt_u64_e32 vcc, s[12:13], v[12:13]
	s_and_saveexec_b64 s[28:29], vcc
	s_cbranch_execz .LBB446_59
; %bb.58:                               ;   in Loop: Header=BB446_37 Depth=2
	ds_read_u16 v5, v19
	v_lshl_add_u64 v[12:13], v[12:13], 1, v[8:9]
	s_waitcnt lgkmcnt(0)
	global_store_short v[12:13], v5, off
.LBB446_59:                             ;   in Loop: Header=BB446_37 Depth=2
	s_or_b64 exec, exec, s[28:29]
	v_cmp_gt_u64_e32 vcc, s[12:13], v[10:11]
	s_and_b64 exec, exec, vcc
	s_cbranch_execz .LBB446_36
; %bb.60:                               ;   in Loop: Header=BB446_37 Depth=2
	ds_read_u16 v5, v20
	v_lshl_add_u64 v[10:11], v[10:11], 1, v[8:9]
	s_waitcnt lgkmcnt(0)
	global_store_short v[10:11], v5, off
	s_branch .LBB446_36
.LBB446_61:
	s_endpgm
	.section	.rodata,"a",@progbits
	.p2align	6, 0x0
	.amdhsa_kernel _ZN2at6native32tensor_kernel_scan_innermost_dimIN3c104HalfEZZZNS0_31launch_logcumsumexp_cuda_kernelERKNS_10TensorBaseES6_lENKUlvE_clEvENKUlvE3_clEvEUlS3_S3_E_EEvPT_PKSA_jjjSA_T0_
		.amdhsa_group_segment_fixed_size 0
		.amdhsa_private_segment_fixed_size 0
		.amdhsa_kernarg_size 288
		.amdhsa_user_sgpr_count 2
		.amdhsa_user_sgpr_dispatch_ptr 0
		.amdhsa_user_sgpr_queue_ptr 0
		.amdhsa_user_sgpr_kernarg_segment_ptr 1
		.amdhsa_user_sgpr_dispatch_id 0
		.amdhsa_user_sgpr_kernarg_preload_length 0
		.amdhsa_user_sgpr_kernarg_preload_offset 0
		.amdhsa_user_sgpr_private_segment_size 0
		.amdhsa_uses_dynamic_stack 0
		.amdhsa_enable_private_segment 0
		.amdhsa_system_sgpr_workgroup_id_x 1
		.amdhsa_system_sgpr_workgroup_id_y 0
		.amdhsa_system_sgpr_workgroup_id_z 0
		.amdhsa_system_sgpr_workgroup_info 0
		.amdhsa_system_vgpr_workitem_id 1
		.amdhsa_next_free_vgpr 40
		.amdhsa_next_free_sgpr 44
		.amdhsa_accum_offset 40
		.amdhsa_reserve_vcc 1
		.amdhsa_float_round_mode_32 0
		.amdhsa_float_round_mode_16_64 0
		.amdhsa_float_denorm_mode_32 3
		.amdhsa_float_denorm_mode_16_64 3
		.amdhsa_dx10_clamp 1
		.amdhsa_ieee_mode 1
		.amdhsa_fp16_overflow 0
		.amdhsa_tg_split 0
		.amdhsa_exception_fp_ieee_invalid_op 0
		.amdhsa_exception_fp_denorm_src 0
		.amdhsa_exception_fp_ieee_div_zero 0
		.amdhsa_exception_fp_ieee_overflow 0
		.amdhsa_exception_fp_ieee_underflow 0
		.amdhsa_exception_fp_ieee_inexact 0
		.amdhsa_exception_int_div_zero 0
	.end_amdhsa_kernel
	.section	.text._ZN2at6native32tensor_kernel_scan_innermost_dimIN3c104HalfEZZZNS0_31launch_logcumsumexp_cuda_kernelERKNS_10TensorBaseES6_lENKUlvE_clEvENKUlvE3_clEvEUlS3_S3_E_EEvPT_PKSA_jjjSA_T0_,"axG",@progbits,_ZN2at6native32tensor_kernel_scan_innermost_dimIN3c104HalfEZZZNS0_31launch_logcumsumexp_cuda_kernelERKNS_10TensorBaseES6_lENKUlvE_clEvENKUlvE3_clEvEUlS3_S3_E_EEvPT_PKSA_jjjSA_T0_,comdat
.Lfunc_end446:
	.size	_ZN2at6native32tensor_kernel_scan_innermost_dimIN3c104HalfEZZZNS0_31launch_logcumsumexp_cuda_kernelERKNS_10TensorBaseES6_lENKUlvE_clEvENKUlvE3_clEvEUlS3_S3_E_EEvPT_PKSA_jjjSA_T0_, .Lfunc_end446-_ZN2at6native32tensor_kernel_scan_innermost_dimIN3c104HalfEZZZNS0_31launch_logcumsumexp_cuda_kernelERKNS_10TensorBaseES6_lENKUlvE_clEvENKUlvE3_clEvEUlS3_S3_E_EEvPT_PKSA_jjjSA_T0_
                                        ; -- End function
	.section	.AMDGPU.csdata,"",@progbits
; Kernel info:
; codeLenInByte = 4940
; NumSgprs: 50
; NumVgprs: 40
; NumAgprs: 0
; TotalNumVgprs: 40
; ScratchSize: 0
; MemoryBound: 0
; FloatMode: 240
; IeeeMode: 1
; LDSByteSize: 0 bytes/workgroup (compile time only)
; SGPRBlocks: 6
; VGPRBlocks: 4
; NumSGPRsForWavesPerEU: 50
; NumVGPRsForWavesPerEU: 40
; AccumOffset: 40
; Occupancy: 8
; WaveLimiterHint : 0
; COMPUTE_PGM_RSRC2:SCRATCH_EN: 0
; COMPUTE_PGM_RSRC2:USER_SGPR: 2
; COMPUTE_PGM_RSRC2:TRAP_HANDLER: 0
; COMPUTE_PGM_RSRC2:TGID_X_EN: 1
; COMPUTE_PGM_RSRC2:TGID_Y_EN: 0
; COMPUTE_PGM_RSRC2:TGID_Z_EN: 0
; COMPUTE_PGM_RSRC2:TIDIG_COMP_CNT: 1
; COMPUTE_PGM_RSRC3_GFX90A:ACCUM_OFFSET: 9
; COMPUTE_PGM_RSRC3_GFX90A:TG_SPLIT: 0
	.section	.text._ZN2at6native28tensor_kernel_scan_outer_dimIN3c104HalfEjZZZNS0_31launch_logcumsumexp_cuda_kernelERKNS_10TensorBaseES6_lENKUlvE_clEvENKUlvE3_clEvEUlS3_S3_E_EEvPT_PKSA_jjjSA_T1_,"axG",@progbits,_ZN2at6native28tensor_kernel_scan_outer_dimIN3c104HalfEjZZZNS0_31launch_logcumsumexp_cuda_kernelERKNS_10TensorBaseES6_lENKUlvE_clEvENKUlvE3_clEvEUlS3_S3_E_EEvPT_PKSA_jjjSA_T1_,comdat
	.globl	_ZN2at6native28tensor_kernel_scan_outer_dimIN3c104HalfEjZZZNS0_31launch_logcumsumexp_cuda_kernelERKNS_10TensorBaseES6_lENKUlvE_clEvENKUlvE3_clEvEUlS3_S3_E_EEvPT_PKSA_jjjSA_T1_ ; -- Begin function _ZN2at6native28tensor_kernel_scan_outer_dimIN3c104HalfEjZZZNS0_31launch_logcumsumexp_cuda_kernelERKNS_10TensorBaseES6_lENKUlvE_clEvENKUlvE3_clEvEUlS3_S3_E_EEvPT_PKSA_jjjSA_T1_
	.p2align	8
	.type	_ZN2at6native28tensor_kernel_scan_outer_dimIN3c104HalfEjZZZNS0_31launch_logcumsumexp_cuda_kernelERKNS_10TensorBaseES6_lENKUlvE_clEvENKUlvE3_clEvEUlS3_S3_E_EEvPT_PKSA_jjjSA_T1_,@function
_ZN2at6native28tensor_kernel_scan_outer_dimIN3c104HalfEjZZZNS0_31launch_logcumsumexp_cuda_kernelERKNS_10TensorBaseES6_lENKUlvE_clEvENKUlvE3_clEvEUlS3_S3_E_EEvPT_PKSA_jjjSA_T1_: ; @_ZN2at6native28tensor_kernel_scan_outer_dimIN3c104HalfEjZZZNS0_31launch_logcumsumexp_cuda_kernelERKNS_10TensorBaseES6_lENKUlvE_clEvENKUlvE3_clEvEUlS3_S3_E_EEvPT_PKSA_jjjSA_T1_
; %bb.0:
	s_load_dwordx4 s[8:11], s[0:1], 0x10
	s_waitcnt lgkmcnt(0)
	s_cmp_ge_u32 s2, s8
	s_cbranch_scc1 .LBB447_11
; %bb.1:
	s_load_dword s4, s[0:1], 0x2c
	s_load_dwordx4 s[12:15], s[0:1], 0x0
	s_load_dword s28, s[0:1], 0x20
	s_add_u32 s6, s0, 32
	s_addc_u32 s7, s1, 0
	s_waitcnt lgkmcnt(0)
	s_and_b32 s29, s4, 0xffff
	s_mul_i32 s3, s3, s29
	s_cmp_lg_u32 s10, 0
	v_add_u32_e32 v6, s3, v0
	s_mul_i32 s3, s2, s10
	s_cselect_b64 s[4:5], -1, 0
	s_mov_b32 s17, 0
	s_mov_b32 s16, s9
	s_mul_i32 s20, s3, s9
	s_mul_i32 s3, s28, s10
	v_cndmask_b32_e64 v0, 0, 1, s[4:5]
	v_cmp_gt_u32_e64 s[0:1], s9, v6
	s_mul_i32 s3, s3, s9
	s_lshl_b64 s[18:19], s[16:17], 1
	v_cmp_ne_u32_e64 s[4:5], 1, v0
	v_mov_b32_e32 v1, 0
	s_movk_i32 s30, 0x1f8
	s_mov_b32 s31, 0x3fb8aa3b
	s_mov_b32 s33, 0xc2ce8ed0
	;; [unrolled: 1-line block ×5, first 2 shown]
	v_mov_b32_e32 v7, 0x3ecc95a3
	s_mov_b32 s37, 0x3f317218
	s_mov_b32 s38, 0x33800000
	v_mov_b32_e32 v8, 0x7f800000
	v_mov_b32_e32 v2, 0x3f317218
	s_mov_b32 s16, s20
                                        ; implicit-def: $vgpr0
	s_branch .LBB447_3
.LBB447_2:                              ;   in Loop: Header=BB447_3 Depth=1
	s_or_b64 exec, exec, s[20:21]
	s_add_i32 s2, s28, s2
	s_add_i32 s16, s16, s3
	s_cmp_ge_u32 s2, s8
	s_cbranch_scc1 .LBB447_11
.LBB447_3:                              ; =>This Loop Header: Depth=1
                                        ;     Child Loop BB447_6 Depth 2
                                        ;       Child Loop BB447_9 Depth 3
	s_and_saveexec_b64 s[20:21], s[0:1]
	s_cbranch_execz .LBB447_2
; %bb.4:                                ;   in Loop: Header=BB447_3 Depth=1
	s_load_dword s39, s[6:7], 0x4
	s_lshl_b64 s[22:23], s[16:17], 1
	s_mov_b64 s[24:25], 0
	v_mov_b32_e32 v0, v6
	s_waitcnt lgkmcnt(0)
	s_mul_i32 s39, s39, s29
	s_branch .LBB447_6
.LBB447_5:                              ;   in Loop: Header=BB447_6 Depth=2
	v_add_u32_e32 v0, s39, v0
	v_cmp_le_u32_e32 vcc, s9, v0
	s_or_b64 s[24:25], vcc, s[24:25]
	s_andn2_b64 exec, exec, s[24:25]
	s_cbranch_execz .LBB447_2
.LBB447_6:                              ;   Parent Loop BB447_3 Depth=1
                                        ; =>  This Loop Header: Depth=2
                                        ;       Child Loop BB447_9 Depth 3
	s_and_b64 vcc, exec, s[4:5]
	s_cbranch_vccnz .LBB447_5
; %bb.7:                                ;   in Loop: Header=BB447_6 Depth=2
	v_lshl_add_u64 v[4:5], v[0:1], 1, s[22:23]
	v_mov_b32_e32 v3, s11
	s_mov_b32 s40, s10
	s_branch .LBB447_9
.LBB447_8:                              ;   in Loop: Header=BB447_9 Depth=3
	s_or_b64 exec, exec, s[26:27]
	s_add_i32 s40, s40, -1
	v_lshl_add_u64 v[10:11], s[12:13], 0, v[4:5]
	s_cmp_eq_u32 s40, 0
	v_lshl_add_u64 v[4:5], v[4:5], 0, s[18:19]
	global_store_short v[10:11], v3, off
	s_cbranch_scc1 .LBB447_5
.LBB447_9:                              ;   Parent Loop BB447_3 Depth=1
                                        ;     Parent Loop BB447_6 Depth=2
                                        ; =>    This Inner Loop Header: Depth=3
	v_lshl_add_u64 v[10:11], s[14:15], 0, v[4:5]
	global_load_ushort v9, v[10:11], off
	v_cvt_f32_f16_e32 v10, v3
	v_cmp_u_f16_e32 vcc, v3, v3
	s_waitcnt vmcnt(0)
	v_cvt_f32_f16_e32 v11, v9
	v_min_f32_e32 v12, v10, v11
	v_max_f32_e32 v13, v10, v11
	v_cndmask_b32_e32 v12, v12, v10, vcc
	v_cndmask_b32_e32 v13, v13, v10, vcc
	v_cmp_u_f16_e32 vcc, v9, v9
	s_nop 1
	v_cndmask_b32_e32 v10, v12, v11, vcc
	v_cndmask_b32_e32 v9, v13, v11, vcc
	v_cmp_neq_f32_e32 vcc, v10, v9
	v_cmp_class_f32_e64 s[26:27], v10, s30
	s_or_b64 s[42:43], vcc, s[26:27]
	s_and_saveexec_b64 s[26:27], s[42:43]
	s_cbranch_execz .LBB447_8
; %bb.10:                               ;   in Loop: Header=BB447_9 Depth=3
	v_sub_f32_e32 v3, v10, v9
	v_mul_f32_e32 v10, 0x3fb8aa3b, v3
	v_fma_f32 v11, v3, s31, -v10
	v_rndne_f32_e32 v12, v10
	v_fmac_f32_e32 v11, 0x32a5705f, v3
	v_sub_f32_e32 v10, v10, v12
	v_add_f32_e32 v10, v10, v11
	v_cvt_i32_f32_e32 v11, v12
	v_exp_f32_e32 v10, v10
	v_cmp_ngt_f32_e32 vcc, s33, v3
	v_ldexp_f32 v10, v10, v11
	s_nop 0
	v_cndmask_b32_e32 v10, 0, v10, vcc
	v_cmp_nlt_f32_e32 vcc, s34, v3
	s_nop 1
	v_cndmask_b32_e32 v26, v8, v10, vcc
	v_add_f32_e32 v3, 1.0, v26
	v_add_f32_e32 v10, -1.0, v3
	v_sub_f32_e32 v11, v10, v3
	v_add_f32_e32 v11, 1.0, v11
	v_sub_f32_e32 v10, v26, v10
	v_add_f32_e32 v12, v10, v11
	v_frexp_mant_f32_e32 v13, v3
	v_cvt_f64_f32_e32 v[10:11], v3
	v_frexp_exp_i32_f64_e32 v10, v[10:11]
	v_cmp_gt_f32_e32 vcc, s36, v13
	v_cmp_lt_f32_e64 s[42:43], |v26|, s38
	s_nop 0
	v_subbrev_co_u32_e32 v18, vcc, 0, v10, vcc
	v_sub_u32_e32 v10, 0, v18
	v_ldexp_f32 v3, v3, v10
	v_ldexp_f32 v10, v12, v10
	v_add_f32_e32 v12, -1.0, v3
	v_add_f32_e32 v11, 1.0, v12
	v_sub_f32_e32 v11, v3, v11
	v_add_f32_e32 v13, v10, v11
	v_add_f32_e32 v11, 1.0, v3
	v_add_f32_e32 v14, -1.0, v11
	v_sub_f32_e32 v3, v3, v14
	v_add_f32_e32 v3, v10, v3
	v_add_f32_e32 v19, v11, v3
	v_rcp_f32_e32 v20, v19
	v_sub_f32_e32 v10, v11, v19
	v_add_f32_e32 v11, v12, v13
	v_add_f32_e32 v3, v3, v10
	v_mul_f32_e32 v22, v11, v20
	v_sub_f32_e32 v10, v12, v11
	v_mul_f32_e32 v12, v19, v22
	v_fma_f32 v14, v22, v19, -v12
	v_fmac_f32_e32 v14, v22, v3
	v_add_f32_e32 v21, v13, v10
	v_add_f32_e32 v10, v12, v14
	v_sub_f32_e32 v13, v11, v10
	v_pk_add_f32 v[16:17], v[10:11], v[12:13] neg_lo:[0,1] neg_hi:[0,1]
	v_mov_b32_e32 v15, v10
	v_pk_add_f32 v[10:11], v[16:17], v[14:15] neg_lo:[0,1] neg_hi:[0,1]
	v_cmp_eq_f32_e32 vcc, s35, v26
	v_add_f32_e32 v11, v21, v11
	v_add_f32_e32 v10, v10, v11
	;; [unrolled: 1-line block ×3, first 2 shown]
	v_mul_f32_e32 v21, v20, v11
	v_mul_f32_e32 v12, v19, v21
	v_fma_f32 v14, v21, v19, -v12
	v_fmac_f32_e32 v14, v21, v3
	v_sub_f32_e32 v3, v13, v11
	v_add_f32_e32 v3, v10, v3
	v_add_f32_e32 v10, v12, v14
	v_sub_f32_e32 v13, v11, v10
	v_pk_add_f32 v[16:17], v[10:11], v[12:13] neg_lo:[0,1] neg_hi:[0,1]
	v_mov_b32_e32 v15, v10
	v_pk_add_f32 v[10:11], v[16:17], v[14:15] neg_lo:[0,1] neg_hi:[0,1]
	s_or_b64 vcc, vcc, s[42:43]
	v_add_f32_e32 v3, v3, v11
	v_add_f32_e32 v3, v10, v3
	;; [unrolled: 1-line block ×4, first 2 shown]
	v_sub_f32_e32 v10, v11, v22
	v_mul_f32_e32 v3, v20, v3
	v_sub_f32_e32 v10, v21, v10
	v_add_f32_e32 v12, v10, v3
	v_add_f32_e32 v14, v11, v12
	v_cvt_f32_i32_e32 v10, v18
	v_mul_f32_e32 v15, v14, v14
	v_sub_f32_e32 v11, v14, v11
	v_fmamk_f32 v3, v15, 0x3e9b6dac, v7
	v_sub_f32_e32 v11, v12, v11
	v_fmaak_f32 v3, v15, v3, 0x3f2aaada
	v_ldexp_f32 v16, v11, 1
	v_mul_f32_e32 v11, v14, v15
	v_ldexp_f32 v13, v14, 1
	v_pk_mul_f32 v[14:15], v[10:11], v[2:3]
	s_nop 0
	v_fma_f32 v12, v10, s37, -v14
	v_fmac_f32_e32 v12, 0xb102e308, v10
	v_pk_add_f32 v[10:11], v[14:15], v[12:13]
	s_nop 0
	v_sub_f32_e32 v3, v11, v13
	v_sub_f32_e32 v3, v15, v3
	v_add_f32_e32 v17, v16, v3
	v_mov_b32_e32 v16, v14
	v_pk_add_f32 v[14:15], v[10:11], v[14:15] neg_lo:[0,1] neg_hi:[0,1]
	v_pk_add_f32 v[18:19], v[10:11], v[16:17]
	v_mov_b32_e32 v13, v10
	v_mov_b32_e32 v15, v19
	v_pk_add_f32 v[20:21], v[12:13], v[14:15] neg_lo:[0,1] neg_hi:[0,1]
	v_pk_add_f32 v[12:13], v[12:13], v[14:15]
	v_mov_b32_e32 v16, v17
	v_mov_b32_e32 v14, v13
	v_pk_add_f32 v[22:23], v[14:15], v[10:11] neg_lo:[0,1] neg_hi:[0,1]
	v_mov_b32_e32 v12, v19
	v_mov_b32_e32 v3, v22
	v_pk_add_f32 v[24:25], v[18:19], v[2:3] neg_lo:[0,1] neg_hi:[0,1]
	v_mov_b32_e32 v18, v11
	v_mov_b32_e32 v19, v22
	;; [unrolled: 1-line block ×3, first 2 shown]
	v_pk_add_f32 v[12:13], v[12:13], v[18:19] neg_lo:[0,1] neg_hi:[0,1]
	v_mov_b32_e32 v17, v10
	v_pk_add_f32 v[10:11], v[16:17], v[12:13] neg_lo:[0,1] neg_hi:[0,1]
	v_mov_b32_e32 v24, v20
	v_pk_add_f32 v[12:13], v[24:25], v[10:11]
	s_nop 0
	v_mov_b32_e32 v16, v13
	v_pk_add_f32 v[16:17], v[12:13], v[16:17]
	s_nop 0
	v_pk_add_f32 v[14:15], v[14:15], v[16:17]
	v_mov_b32_e32 v11, v16
	v_mov_b32_e32 v13, v14
	v_pk_add_f32 v[18:19], v[12:13], v[20:21] neg_lo:[0,1] neg_hi:[0,1]
	s_nop 0
	v_sub_f32_e32 v3, v12, v18
	v_pk_add_f32 v[10:11], v[10:11], v[18:19] neg_lo:[0,1] neg_hi:[0,1]
	v_sub_f32_e32 v3, v20, v3
	v_add_f32_e32 v3, v10, v3
	v_add_f32_e32 v3, v3, v11
	;; [unrolled: 1-line block ×3, first 2 shown]
	v_cndmask_b32_e32 v3, v3, v26, vcc
	v_add_f32_e32 v3, v9, v3
	v_cvt_f16_f32_e32 v3, v3
	s_branch .LBB447_8
.LBB447_11:
	s_endpgm
	.section	.rodata,"a",@progbits
	.p2align	6, 0x0
	.amdhsa_kernel _ZN2at6native28tensor_kernel_scan_outer_dimIN3c104HalfEjZZZNS0_31launch_logcumsumexp_cuda_kernelERKNS_10TensorBaseES6_lENKUlvE_clEvENKUlvE3_clEvEUlS3_S3_E_EEvPT_PKSA_jjjSA_T1_
		.amdhsa_group_segment_fixed_size 0
		.amdhsa_private_segment_fixed_size 0
		.amdhsa_kernarg_size 288
		.amdhsa_user_sgpr_count 2
		.amdhsa_user_sgpr_dispatch_ptr 0
		.amdhsa_user_sgpr_queue_ptr 0
		.amdhsa_user_sgpr_kernarg_segment_ptr 1
		.amdhsa_user_sgpr_dispatch_id 0
		.amdhsa_user_sgpr_kernarg_preload_length 0
		.amdhsa_user_sgpr_kernarg_preload_offset 0
		.amdhsa_user_sgpr_private_segment_size 0
		.amdhsa_uses_dynamic_stack 0
		.amdhsa_enable_private_segment 0
		.amdhsa_system_sgpr_workgroup_id_x 1
		.amdhsa_system_sgpr_workgroup_id_y 1
		.amdhsa_system_sgpr_workgroup_id_z 0
		.amdhsa_system_sgpr_workgroup_info 0
		.amdhsa_system_vgpr_workitem_id 0
		.amdhsa_next_free_vgpr 27
		.amdhsa_next_free_sgpr 44
		.amdhsa_accum_offset 28
		.amdhsa_reserve_vcc 1
		.amdhsa_float_round_mode_32 0
		.amdhsa_float_round_mode_16_64 0
		.amdhsa_float_denorm_mode_32 3
		.amdhsa_float_denorm_mode_16_64 3
		.amdhsa_dx10_clamp 1
		.amdhsa_ieee_mode 1
		.amdhsa_fp16_overflow 0
		.amdhsa_tg_split 0
		.amdhsa_exception_fp_ieee_invalid_op 0
		.amdhsa_exception_fp_denorm_src 0
		.amdhsa_exception_fp_ieee_div_zero 0
		.amdhsa_exception_fp_ieee_overflow 0
		.amdhsa_exception_fp_ieee_underflow 0
		.amdhsa_exception_fp_ieee_inexact 0
		.amdhsa_exception_int_div_zero 0
	.end_amdhsa_kernel
	.section	.text._ZN2at6native28tensor_kernel_scan_outer_dimIN3c104HalfEjZZZNS0_31launch_logcumsumexp_cuda_kernelERKNS_10TensorBaseES6_lENKUlvE_clEvENKUlvE3_clEvEUlS3_S3_E_EEvPT_PKSA_jjjSA_T1_,"axG",@progbits,_ZN2at6native28tensor_kernel_scan_outer_dimIN3c104HalfEjZZZNS0_31launch_logcumsumexp_cuda_kernelERKNS_10TensorBaseES6_lENKUlvE_clEvENKUlvE3_clEvEUlS3_S3_E_EEvPT_PKSA_jjjSA_T1_,comdat
.Lfunc_end447:
	.size	_ZN2at6native28tensor_kernel_scan_outer_dimIN3c104HalfEjZZZNS0_31launch_logcumsumexp_cuda_kernelERKNS_10TensorBaseES6_lENKUlvE_clEvENKUlvE3_clEvEUlS3_S3_E_EEvPT_PKSA_jjjSA_T1_, .Lfunc_end447-_ZN2at6native28tensor_kernel_scan_outer_dimIN3c104HalfEjZZZNS0_31launch_logcumsumexp_cuda_kernelERKNS_10TensorBaseES6_lENKUlvE_clEvENKUlvE3_clEvEUlS3_S3_E_EEvPT_PKSA_jjjSA_T1_
                                        ; -- End function
	.section	.AMDGPU.csdata,"",@progbits
; Kernel info:
; codeLenInByte = 1160
; NumSgprs: 50
; NumVgprs: 27
; NumAgprs: 0
; TotalNumVgprs: 27
; ScratchSize: 0
; MemoryBound: 0
; FloatMode: 240
; IeeeMode: 1
; LDSByteSize: 0 bytes/workgroup (compile time only)
; SGPRBlocks: 6
; VGPRBlocks: 3
; NumSGPRsForWavesPerEU: 50
; NumVGPRsForWavesPerEU: 27
; AccumOffset: 28
; Occupancy: 8
; WaveLimiterHint : 0
; COMPUTE_PGM_RSRC2:SCRATCH_EN: 0
; COMPUTE_PGM_RSRC2:USER_SGPR: 2
; COMPUTE_PGM_RSRC2:TRAP_HANDLER: 0
; COMPUTE_PGM_RSRC2:TGID_X_EN: 1
; COMPUTE_PGM_RSRC2:TGID_Y_EN: 1
; COMPUTE_PGM_RSRC2:TGID_Z_EN: 0
; COMPUTE_PGM_RSRC2:TIDIG_COMP_CNT: 0
; COMPUTE_PGM_RSRC3_GFX90A:ACCUM_OFFSET: 6
; COMPUTE_PGM_RSRC3_GFX90A:TG_SPLIT: 0
	.section	.text._ZN2at6native28tensor_kernel_scan_outer_dimIN3c104HalfEmZZZNS0_31launch_logcumsumexp_cuda_kernelERKNS_10TensorBaseES6_lENKUlvE_clEvENKUlvE3_clEvEUlS3_S3_E_EEvPT_PKSA_jjjSA_T1_,"axG",@progbits,_ZN2at6native28tensor_kernel_scan_outer_dimIN3c104HalfEmZZZNS0_31launch_logcumsumexp_cuda_kernelERKNS_10TensorBaseES6_lENKUlvE_clEvENKUlvE3_clEvEUlS3_S3_E_EEvPT_PKSA_jjjSA_T1_,comdat
	.globl	_ZN2at6native28tensor_kernel_scan_outer_dimIN3c104HalfEmZZZNS0_31launch_logcumsumexp_cuda_kernelERKNS_10TensorBaseES6_lENKUlvE_clEvENKUlvE3_clEvEUlS3_S3_E_EEvPT_PKSA_jjjSA_T1_ ; -- Begin function _ZN2at6native28tensor_kernel_scan_outer_dimIN3c104HalfEmZZZNS0_31launch_logcumsumexp_cuda_kernelERKNS_10TensorBaseES6_lENKUlvE_clEvENKUlvE3_clEvEUlS3_S3_E_EEvPT_PKSA_jjjSA_T1_
	.p2align	8
	.type	_ZN2at6native28tensor_kernel_scan_outer_dimIN3c104HalfEmZZZNS0_31launch_logcumsumexp_cuda_kernelERKNS_10TensorBaseES6_lENKUlvE_clEvENKUlvE3_clEvEUlS3_S3_E_EEvPT_PKSA_jjjSA_T1_,@function
_ZN2at6native28tensor_kernel_scan_outer_dimIN3c104HalfEmZZZNS0_31launch_logcumsumexp_cuda_kernelERKNS_10TensorBaseES6_lENKUlvE_clEvENKUlvE3_clEvEUlS3_S3_E_EEvPT_PKSA_jjjSA_T1_: ; @_ZN2at6native28tensor_kernel_scan_outer_dimIN3c104HalfEmZZZNS0_31launch_logcumsumexp_cuda_kernelERKNS_10TensorBaseES6_lENKUlvE_clEvENKUlvE3_clEvEUlS3_S3_E_EEvPT_PKSA_jjjSA_T1_
; %bb.0:
	s_load_dwordx4 s[8:11], s[0:1], 0x10
	s_waitcnt lgkmcnt(0)
	s_cmp_ge_u32 s2, s8
	s_cbranch_scc1 .LBB448_11
; %bb.1:
	s_load_dword s4, s[0:1], 0x2c
	s_load_dwordx4 s[12:15], s[0:1], 0x0
	s_load_dword s28, s[0:1], 0x20
	s_add_u32 s6, s0, 32
	s_addc_u32 s7, s1, 0
	s_waitcnt lgkmcnt(0)
	s_and_b32 s29, s4, 0xffff
	s_cmp_lg_u32 s10, 0
	s_mul_i32 s3, s3, s29
	s_cselect_b64 s[20:21], -1, 0
	v_add_u32_e32 v6, s3, v0
	s_mov_b32 s5, 0
	s_mov_b32 s4, s9
	s_mul_hi_u32 s17, s10, s9
	s_mul_i32 s16, s10, s9
	v_cndmask_b32_e64 v0, 0, 1, s[20:21]
	v_cmp_gt_u32_e64 s[0:1], s9, v6
	s_lshl_b64 s[16:17], s[16:17], 1
	s_lshl_b64 s[18:19], s[4:5], 1
	v_cmp_ne_u32_e64 s[4:5], 1, v0
	v_mov_b32_e32 v1, 0
	s_movk_i32 s3, 0x1f8
	s_mov_b32 s30, 0x3fb8aa3b
	s_mov_b32 s31, 0xc2ce8ed0
	;; [unrolled: 1-line block ×5, first 2 shown]
	v_mov_b32_e32 v7, 0x3ecc95a3
	s_mov_b32 s36, 0x3f317218
	s_mov_b32 s37, 0x33800000
	v_mov_b32_e32 v8, 0x7f800000
	v_mov_b32_e32 v2, 0x3f317218
                                        ; implicit-def: $vgpr0
	s_branch .LBB448_3
.LBB448_2:                              ;   in Loop: Header=BB448_3 Depth=1
	s_or_b64 exec, exec, s[20:21]
	s_add_i32 s2, s2, s28
	s_cmp_ge_u32 s2, s8
	s_cbranch_scc1 .LBB448_11
.LBB448_3:                              ; =>This Loop Header: Depth=1
                                        ;     Child Loop BB448_6 Depth 2
                                        ;       Child Loop BB448_9 Depth 3
	s_and_saveexec_b64 s[20:21], s[0:1]
	s_cbranch_execz .LBB448_2
; %bb.4:                                ;   in Loop: Header=BB448_3 Depth=1
	s_load_dword s38, s[6:7], 0x4
	s_mul_i32 s23, s17, s2
	s_mul_hi_u32 s24, s16, s2
	s_mul_i32 s22, s16, s2
	s_add_i32 s23, s24, s23
	s_waitcnt lgkmcnt(0)
	s_mul_i32 s38, s38, s29
	s_mov_b64 s[24:25], 0
	v_mov_b32_e32 v0, v6
	s_branch .LBB448_6
.LBB448_5:                              ;   in Loop: Header=BB448_6 Depth=2
	v_add_u32_e32 v0, s38, v0
	v_cmp_le_u32_e32 vcc, s9, v0
	s_or_b64 s[24:25], vcc, s[24:25]
	s_andn2_b64 exec, exec, s[24:25]
	s_cbranch_execz .LBB448_2
.LBB448_6:                              ;   Parent Loop BB448_3 Depth=1
                                        ; =>  This Loop Header: Depth=2
                                        ;       Child Loop BB448_9 Depth 3
	s_and_b64 vcc, exec, s[4:5]
	s_cbranch_vccnz .LBB448_5
; %bb.7:                                ;   in Loop: Header=BB448_6 Depth=2
	v_lshl_add_u64 v[4:5], v[0:1], 1, s[22:23]
	v_mov_b32_e32 v3, s11
	s_mov_b32 s39, s10
	s_branch .LBB448_9
.LBB448_8:                              ;   in Loop: Header=BB448_9 Depth=3
	s_or_b64 exec, exec, s[26:27]
	s_add_i32 s39, s39, -1
	v_lshl_add_u64 v[10:11], s[12:13], 0, v[4:5]
	s_cmp_eq_u32 s39, 0
	v_lshl_add_u64 v[4:5], v[4:5], 0, s[18:19]
	global_store_short v[10:11], v3, off
	s_cbranch_scc1 .LBB448_5
.LBB448_9:                              ;   Parent Loop BB448_3 Depth=1
                                        ;     Parent Loop BB448_6 Depth=2
                                        ; =>    This Inner Loop Header: Depth=3
	v_lshl_add_u64 v[10:11], s[14:15], 0, v[4:5]
	global_load_ushort v9, v[10:11], off
	v_cvt_f32_f16_e32 v10, v3
	v_cmp_u_f16_e32 vcc, v3, v3
	s_waitcnt vmcnt(0)
	v_cvt_f32_f16_e32 v11, v9
	v_min_f32_e32 v12, v10, v11
	v_max_f32_e32 v13, v10, v11
	v_cndmask_b32_e32 v12, v12, v10, vcc
	v_cndmask_b32_e32 v13, v13, v10, vcc
	v_cmp_u_f16_e32 vcc, v9, v9
	s_nop 1
	v_cndmask_b32_e32 v10, v12, v11, vcc
	v_cndmask_b32_e32 v9, v13, v11, vcc
	v_cmp_neq_f32_e32 vcc, v10, v9
	v_cmp_class_f32_e64 s[26:27], v10, s3
	s_or_b64 s[40:41], vcc, s[26:27]
	s_and_saveexec_b64 s[26:27], s[40:41]
	s_cbranch_execz .LBB448_8
; %bb.10:                               ;   in Loop: Header=BB448_9 Depth=3
	v_sub_f32_e32 v3, v10, v9
	v_mul_f32_e32 v10, 0x3fb8aa3b, v3
	v_fma_f32 v11, v3, s30, -v10
	v_rndne_f32_e32 v12, v10
	v_fmac_f32_e32 v11, 0x32a5705f, v3
	v_sub_f32_e32 v10, v10, v12
	v_add_f32_e32 v10, v10, v11
	v_cvt_i32_f32_e32 v11, v12
	v_exp_f32_e32 v10, v10
	v_cmp_ngt_f32_e32 vcc, s31, v3
	v_ldexp_f32 v10, v10, v11
	s_nop 0
	v_cndmask_b32_e32 v10, 0, v10, vcc
	v_cmp_nlt_f32_e32 vcc, s33, v3
	s_nop 1
	v_cndmask_b32_e32 v26, v8, v10, vcc
	v_add_f32_e32 v3, 1.0, v26
	v_add_f32_e32 v10, -1.0, v3
	v_sub_f32_e32 v11, v10, v3
	v_add_f32_e32 v11, 1.0, v11
	v_sub_f32_e32 v10, v26, v10
	v_add_f32_e32 v12, v10, v11
	v_frexp_mant_f32_e32 v13, v3
	v_cvt_f64_f32_e32 v[10:11], v3
	v_frexp_exp_i32_f64_e32 v10, v[10:11]
	v_cmp_gt_f32_e32 vcc, s35, v13
	v_cmp_lt_f32_e64 s[40:41], |v26|, s37
	s_nop 0
	v_subbrev_co_u32_e32 v18, vcc, 0, v10, vcc
	v_sub_u32_e32 v10, 0, v18
	v_ldexp_f32 v3, v3, v10
	v_ldexp_f32 v10, v12, v10
	v_add_f32_e32 v12, -1.0, v3
	v_add_f32_e32 v11, 1.0, v12
	v_sub_f32_e32 v11, v3, v11
	v_add_f32_e32 v13, v10, v11
	v_add_f32_e32 v11, 1.0, v3
	v_add_f32_e32 v14, -1.0, v11
	v_sub_f32_e32 v3, v3, v14
	v_add_f32_e32 v3, v10, v3
	v_add_f32_e32 v19, v11, v3
	v_rcp_f32_e32 v20, v19
	v_sub_f32_e32 v10, v11, v19
	v_add_f32_e32 v11, v12, v13
	v_add_f32_e32 v3, v3, v10
	v_mul_f32_e32 v22, v11, v20
	v_sub_f32_e32 v10, v12, v11
	v_mul_f32_e32 v12, v19, v22
	v_fma_f32 v14, v22, v19, -v12
	v_fmac_f32_e32 v14, v22, v3
	v_add_f32_e32 v21, v13, v10
	v_add_f32_e32 v10, v12, v14
	v_sub_f32_e32 v13, v11, v10
	v_pk_add_f32 v[16:17], v[10:11], v[12:13] neg_lo:[0,1] neg_hi:[0,1]
	v_mov_b32_e32 v15, v10
	v_pk_add_f32 v[10:11], v[16:17], v[14:15] neg_lo:[0,1] neg_hi:[0,1]
	v_cmp_eq_f32_e32 vcc, s34, v26
	v_add_f32_e32 v11, v21, v11
	v_add_f32_e32 v10, v10, v11
	;; [unrolled: 1-line block ×3, first 2 shown]
	v_mul_f32_e32 v21, v20, v11
	v_mul_f32_e32 v12, v19, v21
	v_fma_f32 v14, v21, v19, -v12
	v_fmac_f32_e32 v14, v21, v3
	v_sub_f32_e32 v3, v13, v11
	v_add_f32_e32 v3, v10, v3
	v_add_f32_e32 v10, v12, v14
	v_sub_f32_e32 v13, v11, v10
	v_pk_add_f32 v[16:17], v[10:11], v[12:13] neg_lo:[0,1] neg_hi:[0,1]
	v_mov_b32_e32 v15, v10
	v_pk_add_f32 v[10:11], v[16:17], v[14:15] neg_lo:[0,1] neg_hi:[0,1]
	s_or_b64 vcc, vcc, s[40:41]
	v_add_f32_e32 v3, v3, v11
	v_add_f32_e32 v3, v10, v3
	;; [unrolled: 1-line block ×4, first 2 shown]
	v_sub_f32_e32 v10, v11, v22
	v_mul_f32_e32 v3, v20, v3
	v_sub_f32_e32 v10, v21, v10
	v_add_f32_e32 v12, v10, v3
	v_add_f32_e32 v14, v11, v12
	v_cvt_f32_i32_e32 v10, v18
	v_mul_f32_e32 v15, v14, v14
	v_sub_f32_e32 v11, v14, v11
	v_fmamk_f32 v3, v15, 0x3e9b6dac, v7
	v_sub_f32_e32 v11, v12, v11
	v_fmaak_f32 v3, v15, v3, 0x3f2aaada
	v_ldexp_f32 v16, v11, 1
	v_mul_f32_e32 v11, v14, v15
	v_ldexp_f32 v13, v14, 1
	v_pk_mul_f32 v[14:15], v[10:11], v[2:3]
	s_nop 0
	v_fma_f32 v12, v10, s36, -v14
	v_fmac_f32_e32 v12, 0xb102e308, v10
	v_pk_add_f32 v[10:11], v[14:15], v[12:13]
	s_nop 0
	v_sub_f32_e32 v3, v11, v13
	v_sub_f32_e32 v3, v15, v3
	v_add_f32_e32 v17, v16, v3
	v_mov_b32_e32 v16, v14
	v_pk_add_f32 v[14:15], v[10:11], v[14:15] neg_lo:[0,1] neg_hi:[0,1]
	v_pk_add_f32 v[18:19], v[10:11], v[16:17]
	v_mov_b32_e32 v13, v10
	v_mov_b32_e32 v15, v19
	v_pk_add_f32 v[20:21], v[12:13], v[14:15] neg_lo:[0,1] neg_hi:[0,1]
	v_pk_add_f32 v[12:13], v[12:13], v[14:15]
	v_mov_b32_e32 v16, v17
	v_mov_b32_e32 v14, v13
	v_pk_add_f32 v[22:23], v[14:15], v[10:11] neg_lo:[0,1] neg_hi:[0,1]
	v_mov_b32_e32 v12, v19
	v_mov_b32_e32 v3, v22
	v_pk_add_f32 v[24:25], v[18:19], v[2:3] neg_lo:[0,1] neg_hi:[0,1]
	v_mov_b32_e32 v18, v11
	v_mov_b32_e32 v19, v22
	;; [unrolled: 1-line block ×3, first 2 shown]
	v_pk_add_f32 v[12:13], v[12:13], v[18:19] neg_lo:[0,1] neg_hi:[0,1]
	v_mov_b32_e32 v17, v10
	v_pk_add_f32 v[10:11], v[16:17], v[12:13] neg_lo:[0,1] neg_hi:[0,1]
	v_mov_b32_e32 v24, v20
	v_pk_add_f32 v[12:13], v[24:25], v[10:11]
	s_nop 0
	v_mov_b32_e32 v16, v13
	v_pk_add_f32 v[16:17], v[12:13], v[16:17]
	s_nop 0
	v_pk_add_f32 v[14:15], v[14:15], v[16:17]
	v_mov_b32_e32 v11, v16
	v_mov_b32_e32 v13, v14
	v_pk_add_f32 v[18:19], v[12:13], v[20:21] neg_lo:[0,1] neg_hi:[0,1]
	s_nop 0
	v_sub_f32_e32 v3, v12, v18
	v_pk_add_f32 v[10:11], v[10:11], v[18:19] neg_lo:[0,1] neg_hi:[0,1]
	v_sub_f32_e32 v3, v20, v3
	v_add_f32_e32 v3, v10, v3
	v_add_f32_e32 v3, v3, v11
	v_add_f32_e32 v3, v14, v3
	v_cndmask_b32_e32 v3, v3, v26, vcc
	v_add_f32_e32 v3, v9, v3
	v_cvt_f16_f32_e32 v3, v3
	s_branch .LBB448_8
.LBB448_11:
	s_endpgm
	.section	.rodata,"a",@progbits
	.p2align	6, 0x0
	.amdhsa_kernel _ZN2at6native28tensor_kernel_scan_outer_dimIN3c104HalfEmZZZNS0_31launch_logcumsumexp_cuda_kernelERKNS_10TensorBaseES6_lENKUlvE_clEvENKUlvE3_clEvEUlS3_S3_E_EEvPT_PKSA_jjjSA_T1_
		.amdhsa_group_segment_fixed_size 0
		.amdhsa_private_segment_fixed_size 0
		.amdhsa_kernarg_size 288
		.amdhsa_user_sgpr_count 2
		.amdhsa_user_sgpr_dispatch_ptr 0
		.amdhsa_user_sgpr_queue_ptr 0
		.amdhsa_user_sgpr_kernarg_segment_ptr 1
		.amdhsa_user_sgpr_dispatch_id 0
		.amdhsa_user_sgpr_kernarg_preload_length 0
		.amdhsa_user_sgpr_kernarg_preload_offset 0
		.amdhsa_user_sgpr_private_segment_size 0
		.amdhsa_uses_dynamic_stack 0
		.amdhsa_enable_private_segment 0
		.amdhsa_system_sgpr_workgroup_id_x 1
		.amdhsa_system_sgpr_workgroup_id_y 1
		.amdhsa_system_sgpr_workgroup_id_z 0
		.amdhsa_system_sgpr_workgroup_info 0
		.amdhsa_system_vgpr_workitem_id 0
		.amdhsa_next_free_vgpr 27
		.amdhsa_next_free_sgpr 42
		.amdhsa_accum_offset 28
		.amdhsa_reserve_vcc 1
		.amdhsa_float_round_mode_32 0
		.amdhsa_float_round_mode_16_64 0
		.amdhsa_float_denorm_mode_32 3
		.amdhsa_float_denorm_mode_16_64 3
		.amdhsa_dx10_clamp 1
		.amdhsa_ieee_mode 1
		.amdhsa_fp16_overflow 0
		.amdhsa_tg_split 0
		.amdhsa_exception_fp_ieee_invalid_op 0
		.amdhsa_exception_fp_denorm_src 0
		.amdhsa_exception_fp_ieee_div_zero 0
		.amdhsa_exception_fp_ieee_overflow 0
		.amdhsa_exception_fp_ieee_underflow 0
		.amdhsa_exception_fp_ieee_inexact 0
		.amdhsa_exception_int_div_zero 0
	.end_amdhsa_kernel
	.section	.text._ZN2at6native28tensor_kernel_scan_outer_dimIN3c104HalfEmZZZNS0_31launch_logcumsumexp_cuda_kernelERKNS_10TensorBaseES6_lENKUlvE_clEvENKUlvE3_clEvEUlS3_S3_E_EEvPT_PKSA_jjjSA_T1_,"axG",@progbits,_ZN2at6native28tensor_kernel_scan_outer_dimIN3c104HalfEmZZZNS0_31launch_logcumsumexp_cuda_kernelERKNS_10TensorBaseES6_lENKUlvE_clEvENKUlvE3_clEvEUlS3_S3_E_EEvPT_PKSA_jjjSA_T1_,comdat
.Lfunc_end448:
	.size	_ZN2at6native28tensor_kernel_scan_outer_dimIN3c104HalfEmZZZNS0_31launch_logcumsumexp_cuda_kernelERKNS_10TensorBaseES6_lENKUlvE_clEvENKUlvE3_clEvEUlS3_S3_E_EEvPT_PKSA_jjjSA_T1_, .Lfunc_end448-_ZN2at6native28tensor_kernel_scan_outer_dimIN3c104HalfEmZZZNS0_31launch_logcumsumexp_cuda_kernelERKNS_10TensorBaseES6_lENKUlvE_clEvENKUlvE3_clEvEUlS3_S3_E_EEvPT_PKSA_jjjSA_T1_
                                        ; -- End function
	.section	.AMDGPU.csdata,"",@progbits
; Kernel info:
; codeLenInByte = 1160
; NumSgprs: 48
; NumVgprs: 27
; NumAgprs: 0
; TotalNumVgprs: 27
; ScratchSize: 0
; MemoryBound: 0
; FloatMode: 240
; IeeeMode: 1
; LDSByteSize: 0 bytes/workgroup (compile time only)
; SGPRBlocks: 5
; VGPRBlocks: 3
; NumSGPRsForWavesPerEU: 48
; NumVGPRsForWavesPerEU: 27
; AccumOffset: 28
; Occupancy: 8
; WaveLimiterHint : 0
; COMPUTE_PGM_RSRC2:SCRATCH_EN: 0
; COMPUTE_PGM_RSRC2:USER_SGPR: 2
; COMPUTE_PGM_RSRC2:TRAP_HANDLER: 0
; COMPUTE_PGM_RSRC2:TGID_X_EN: 1
; COMPUTE_PGM_RSRC2:TGID_Y_EN: 1
; COMPUTE_PGM_RSRC2:TGID_Z_EN: 0
; COMPUTE_PGM_RSRC2:TIDIG_COMP_CNT: 0
; COMPUTE_PGM_RSRC3_GFX90A:ACCUM_OFFSET: 6
; COMPUTE_PGM_RSRC3_GFX90A:TG_SPLIT: 0
	.section	.text._ZN7rocprim17ROCPRIM_400000_NS6detail31init_lookback_scan_state_kernelINS1_19lookback_scan_stateIN3c108BFloat16ELb0ELb1EEENS1_16block_id_wrapperIjLb0EEEEEvT_jT0_jPNS9_10value_typeE,"axG",@progbits,_ZN7rocprim17ROCPRIM_400000_NS6detail31init_lookback_scan_state_kernelINS1_19lookback_scan_stateIN3c108BFloat16ELb0ELb1EEENS1_16block_id_wrapperIjLb0EEEEEvT_jT0_jPNS9_10value_typeE,comdat
	.protected	_ZN7rocprim17ROCPRIM_400000_NS6detail31init_lookback_scan_state_kernelINS1_19lookback_scan_stateIN3c108BFloat16ELb0ELb1EEENS1_16block_id_wrapperIjLb0EEEEEvT_jT0_jPNS9_10value_typeE ; -- Begin function _ZN7rocprim17ROCPRIM_400000_NS6detail31init_lookback_scan_state_kernelINS1_19lookback_scan_stateIN3c108BFloat16ELb0ELb1EEENS1_16block_id_wrapperIjLb0EEEEEvT_jT0_jPNS9_10value_typeE
	.globl	_ZN7rocprim17ROCPRIM_400000_NS6detail31init_lookback_scan_state_kernelINS1_19lookback_scan_stateIN3c108BFloat16ELb0ELb1EEENS1_16block_id_wrapperIjLb0EEEEEvT_jT0_jPNS9_10value_typeE
	.p2align	8
	.type	_ZN7rocprim17ROCPRIM_400000_NS6detail31init_lookback_scan_state_kernelINS1_19lookback_scan_stateIN3c108BFloat16ELb0ELb1EEENS1_16block_id_wrapperIjLb0EEEEEvT_jT0_jPNS9_10value_typeE,@function
_ZN7rocprim17ROCPRIM_400000_NS6detail31init_lookback_scan_state_kernelINS1_19lookback_scan_stateIN3c108BFloat16ELb0ELb1EEENS1_16block_id_wrapperIjLb0EEEEEvT_jT0_jPNS9_10value_typeE: ; @_ZN7rocprim17ROCPRIM_400000_NS6detail31init_lookback_scan_state_kernelINS1_19lookback_scan_stateIN3c108BFloat16ELb0ELb1EEENS1_16block_id_wrapperIjLb0EEEEEvT_jT0_jPNS9_10value_typeE
; %bb.0:
	s_load_dword s3, s[0:1], 0x2c
	s_load_dwordx2 s[6:7], s[0:1], 0x18
	s_load_dwordx2 s[4:5], s[0:1], 0x0
	s_load_dword s8, s[0:1], 0x8
	s_waitcnt lgkmcnt(0)
	s_and_b32 s3, s3, 0xffff
	s_mul_i32 s2, s2, s3
	s_cmp_eq_u64 s[6:7], 0
	v_add_u32_e32 v0, s2, v0
	s_cbranch_scc1 .LBB449_6
; %bb.1:
	s_load_dword s2, s[0:1], 0x10
	s_mov_b32 s3, 0
	s_waitcnt lgkmcnt(0)
	s_cmp_lt_u32 s2, s8
	s_cselect_b32 s0, s2, 0
	v_cmp_eq_u32_e32 vcc, s0, v0
	s_and_saveexec_b64 s[0:1], vcc
	s_cbranch_execz .LBB449_5
; %bb.2:
	s_add_i32 s2, s2, 64
	s_lshl_b64 s[2:3], s[2:3], 2
	s_add_u32 s2, s4, s2
	s_addc_u32 s3, s5, s3
	v_mov_b32_e32 v2, 0
	global_load_dword v1, v2, s[2:3] sc1
	s_waitcnt vmcnt(0)
	v_and_b32_e32 v3, 0xff0000, v1
	v_cmp_ne_u32_e32 vcc, 0, v3
	s_cbranch_vccnz .LBB449_4
.LBB449_3:                              ; =>This Inner Loop Header: Depth=1
	global_load_dword v1, v2, s[2:3] sc1
	s_waitcnt vmcnt(0)
	v_and_b32_e32 v3, 0xff0000, v1
	v_cmp_eq_u32_e32 vcc, 0, v3
	s_cbranch_vccnz .LBB449_3
.LBB449_4:
	v_mov_b32_e32 v2, 0
	global_store_short v2, v1, s[6:7]
.LBB449_5:
	s_or_b64 exec, exec, s[0:1]
.LBB449_6:
	v_cmp_gt_u32_e32 vcc, s8, v0
	s_and_saveexec_b64 s[0:1], vcc
	s_cbranch_execnz .LBB449_9
; %bb.7:
	s_or_b64 exec, exec, s[0:1]
	v_cmp_gt_u32_e32 vcc, 64, v0
	s_and_saveexec_b64 s[0:1], vcc
	s_cbranch_execnz .LBB449_10
.LBB449_8:
	s_endpgm
.LBB449_9:
	v_add_u32_e32 v2, 64, v0
	v_mov_b32_e32 v3, 0
	v_lshl_add_u64 v[4:5], v[2:3], 2, s[4:5]
	global_store_dword v[4:5], v3, off
	s_or_b64 exec, exec, s[0:1]
	v_cmp_gt_u32_e32 vcc, 64, v0
	s_and_saveexec_b64 s[0:1], vcc
	s_cbranch_execz .LBB449_8
.LBB449_10:
	v_mov_b32_e32 v1, 0
	v_lshl_add_u64 v[0:1], v[0:1], 2, s[4:5]
	v_mov_b32_e32 v2, 0xff0000
	global_store_dword v[0:1], v2, off
	s_endpgm
	.section	.rodata,"a",@progbits
	.p2align	6, 0x0
	.amdhsa_kernel _ZN7rocprim17ROCPRIM_400000_NS6detail31init_lookback_scan_state_kernelINS1_19lookback_scan_stateIN3c108BFloat16ELb0ELb1EEENS1_16block_id_wrapperIjLb0EEEEEvT_jT0_jPNS9_10value_typeE
		.amdhsa_group_segment_fixed_size 0
		.amdhsa_private_segment_fixed_size 0
		.amdhsa_kernarg_size 288
		.amdhsa_user_sgpr_count 2
		.amdhsa_user_sgpr_dispatch_ptr 0
		.amdhsa_user_sgpr_queue_ptr 0
		.amdhsa_user_sgpr_kernarg_segment_ptr 1
		.amdhsa_user_sgpr_dispatch_id 0
		.amdhsa_user_sgpr_kernarg_preload_length 0
		.amdhsa_user_sgpr_kernarg_preload_offset 0
		.amdhsa_user_sgpr_private_segment_size 0
		.amdhsa_uses_dynamic_stack 0
		.amdhsa_enable_private_segment 0
		.amdhsa_system_sgpr_workgroup_id_x 1
		.amdhsa_system_sgpr_workgroup_id_y 0
		.amdhsa_system_sgpr_workgroup_id_z 0
		.amdhsa_system_sgpr_workgroup_info 0
		.amdhsa_system_vgpr_workitem_id 0
		.amdhsa_next_free_vgpr 6
		.amdhsa_next_free_sgpr 9
		.amdhsa_accum_offset 8
		.amdhsa_reserve_vcc 1
		.amdhsa_float_round_mode_32 0
		.amdhsa_float_round_mode_16_64 0
		.amdhsa_float_denorm_mode_32 3
		.amdhsa_float_denorm_mode_16_64 3
		.amdhsa_dx10_clamp 1
		.amdhsa_ieee_mode 1
		.amdhsa_fp16_overflow 0
		.amdhsa_tg_split 0
		.amdhsa_exception_fp_ieee_invalid_op 0
		.amdhsa_exception_fp_denorm_src 0
		.amdhsa_exception_fp_ieee_div_zero 0
		.amdhsa_exception_fp_ieee_overflow 0
		.amdhsa_exception_fp_ieee_underflow 0
		.amdhsa_exception_fp_ieee_inexact 0
		.amdhsa_exception_int_div_zero 0
	.end_amdhsa_kernel
	.section	.text._ZN7rocprim17ROCPRIM_400000_NS6detail31init_lookback_scan_state_kernelINS1_19lookback_scan_stateIN3c108BFloat16ELb0ELb1EEENS1_16block_id_wrapperIjLb0EEEEEvT_jT0_jPNS9_10value_typeE,"axG",@progbits,_ZN7rocprim17ROCPRIM_400000_NS6detail31init_lookback_scan_state_kernelINS1_19lookback_scan_stateIN3c108BFloat16ELb0ELb1EEENS1_16block_id_wrapperIjLb0EEEEEvT_jT0_jPNS9_10value_typeE,comdat
.Lfunc_end449:
	.size	_ZN7rocprim17ROCPRIM_400000_NS6detail31init_lookback_scan_state_kernelINS1_19lookback_scan_stateIN3c108BFloat16ELb0ELb1EEENS1_16block_id_wrapperIjLb0EEEEEvT_jT0_jPNS9_10value_typeE, .Lfunc_end449-_ZN7rocprim17ROCPRIM_400000_NS6detail31init_lookback_scan_state_kernelINS1_19lookback_scan_stateIN3c108BFloat16ELb0ELb1EEENS1_16block_id_wrapperIjLb0EEEEEvT_jT0_jPNS9_10value_typeE
                                        ; -- End function
	.section	.AMDGPU.csdata,"",@progbits
; Kernel info:
; codeLenInByte = 292
; NumSgprs: 15
; NumVgprs: 6
; NumAgprs: 0
; TotalNumVgprs: 6
; ScratchSize: 0
; MemoryBound: 0
; FloatMode: 240
; IeeeMode: 1
; LDSByteSize: 0 bytes/workgroup (compile time only)
; SGPRBlocks: 1
; VGPRBlocks: 0
; NumSGPRsForWavesPerEU: 15
; NumVGPRsForWavesPerEU: 6
; AccumOffset: 8
; Occupancy: 8
; WaveLimiterHint : 0
; COMPUTE_PGM_RSRC2:SCRATCH_EN: 0
; COMPUTE_PGM_RSRC2:USER_SGPR: 2
; COMPUTE_PGM_RSRC2:TRAP_HANDLER: 0
; COMPUTE_PGM_RSRC2:TGID_X_EN: 1
; COMPUTE_PGM_RSRC2:TGID_Y_EN: 0
; COMPUTE_PGM_RSRC2:TGID_Z_EN: 0
; COMPUTE_PGM_RSRC2:TIDIG_COMP_CNT: 0
; COMPUTE_PGM_RSRC3_GFX90A:ACCUM_OFFSET: 1
; COMPUTE_PGM_RSRC3_GFX90A:TG_SPLIT: 0
	.section	.text._ZN7rocprim17ROCPRIM_400000_NS6detail17trampoline_kernelINS0_14default_configENS1_20scan_config_selectorIN3c108BFloat16EEEZZNS1_9scan_implILNS1_25lookback_scan_determinismE0ELb0ELb0ES3_PKS6_PS6_S6_ZZZN2at6native31launch_logcumsumexp_cuda_kernelERKNSD_10TensorBaseESH_lENKUlvE_clEvENKUlvE4_clEvEUlS6_S6_E_S6_EEDaPvRmT3_T4_T5_mT6_P12ihipStream_tbENKUlT_T0_E_clISt17integral_constantIbLb0EESY_EEDaST_SU_EUlST_E_NS1_11comp_targetILNS1_3genE0ELNS1_11target_archE4294967295ELNS1_3gpuE0ELNS1_3repE0EEENS1_30default_config_static_selectorELNS0_4arch9wavefront6targetE1EEEvT1_,"axG",@progbits,_ZN7rocprim17ROCPRIM_400000_NS6detail17trampoline_kernelINS0_14default_configENS1_20scan_config_selectorIN3c108BFloat16EEEZZNS1_9scan_implILNS1_25lookback_scan_determinismE0ELb0ELb0ES3_PKS6_PS6_S6_ZZZN2at6native31launch_logcumsumexp_cuda_kernelERKNSD_10TensorBaseESH_lENKUlvE_clEvENKUlvE4_clEvEUlS6_S6_E_S6_EEDaPvRmT3_T4_T5_mT6_P12ihipStream_tbENKUlT_T0_E_clISt17integral_constantIbLb0EESY_EEDaST_SU_EUlST_E_NS1_11comp_targetILNS1_3genE0ELNS1_11target_archE4294967295ELNS1_3gpuE0ELNS1_3repE0EEENS1_30default_config_static_selectorELNS0_4arch9wavefront6targetE1EEEvT1_,comdat
	.globl	_ZN7rocprim17ROCPRIM_400000_NS6detail17trampoline_kernelINS0_14default_configENS1_20scan_config_selectorIN3c108BFloat16EEEZZNS1_9scan_implILNS1_25lookback_scan_determinismE0ELb0ELb0ES3_PKS6_PS6_S6_ZZZN2at6native31launch_logcumsumexp_cuda_kernelERKNSD_10TensorBaseESH_lENKUlvE_clEvENKUlvE4_clEvEUlS6_S6_E_S6_EEDaPvRmT3_T4_T5_mT6_P12ihipStream_tbENKUlT_T0_E_clISt17integral_constantIbLb0EESY_EEDaST_SU_EUlST_E_NS1_11comp_targetILNS1_3genE0ELNS1_11target_archE4294967295ELNS1_3gpuE0ELNS1_3repE0EEENS1_30default_config_static_selectorELNS0_4arch9wavefront6targetE1EEEvT1_ ; -- Begin function _ZN7rocprim17ROCPRIM_400000_NS6detail17trampoline_kernelINS0_14default_configENS1_20scan_config_selectorIN3c108BFloat16EEEZZNS1_9scan_implILNS1_25lookback_scan_determinismE0ELb0ELb0ES3_PKS6_PS6_S6_ZZZN2at6native31launch_logcumsumexp_cuda_kernelERKNSD_10TensorBaseESH_lENKUlvE_clEvENKUlvE4_clEvEUlS6_S6_E_S6_EEDaPvRmT3_T4_T5_mT6_P12ihipStream_tbENKUlT_T0_E_clISt17integral_constantIbLb0EESY_EEDaST_SU_EUlST_E_NS1_11comp_targetILNS1_3genE0ELNS1_11target_archE4294967295ELNS1_3gpuE0ELNS1_3repE0EEENS1_30default_config_static_selectorELNS0_4arch9wavefront6targetE1EEEvT1_
	.p2align	8
	.type	_ZN7rocprim17ROCPRIM_400000_NS6detail17trampoline_kernelINS0_14default_configENS1_20scan_config_selectorIN3c108BFloat16EEEZZNS1_9scan_implILNS1_25lookback_scan_determinismE0ELb0ELb0ES3_PKS6_PS6_S6_ZZZN2at6native31launch_logcumsumexp_cuda_kernelERKNSD_10TensorBaseESH_lENKUlvE_clEvENKUlvE4_clEvEUlS6_S6_E_S6_EEDaPvRmT3_T4_T5_mT6_P12ihipStream_tbENKUlT_T0_E_clISt17integral_constantIbLb0EESY_EEDaST_SU_EUlST_E_NS1_11comp_targetILNS1_3genE0ELNS1_11target_archE4294967295ELNS1_3gpuE0ELNS1_3repE0EEENS1_30default_config_static_selectorELNS0_4arch9wavefront6targetE1EEEvT1_,@function
_ZN7rocprim17ROCPRIM_400000_NS6detail17trampoline_kernelINS0_14default_configENS1_20scan_config_selectorIN3c108BFloat16EEEZZNS1_9scan_implILNS1_25lookback_scan_determinismE0ELb0ELb0ES3_PKS6_PS6_S6_ZZZN2at6native31launch_logcumsumexp_cuda_kernelERKNSD_10TensorBaseESH_lENKUlvE_clEvENKUlvE4_clEvEUlS6_S6_E_S6_EEDaPvRmT3_T4_T5_mT6_P12ihipStream_tbENKUlT_T0_E_clISt17integral_constantIbLb0EESY_EEDaST_SU_EUlST_E_NS1_11comp_targetILNS1_3genE0ELNS1_11target_archE4294967295ELNS1_3gpuE0ELNS1_3repE0EEENS1_30default_config_static_selectorELNS0_4arch9wavefront6targetE1EEEvT1_: ; @_ZN7rocprim17ROCPRIM_400000_NS6detail17trampoline_kernelINS0_14default_configENS1_20scan_config_selectorIN3c108BFloat16EEEZZNS1_9scan_implILNS1_25lookback_scan_determinismE0ELb0ELb0ES3_PKS6_PS6_S6_ZZZN2at6native31launch_logcumsumexp_cuda_kernelERKNSD_10TensorBaseESH_lENKUlvE_clEvENKUlvE4_clEvEUlS6_S6_E_S6_EEDaPvRmT3_T4_T5_mT6_P12ihipStream_tbENKUlT_T0_E_clISt17integral_constantIbLb0EESY_EEDaST_SU_EUlST_E_NS1_11comp_targetILNS1_3genE0ELNS1_11target_archE4294967295ELNS1_3gpuE0ELNS1_3repE0EEENS1_30default_config_static_selectorELNS0_4arch9wavefront6targetE1EEEvT1_
; %bb.0:
	.section	.rodata,"a",@progbits
	.p2align	6, 0x0
	.amdhsa_kernel _ZN7rocprim17ROCPRIM_400000_NS6detail17trampoline_kernelINS0_14default_configENS1_20scan_config_selectorIN3c108BFloat16EEEZZNS1_9scan_implILNS1_25lookback_scan_determinismE0ELb0ELb0ES3_PKS6_PS6_S6_ZZZN2at6native31launch_logcumsumexp_cuda_kernelERKNSD_10TensorBaseESH_lENKUlvE_clEvENKUlvE4_clEvEUlS6_S6_E_S6_EEDaPvRmT3_T4_T5_mT6_P12ihipStream_tbENKUlT_T0_E_clISt17integral_constantIbLb0EESY_EEDaST_SU_EUlST_E_NS1_11comp_targetILNS1_3genE0ELNS1_11target_archE4294967295ELNS1_3gpuE0ELNS1_3repE0EEENS1_30default_config_static_selectorELNS0_4arch9wavefront6targetE1EEEvT1_
		.amdhsa_group_segment_fixed_size 0
		.amdhsa_private_segment_fixed_size 0
		.amdhsa_kernarg_size 96
		.amdhsa_user_sgpr_count 2
		.amdhsa_user_sgpr_dispatch_ptr 0
		.amdhsa_user_sgpr_queue_ptr 0
		.amdhsa_user_sgpr_kernarg_segment_ptr 1
		.amdhsa_user_sgpr_dispatch_id 0
		.amdhsa_user_sgpr_kernarg_preload_length 0
		.amdhsa_user_sgpr_kernarg_preload_offset 0
		.amdhsa_user_sgpr_private_segment_size 0
		.amdhsa_uses_dynamic_stack 0
		.amdhsa_enable_private_segment 0
		.amdhsa_system_sgpr_workgroup_id_x 1
		.amdhsa_system_sgpr_workgroup_id_y 0
		.amdhsa_system_sgpr_workgroup_id_z 0
		.amdhsa_system_sgpr_workgroup_info 0
		.amdhsa_system_vgpr_workitem_id 0
		.amdhsa_next_free_vgpr 1
		.amdhsa_next_free_sgpr 0
		.amdhsa_accum_offset 4
		.amdhsa_reserve_vcc 0
		.amdhsa_float_round_mode_32 0
		.amdhsa_float_round_mode_16_64 0
		.amdhsa_float_denorm_mode_32 3
		.amdhsa_float_denorm_mode_16_64 3
		.amdhsa_dx10_clamp 1
		.amdhsa_ieee_mode 1
		.amdhsa_fp16_overflow 0
		.amdhsa_tg_split 0
		.amdhsa_exception_fp_ieee_invalid_op 0
		.amdhsa_exception_fp_denorm_src 0
		.amdhsa_exception_fp_ieee_div_zero 0
		.amdhsa_exception_fp_ieee_overflow 0
		.amdhsa_exception_fp_ieee_underflow 0
		.amdhsa_exception_fp_ieee_inexact 0
		.amdhsa_exception_int_div_zero 0
	.end_amdhsa_kernel
	.section	.text._ZN7rocprim17ROCPRIM_400000_NS6detail17trampoline_kernelINS0_14default_configENS1_20scan_config_selectorIN3c108BFloat16EEEZZNS1_9scan_implILNS1_25lookback_scan_determinismE0ELb0ELb0ES3_PKS6_PS6_S6_ZZZN2at6native31launch_logcumsumexp_cuda_kernelERKNSD_10TensorBaseESH_lENKUlvE_clEvENKUlvE4_clEvEUlS6_S6_E_S6_EEDaPvRmT3_T4_T5_mT6_P12ihipStream_tbENKUlT_T0_E_clISt17integral_constantIbLb0EESY_EEDaST_SU_EUlST_E_NS1_11comp_targetILNS1_3genE0ELNS1_11target_archE4294967295ELNS1_3gpuE0ELNS1_3repE0EEENS1_30default_config_static_selectorELNS0_4arch9wavefront6targetE1EEEvT1_,"axG",@progbits,_ZN7rocprim17ROCPRIM_400000_NS6detail17trampoline_kernelINS0_14default_configENS1_20scan_config_selectorIN3c108BFloat16EEEZZNS1_9scan_implILNS1_25lookback_scan_determinismE0ELb0ELb0ES3_PKS6_PS6_S6_ZZZN2at6native31launch_logcumsumexp_cuda_kernelERKNSD_10TensorBaseESH_lENKUlvE_clEvENKUlvE4_clEvEUlS6_S6_E_S6_EEDaPvRmT3_T4_T5_mT6_P12ihipStream_tbENKUlT_T0_E_clISt17integral_constantIbLb0EESY_EEDaST_SU_EUlST_E_NS1_11comp_targetILNS1_3genE0ELNS1_11target_archE4294967295ELNS1_3gpuE0ELNS1_3repE0EEENS1_30default_config_static_selectorELNS0_4arch9wavefront6targetE1EEEvT1_,comdat
.Lfunc_end450:
	.size	_ZN7rocprim17ROCPRIM_400000_NS6detail17trampoline_kernelINS0_14default_configENS1_20scan_config_selectorIN3c108BFloat16EEEZZNS1_9scan_implILNS1_25lookback_scan_determinismE0ELb0ELb0ES3_PKS6_PS6_S6_ZZZN2at6native31launch_logcumsumexp_cuda_kernelERKNSD_10TensorBaseESH_lENKUlvE_clEvENKUlvE4_clEvEUlS6_S6_E_S6_EEDaPvRmT3_T4_T5_mT6_P12ihipStream_tbENKUlT_T0_E_clISt17integral_constantIbLb0EESY_EEDaST_SU_EUlST_E_NS1_11comp_targetILNS1_3genE0ELNS1_11target_archE4294967295ELNS1_3gpuE0ELNS1_3repE0EEENS1_30default_config_static_selectorELNS0_4arch9wavefront6targetE1EEEvT1_, .Lfunc_end450-_ZN7rocprim17ROCPRIM_400000_NS6detail17trampoline_kernelINS0_14default_configENS1_20scan_config_selectorIN3c108BFloat16EEEZZNS1_9scan_implILNS1_25lookback_scan_determinismE0ELb0ELb0ES3_PKS6_PS6_S6_ZZZN2at6native31launch_logcumsumexp_cuda_kernelERKNSD_10TensorBaseESH_lENKUlvE_clEvENKUlvE4_clEvEUlS6_S6_E_S6_EEDaPvRmT3_T4_T5_mT6_P12ihipStream_tbENKUlT_T0_E_clISt17integral_constantIbLb0EESY_EEDaST_SU_EUlST_E_NS1_11comp_targetILNS1_3genE0ELNS1_11target_archE4294967295ELNS1_3gpuE0ELNS1_3repE0EEENS1_30default_config_static_selectorELNS0_4arch9wavefront6targetE1EEEvT1_
                                        ; -- End function
	.section	.AMDGPU.csdata,"",@progbits
; Kernel info:
; codeLenInByte = 0
; NumSgprs: 6
; NumVgprs: 0
; NumAgprs: 0
; TotalNumVgprs: 0
; ScratchSize: 0
; MemoryBound: 0
; FloatMode: 240
; IeeeMode: 1
; LDSByteSize: 0 bytes/workgroup (compile time only)
; SGPRBlocks: 0
; VGPRBlocks: 0
; NumSGPRsForWavesPerEU: 6
; NumVGPRsForWavesPerEU: 1
; AccumOffset: 4
; Occupancy: 8
; WaveLimiterHint : 0
; COMPUTE_PGM_RSRC2:SCRATCH_EN: 0
; COMPUTE_PGM_RSRC2:USER_SGPR: 2
; COMPUTE_PGM_RSRC2:TRAP_HANDLER: 0
; COMPUTE_PGM_RSRC2:TGID_X_EN: 1
; COMPUTE_PGM_RSRC2:TGID_Y_EN: 0
; COMPUTE_PGM_RSRC2:TGID_Z_EN: 0
; COMPUTE_PGM_RSRC2:TIDIG_COMP_CNT: 0
; COMPUTE_PGM_RSRC3_GFX90A:ACCUM_OFFSET: 0
; COMPUTE_PGM_RSRC3_GFX90A:TG_SPLIT: 0
	.text
	.p2align	2                               ; -- Begin function _ZZZN7rocprim17ROCPRIM_400000_NS6detail9scan_implILNS1_25lookback_scan_determinismE0ELb0ELb0ENS0_14default_configEPKN3c108BFloat16EPS6_S6_ZZZN2at6native31launch_logcumsumexp_cuda_kernelERKNSA_10TensorBaseESE_lENKUlvE_clEvENKUlvE4_clEvEUlS6_S6_E_S6_EEDaPvRmT3_T4_T5_mT6_P12ihipStream_tbENKUlT_T0_E_clISt17integral_constantIbLb0EESV_EEDaSQ_SR_ENKUlSQ_E_clINS1_13target_configIS4_NS1_20scan_config_selectorIS6_EENS1_11comp_targetILNS1_3genE5ELNS1_11target_archE942ELNS1_3gpuE9ELNS1_3repE0EEELNS0_4arch9wavefront6targetE1EEEEEDaSQ_
	.type	_ZZZN7rocprim17ROCPRIM_400000_NS6detail9scan_implILNS1_25lookback_scan_determinismE0ELb0ELb0ENS0_14default_configEPKN3c108BFloat16EPS6_S6_ZZZN2at6native31launch_logcumsumexp_cuda_kernelERKNSA_10TensorBaseESE_lENKUlvE_clEvENKUlvE4_clEvEUlS6_S6_E_S6_EEDaPvRmT3_T4_T5_mT6_P12ihipStream_tbENKUlT_T0_E_clISt17integral_constantIbLb0EESV_EEDaSQ_SR_ENKUlSQ_E_clINS1_13target_configIS4_NS1_20scan_config_selectorIS6_EENS1_11comp_targetILNS1_3genE5ELNS1_11target_archE942ELNS1_3gpuE9ELNS1_3repE0EEELNS0_4arch9wavefront6targetE1EEEEEDaSQ_,@function
_ZZZN7rocprim17ROCPRIM_400000_NS6detail9scan_implILNS1_25lookback_scan_determinismE0ELb0ELb0ENS0_14default_configEPKN3c108BFloat16EPS6_S6_ZZZN2at6native31launch_logcumsumexp_cuda_kernelERKNSA_10TensorBaseESE_lENKUlvE_clEvENKUlvE4_clEvEUlS6_S6_E_S6_EEDaPvRmT3_T4_T5_mT6_P12ihipStream_tbENKUlT_T0_E_clISt17integral_constantIbLb0EESV_EEDaSQ_SR_ENKUlSQ_E_clINS1_13target_configIS4_NS1_20scan_config_selectorIS6_EENS1_11comp_targetILNS1_3genE5ELNS1_11target_archE942ELNS1_3gpuE9ELNS1_3repE0EEELNS0_4arch9wavefront6targetE1EEEEEDaSQ_: ; @_ZZZN7rocprim17ROCPRIM_400000_NS6detail9scan_implILNS1_25lookback_scan_determinismE0ELb0ELb0ENS0_14default_configEPKN3c108BFloat16EPS6_S6_ZZZN2at6native31launch_logcumsumexp_cuda_kernelERKNSA_10TensorBaseESE_lENKUlvE_clEvENKUlvE4_clEvEUlS6_S6_E_S6_EEDaPvRmT3_T4_T5_mT6_P12ihipStream_tbENKUlT_T0_E_clISt17integral_constantIbLb0EESV_EEDaSQ_SR_ENKUlSQ_E_clINS1_13target_configIS4_NS1_20scan_config_selectorIS6_EENS1_11comp_targetILNS1_3genE5ELNS1_11target_archE942ELNS1_3gpuE9ELNS1_3repE0EEELNS0_4arch9wavefront6targetE1EEEEEDaSQ_
; %bb.0:
	s_waitcnt vmcnt(0) expcnt(0) lgkmcnt(0)
	s_or_saveexec_b64 s[0:1], -1
	scratch_store_dword off, v40, s32       ; 4-byte Folded Spill
	s_mov_b64 exec, s[0:1]
	v_writelane_b32 v40, s30, 0
	s_nop 1
	v_writelane_b32 v40, s31, 1
	flat_load_dwordx4 v[10:13], v[0:1]
	flat_load_dwordx3 v[28:30], v[0:1] offset:40
	flat_load_dwordx4 v[14:17], v[0:1] offset:16
	flat_load_dwordx4 v[2:5], v[0:1] offset:56
	;; [unrolled: 1-line block ×3, first 2 shown]
	s_movk_i32 s0, 0x1800
	s_mov_b32 s59, 0
	v_and_b32_e32 v0, 0x3ff, v31
	s_mul_i32 s58, s12, 0x1800
	s_waitcnt vmcnt(0) lgkmcnt(0)
	v_lshl_add_u64 v[10:11], v[12:13], 1, v[10:11]
	v_add_u32_e32 v1, -1, v30
	v_mul_lo_u32 v20, v1, s0
	v_sub_co_u32_e32 v30, vcc, v16, v20
	v_cmp_ne_u32_e64 s[0:1], s12, v1
	v_lshl_add_u64 v[18:19], s[58:59], 1, v[10:11]
	v_subbrev_co_u32_e32 v31, vcc, 0, v17, vcc
	v_lshlrev_b32_e32 v10, 1, v0
	s_and_saveexec_b64 s[2:3], s[0:1]
	s_xor_b64 s[2:3], exec, s[2:3]
	s_cbranch_execz .LBB451_2
; %bb.1:
	v_mov_b32_e32 v11, 0
	v_lshl_add_u64 v[16:17], v[18:19], 0, v[10:11]
	v_add_co_u32_e32 v18, vcc, 0x1000, v16
	flat_load_ushort v1, v[16:17]
	flat_load_ushort v11, v[16:17] offset:512
	flat_load_ushort v20, v[16:17] offset:1024
	;; [unrolled: 1-line block ×7, first 2 shown]
	v_addc_co_u32_e32 v19, vcc, 0, v17, vcc
	v_add_co_u32_e32 v16, vcc, 0x2000, v16
	flat_load_ushort v26, v[18:19]
	flat_load_ushort v27, v[18:19] offset:512
	flat_load_ushort v32, v[18:19] offset:1024
	;; [unrolled: 1-line block ×7, first 2 shown]
	v_addc_co_u32_e32 v17, vcc, 0, v17, vcc
	flat_load_ushort v18, v[16:17]
	flat_load_ushort v19, v[16:17] offset:512
	flat_load_ushort v38, v[16:17] offset:1024
	;; [unrolled: 1-line block ×7, first 2 shown]
	s_waitcnt vmcnt(0) lgkmcnt(0)
	ds_write_b16 v10, v1
	ds_write_b16 v10, v11 offset:512
	ds_write_b16 v10, v20 offset:1024
	;; [unrolled: 1-line block ×23, first 2 shown]
	s_waitcnt lgkmcnt(0)
	s_barrier
                                        ; implicit-def: $vgpr18_vgpr19
.LBB451_2:
	s_andn2_saveexec_b64 s[2:3], s[2:3]
	s_cbranch_execz .LBB451_52
; %bb.3:
	flat_load_ushort v1, v[18:19]
	v_cmp_lt_u32_e32 vcc, v0, v30
	s_waitcnt vmcnt(0) lgkmcnt(0)
	v_mov_b32_e32 v16, v1
	s_and_saveexec_b64 s[4:5], vcc
	s_cbranch_execz .LBB451_5
; %bb.4:
	v_mov_b32_e32 v11, 0
	v_lshl_add_u64 v[16:17], v[18:19], 0, v[10:11]
	flat_load_ushort v16, v[16:17]
.LBB451_5:
	s_or_b64 exec, exec, s[4:5]
	v_add_u32_e32 v11, 0x100, v0
	v_cmp_lt_u32_e32 vcc, v11, v30
	v_mov_b32_e32 v17, v1
	s_and_saveexec_b64 s[4:5], vcc
	s_cbranch_execz .LBB451_7
; %bb.6:
	v_mov_b32_e32 v11, 0
	v_lshl_add_u64 v[20:21], v[18:19], 0, v[10:11]
	flat_load_ushort v17, v[20:21] offset:512
.LBB451_7:
	s_or_b64 exec, exec, s[4:5]
	v_add_u32_e32 v11, 0x200, v0
	v_cmp_lt_u32_e32 vcc, v11, v30
	v_mov_b32_e32 v20, v1
	s_and_saveexec_b64 s[4:5], vcc
	s_cbranch_execz .LBB451_9
; %bb.8:
	v_mov_b32_e32 v11, 0
	v_lshl_add_u64 v[20:21], v[18:19], 0, v[10:11]
	flat_load_ushort v20, v[20:21] offset:1024
.LBB451_9:
	;; [unrolled: 11-line block ×3, first 2 shown]
	s_or_b64 exec, exec, s[4:5]
	v_or_b32_e32 v11, 0x400, v0
	v_cmp_lt_u32_e32 vcc, v11, v30
	v_mov_b32_e32 v22, v1
	s_and_saveexec_b64 s[4:5], vcc
	s_cbranch_execz .LBB451_13
; %bb.12:
	v_mov_b32_e32 v11, 0
	v_lshl_add_u64 v[22:23], v[18:19], 0, v[10:11]
	flat_load_ushort v22, v[22:23] offset:2048
.LBB451_13:
	s_or_b64 exec, exec, s[4:5]
	v_add_u32_e32 v11, 0x500, v0
	v_cmp_lt_u32_e32 vcc, v11, v30
	v_mov_b32_e32 v23, v1
	s_and_saveexec_b64 s[4:5], vcc
	s_cbranch_execz .LBB451_15
; %bb.14:
	v_mov_b32_e32 v11, 0
	v_lshl_add_u64 v[24:25], v[18:19], 0, v[10:11]
	flat_load_ushort v23, v[24:25] offset:2560
.LBB451_15:
	s_or_b64 exec, exec, s[4:5]
	v_add_u32_e32 v11, 0x600, v0
	;; [unrolled: 11-line block ×3, first 2 shown]
	v_cmp_lt_u32_e32 vcc, v11, v30
	v_mov_b32_e32 v11, v1
	s_and_saveexec_b64 s[4:5], vcc
	s_cbranch_execz .LBB451_19
; %bb.18:
	v_mov_b32_e32 v11, 0
	v_lshl_add_u64 v[26:27], v[18:19], 0, v[10:11]
	flat_load_ushort v11, v[26:27] offset:3584
.LBB451_19:
	s_or_b64 exec, exec, s[4:5]
	v_or_b32_e32 v26, 0x800, v0
	v_cmp_lt_u32_e32 vcc, v26, v30
	v_mov_b32_e32 v25, v1
	s_and_saveexec_b64 s[4:5], vcc
	s_cbranch_execz .LBB451_21
; %bb.20:
	v_lshlrev_b32_e32 v26, 1, v26
	v_mov_b32_e32 v27, 0
	v_lshl_add_u64 v[26:27], v[18:19], 0, v[26:27]
	flat_load_ushort v25, v[26:27]
.LBB451_21:
	s_or_b64 exec, exec, s[4:5]
	v_add_u32_e32 v27, 0x900, v0
	v_cmp_lt_u32_e32 vcc, v27, v30
	v_mov_b32_e32 v26, v1
	s_and_saveexec_b64 s[4:5], vcc
	s_cbranch_execz .LBB451_23
; %bb.22:
	v_lshlrev_b32_e32 v26, 1, v27
	v_mov_b32_e32 v27, 0
	v_lshl_add_u64 v[26:27], v[18:19], 0, v[26:27]
	flat_load_ushort v26, v[26:27]
.LBB451_23:
	s_or_b64 exec, exec, s[4:5]
	v_add_u32_e32 v32, 0xa00, v0
	v_cmp_lt_u32_e32 vcc, v32, v30
	v_mov_b32_e32 v27, v1
	s_and_saveexec_b64 s[4:5], vcc
	s_cbranch_execz .LBB451_25
; %bb.24:
	v_lshlrev_b32_e32 v32, 1, v32
	v_mov_b32_e32 v33, 0
	v_lshl_add_u64 v[32:33], v[18:19], 0, v[32:33]
	flat_load_ushort v27, v[32:33]
.LBB451_25:
	s_or_b64 exec, exec, s[4:5]
	v_add_u32_e32 v33, 0xb00, v0
	v_cmp_lt_u32_e32 vcc, v33, v30
	v_mov_b32_e32 v32, v1
	s_and_saveexec_b64 s[4:5], vcc
	s_cbranch_execz .LBB451_27
; %bb.26:
	v_lshlrev_b32_e32 v32, 1, v33
	v_mov_b32_e32 v33, 0
	v_lshl_add_u64 v[32:33], v[18:19], 0, v[32:33]
	flat_load_ushort v32, v[32:33]
.LBB451_27:
	s_or_b64 exec, exec, s[4:5]
	v_or_b32_e32 v34, 0xc00, v0
	v_cmp_lt_u32_e32 vcc, v34, v30
	v_mov_b32_e32 v33, v1
	s_and_saveexec_b64 s[4:5], vcc
	s_cbranch_execz .LBB451_29
; %bb.28:
	v_lshlrev_b32_e32 v34, 1, v34
	v_mov_b32_e32 v35, 0
	v_lshl_add_u64 v[34:35], v[18:19], 0, v[34:35]
	flat_load_ushort v33, v[34:35]
.LBB451_29:
	s_or_b64 exec, exec, s[4:5]
	v_add_u32_e32 v35, 0xd00, v0
	v_cmp_lt_u32_e32 vcc, v35, v30
	v_mov_b32_e32 v34, v1
	s_and_saveexec_b64 s[4:5], vcc
	s_cbranch_execz .LBB451_31
; %bb.30:
	v_lshlrev_b32_e32 v34, 1, v35
	v_mov_b32_e32 v35, 0
	v_lshl_add_u64 v[34:35], v[18:19], 0, v[34:35]
	flat_load_ushort v34, v[34:35]
.LBB451_31:
	s_or_b64 exec, exec, s[4:5]
	v_add_u32_e32 v36, 0xe00, v0
	v_cmp_lt_u32_e32 vcc, v36, v30
	v_mov_b32_e32 v35, v1
	s_and_saveexec_b64 s[4:5], vcc
	s_cbranch_execz .LBB451_33
; %bb.32:
	v_lshlrev_b32_e32 v36, 1, v36
	v_mov_b32_e32 v37, 0
	v_lshl_add_u64 v[36:37], v[18:19], 0, v[36:37]
	flat_load_ushort v35, v[36:37]
.LBB451_33:
	s_or_b64 exec, exec, s[4:5]
	v_add_u32_e32 v37, 0xf00, v0
	v_cmp_lt_u32_e32 vcc, v37, v30
	v_mov_b32_e32 v36, v1
	s_and_saveexec_b64 s[4:5], vcc
	s_cbranch_execz .LBB451_35
; %bb.34:
	v_lshlrev_b32_e32 v36, 1, v37
	v_mov_b32_e32 v37, 0
	v_lshl_add_u64 v[36:37], v[18:19], 0, v[36:37]
	flat_load_ushort v36, v[36:37]
.LBB451_35:
	;; [unrolled: 48-line block ×3, first 2 shown]
	s_or_b64 exec, exec, s[4:5]
	v_or_b32_e32 v50, 0x1400, v0
	v_cmp_lt_u32_e32 vcc, v50, v30
	v_mov_b32_e32 v49, v1
	s_and_saveexec_b64 s[4:5], vcc
	s_cbranch_execz .LBB451_45
; %bb.44:
	v_lshlrev_b32_e32 v50, 1, v50
	v_mov_b32_e32 v51, 0
	v_lshl_add_u64 v[50:51], v[18:19], 0, v[50:51]
	flat_load_ushort v49, v[50:51]
.LBB451_45:
	s_or_b64 exec, exec, s[4:5]
	v_add_u32_e32 v51, 0x1500, v0
	v_cmp_lt_u32_e32 vcc, v51, v30
	v_mov_b32_e32 v50, v1
	s_and_saveexec_b64 s[4:5], vcc
	s_cbranch_execz .LBB451_47
; %bb.46:
	v_lshlrev_b32_e32 v50, 1, v51
	v_mov_b32_e32 v51, 0
	v_lshl_add_u64 v[50:51], v[18:19], 0, v[50:51]
	flat_load_ushort v50, v[50:51]
.LBB451_47:
	s_or_b64 exec, exec, s[4:5]
	v_add_u32_e32 v52, 0x1600, v0
	;; [unrolled: 12-line block ×3, first 2 shown]
	v_cmp_lt_u32_e32 vcc, v52, v30
	s_and_saveexec_b64 s[4:5], vcc
	s_cbranch_execz .LBB451_51
; %bb.50:
	v_lshlrev_b32_e32 v52, 1, v52
	v_mov_b32_e32 v53, 0
	v_lshl_add_u64 v[18:19], v[18:19], 0, v[52:53]
	flat_load_ushort v1, v[18:19]
.LBB451_51:
	s_or_b64 exec, exec, s[4:5]
	s_waitcnt vmcnt(0) lgkmcnt(0)
	ds_write_b16 v10, v16
	ds_write_b16 v10, v17 offset:512
	ds_write_b16 v10, v20 offset:1024
	;; [unrolled: 1-line block ×23, first 2 shown]
	s_waitcnt lgkmcnt(0)
	s_barrier
.LBB451_52:
	s_or_b64 exec, exec, s[2:3]
	v_mul_u32_u24_e32 v48, 24, v0
	v_lshlrev_b32_e32 v1, 1, v48
	ds_read_b128 v[24:27], v1
	ds_read_b128 v[20:23], v1 offset:16
	ds_read_b128 v[16:19], v1 offset:32
	s_cmp_lg_u32 s12, 0
	s_waitcnt lgkmcnt(0)
	s_barrier
	s_cbranch_scc0 .LBB451_263
; %bb.53:
	v_mov_b32_e32 v32, 16
	v_lshlrev_b32_e32 v11, 16, v24
	v_lshlrev_b32_sdwa v49, v32, v24 dst_sel:DWORD dst_unused:UNUSED_PAD src0_sel:DWORD src1_sel:WORD_1
	v_max_f32_e32 v50, v49, v49
	v_max_f32_e32 v135, v11, v11
	v_min_f32_e32 v33, v135, v50
	v_cmp_u_f32_e64 s[50:51], v11, v11
	v_cmp_u_f32_e64 s[2:3], v49, v49
	s_movk_i32 s6, 0x1f8
	v_cndmask_b32_e64 v33, v33, v11, s[50:51]
	v_cndmask_b32_e64 v35, v33, v49, s[2:3]
	v_max_f32_e32 v33, v135, v50
	v_cndmask_b32_e64 v33, v33, v11, s[50:51]
	v_cndmask_b32_e64 v33, v33, v49, s[2:3]
	v_cmp_neq_f32_e32 vcc, v35, v33
	v_cmp_class_f32_e64 s[4:5], v35, s6
	s_or_b64 s[8:9], vcc, s[4:5]
	v_mov_b32_e32 v34, v11
	s_and_saveexec_b64 s[4:5], s[8:9]
	s_cbranch_execz .LBB451_55
; %bb.54:
	v_sub_f32_e32 v34, v35, v33
	s_mov_b32 s7, 0x3fb8aa3b
	v_mul_f32_e32 v35, 0x3fb8aa3b, v34
	v_fma_f32 v36, v34, s7, -v35
	v_rndne_f32_e32 v37, v35
	v_fmamk_f32 v36, v34, 0x32a5705f, v36
	v_sub_f32_e32 v35, v35, v37
	v_add_f32_e32 v35, v35, v36
	v_exp_f32_e32 v35, v35
	v_cvt_i32_f32_e32 v36, v37
	s_mov_b32 s7, 0xc2ce8ed0
	v_cmp_ngt_f32_e32 vcc, s7, v34
	s_mov_b32 s7, 0x42b17218
	v_ldexp_f32 v35, v35, v36
	v_cndmask_b32_e32 v35, 0, v35, vcc
	v_mov_b32_e32 v36, 0x7f800000
	v_cmp_nlt_f32_e32 vcc, s7, v34
	s_mov_b32 s7, 0x3f2aaaab
	s_mov_b32 s8, 0x7f800000
	v_cndmask_b32_e32 v51, v36, v35, vcc
	v_add_f32_e32 v36, 1.0, v51
	v_add_f32_e32 v34, -1.0, v36
	v_sub_f32_e32 v35, v34, v36
	v_add_f32_e32 v35, 1.0, v35
	v_sub_f32_e32 v34, v51, v34
	v_add_f32_e32 v37, v34, v35
	v_frexp_mant_f32_e32 v38, v36
	v_cvt_f64_f32_e32 v[34:35], v36
	v_frexp_exp_i32_f64_e32 v34, v[34:35]
	v_cmp_gt_f32_e32 vcc, s7, v38
	s_mov_b32 s7, 0x3f317218
	s_nop 0
	v_subbrev_co_u32_e32 v54, vcc, 0, v34, vcc
	v_sub_u32_e32 v34, 0, v54
	v_ldexp_f32 v35, v36, v34
	v_add_f32_e32 v36, -1.0, v35
	v_add_f32_e32 v38, 1.0, v35
	v_ldexp_f32 v34, v37, v34
	v_add_f32_e32 v37, 1.0, v36
	v_add_f32_e32 v39, -1.0, v38
	v_sub_f32_e32 v37, v35, v37
	v_sub_f32_e32 v35, v35, v39
	v_add_f32_e32 v37, v34, v37
	v_add_f32_e32 v34, v34, v35
	;; [unrolled: 1-line block ×3, first 2 shown]
	v_rcp_f32_e32 v65, v55
	v_sub_f32_e32 v35, v38, v55
	v_add_f32_e32 v64, v34, v35
	v_add_f32_e32 v35, v36, v37
	v_mul_f32_e32 v67, v35, v65
	v_sub_f32_e32 v34, v36, v35
	v_mul_f32_e32 v36, v55, v67
	v_fma_f32 v38, v67, v55, -v36
	v_fmac_f32_e32 v38, v67, v64
	v_add_f32_e32 v66, v37, v34
	v_add_f32_e32 v34, v36, v38
	v_sub_f32_e32 v37, v35, v34
	v_pk_add_f32 v[52:53], v[34:35], v[36:37] neg_lo:[0,1] neg_hi:[0,1]
	v_mov_b32_e32 v39, v34
	v_pk_add_f32 v[34:35], v[52:53], v[38:39] neg_lo:[0,1] neg_hi:[0,1]
	v_cmp_eq_f32_e32 vcc, s8, v51
	v_add_f32_e32 v35, v66, v35
	v_add_f32_e32 v34, v34, v35
	;; [unrolled: 1-line block ×3, first 2 shown]
	v_mul_f32_e32 v66, v65, v35
	v_mul_f32_e32 v36, v55, v66
	v_fma_f32 v38, v66, v55, -v36
	v_fmac_f32_e32 v38, v66, v64
	v_sub_f32_e32 v37, v37, v35
	v_add_f32_e32 v55, v34, v37
	v_add_f32_e32 v34, v36, v38
	v_sub_f32_e32 v37, v35, v34
	v_pk_add_f32 v[52:53], v[34:35], v[36:37] neg_lo:[0,1] neg_hi:[0,1]
	v_mov_b32_e32 v39, v34
	v_pk_add_f32 v[34:35], v[52:53], v[38:39] neg_lo:[0,1] neg_hi:[0,1]
	v_cvt_f32_i32_e32 v36, v54
	v_add_f32_e32 v35, v55, v35
	v_add_f32_e32 v34, v34, v35
	;; [unrolled: 1-line block ×4, first 2 shown]
	v_sub_f32_e32 v35, v37, v67
	v_mul_f32_e32 v34, v65, v34
	v_sub_f32_e32 v35, v66, v35
	v_add_f32_e32 v34, v35, v34
	v_add_f32_e32 v38, v37, v34
	v_mul_f32_e32 v52, v38, v38
	v_mov_b32_e32 v35, 0x3ecc95a3
	v_sub_f32_e32 v37, v38, v37
	v_fmac_f32_e32 v35, 0x3e9b6dac, v52
	v_sub_f32_e32 v34, v34, v37
	v_fmaak_f32 v35, v52, v35, 0x3f2aaada
	v_ldexp_f32 v53, v34, 1
	v_mul_f32_e32 v37, v38, v52
	v_mov_b32_e32 v34, 0x3f317218
	v_pk_mul_f32 v[34:35], v[36:37], v[34:35]
	v_ldexp_f32 v39, v38, 1
	v_fma_f32 v37, v36, s7, -v34
	v_fmamk_f32 v38, v36, 0xb102e308, v37
	v_pk_add_f32 v[36:37], v[34:35], v[38:39]
	v_mov_b32_e32 v52, v34
	v_sub_f32_e32 v39, v37, v39
	v_sub_f32_e32 v39, v35, v39
	v_add_f32_e32 v53, v53, v39
	v_pk_add_f32 v[34:35], v[36:37], v[34:35] neg_lo:[0,1] neg_hi:[0,1]
	v_pk_add_f32 v[54:55], v[36:37], v[52:53]
	v_mov_b32_e32 v39, v36
	v_mov_b32_e32 v35, v55
	v_pk_add_f32 v[64:65], v[38:39], v[34:35] neg_lo:[0,1] neg_hi:[0,1]
	v_pk_add_f32 v[34:35], v[38:39], v[34:35]
	v_mov_b32_e32 v52, v53
	v_mov_b32_e32 v38, v35
	v_pk_add_f32 v[66:67], v[38:39], v[36:37] neg_lo:[0,1] neg_hi:[0,1]
	v_mov_b32_e32 v34, v55
	v_mov_b32_e32 v39, v66
	v_pk_add_f32 v[68:69], v[54:55], v[38:39] neg_lo:[0,1] neg_hi:[0,1]
	v_mov_b32_e32 v54, v37
	v_mov_b32_e32 v55, v66
	;; [unrolled: 1-line block ×3, first 2 shown]
	v_pk_add_f32 v[34:35], v[34:35], v[54:55] neg_lo:[0,1] neg_hi:[0,1]
	v_mov_b32_e32 v53, v36
	v_pk_add_f32 v[34:35], v[52:53], v[34:35] neg_lo:[0,1] neg_hi:[0,1]
	v_mov_b32_e32 v68, v64
	v_pk_add_f32 v[36:37], v[68:69], v[34:35]
	s_mov_b32 s7, 0x33800000
	v_mov_b32_e32 v52, v37
	v_pk_add_f32 v[52:53], v[36:37], v[52:53]
	v_cmp_lt_f32_e64 s[8:9], |v51|, s7
	v_pk_add_f32 v[38:39], v[38:39], v[52:53]
	v_mov_b32_e32 v35, v52
	v_mov_b32_e32 v37, v38
	v_pk_add_f32 v[54:55], v[36:37], v[64:65] neg_lo:[0,1] neg_hi:[0,1]
	s_or_b64 vcc, vcc, s[8:9]
	v_sub_f32_e32 v36, v36, v54
	v_pk_add_f32 v[34:35], v[34:35], v[54:55] neg_lo:[0,1] neg_hi:[0,1]
	v_sub_f32_e32 v36, v64, v36
	v_add_f32_e32 v34, v34, v36
	v_add_f32_e32 v34, v34, v35
	;; [unrolled: 1-line block ×3, first 2 shown]
	v_cndmask_b32_e32 v34, v34, v51, vcc
	v_add_f32_e32 v34, v33, v34
.LBB451_55:
	s_or_b64 exec, exec, s[4:5]
	v_bfe_u32 v33, v34, 16, 1
	s_movk_i32 s8, 0x7fff
	v_add3_u32 v33, v34, v33, s8
	v_and_b32_e32 v35, 0xffff0000, v33
	v_mov_b32_e32 v33, 0x7fc00000
	v_cmp_o_f32_e32 vcc, v34, v34
	v_lshlrev_b32_sdwa v51, v32, v25 dst_sel:DWORD dst_unused:UNUSED_PAD src0_sel:DWORD src1_sel:WORD_0
	v_max_f32_e32 v55, v51, v51
	v_cndmask_b32_e32 v34, v33, v35, vcc
	v_max_f32_e32 v32, v34, v34
	v_min_f32_e32 v35, v32, v55
	v_cmp_u_f32_e32 vcc, v34, v34
	v_max_f32_e32 v32, v32, v55
	v_cmp_u_f32_e64 s[4:5], v51, v51
	v_cndmask_b32_e32 v35, v35, v34, vcc
	v_cndmask_b32_e32 v32, v32, v34, vcc
	v_cndmask_b32_e64 v35, v35, v51, s[4:5]
	v_cndmask_b32_e64 v32, v32, v51, s[4:5]
	v_cmp_neq_f32_e32 vcc, v35, v32
	v_cmp_class_f32_e64 s[6:7], v35, s6
	s_or_b64 s[10:11], vcc, s[6:7]
	s_and_saveexec_b64 s[6:7], s[10:11]
	s_cbranch_execz .LBB451_57
; %bb.56:
	v_sub_f32_e32 v34, v35, v32
	s_mov_b32 s9, 0x3fb8aa3b
	v_mul_f32_e32 v35, 0x3fb8aa3b, v34
	v_fma_f32 v36, v34, s9, -v35
	v_rndne_f32_e32 v37, v35
	v_fmamk_f32 v36, v34, 0x32a5705f, v36
	v_sub_f32_e32 v35, v35, v37
	v_add_f32_e32 v35, v35, v36
	v_exp_f32_e32 v35, v35
	v_cvt_i32_f32_e32 v36, v37
	s_mov_b32 s9, 0xc2ce8ed0
	v_cmp_ngt_f32_e32 vcc, s9, v34
	s_mov_b32 s9, 0x42b17218
	v_ldexp_f32 v35, v35, v36
	v_cndmask_b32_e32 v35, 0, v35, vcc
	v_mov_b32_e32 v36, 0x7f800000
	v_cmp_nlt_f32_e32 vcc, s9, v34
	s_mov_b32 s9, 0x3f2aaaab
	s_mov_b32 s10, 0x7f800000
	v_cndmask_b32_e32 v54, v36, v35, vcc
	v_add_f32_e32 v36, 1.0, v54
	v_add_f32_e32 v34, -1.0, v36
	v_sub_f32_e32 v35, v34, v36
	v_add_f32_e32 v35, 1.0, v35
	v_sub_f32_e32 v34, v54, v34
	v_add_f32_e32 v37, v34, v35
	v_frexp_mant_f32_e32 v38, v36
	v_cvt_f64_f32_e32 v[34:35], v36
	v_frexp_exp_i32_f64_e32 v34, v[34:35]
	v_cmp_gt_f32_e32 vcc, s9, v38
	s_mov_b32 s9, 0x3f317218
	s_nop 0
	v_subbrev_co_u32_e32 v64, vcc, 0, v34, vcc
	v_sub_u32_e32 v34, 0, v64
	v_ldexp_f32 v35, v36, v34
	v_add_f32_e32 v36, -1.0, v35
	v_add_f32_e32 v38, 1.0, v35
	v_ldexp_f32 v34, v37, v34
	v_add_f32_e32 v37, 1.0, v36
	v_add_f32_e32 v39, -1.0, v38
	v_sub_f32_e32 v37, v35, v37
	v_sub_f32_e32 v35, v35, v39
	v_add_f32_e32 v37, v34, v37
	v_add_f32_e32 v34, v34, v35
	;; [unrolled: 1-line block ×3, first 2 shown]
	v_rcp_f32_e32 v67, v65
	v_sub_f32_e32 v35, v38, v65
	v_add_f32_e32 v66, v34, v35
	v_add_f32_e32 v35, v36, v37
	v_mul_f32_e32 v69, v35, v67
	v_sub_f32_e32 v34, v36, v35
	v_mul_f32_e32 v36, v65, v69
	v_fma_f32 v38, v69, v65, -v36
	v_fmac_f32_e32 v38, v69, v66
	v_add_f32_e32 v68, v37, v34
	v_add_f32_e32 v34, v36, v38
	v_sub_f32_e32 v37, v35, v34
	v_pk_add_f32 v[52:53], v[34:35], v[36:37] neg_lo:[0,1] neg_hi:[0,1]
	v_mov_b32_e32 v39, v34
	v_pk_add_f32 v[34:35], v[52:53], v[38:39] neg_lo:[0,1] neg_hi:[0,1]
	v_cmp_eq_f32_e32 vcc, s10, v54
	v_add_f32_e32 v35, v68, v35
	v_add_f32_e32 v34, v34, v35
	v_add_f32_e32 v35, v37, v34
	v_mul_f32_e32 v68, v67, v35
	v_mul_f32_e32 v36, v65, v68
	v_fma_f32 v38, v68, v65, -v36
	v_fmac_f32_e32 v38, v68, v66
	v_sub_f32_e32 v37, v37, v35
	v_add_f32_e32 v65, v34, v37
	v_add_f32_e32 v34, v36, v38
	v_sub_f32_e32 v37, v35, v34
	v_pk_add_f32 v[52:53], v[34:35], v[36:37] neg_lo:[0,1] neg_hi:[0,1]
	v_mov_b32_e32 v39, v34
	v_pk_add_f32 v[34:35], v[52:53], v[38:39] neg_lo:[0,1] neg_hi:[0,1]
	v_cvt_f32_i32_e32 v36, v64
	v_add_f32_e32 v35, v65, v35
	v_add_f32_e32 v34, v34, v35
	;; [unrolled: 1-line block ×4, first 2 shown]
	v_sub_f32_e32 v35, v37, v69
	v_mul_f32_e32 v34, v67, v34
	v_sub_f32_e32 v35, v68, v35
	v_add_f32_e32 v34, v35, v34
	v_add_f32_e32 v38, v37, v34
	v_mul_f32_e32 v52, v38, v38
	v_mov_b32_e32 v35, 0x3ecc95a3
	v_sub_f32_e32 v37, v38, v37
	v_fmac_f32_e32 v35, 0x3e9b6dac, v52
	v_sub_f32_e32 v34, v34, v37
	v_fmaak_f32 v35, v52, v35, 0x3f2aaada
	v_ldexp_f32 v53, v34, 1
	v_mul_f32_e32 v37, v38, v52
	v_mov_b32_e32 v34, 0x3f317218
	v_pk_mul_f32 v[34:35], v[36:37], v[34:35]
	v_ldexp_f32 v39, v38, 1
	v_fma_f32 v37, v36, s9, -v34
	v_fmamk_f32 v38, v36, 0xb102e308, v37
	v_pk_add_f32 v[36:37], v[34:35], v[38:39]
	v_mov_b32_e32 v52, v34
	v_sub_f32_e32 v39, v37, v39
	v_sub_f32_e32 v39, v35, v39
	v_add_f32_e32 v53, v53, v39
	v_pk_add_f32 v[34:35], v[36:37], v[34:35] neg_lo:[0,1] neg_hi:[0,1]
	v_pk_add_f32 v[64:65], v[36:37], v[52:53]
	v_mov_b32_e32 v39, v36
	v_mov_b32_e32 v35, v65
	v_pk_add_f32 v[66:67], v[38:39], v[34:35] neg_lo:[0,1] neg_hi:[0,1]
	v_pk_add_f32 v[34:35], v[38:39], v[34:35]
	v_mov_b32_e32 v52, v53
	v_mov_b32_e32 v38, v35
	v_pk_add_f32 v[68:69], v[38:39], v[36:37] neg_lo:[0,1] neg_hi:[0,1]
	v_mov_b32_e32 v34, v65
	v_mov_b32_e32 v39, v68
	v_pk_add_f32 v[70:71], v[64:65], v[38:39] neg_lo:[0,1] neg_hi:[0,1]
	v_mov_b32_e32 v64, v37
	v_mov_b32_e32 v65, v68
	;; [unrolled: 1-line block ×3, first 2 shown]
	v_pk_add_f32 v[34:35], v[34:35], v[64:65] neg_lo:[0,1] neg_hi:[0,1]
	v_mov_b32_e32 v53, v36
	v_pk_add_f32 v[34:35], v[52:53], v[34:35] neg_lo:[0,1] neg_hi:[0,1]
	v_mov_b32_e32 v70, v66
	v_pk_add_f32 v[36:37], v[70:71], v[34:35]
	s_mov_b32 s9, 0x33800000
	v_mov_b32_e32 v52, v37
	v_pk_add_f32 v[52:53], v[36:37], v[52:53]
	v_cmp_lt_f32_e64 s[10:11], |v54|, s9
	v_pk_add_f32 v[38:39], v[38:39], v[52:53]
	v_mov_b32_e32 v35, v52
	v_mov_b32_e32 v37, v38
	v_pk_add_f32 v[64:65], v[36:37], v[66:67] neg_lo:[0,1] neg_hi:[0,1]
	s_or_b64 vcc, vcc, s[10:11]
	v_sub_f32_e32 v36, v36, v64
	v_pk_add_f32 v[34:35], v[34:35], v[64:65] neg_lo:[0,1] neg_hi:[0,1]
	v_sub_f32_e32 v36, v66, v36
	v_add_f32_e32 v34, v34, v36
	v_add_f32_e32 v34, v34, v35
	v_add_f32_e32 v34, v38, v34
	v_cndmask_b32_e32 v34, v34, v54, vcc
	v_add_f32_e32 v34, v32, v34
.LBB451_57:
	s_or_b64 exec, exec, s[6:7]
	v_bfe_u32 v32, v34, 16, 1
	v_add3_u32 v32, v34, v32, s8
	v_and_b32_e32 v32, 0xffff0000, v32
	v_cmp_o_f32_e32 vcc, v34, v34
	s_movk_i32 s10, 0x1f8
	s_nop 0
	v_cndmask_b32_e32 v34, v33, v32, vcc
	v_mov_b32_e32 v32, 16
	v_lshlrev_b32_sdwa v52, v32, v25 dst_sel:DWORD dst_unused:UNUSED_PAD src0_sel:DWORD src1_sel:WORD_1
	v_max_f32_e32 v33, v34, v34
	v_max_f32_e32 v64, v52, v52
	v_min_f32_e32 v35, v33, v64
	v_cmp_u_f32_e32 vcc, v34, v34
	v_max_f32_e32 v33, v33, v64
	v_cmp_u_f32_e64 s[6:7], v52, v52
	v_cndmask_b32_e32 v35, v35, v34, vcc
	v_cndmask_b32_e32 v33, v33, v34, vcc
	v_cndmask_b32_e64 v35, v35, v52, s[6:7]
	v_cndmask_b32_e64 v33, v33, v52, s[6:7]
	v_cmp_neq_f32_e32 vcc, v35, v33
	v_cmp_class_f32_e64 s[8:9], v35, s10
	s_or_b64 s[14:15], vcc, s[8:9]
	s_and_saveexec_b64 s[8:9], s[14:15]
	s_cbranch_execz .LBB451_59
; %bb.58:
	v_sub_f32_e32 v34, v35, v33
	s_mov_b32 s11, 0x3fb8aa3b
	v_mul_f32_e32 v35, 0x3fb8aa3b, v34
	v_fma_f32 v36, v34, s11, -v35
	v_rndne_f32_e32 v37, v35
	v_fmamk_f32 v36, v34, 0x32a5705f, v36
	v_sub_f32_e32 v35, v35, v37
	v_add_f32_e32 v35, v35, v36
	v_exp_f32_e32 v35, v35
	v_cvt_i32_f32_e32 v36, v37
	s_mov_b32 s11, 0xc2ce8ed0
	v_cmp_ngt_f32_e32 vcc, s11, v34
	s_mov_b32 s11, 0x42b17218
	v_ldexp_f32 v35, v35, v36
	v_cndmask_b32_e32 v35, 0, v35, vcc
	v_mov_b32_e32 v36, 0x7f800000
	v_cmp_nlt_f32_e32 vcc, s11, v34
	s_mov_b32 s11, 0x3f2aaaab
	s_mov_b32 s13, 0x7f800000
	v_cndmask_b32_e32 v53, v36, v35, vcc
	v_add_f32_e32 v36, 1.0, v53
	v_add_f32_e32 v34, -1.0, v36
	v_sub_f32_e32 v35, v34, v36
	v_add_f32_e32 v35, 1.0, v35
	v_sub_f32_e32 v34, v53, v34
	v_add_f32_e32 v37, v34, v35
	v_frexp_mant_f32_e32 v38, v36
	v_cvt_f64_f32_e32 v[34:35], v36
	v_frexp_exp_i32_f64_e32 v34, v[34:35]
	v_cmp_gt_f32_e32 vcc, s11, v38
	s_mov_b32 s11, 0x3f317218
	s_nop 0
	v_subbrev_co_u32_e32 v54, vcc, 0, v34, vcc
	v_sub_u32_e32 v34, 0, v54
	v_ldexp_f32 v35, v36, v34
	v_add_f32_e32 v36, -1.0, v35
	v_add_f32_e32 v38, 1.0, v35
	v_ldexp_f32 v34, v37, v34
	v_add_f32_e32 v37, 1.0, v36
	v_add_f32_e32 v39, -1.0, v38
	v_sub_f32_e32 v37, v35, v37
	v_sub_f32_e32 v35, v35, v39
	v_add_f32_e32 v37, v34, v37
	v_add_f32_e32 v34, v34, v35
	;; [unrolled: 1-line block ×3, first 2 shown]
	v_rcp_f32_e32 v69, v65
	v_sub_f32_e32 v35, v38, v65
	v_add_f32_e32 v68, v34, v35
	v_add_f32_e32 v35, v36, v37
	v_mul_f32_e32 v71, v35, v69
	v_sub_f32_e32 v34, v36, v35
	v_mul_f32_e32 v36, v65, v71
	v_fma_f32 v38, v71, v65, -v36
	v_fmac_f32_e32 v38, v71, v68
	v_add_f32_e32 v70, v37, v34
	v_add_f32_e32 v34, v36, v38
	v_sub_f32_e32 v37, v35, v34
	v_pk_add_f32 v[66:67], v[34:35], v[36:37] neg_lo:[0,1] neg_hi:[0,1]
	v_mov_b32_e32 v39, v34
	v_pk_add_f32 v[34:35], v[66:67], v[38:39] neg_lo:[0,1] neg_hi:[0,1]
	v_cmp_eq_f32_e32 vcc, s13, v53
	v_add_f32_e32 v35, v70, v35
	v_add_f32_e32 v34, v34, v35
	;; [unrolled: 1-line block ×3, first 2 shown]
	v_mul_f32_e32 v70, v69, v35
	v_mul_f32_e32 v36, v65, v70
	v_fma_f32 v38, v70, v65, -v36
	v_fmac_f32_e32 v38, v70, v68
	v_sub_f32_e32 v37, v37, v35
	v_add_f32_e32 v65, v34, v37
	v_add_f32_e32 v34, v36, v38
	v_sub_f32_e32 v37, v35, v34
	v_pk_add_f32 v[66:67], v[34:35], v[36:37] neg_lo:[0,1] neg_hi:[0,1]
	v_mov_b32_e32 v39, v34
	v_pk_add_f32 v[34:35], v[66:67], v[38:39] neg_lo:[0,1] neg_hi:[0,1]
	v_cvt_f32_i32_e32 v36, v54
	v_add_f32_e32 v35, v65, v35
	v_add_f32_e32 v34, v34, v35
	;; [unrolled: 1-line block ×4, first 2 shown]
	v_sub_f32_e32 v35, v37, v71
	v_mul_f32_e32 v34, v69, v34
	v_sub_f32_e32 v35, v70, v35
	v_add_f32_e32 v34, v35, v34
	v_add_f32_e32 v38, v37, v34
	v_mul_f32_e32 v65, v38, v38
	v_mov_b32_e32 v35, 0x3ecc95a3
	v_sub_f32_e32 v37, v38, v37
	v_fmac_f32_e32 v35, 0x3e9b6dac, v65
	v_sub_f32_e32 v34, v34, v37
	v_fmaak_f32 v35, v65, v35, 0x3f2aaada
	v_ldexp_f32 v54, v34, 1
	v_mul_f32_e32 v37, v38, v65
	v_mov_b32_e32 v34, 0x3f317218
	v_pk_mul_f32 v[34:35], v[36:37], v[34:35]
	v_ldexp_f32 v39, v38, 1
	v_fma_f32 v37, v36, s11, -v34
	v_fmamk_f32 v38, v36, 0xb102e308, v37
	v_pk_add_f32 v[36:37], v[34:35], v[38:39]
	v_mov_b32_e32 v66, v34
	v_sub_f32_e32 v39, v37, v39
	v_sub_f32_e32 v39, v35, v39
	v_add_f32_e32 v67, v54, v39
	v_pk_add_f32 v[34:35], v[36:37], v[34:35] neg_lo:[0,1] neg_hi:[0,1]
	v_pk_add_f32 v[68:69], v[36:37], v[66:67]
	v_mov_b32_e32 v39, v36
	v_mov_b32_e32 v35, v69
	v_pk_add_f32 v[70:71], v[38:39], v[34:35] neg_lo:[0,1] neg_hi:[0,1]
	v_pk_add_f32 v[34:35], v[38:39], v[34:35]
	v_mov_b32_e32 v66, v67
	v_mov_b32_e32 v38, v35
	v_pk_add_f32 v[80:81], v[38:39], v[36:37] neg_lo:[0,1] neg_hi:[0,1]
	v_mov_b32_e32 v34, v69
	v_mov_b32_e32 v39, v80
	v_pk_add_f32 v[82:83], v[68:69], v[38:39] neg_lo:[0,1] neg_hi:[0,1]
	v_mov_b32_e32 v68, v37
	v_mov_b32_e32 v69, v80
	;; [unrolled: 1-line block ×3, first 2 shown]
	v_pk_add_f32 v[34:35], v[34:35], v[68:69] neg_lo:[0,1] neg_hi:[0,1]
	v_mov_b32_e32 v67, v36
	v_pk_add_f32 v[34:35], v[66:67], v[34:35] neg_lo:[0,1] neg_hi:[0,1]
	v_mov_b32_e32 v82, v70
	v_pk_add_f32 v[36:37], v[82:83], v[34:35]
	s_mov_b32 s11, 0x33800000
	v_mov_b32_e32 v54, v37
	v_pk_add_f32 v[66:67], v[36:37], v[54:55]
	v_cmp_lt_f32_e64 s[14:15], |v53|, s11
	v_pk_add_f32 v[38:39], v[38:39], v[66:67]
	v_mov_b32_e32 v35, v66
	v_mov_b32_e32 v37, v38
	v_pk_add_f32 v[68:69], v[36:37], v[70:71] neg_lo:[0,1] neg_hi:[0,1]
	s_or_b64 vcc, vcc, s[14:15]
	v_sub_f32_e32 v36, v36, v68
	v_pk_add_f32 v[34:35], v[34:35], v[68:69] neg_lo:[0,1] neg_hi:[0,1]
	v_sub_f32_e32 v36, v70, v36
	v_add_f32_e32 v34, v34, v36
	v_add_f32_e32 v34, v34, v35
	;; [unrolled: 1-line block ×3, first 2 shown]
	v_cndmask_b32_e32 v34, v34, v53, vcc
	v_add_f32_e32 v34, v33, v34
.LBB451_59:
	s_or_b64 exec, exec, s[8:9]
	v_bfe_u32 v33, v34, 16, 1
	s_movk_i32 s13, 0x7fff
	v_add3_u32 v33, v34, v33, s13
	v_and_b32_e32 v35, 0xffff0000, v33
	v_mov_b32_e32 v33, 0x7fc00000
	v_cmp_o_f32_e32 vcc, v34, v34
	v_lshlrev_b32_sdwa v53, v32, v26 dst_sel:DWORD dst_unused:UNUSED_PAD src0_sel:DWORD src1_sel:WORD_0
	v_max_f32_e32 v67, v53, v53
	v_cndmask_b32_e32 v34, v33, v35, vcc
	v_max_f32_e32 v32, v34, v34
	v_min_f32_e32 v35, v32, v67
	v_cmp_u_f32_e32 vcc, v34, v34
	v_max_f32_e32 v32, v32, v67
	v_cmp_u_f32_e64 s[8:9], v53, v53
	v_cndmask_b32_e32 v35, v35, v34, vcc
	v_cndmask_b32_e32 v32, v32, v34, vcc
	v_cndmask_b32_e64 v35, v35, v53, s[8:9]
	v_cndmask_b32_e64 v32, v32, v53, s[8:9]
	v_cmp_neq_f32_e32 vcc, v35, v32
	v_cmp_class_f32_e64 s[10:11], v35, s10
	s_or_b64 s[14:15], vcc, s[10:11]
	s_and_saveexec_b64 s[10:11], s[14:15]
	s_cbranch_execz .LBB451_61
; %bb.60:
	v_sub_f32_e32 v34, v35, v32
	s_mov_b32 s14, 0x3fb8aa3b
	v_mul_f32_e32 v35, 0x3fb8aa3b, v34
	v_fma_f32 v36, v34, s14, -v35
	v_rndne_f32_e32 v37, v35
	v_fmamk_f32 v36, v34, 0x32a5705f, v36
	v_sub_f32_e32 v35, v35, v37
	v_add_f32_e32 v35, v35, v36
	v_exp_f32_e32 v35, v35
	v_cvt_i32_f32_e32 v36, v37
	s_mov_b32 s14, 0xc2ce8ed0
	v_cmp_ngt_f32_e32 vcc, s14, v34
	s_mov_b32 s14, 0x42b17218
	v_ldexp_f32 v35, v35, v36
	v_cndmask_b32_e32 v35, 0, v35, vcc
	v_mov_b32_e32 v36, 0x7f800000
	v_cmp_nlt_f32_e32 vcc, s14, v34
	s_mov_b32 s14, 0x3f2aaaab
	s_mov_b32 s15, 0x7f800000
	v_cndmask_b32_e32 v65, v36, v35, vcc
	v_add_f32_e32 v36, 1.0, v65
	v_add_f32_e32 v34, -1.0, v36
	v_sub_f32_e32 v35, v34, v36
	v_add_f32_e32 v35, 1.0, v35
	v_sub_f32_e32 v34, v65, v34
	v_add_f32_e32 v37, v34, v35
	v_frexp_mant_f32_e32 v38, v36
	v_cvt_f64_f32_e32 v[34:35], v36
	v_frexp_exp_i32_f64_e32 v34, v[34:35]
	v_cmp_gt_f32_e32 vcc, s14, v38
	s_mov_b32 s14, 0x3f317218
	s_nop 0
	v_subbrev_co_u32_e32 v54, vcc, 0, v34, vcc
	v_sub_u32_e32 v34, 0, v54
	v_ldexp_f32 v35, v36, v34
	v_add_f32_e32 v36, -1.0, v35
	v_add_f32_e32 v38, 1.0, v35
	v_ldexp_f32 v34, v37, v34
	v_add_f32_e32 v37, 1.0, v36
	v_add_f32_e32 v39, -1.0, v38
	v_sub_f32_e32 v37, v35, v37
	v_sub_f32_e32 v35, v35, v39
	v_add_f32_e32 v37, v34, v37
	v_add_f32_e32 v34, v34, v35
	;; [unrolled: 1-line block ×3, first 2 shown]
	v_rcp_f32_e32 v71, v66
	v_sub_f32_e32 v35, v38, v66
	v_add_f32_e32 v70, v34, v35
	v_add_f32_e32 v35, v36, v37
	v_mul_f32_e32 v81, v35, v71
	v_sub_f32_e32 v34, v36, v35
	v_mul_f32_e32 v36, v66, v81
	v_fma_f32 v38, v81, v66, -v36
	v_fmac_f32_e32 v38, v81, v70
	v_add_f32_e32 v80, v37, v34
	v_add_f32_e32 v34, v36, v38
	v_sub_f32_e32 v37, v35, v34
	v_pk_add_f32 v[68:69], v[34:35], v[36:37] neg_lo:[0,1] neg_hi:[0,1]
	v_mov_b32_e32 v39, v34
	v_pk_add_f32 v[34:35], v[68:69], v[38:39] neg_lo:[0,1] neg_hi:[0,1]
	v_cmp_eq_f32_e32 vcc, s15, v65
	v_add_f32_e32 v35, v80, v35
	v_add_f32_e32 v34, v34, v35
	;; [unrolled: 1-line block ×3, first 2 shown]
	v_mul_f32_e32 v80, v71, v35
	v_mul_f32_e32 v36, v66, v80
	v_fma_f32 v38, v80, v66, -v36
	v_fmac_f32_e32 v38, v80, v70
	v_sub_f32_e32 v37, v37, v35
	v_add_f32_e32 v66, v34, v37
	v_add_f32_e32 v34, v36, v38
	v_sub_f32_e32 v37, v35, v34
	v_pk_add_f32 v[68:69], v[34:35], v[36:37] neg_lo:[0,1] neg_hi:[0,1]
	v_mov_b32_e32 v39, v34
	v_pk_add_f32 v[34:35], v[68:69], v[38:39] neg_lo:[0,1] neg_hi:[0,1]
	v_cvt_f32_i32_e32 v36, v54
	v_add_f32_e32 v35, v66, v35
	v_add_f32_e32 v34, v34, v35
	;; [unrolled: 1-line block ×4, first 2 shown]
	v_sub_f32_e32 v35, v37, v81
	v_mul_f32_e32 v34, v71, v34
	v_sub_f32_e32 v35, v80, v35
	v_add_f32_e32 v34, v35, v34
	v_add_f32_e32 v38, v37, v34
	v_mul_f32_e32 v66, v38, v38
	v_mov_b32_e32 v35, 0x3ecc95a3
	v_sub_f32_e32 v37, v38, v37
	v_fmac_f32_e32 v35, 0x3e9b6dac, v66
	v_sub_f32_e32 v34, v34, v37
	v_fmaak_f32 v35, v66, v35, 0x3f2aaada
	v_ldexp_f32 v54, v34, 1
	v_mul_f32_e32 v37, v38, v66
	v_mov_b32_e32 v34, 0x3f317218
	v_pk_mul_f32 v[34:35], v[36:37], v[34:35]
	v_ldexp_f32 v39, v38, 1
	v_fma_f32 v37, v36, s14, -v34
	v_fmamk_f32 v38, v36, 0xb102e308, v37
	v_pk_add_f32 v[36:37], v[34:35], v[38:39]
	v_mov_b32_e32 v68, v34
	v_sub_f32_e32 v39, v37, v39
	v_sub_f32_e32 v39, v35, v39
	v_add_f32_e32 v69, v54, v39
	v_pk_add_f32 v[34:35], v[36:37], v[34:35] neg_lo:[0,1] neg_hi:[0,1]
	v_pk_add_f32 v[70:71], v[36:37], v[68:69]
	v_mov_b32_e32 v39, v36
	v_mov_b32_e32 v35, v71
	v_pk_add_f32 v[80:81], v[38:39], v[34:35] neg_lo:[0,1] neg_hi:[0,1]
	v_pk_add_f32 v[34:35], v[38:39], v[34:35]
	v_mov_b32_e32 v68, v69
	v_mov_b32_e32 v38, v35
	v_pk_add_f32 v[82:83], v[38:39], v[36:37] neg_lo:[0,1] neg_hi:[0,1]
	v_mov_b32_e32 v34, v71
	v_mov_b32_e32 v39, v82
	v_pk_add_f32 v[84:85], v[70:71], v[38:39] neg_lo:[0,1] neg_hi:[0,1]
	v_mov_b32_e32 v70, v37
	v_mov_b32_e32 v71, v82
	;; [unrolled: 1-line block ×3, first 2 shown]
	v_pk_add_f32 v[34:35], v[34:35], v[70:71] neg_lo:[0,1] neg_hi:[0,1]
	v_mov_b32_e32 v69, v36
	v_pk_add_f32 v[34:35], v[68:69], v[34:35] neg_lo:[0,1] neg_hi:[0,1]
	v_mov_b32_e32 v84, v80
	v_pk_add_f32 v[36:37], v[84:85], v[34:35]
	s_mov_b32 s14, 0x33800000
	v_mov_b32_e32 v54, v37
	v_pk_add_f32 v[68:69], v[36:37], v[54:55]
	v_cmp_lt_f32_e64 s[14:15], |v65|, s14
	v_pk_add_f32 v[38:39], v[38:39], v[68:69]
	v_mov_b32_e32 v35, v68
	v_mov_b32_e32 v37, v38
	v_pk_add_f32 v[70:71], v[36:37], v[80:81] neg_lo:[0,1] neg_hi:[0,1]
	s_or_b64 vcc, vcc, s[14:15]
	v_sub_f32_e32 v36, v36, v70
	v_pk_add_f32 v[34:35], v[34:35], v[70:71] neg_lo:[0,1] neg_hi:[0,1]
	v_sub_f32_e32 v36, v80, v36
	v_add_f32_e32 v34, v34, v36
	v_add_f32_e32 v34, v34, v35
	;; [unrolled: 1-line block ×3, first 2 shown]
	v_cndmask_b32_e32 v34, v34, v65, vcc
	v_add_f32_e32 v34, v32, v34
.LBB451_61:
	s_or_b64 exec, exec, s[10:11]
	v_bfe_u32 v32, v34, 16, 1
	v_add3_u32 v32, v34, v32, s13
	v_and_b32_e32 v32, 0xffff0000, v32
	v_cmp_o_f32_e32 vcc, v34, v34
	s_movk_i32 s13, 0x1f8
	s_nop 0
	v_cndmask_b32_e32 v34, v33, v32, vcc
	v_mov_b32_e32 v32, 16
	v_lshlrev_b32_sdwa v54, v32, v26 dst_sel:DWORD dst_unused:UNUSED_PAD src0_sel:DWORD src1_sel:WORD_1
	v_max_f32_e32 v33, v34, v34
	v_max_f32_e32 v68, v54, v54
	v_min_f32_e32 v35, v33, v68
	v_cmp_u_f32_e32 vcc, v34, v34
	v_max_f32_e32 v33, v33, v68
	v_cmp_u_f32_e64 s[10:11], v54, v54
	v_cndmask_b32_e32 v35, v35, v34, vcc
	v_cndmask_b32_e32 v33, v33, v34, vcc
	v_cndmask_b32_e64 v35, v35, v54, s[10:11]
	v_cndmask_b32_e64 v33, v33, v54, s[10:11]
	v_cmp_neq_f32_e32 vcc, v35, v33
	v_cmp_class_f32_e64 s[14:15], v35, s13
	s_or_b64 s[16:17], vcc, s[14:15]
	s_and_saveexec_b64 s[14:15], s[16:17]
	s_cbranch_execz .LBB451_63
; %bb.62:
	v_sub_f32_e32 v34, v35, v33
	s_mov_b32 s16, 0x3fb8aa3b
	v_mul_f32_e32 v35, 0x3fb8aa3b, v34
	v_fma_f32 v36, v34, s16, -v35
	v_rndne_f32_e32 v37, v35
	v_fmamk_f32 v36, v34, 0x32a5705f, v36
	v_sub_f32_e32 v35, v35, v37
	v_add_f32_e32 v35, v35, v36
	v_exp_f32_e32 v35, v35
	v_cvt_i32_f32_e32 v36, v37
	s_mov_b32 s16, 0xc2ce8ed0
	v_cmp_ngt_f32_e32 vcc, s16, v34
	s_mov_b32 s16, 0x42b17218
	v_ldexp_f32 v35, v35, v36
	v_cndmask_b32_e32 v35, 0, v35, vcc
	v_mov_b32_e32 v36, 0x7f800000
	v_cmp_nlt_f32_e32 vcc, s16, v34
	s_mov_b32 s16, 0x3f2aaaab
	s_mov_b32 s17, 0x7f800000
	v_cndmask_b32_e32 v65, v36, v35, vcc
	v_add_f32_e32 v36, 1.0, v65
	v_add_f32_e32 v34, -1.0, v36
	v_sub_f32_e32 v35, v34, v36
	v_add_f32_e32 v35, 1.0, v35
	v_sub_f32_e32 v34, v65, v34
	v_add_f32_e32 v37, v34, v35
	v_frexp_mant_f32_e32 v38, v36
	v_cvt_f64_f32_e32 v[34:35], v36
	v_frexp_exp_i32_f64_e32 v34, v[34:35]
	v_cmp_gt_f32_e32 vcc, s16, v38
	s_mov_b32 s16, 0x3f317218
	s_nop 0
	v_subbrev_co_u32_e32 v66, vcc, 0, v34, vcc
	v_sub_u32_e32 v34, 0, v66
	v_ldexp_f32 v35, v36, v34
	v_add_f32_e32 v36, -1.0, v35
	v_add_f32_e32 v38, 1.0, v35
	v_ldexp_f32 v34, v37, v34
	v_add_f32_e32 v37, 1.0, v36
	v_add_f32_e32 v39, -1.0, v38
	v_sub_f32_e32 v37, v35, v37
	v_sub_f32_e32 v35, v35, v39
	v_add_f32_e32 v37, v34, v37
	v_add_f32_e32 v34, v34, v35
	;; [unrolled: 1-line block ×3, first 2 shown]
	v_rcp_f32_e32 v81, v69
	v_sub_f32_e32 v35, v38, v69
	v_add_f32_e32 v80, v34, v35
	v_add_f32_e32 v35, v36, v37
	v_mul_f32_e32 v83, v35, v81
	v_sub_f32_e32 v34, v36, v35
	v_mul_f32_e32 v36, v69, v83
	v_fma_f32 v38, v83, v69, -v36
	v_fmac_f32_e32 v38, v83, v80
	v_add_f32_e32 v82, v37, v34
	v_add_f32_e32 v34, v36, v38
	v_sub_f32_e32 v37, v35, v34
	v_pk_add_f32 v[70:71], v[34:35], v[36:37] neg_lo:[0,1] neg_hi:[0,1]
	v_mov_b32_e32 v39, v34
	v_pk_add_f32 v[34:35], v[70:71], v[38:39] neg_lo:[0,1] neg_hi:[0,1]
	v_cmp_eq_f32_e32 vcc, s17, v65
	v_add_f32_e32 v35, v82, v35
	v_add_f32_e32 v34, v34, v35
	;; [unrolled: 1-line block ×3, first 2 shown]
	v_mul_f32_e32 v82, v81, v35
	v_mul_f32_e32 v36, v69, v82
	v_fma_f32 v38, v82, v69, -v36
	v_fmac_f32_e32 v38, v82, v80
	v_sub_f32_e32 v37, v37, v35
	v_add_f32_e32 v69, v34, v37
	v_add_f32_e32 v34, v36, v38
	v_sub_f32_e32 v37, v35, v34
	v_pk_add_f32 v[70:71], v[34:35], v[36:37] neg_lo:[0,1] neg_hi:[0,1]
	v_mov_b32_e32 v39, v34
	v_pk_add_f32 v[34:35], v[70:71], v[38:39] neg_lo:[0,1] neg_hi:[0,1]
	v_cvt_f32_i32_e32 v36, v66
	v_add_f32_e32 v35, v69, v35
	v_add_f32_e32 v34, v34, v35
	v_add_f32_e32 v34, v37, v34
	v_add_f32_e32 v37, v83, v82
	v_sub_f32_e32 v35, v37, v83
	v_mul_f32_e32 v34, v81, v34
	v_sub_f32_e32 v35, v82, v35
	v_add_f32_e32 v34, v35, v34
	v_add_f32_e32 v38, v37, v34
	v_mul_f32_e32 v69, v38, v38
	v_mov_b32_e32 v35, 0x3ecc95a3
	v_sub_f32_e32 v37, v38, v37
	v_fmac_f32_e32 v35, 0x3e9b6dac, v69
	v_sub_f32_e32 v34, v34, v37
	v_fmaak_f32 v35, v69, v35, 0x3f2aaada
	v_ldexp_f32 v66, v34, 1
	v_mul_f32_e32 v37, v38, v69
	v_mov_b32_e32 v34, 0x3f317218
	v_pk_mul_f32 v[34:35], v[36:37], v[34:35]
	v_ldexp_f32 v39, v38, 1
	v_fma_f32 v37, v36, s16, -v34
	v_fmamk_f32 v38, v36, 0xb102e308, v37
	v_pk_add_f32 v[36:37], v[34:35], v[38:39]
	v_mov_b32_e32 v70, v34
	v_sub_f32_e32 v39, v37, v39
	v_sub_f32_e32 v39, v35, v39
	v_add_f32_e32 v71, v66, v39
	v_pk_add_f32 v[34:35], v[36:37], v[34:35] neg_lo:[0,1] neg_hi:[0,1]
	v_pk_add_f32 v[80:81], v[36:37], v[70:71]
	v_mov_b32_e32 v39, v36
	v_mov_b32_e32 v35, v81
	v_pk_add_f32 v[82:83], v[38:39], v[34:35] neg_lo:[0,1] neg_hi:[0,1]
	v_pk_add_f32 v[34:35], v[38:39], v[34:35]
	v_mov_b32_e32 v70, v71
	v_mov_b32_e32 v38, v35
	v_pk_add_f32 v[84:85], v[38:39], v[36:37] neg_lo:[0,1] neg_hi:[0,1]
	v_mov_b32_e32 v34, v81
	v_mov_b32_e32 v39, v84
	v_pk_add_f32 v[86:87], v[80:81], v[38:39] neg_lo:[0,1] neg_hi:[0,1]
	v_mov_b32_e32 v80, v37
	v_mov_b32_e32 v81, v84
	;; [unrolled: 1-line block ×3, first 2 shown]
	v_pk_add_f32 v[34:35], v[34:35], v[80:81] neg_lo:[0,1] neg_hi:[0,1]
	v_mov_b32_e32 v71, v36
	v_pk_add_f32 v[34:35], v[70:71], v[34:35] neg_lo:[0,1] neg_hi:[0,1]
	v_mov_b32_e32 v86, v82
	v_pk_add_f32 v[36:37], v[86:87], v[34:35]
	s_mov_b32 s16, 0x33800000
	v_mov_b32_e32 v66, v37
	v_pk_add_f32 v[70:71], v[36:37], v[66:67]
	v_cmp_lt_f32_e64 s[16:17], |v65|, s16
	v_pk_add_f32 v[38:39], v[38:39], v[70:71]
	v_mov_b32_e32 v35, v70
	v_mov_b32_e32 v37, v38
	v_pk_add_f32 v[80:81], v[36:37], v[82:83] neg_lo:[0,1] neg_hi:[0,1]
	s_or_b64 vcc, vcc, s[16:17]
	v_sub_f32_e32 v36, v36, v80
	v_pk_add_f32 v[34:35], v[34:35], v[80:81] neg_lo:[0,1] neg_hi:[0,1]
	v_sub_f32_e32 v36, v82, v36
	v_add_f32_e32 v34, v34, v36
	v_add_f32_e32 v34, v34, v35
	;; [unrolled: 1-line block ×3, first 2 shown]
	v_cndmask_b32_e32 v34, v34, v65, vcc
	v_add_f32_e32 v34, v33, v34
.LBB451_63:
	s_or_b64 exec, exec, s[14:15]
	v_bfe_u32 v33, v34, 16, 1
	s_movk_i32 s16, 0x7fff
	v_add3_u32 v33, v34, v33, s16
	v_and_b32_e32 v35, 0xffff0000, v33
	v_mov_b32_e32 v33, 0x7fc00000
	v_cmp_o_f32_e32 vcc, v34, v34
	v_lshlrev_b32_sdwa v65, v32, v27 dst_sel:DWORD dst_unused:UNUSED_PAD src0_sel:DWORD src1_sel:WORD_0
	v_max_f32_e32 v71, v65, v65
	v_cndmask_b32_e32 v34, v33, v35, vcc
	v_max_f32_e32 v32, v34, v34
	v_min_f32_e32 v35, v32, v71
	v_cmp_u_f32_e32 vcc, v34, v34
	v_max_f32_e32 v32, v32, v71
	v_cmp_u_f32_e64 s[54:55], v65, v65
	v_cndmask_b32_e32 v35, v35, v34, vcc
	v_cndmask_b32_e32 v32, v32, v34, vcc
	v_cndmask_b32_e64 v35, v35, v65, s[54:55]
	v_cndmask_b32_e64 v32, v32, v65, s[54:55]
	v_cmp_neq_f32_e32 vcc, v35, v32
	v_cmp_class_f32_e64 s[14:15], v35, s13
	s_or_b64 s[18:19], vcc, s[14:15]
	s_and_saveexec_b64 s[14:15], s[18:19]
	s_cbranch_execz .LBB451_65
; %bb.64:
	v_sub_f32_e32 v34, v35, v32
	s_mov_b32 s13, 0x3fb8aa3b
	v_mul_f32_e32 v35, 0x3fb8aa3b, v34
	v_fma_f32 v36, v34, s13, -v35
	v_rndne_f32_e32 v37, v35
	v_fmamk_f32 v36, v34, 0x32a5705f, v36
	v_sub_f32_e32 v35, v35, v37
	v_add_f32_e32 v35, v35, v36
	v_exp_f32_e32 v35, v35
	v_cvt_i32_f32_e32 v36, v37
	s_mov_b32 s13, 0xc2ce8ed0
	v_cmp_ngt_f32_e32 vcc, s13, v34
	s_mov_b32 s13, 0x42b17218
	v_ldexp_f32 v35, v35, v36
	v_cndmask_b32_e32 v35, 0, v35, vcc
	v_mov_b32_e32 v36, 0x7f800000
	v_cmp_nlt_f32_e32 vcc, s13, v34
	s_mov_b32 s13, 0x3f2aaaab
	s_mov_b32 s17, 0x7f800000
	v_cndmask_b32_e32 v69, v36, v35, vcc
	v_add_f32_e32 v36, 1.0, v69
	v_add_f32_e32 v34, -1.0, v36
	v_sub_f32_e32 v35, v34, v36
	v_add_f32_e32 v35, 1.0, v35
	v_sub_f32_e32 v34, v69, v34
	v_add_f32_e32 v37, v34, v35
	v_frexp_mant_f32_e32 v38, v36
	v_cvt_f64_f32_e32 v[34:35], v36
	v_frexp_exp_i32_f64_e32 v34, v[34:35]
	v_cmp_gt_f32_e32 vcc, s13, v38
	s_mov_b32 s13, 0x3f317218
	s_nop 0
	v_subbrev_co_u32_e32 v66, vcc, 0, v34, vcc
	v_sub_u32_e32 v34, 0, v66
	v_ldexp_f32 v35, v36, v34
	v_add_f32_e32 v36, -1.0, v35
	v_add_f32_e32 v38, 1.0, v35
	v_ldexp_f32 v34, v37, v34
	v_add_f32_e32 v37, 1.0, v36
	v_add_f32_e32 v39, -1.0, v38
	v_sub_f32_e32 v37, v35, v37
	v_sub_f32_e32 v35, v35, v39
	v_add_f32_e32 v37, v34, v37
	v_add_f32_e32 v34, v34, v35
	;; [unrolled: 1-line block ×3, first 2 shown]
	v_rcp_f32_e32 v83, v70
	v_sub_f32_e32 v35, v38, v70
	v_add_f32_e32 v82, v34, v35
	v_add_f32_e32 v35, v36, v37
	v_mul_f32_e32 v85, v35, v83
	v_sub_f32_e32 v34, v36, v35
	v_mul_f32_e32 v36, v70, v85
	v_fma_f32 v38, v85, v70, -v36
	v_fmac_f32_e32 v38, v85, v82
	v_add_f32_e32 v84, v37, v34
	v_add_f32_e32 v34, v36, v38
	v_sub_f32_e32 v37, v35, v34
	v_pk_add_f32 v[80:81], v[34:35], v[36:37] neg_lo:[0,1] neg_hi:[0,1]
	v_mov_b32_e32 v39, v34
	v_pk_add_f32 v[34:35], v[80:81], v[38:39] neg_lo:[0,1] neg_hi:[0,1]
	v_cmp_eq_f32_e32 vcc, s17, v69
	v_add_f32_e32 v35, v84, v35
	v_add_f32_e32 v34, v34, v35
	;; [unrolled: 1-line block ×3, first 2 shown]
	v_mul_f32_e32 v84, v83, v35
	v_mul_f32_e32 v36, v70, v84
	v_fma_f32 v38, v84, v70, -v36
	v_fmac_f32_e32 v38, v84, v82
	v_sub_f32_e32 v37, v37, v35
	v_add_f32_e32 v70, v34, v37
	v_add_f32_e32 v34, v36, v38
	v_sub_f32_e32 v37, v35, v34
	v_pk_add_f32 v[80:81], v[34:35], v[36:37] neg_lo:[0,1] neg_hi:[0,1]
	v_mov_b32_e32 v39, v34
	v_pk_add_f32 v[34:35], v[80:81], v[38:39] neg_lo:[0,1] neg_hi:[0,1]
	v_cvt_f32_i32_e32 v36, v66
	v_add_f32_e32 v35, v70, v35
	v_add_f32_e32 v34, v34, v35
	;; [unrolled: 1-line block ×4, first 2 shown]
	v_sub_f32_e32 v35, v37, v85
	v_mul_f32_e32 v34, v83, v34
	v_sub_f32_e32 v35, v84, v35
	v_add_f32_e32 v34, v35, v34
	v_add_f32_e32 v38, v37, v34
	v_mul_f32_e32 v70, v38, v38
	v_mov_b32_e32 v35, 0x3ecc95a3
	v_sub_f32_e32 v37, v38, v37
	v_fmac_f32_e32 v35, 0x3e9b6dac, v70
	v_sub_f32_e32 v34, v34, v37
	v_fmaak_f32 v35, v70, v35, 0x3f2aaada
	v_ldexp_f32 v66, v34, 1
	v_mul_f32_e32 v37, v38, v70
	v_mov_b32_e32 v34, 0x3f317218
	v_pk_mul_f32 v[34:35], v[36:37], v[34:35]
	v_ldexp_f32 v39, v38, 1
	v_fma_f32 v37, v36, s13, -v34
	v_fmamk_f32 v38, v36, 0xb102e308, v37
	v_pk_add_f32 v[36:37], v[34:35], v[38:39]
	v_mov_b32_e32 v80, v34
	v_sub_f32_e32 v39, v37, v39
	v_sub_f32_e32 v39, v35, v39
	v_add_f32_e32 v81, v66, v39
	v_pk_add_f32 v[34:35], v[36:37], v[34:35] neg_lo:[0,1] neg_hi:[0,1]
	v_pk_add_f32 v[82:83], v[36:37], v[80:81]
	v_mov_b32_e32 v39, v36
	v_mov_b32_e32 v35, v83
	v_pk_add_f32 v[84:85], v[38:39], v[34:35] neg_lo:[0,1] neg_hi:[0,1]
	v_pk_add_f32 v[34:35], v[38:39], v[34:35]
	v_mov_b32_e32 v80, v81
	v_mov_b32_e32 v38, v35
	v_pk_add_f32 v[86:87], v[38:39], v[36:37] neg_lo:[0,1] neg_hi:[0,1]
	v_mov_b32_e32 v34, v83
	v_mov_b32_e32 v39, v86
	v_pk_add_f32 v[96:97], v[82:83], v[38:39] neg_lo:[0,1] neg_hi:[0,1]
	v_mov_b32_e32 v82, v37
	v_mov_b32_e32 v83, v86
	;; [unrolled: 1-line block ×3, first 2 shown]
	v_pk_add_f32 v[34:35], v[34:35], v[82:83] neg_lo:[0,1] neg_hi:[0,1]
	v_mov_b32_e32 v81, v36
	v_pk_add_f32 v[34:35], v[80:81], v[34:35] neg_lo:[0,1] neg_hi:[0,1]
	v_mov_b32_e32 v96, v84
	v_pk_add_f32 v[36:37], v[96:97], v[34:35]
	s_mov_b32 s13, 0x33800000
	v_mov_b32_e32 v66, v37
	v_pk_add_f32 v[80:81], v[36:37], v[66:67]
	v_cmp_lt_f32_e64 s[18:19], |v69|, s13
	v_pk_add_f32 v[38:39], v[38:39], v[80:81]
	v_mov_b32_e32 v35, v80
	v_mov_b32_e32 v37, v38
	v_pk_add_f32 v[82:83], v[36:37], v[84:85] neg_lo:[0,1] neg_hi:[0,1]
	s_or_b64 vcc, vcc, s[18:19]
	v_sub_f32_e32 v36, v36, v82
	v_pk_add_f32 v[34:35], v[34:35], v[82:83] neg_lo:[0,1] neg_hi:[0,1]
	v_sub_f32_e32 v36, v84, v36
	v_add_f32_e32 v34, v34, v36
	v_add_f32_e32 v34, v34, v35
	;; [unrolled: 1-line block ×3, first 2 shown]
	v_cndmask_b32_e32 v34, v34, v69, vcc
	v_add_f32_e32 v34, v32, v34
.LBB451_65:
	s_or_b64 exec, exec, s[14:15]
	v_bfe_u32 v32, v34, 16, 1
	v_add3_u32 v32, v34, v32, s16
	v_and_b32_e32 v32, 0xffff0000, v32
	v_cmp_o_f32_e32 vcc, v34, v34
	s_movk_i32 s13, 0x1f8
	s_nop 0
	v_cndmask_b32_e32 v34, v33, v32, vcc
	v_mov_b32_e32 v32, 16
	v_lshlrev_b32_sdwa v66, v32, v27 dst_sel:DWORD dst_unused:UNUSED_PAD src0_sel:DWORD src1_sel:WORD_1
	v_max_f32_e32 v33, v34, v34
	v_max_f32_e32 v80, v66, v66
	v_min_f32_e32 v35, v33, v80
	v_cmp_u_f32_e32 vcc, v34, v34
	v_max_f32_e32 v33, v33, v80
	v_cmp_u_f32_e64 s[14:15], v66, v66
	v_cndmask_b32_e32 v35, v35, v34, vcc
	v_cndmask_b32_e32 v33, v33, v34, vcc
	v_cndmask_b32_e64 v35, v35, v66, s[14:15]
	v_cndmask_b32_e64 v33, v33, v66, s[14:15]
	v_cmp_neq_f32_e32 vcc, v35, v33
	v_cmp_class_f32_e64 s[16:17], v35, s13
	s_or_b64 s[18:19], vcc, s[16:17]
	s_and_saveexec_b64 s[16:17], s[18:19]
	s_cbranch_execz .LBB451_67
; %bb.66:
	v_sub_f32_e32 v34, v35, v33
	s_mov_b32 s18, 0x3fb8aa3b
	v_mul_f32_e32 v35, 0x3fb8aa3b, v34
	v_fma_f32 v36, v34, s18, -v35
	v_rndne_f32_e32 v37, v35
	v_fmamk_f32 v36, v34, 0x32a5705f, v36
	v_sub_f32_e32 v35, v35, v37
	v_add_f32_e32 v35, v35, v36
	v_exp_f32_e32 v35, v35
	v_cvt_i32_f32_e32 v36, v37
	s_mov_b32 s18, 0xc2ce8ed0
	v_cmp_ngt_f32_e32 vcc, s18, v34
	s_mov_b32 s18, 0x42b17218
	v_ldexp_f32 v35, v35, v36
	v_cndmask_b32_e32 v35, 0, v35, vcc
	v_mov_b32_e32 v36, 0x7f800000
	v_cmp_nlt_f32_e32 vcc, s18, v34
	s_mov_b32 s18, 0x3f2aaaab
	s_mov_b32 s19, 0x7f800000
	v_cndmask_b32_e32 v69, v36, v35, vcc
	v_add_f32_e32 v36, 1.0, v69
	v_add_f32_e32 v34, -1.0, v36
	v_sub_f32_e32 v35, v34, v36
	v_add_f32_e32 v35, 1.0, v35
	v_sub_f32_e32 v34, v69, v34
	v_add_f32_e32 v37, v34, v35
	v_frexp_mant_f32_e32 v38, v36
	v_cvt_f64_f32_e32 v[34:35], v36
	v_frexp_exp_i32_f64_e32 v34, v[34:35]
	v_cmp_gt_f32_e32 vcc, s18, v38
	s_mov_b32 s18, 0x3f317218
	s_nop 0
	v_subbrev_co_u32_e32 v70, vcc, 0, v34, vcc
	v_sub_u32_e32 v34, 0, v70
	v_ldexp_f32 v35, v36, v34
	v_add_f32_e32 v36, -1.0, v35
	v_add_f32_e32 v38, 1.0, v35
	v_ldexp_f32 v34, v37, v34
	v_add_f32_e32 v37, 1.0, v36
	v_add_f32_e32 v39, -1.0, v38
	v_sub_f32_e32 v37, v35, v37
	v_sub_f32_e32 v35, v35, v39
	v_add_f32_e32 v37, v34, v37
	v_add_f32_e32 v34, v34, v35
	;; [unrolled: 1-line block ×3, first 2 shown]
	v_rcp_f32_e32 v85, v81
	v_sub_f32_e32 v35, v38, v81
	v_add_f32_e32 v84, v34, v35
	v_add_f32_e32 v35, v36, v37
	v_mul_f32_e32 v87, v35, v85
	v_sub_f32_e32 v34, v36, v35
	v_mul_f32_e32 v36, v81, v87
	v_fma_f32 v38, v87, v81, -v36
	v_fmac_f32_e32 v38, v87, v84
	v_add_f32_e32 v86, v37, v34
	v_add_f32_e32 v34, v36, v38
	v_sub_f32_e32 v37, v35, v34
	v_pk_add_f32 v[82:83], v[34:35], v[36:37] neg_lo:[0,1] neg_hi:[0,1]
	v_mov_b32_e32 v39, v34
	v_pk_add_f32 v[34:35], v[82:83], v[38:39] neg_lo:[0,1] neg_hi:[0,1]
	v_cmp_eq_f32_e32 vcc, s19, v69
	v_add_f32_e32 v35, v86, v35
	v_add_f32_e32 v34, v34, v35
	;; [unrolled: 1-line block ×3, first 2 shown]
	v_mul_f32_e32 v86, v85, v35
	v_mul_f32_e32 v36, v81, v86
	v_fma_f32 v38, v86, v81, -v36
	v_fmac_f32_e32 v38, v86, v84
	v_sub_f32_e32 v37, v37, v35
	v_add_f32_e32 v81, v34, v37
	v_add_f32_e32 v34, v36, v38
	v_sub_f32_e32 v37, v35, v34
	v_pk_add_f32 v[82:83], v[34:35], v[36:37] neg_lo:[0,1] neg_hi:[0,1]
	v_mov_b32_e32 v39, v34
	v_pk_add_f32 v[34:35], v[82:83], v[38:39] neg_lo:[0,1] neg_hi:[0,1]
	v_cvt_f32_i32_e32 v36, v70
	v_add_f32_e32 v35, v81, v35
	v_add_f32_e32 v34, v34, v35
	;; [unrolled: 1-line block ×4, first 2 shown]
	v_sub_f32_e32 v35, v37, v87
	v_mul_f32_e32 v34, v85, v34
	v_sub_f32_e32 v35, v86, v35
	v_add_f32_e32 v34, v35, v34
	v_add_f32_e32 v38, v37, v34
	v_mul_f32_e32 v81, v38, v38
	v_mov_b32_e32 v35, 0x3ecc95a3
	v_sub_f32_e32 v37, v38, v37
	v_fmac_f32_e32 v35, 0x3e9b6dac, v81
	v_sub_f32_e32 v34, v34, v37
	v_fmaak_f32 v35, v81, v35, 0x3f2aaada
	v_ldexp_f32 v70, v34, 1
	v_mul_f32_e32 v37, v38, v81
	v_mov_b32_e32 v34, 0x3f317218
	v_pk_mul_f32 v[34:35], v[36:37], v[34:35]
	v_ldexp_f32 v39, v38, 1
	v_fma_f32 v37, v36, s18, -v34
	v_fmamk_f32 v38, v36, 0xb102e308, v37
	v_pk_add_f32 v[36:37], v[34:35], v[38:39]
	v_mov_b32_e32 v82, v34
	v_sub_f32_e32 v39, v37, v39
	v_sub_f32_e32 v39, v35, v39
	v_add_f32_e32 v83, v70, v39
	v_pk_add_f32 v[34:35], v[36:37], v[34:35] neg_lo:[0,1] neg_hi:[0,1]
	v_pk_add_f32 v[84:85], v[36:37], v[82:83]
	v_mov_b32_e32 v39, v36
	v_mov_b32_e32 v35, v85
	v_pk_add_f32 v[86:87], v[38:39], v[34:35] neg_lo:[0,1] neg_hi:[0,1]
	v_pk_add_f32 v[34:35], v[38:39], v[34:35]
	v_mov_b32_e32 v82, v83
	v_mov_b32_e32 v38, v35
	v_pk_add_f32 v[96:97], v[38:39], v[36:37] neg_lo:[0,1] neg_hi:[0,1]
	v_mov_b32_e32 v34, v85
	v_mov_b32_e32 v39, v96
	v_pk_add_f32 v[98:99], v[84:85], v[38:39] neg_lo:[0,1] neg_hi:[0,1]
	v_mov_b32_e32 v84, v37
	v_mov_b32_e32 v85, v96
	;; [unrolled: 1-line block ×3, first 2 shown]
	v_pk_add_f32 v[34:35], v[34:35], v[84:85] neg_lo:[0,1] neg_hi:[0,1]
	v_mov_b32_e32 v83, v36
	v_pk_add_f32 v[34:35], v[82:83], v[34:35] neg_lo:[0,1] neg_hi:[0,1]
	v_mov_b32_e32 v98, v86
	v_pk_add_f32 v[36:37], v[98:99], v[34:35]
	s_mov_b32 s18, 0x33800000
	v_mov_b32_e32 v70, v37
	v_pk_add_f32 v[82:83], v[36:37], v[70:71]
	v_cmp_lt_f32_e64 s[18:19], |v69|, s18
	v_pk_add_f32 v[38:39], v[38:39], v[82:83]
	v_mov_b32_e32 v35, v82
	v_mov_b32_e32 v37, v38
	v_pk_add_f32 v[84:85], v[36:37], v[86:87] neg_lo:[0,1] neg_hi:[0,1]
	s_or_b64 vcc, vcc, s[18:19]
	v_sub_f32_e32 v36, v36, v84
	v_pk_add_f32 v[34:35], v[34:35], v[84:85] neg_lo:[0,1] neg_hi:[0,1]
	v_sub_f32_e32 v36, v86, v36
	v_add_f32_e32 v34, v34, v36
	v_add_f32_e32 v34, v34, v35
	;; [unrolled: 1-line block ×3, first 2 shown]
	v_cndmask_b32_e32 v34, v34, v69, vcc
	v_add_f32_e32 v34, v33, v34
.LBB451_67:
	s_or_b64 exec, exec, s[16:17]
	v_bfe_u32 v33, v34, 16, 1
	s_movk_i32 s20, 0x7fff
	v_add3_u32 v33, v34, v33, s20
	v_and_b32_e32 v35, 0xffff0000, v33
	v_mov_b32_e32 v33, 0x7fc00000
	v_cmp_o_f32_e32 vcc, v34, v34
	v_lshlrev_b32_sdwa v69, v32, v20 dst_sel:DWORD dst_unused:UNUSED_PAD src0_sel:DWORD src1_sel:WORD_0
	v_max_f32_e32 v83, v69, v69
	v_cndmask_b32_e32 v34, v33, v35, vcc
	v_max_f32_e32 v32, v34, v34
	v_min_f32_e32 v35, v32, v83
	v_cmp_u_f32_e32 vcc, v34, v34
	v_max_f32_e32 v32, v32, v83
	v_cmp_u_f32_e64 s[16:17], v69, v69
	v_cndmask_b32_e32 v35, v35, v34, vcc
	v_cndmask_b32_e32 v32, v32, v34, vcc
	v_cndmask_b32_e64 v35, v35, v69, s[16:17]
	v_cndmask_b32_e64 v32, v32, v69, s[16:17]
	v_cmp_neq_f32_e32 vcc, v35, v32
	v_cmp_class_f32_e64 s[18:19], v35, s13
	s_or_b64 s[22:23], vcc, s[18:19]
	s_and_saveexec_b64 s[18:19], s[22:23]
	s_cbranch_execz .LBB451_69
; %bb.68:
	v_sub_f32_e32 v34, v35, v32
	s_mov_b32 s13, 0x3fb8aa3b
	v_mul_f32_e32 v35, 0x3fb8aa3b, v34
	v_fma_f32 v36, v34, s13, -v35
	v_rndne_f32_e32 v37, v35
	v_fmamk_f32 v36, v34, 0x32a5705f, v36
	v_sub_f32_e32 v35, v35, v37
	v_add_f32_e32 v35, v35, v36
	v_exp_f32_e32 v35, v35
	v_cvt_i32_f32_e32 v36, v37
	s_mov_b32 s13, 0xc2ce8ed0
	v_cmp_ngt_f32_e32 vcc, s13, v34
	s_mov_b32 s13, 0x42b17218
	v_ldexp_f32 v35, v35, v36
	v_cndmask_b32_e32 v35, 0, v35, vcc
	v_mov_b32_e32 v36, 0x7f800000
	v_cmp_nlt_f32_e32 vcc, s13, v34
	s_mov_b32 s13, 0x3f2aaaab
	s_mov_b32 s21, 0x7f800000
	v_cndmask_b32_e32 v81, v36, v35, vcc
	v_add_f32_e32 v36, 1.0, v81
	v_add_f32_e32 v34, -1.0, v36
	v_sub_f32_e32 v35, v34, v36
	v_add_f32_e32 v35, 1.0, v35
	v_sub_f32_e32 v34, v81, v34
	v_add_f32_e32 v37, v34, v35
	v_frexp_mant_f32_e32 v38, v36
	v_cvt_f64_f32_e32 v[34:35], v36
	v_frexp_exp_i32_f64_e32 v34, v[34:35]
	v_cmp_gt_f32_e32 vcc, s13, v38
	s_mov_b32 s13, 0x3f317218
	s_nop 0
	v_subbrev_co_u32_e32 v70, vcc, 0, v34, vcc
	v_sub_u32_e32 v34, 0, v70
	v_ldexp_f32 v35, v36, v34
	v_add_f32_e32 v36, -1.0, v35
	v_add_f32_e32 v38, 1.0, v35
	v_ldexp_f32 v34, v37, v34
	v_add_f32_e32 v37, 1.0, v36
	v_add_f32_e32 v39, -1.0, v38
	v_sub_f32_e32 v37, v35, v37
	v_sub_f32_e32 v35, v35, v39
	v_add_f32_e32 v37, v34, v37
	v_add_f32_e32 v34, v34, v35
	v_add_f32_e32 v82, v38, v34
	v_rcp_f32_e32 v87, v82
	v_sub_f32_e32 v35, v38, v82
	v_add_f32_e32 v86, v34, v35
	v_add_f32_e32 v35, v36, v37
	v_mul_f32_e32 v97, v35, v87
	v_sub_f32_e32 v34, v36, v35
	v_mul_f32_e32 v36, v82, v97
	v_fma_f32 v38, v97, v82, -v36
	v_fmac_f32_e32 v38, v97, v86
	v_add_f32_e32 v96, v37, v34
	v_add_f32_e32 v34, v36, v38
	v_sub_f32_e32 v37, v35, v34
	v_pk_add_f32 v[84:85], v[34:35], v[36:37] neg_lo:[0,1] neg_hi:[0,1]
	v_mov_b32_e32 v39, v34
	v_pk_add_f32 v[34:35], v[84:85], v[38:39] neg_lo:[0,1] neg_hi:[0,1]
	v_cmp_eq_f32_e32 vcc, s21, v81
	v_add_f32_e32 v35, v96, v35
	v_add_f32_e32 v34, v34, v35
	;; [unrolled: 1-line block ×3, first 2 shown]
	v_mul_f32_e32 v96, v87, v35
	v_mul_f32_e32 v36, v82, v96
	v_fma_f32 v38, v96, v82, -v36
	v_fmac_f32_e32 v38, v96, v86
	v_sub_f32_e32 v37, v37, v35
	v_add_f32_e32 v82, v34, v37
	v_add_f32_e32 v34, v36, v38
	v_sub_f32_e32 v37, v35, v34
	v_pk_add_f32 v[84:85], v[34:35], v[36:37] neg_lo:[0,1] neg_hi:[0,1]
	v_mov_b32_e32 v39, v34
	v_pk_add_f32 v[34:35], v[84:85], v[38:39] neg_lo:[0,1] neg_hi:[0,1]
	v_cvt_f32_i32_e32 v36, v70
	v_add_f32_e32 v35, v82, v35
	v_add_f32_e32 v34, v34, v35
	;; [unrolled: 1-line block ×4, first 2 shown]
	v_sub_f32_e32 v35, v37, v97
	v_mul_f32_e32 v34, v87, v34
	v_sub_f32_e32 v35, v96, v35
	v_add_f32_e32 v34, v35, v34
	v_add_f32_e32 v38, v37, v34
	v_mul_f32_e32 v82, v38, v38
	v_mov_b32_e32 v35, 0x3ecc95a3
	v_sub_f32_e32 v37, v38, v37
	v_fmac_f32_e32 v35, 0x3e9b6dac, v82
	v_sub_f32_e32 v34, v34, v37
	v_fmaak_f32 v35, v82, v35, 0x3f2aaada
	v_ldexp_f32 v70, v34, 1
	v_mul_f32_e32 v37, v38, v82
	v_mov_b32_e32 v34, 0x3f317218
	v_pk_mul_f32 v[34:35], v[36:37], v[34:35]
	v_ldexp_f32 v39, v38, 1
	v_fma_f32 v37, v36, s13, -v34
	v_fmamk_f32 v38, v36, 0xb102e308, v37
	v_pk_add_f32 v[36:37], v[34:35], v[38:39]
	v_mov_b32_e32 v84, v34
	v_sub_f32_e32 v39, v37, v39
	v_sub_f32_e32 v39, v35, v39
	v_add_f32_e32 v85, v70, v39
	v_pk_add_f32 v[34:35], v[36:37], v[34:35] neg_lo:[0,1] neg_hi:[0,1]
	v_pk_add_f32 v[86:87], v[36:37], v[84:85]
	v_mov_b32_e32 v39, v36
	v_mov_b32_e32 v35, v87
	v_pk_add_f32 v[96:97], v[38:39], v[34:35] neg_lo:[0,1] neg_hi:[0,1]
	v_pk_add_f32 v[34:35], v[38:39], v[34:35]
	v_mov_b32_e32 v84, v85
	v_mov_b32_e32 v38, v35
	v_pk_add_f32 v[98:99], v[38:39], v[36:37] neg_lo:[0,1] neg_hi:[0,1]
	v_mov_b32_e32 v34, v87
	v_mov_b32_e32 v39, v98
	v_pk_add_f32 v[100:101], v[86:87], v[38:39] neg_lo:[0,1] neg_hi:[0,1]
	v_mov_b32_e32 v86, v37
	v_mov_b32_e32 v87, v98
	;; [unrolled: 1-line block ×3, first 2 shown]
	v_pk_add_f32 v[34:35], v[34:35], v[86:87] neg_lo:[0,1] neg_hi:[0,1]
	v_mov_b32_e32 v85, v36
	v_pk_add_f32 v[34:35], v[84:85], v[34:35] neg_lo:[0,1] neg_hi:[0,1]
	v_mov_b32_e32 v100, v96
	v_pk_add_f32 v[36:37], v[100:101], v[34:35]
	s_mov_b32 s13, 0x33800000
	v_mov_b32_e32 v70, v37
	v_pk_add_f32 v[84:85], v[36:37], v[70:71]
	v_cmp_lt_f32_e64 s[22:23], |v81|, s13
	v_pk_add_f32 v[38:39], v[38:39], v[84:85]
	v_mov_b32_e32 v35, v84
	v_mov_b32_e32 v37, v38
	v_pk_add_f32 v[86:87], v[36:37], v[96:97] neg_lo:[0,1] neg_hi:[0,1]
	s_or_b64 vcc, vcc, s[22:23]
	v_sub_f32_e32 v36, v36, v86
	v_pk_add_f32 v[34:35], v[34:35], v[86:87] neg_lo:[0,1] neg_hi:[0,1]
	v_sub_f32_e32 v36, v96, v36
	v_add_f32_e32 v34, v34, v36
	v_add_f32_e32 v34, v34, v35
	;; [unrolled: 1-line block ×3, first 2 shown]
	v_cndmask_b32_e32 v34, v34, v81, vcc
	v_add_f32_e32 v34, v32, v34
.LBB451_69:
	s_or_b64 exec, exec, s[18:19]
	v_bfe_u32 v32, v34, 16, 1
	v_add3_u32 v32, v34, v32, s20
	v_and_b32_e32 v32, 0xffff0000, v32
	v_cmp_o_f32_e32 vcc, v34, v34
	s_movk_i32 s13, 0x1f8
	s_nop 0
	v_cndmask_b32_e32 v34, v33, v32, vcc
	v_mov_b32_e32 v32, 16
	v_lshlrev_b32_sdwa v70, v32, v20 dst_sel:DWORD dst_unused:UNUSED_PAD src0_sel:DWORD src1_sel:WORD_1
	v_max_f32_e32 v33, v34, v34
	v_max_f32_e32 v84, v70, v70
	v_min_f32_e32 v35, v33, v84
	v_cmp_u_f32_e32 vcc, v34, v34
	v_max_f32_e32 v33, v33, v84
	v_cmp_u_f32_e64 s[18:19], v70, v70
	v_cndmask_b32_e32 v35, v35, v34, vcc
	v_cndmask_b32_e32 v33, v33, v34, vcc
	v_cndmask_b32_e64 v35, v35, v70, s[18:19]
	v_cndmask_b32_e64 v33, v33, v70, s[18:19]
	v_cmp_neq_f32_e32 vcc, v35, v33
	v_cmp_class_f32_e64 s[20:21], v35, s13
	s_or_b64 s[22:23], vcc, s[20:21]
	s_and_saveexec_b64 s[20:21], s[22:23]
	s_cbranch_execz .LBB451_71
; %bb.70:
	v_sub_f32_e32 v34, v35, v33
	s_mov_b32 s22, 0x3fb8aa3b
	v_mul_f32_e32 v35, 0x3fb8aa3b, v34
	v_fma_f32 v36, v34, s22, -v35
	v_rndne_f32_e32 v37, v35
	v_fmamk_f32 v36, v34, 0x32a5705f, v36
	v_sub_f32_e32 v35, v35, v37
	v_add_f32_e32 v35, v35, v36
	v_exp_f32_e32 v35, v35
	v_cvt_i32_f32_e32 v36, v37
	s_mov_b32 s22, 0xc2ce8ed0
	v_cmp_ngt_f32_e32 vcc, s22, v34
	s_mov_b32 s22, 0x42b17218
	v_ldexp_f32 v35, v35, v36
	v_cndmask_b32_e32 v35, 0, v35, vcc
	v_mov_b32_e32 v36, 0x7f800000
	v_cmp_nlt_f32_e32 vcc, s22, v34
	s_mov_b32 s22, 0x3f2aaaab
	s_mov_b32 s23, 0x7f800000
	v_cndmask_b32_e32 v81, v36, v35, vcc
	v_add_f32_e32 v36, 1.0, v81
	v_add_f32_e32 v34, -1.0, v36
	v_sub_f32_e32 v35, v34, v36
	v_add_f32_e32 v35, 1.0, v35
	v_sub_f32_e32 v34, v81, v34
	v_add_f32_e32 v37, v34, v35
	v_frexp_mant_f32_e32 v38, v36
	v_cvt_f64_f32_e32 v[34:35], v36
	v_frexp_exp_i32_f64_e32 v34, v[34:35]
	v_cmp_gt_f32_e32 vcc, s22, v38
	s_mov_b32 s22, 0x3f317218
	s_nop 0
	v_subbrev_co_u32_e32 v82, vcc, 0, v34, vcc
	v_sub_u32_e32 v34, 0, v82
	v_ldexp_f32 v35, v36, v34
	v_add_f32_e32 v36, -1.0, v35
	v_add_f32_e32 v38, 1.0, v35
	v_ldexp_f32 v34, v37, v34
	v_add_f32_e32 v37, 1.0, v36
	v_add_f32_e32 v39, -1.0, v38
	v_sub_f32_e32 v37, v35, v37
	v_sub_f32_e32 v35, v35, v39
	v_add_f32_e32 v37, v34, v37
	v_add_f32_e32 v34, v34, v35
	v_add_f32_e32 v85, v38, v34
	v_rcp_f32_e32 v97, v85
	v_sub_f32_e32 v35, v38, v85
	v_add_f32_e32 v96, v34, v35
	v_add_f32_e32 v35, v36, v37
	v_mul_f32_e32 v99, v35, v97
	v_sub_f32_e32 v34, v36, v35
	v_mul_f32_e32 v36, v85, v99
	v_fma_f32 v38, v99, v85, -v36
	v_fmac_f32_e32 v38, v99, v96
	v_add_f32_e32 v98, v37, v34
	v_add_f32_e32 v34, v36, v38
	v_sub_f32_e32 v37, v35, v34
	v_pk_add_f32 v[86:87], v[34:35], v[36:37] neg_lo:[0,1] neg_hi:[0,1]
	v_mov_b32_e32 v39, v34
	v_pk_add_f32 v[34:35], v[86:87], v[38:39] neg_lo:[0,1] neg_hi:[0,1]
	v_cmp_eq_f32_e32 vcc, s23, v81
	v_add_f32_e32 v35, v98, v35
	v_add_f32_e32 v34, v34, v35
	;; [unrolled: 1-line block ×3, first 2 shown]
	v_mul_f32_e32 v98, v97, v35
	v_mul_f32_e32 v36, v85, v98
	v_fma_f32 v38, v98, v85, -v36
	v_fmac_f32_e32 v38, v98, v96
	v_sub_f32_e32 v37, v37, v35
	v_add_f32_e32 v85, v34, v37
	v_add_f32_e32 v34, v36, v38
	v_sub_f32_e32 v37, v35, v34
	v_pk_add_f32 v[86:87], v[34:35], v[36:37] neg_lo:[0,1] neg_hi:[0,1]
	v_mov_b32_e32 v39, v34
	v_pk_add_f32 v[34:35], v[86:87], v[38:39] neg_lo:[0,1] neg_hi:[0,1]
	v_cvt_f32_i32_e32 v36, v82
	v_add_f32_e32 v35, v85, v35
	v_add_f32_e32 v34, v34, v35
	;; [unrolled: 1-line block ×4, first 2 shown]
	v_sub_f32_e32 v35, v37, v99
	v_mul_f32_e32 v34, v97, v34
	v_sub_f32_e32 v35, v98, v35
	v_add_f32_e32 v34, v35, v34
	v_add_f32_e32 v38, v37, v34
	v_mul_f32_e32 v85, v38, v38
	v_mov_b32_e32 v35, 0x3ecc95a3
	v_sub_f32_e32 v37, v38, v37
	v_fmac_f32_e32 v35, 0x3e9b6dac, v85
	v_sub_f32_e32 v34, v34, v37
	v_fmaak_f32 v35, v85, v35, 0x3f2aaada
	v_ldexp_f32 v82, v34, 1
	v_mul_f32_e32 v37, v38, v85
	v_mov_b32_e32 v34, 0x3f317218
	v_pk_mul_f32 v[34:35], v[36:37], v[34:35]
	v_ldexp_f32 v39, v38, 1
	v_fma_f32 v37, v36, s22, -v34
	v_fmamk_f32 v38, v36, 0xb102e308, v37
	v_pk_add_f32 v[36:37], v[34:35], v[38:39]
	v_mov_b32_e32 v86, v34
	v_sub_f32_e32 v39, v37, v39
	v_sub_f32_e32 v39, v35, v39
	v_add_f32_e32 v87, v82, v39
	v_pk_add_f32 v[34:35], v[36:37], v[34:35] neg_lo:[0,1] neg_hi:[0,1]
	v_pk_add_f32 v[96:97], v[36:37], v[86:87]
	v_mov_b32_e32 v39, v36
	v_mov_b32_e32 v35, v97
	v_pk_add_f32 v[98:99], v[38:39], v[34:35] neg_lo:[0,1] neg_hi:[0,1]
	v_pk_add_f32 v[34:35], v[38:39], v[34:35]
	v_mov_b32_e32 v86, v87
	v_mov_b32_e32 v38, v35
	v_pk_add_f32 v[100:101], v[38:39], v[36:37] neg_lo:[0,1] neg_hi:[0,1]
	v_mov_b32_e32 v34, v97
	v_mov_b32_e32 v39, v100
	v_pk_add_f32 v[102:103], v[96:97], v[38:39] neg_lo:[0,1] neg_hi:[0,1]
	v_mov_b32_e32 v96, v37
	v_mov_b32_e32 v97, v100
	;; [unrolled: 1-line block ×3, first 2 shown]
	v_pk_add_f32 v[34:35], v[34:35], v[96:97] neg_lo:[0,1] neg_hi:[0,1]
	v_mov_b32_e32 v87, v36
	v_pk_add_f32 v[34:35], v[86:87], v[34:35] neg_lo:[0,1] neg_hi:[0,1]
	v_mov_b32_e32 v102, v98
	v_pk_add_f32 v[36:37], v[102:103], v[34:35]
	s_mov_b32 s22, 0x33800000
	v_mov_b32_e32 v82, v37
	v_pk_add_f32 v[86:87], v[36:37], v[82:83]
	v_cmp_lt_f32_e64 s[22:23], |v81|, s22
	v_pk_add_f32 v[38:39], v[38:39], v[86:87]
	v_mov_b32_e32 v35, v86
	v_mov_b32_e32 v37, v38
	v_pk_add_f32 v[96:97], v[36:37], v[98:99] neg_lo:[0,1] neg_hi:[0,1]
	s_or_b64 vcc, vcc, s[22:23]
	v_sub_f32_e32 v36, v36, v96
	v_pk_add_f32 v[34:35], v[34:35], v[96:97] neg_lo:[0,1] neg_hi:[0,1]
	v_sub_f32_e32 v36, v98, v36
	v_add_f32_e32 v34, v34, v36
	v_add_f32_e32 v34, v34, v35
	;; [unrolled: 1-line block ×3, first 2 shown]
	v_cndmask_b32_e32 v34, v34, v81, vcc
	v_add_f32_e32 v34, v33, v34
.LBB451_71:
	s_or_b64 exec, exec, s[20:21]
	v_bfe_u32 v33, v34, 16, 1
	s_movk_i32 s24, 0x7fff
	v_add3_u32 v33, v34, v33, s24
	v_and_b32_e32 v35, 0xffff0000, v33
	v_mov_b32_e32 v33, 0x7fc00000
	v_cmp_o_f32_e32 vcc, v34, v34
	v_lshlrev_b32_sdwa v81, v32, v21 dst_sel:DWORD dst_unused:UNUSED_PAD src0_sel:DWORD src1_sel:WORD_0
	v_max_f32_e32 v87, v81, v81
	v_cndmask_b32_e32 v34, v33, v35, vcc
	v_max_f32_e32 v32, v34, v34
	v_min_f32_e32 v35, v32, v87
	v_cmp_u_f32_e32 vcc, v34, v34
	v_max_f32_e32 v32, v32, v87
	v_cmp_u_f32_e64 s[20:21], v81, v81
	v_cndmask_b32_e32 v35, v35, v34, vcc
	v_cndmask_b32_e32 v32, v32, v34, vcc
	v_cndmask_b32_e64 v35, v35, v81, s[20:21]
	v_cndmask_b32_e64 v32, v32, v81, s[20:21]
	v_cmp_neq_f32_e32 vcc, v35, v32
	v_cmp_class_f32_e64 s[22:23], v35, s13
	s_or_b64 s[26:27], vcc, s[22:23]
	s_and_saveexec_b64 s[22:23], s[26:27]
	s_cbranch_execz .LBB451_73
; %bb.72:
	v_sub_f32_e32 v34, v35, v32
	s_mov_b32 s13, 0x3fb8aa3b
	v_mul_f32_e32 v35, 0x3fb8aa3b, v34
	v_fma_f32 v36, v34, s13, -v35
	v_rndne_f32_e32 v37, v35
	v_fmamk_f32 v36, v34, 0x32a5705f, v36
	v_sub_f32_e32 v35, v35, v37
	v_add_f32_e32 v35, v35, v36
	v_exp_f32_e32 v35, v35
	v_cvt_i32_f32_e32 v36, v37
	s_mov_b32 s13, 0xc2ce8ed0
	v_cmp_ngt_f32_e32 vcc, s13, v34
	s_mov_b32 s13, 0x42b17218
	v_ldexp_f32 v35, v35, v36
	v_cndmask_b32_e32 v35, 0, v35, vcc
	v_mov_b32_e32 v36, 0x7f800000
	v_cmp_nlt_f32_e32 vcc, s13, v34
	s_mov_b32 s13, 0x3f2aaaab
	s_mov_b32 s25, 0x7f800000
	v_cndmask_b32_e32 v85, v36, v35, vcc
	v_add_f32_e32 v36, 1.0, v85
	v_add_f32_e32 v34, -1.0, v36
	v_sub_f32_e32 v35, v34, v36
	v_add_f32_e32 v35, 1.0, v35
	v_sub_f32_e32 v34, v85, v34
	v_add_f32_e32 v37, v34, v35
	v_frexp_mant_f32_e32 v38, v36
	v_cvt_f64_f32_e32 v[34:35], v36
	v_frexp_exp_i32_f64_e32 v34, v[34:35]
	v_cmp_gt_f32_e32 vcc, s13, v38
	s_mov_b32 s13, 0x3f317218
	s_nop 0
	v_subbrev_co_u32_e32 v82, vcc, 0, v34, vcc
	v_sub_u32_e32 v34, 0, v82
	v_ldexp_f32 v35, v36, v34
	v_add_f32_e32 v36, -1.0, v35
	v_add_f32_e32 v38, 1.0, v35
	v_ldexp_f32 v34, v37, v34
	v_add_f32_e32 v37, 1.0, v36
	v_add_f32_e32 v39, -1.0, v38
	v_sub_f32_e32 v37, v35, v37
	v_sub_f32_e32 v35, v35, v39
	v_add_f32_e32 v37, v34, v37
	v_add_f32_e32 v34, v34, v35
	;; [unrolled: 1-line block ×3, first 2 shown]
	v_rcp_f32_e32 v99, v86
	v_sub_f32_e32 v35, v38, v86
	v_add_f32_e32 v98, v34, v35
	v_add_f32_e32 v35, v36, v37
	v_mul_f32_e32 v101, v35, v99
	v_sub_f32_e32 v34, v36, v35
	v_mul_f32_e32 v36, v86, v101
	v_fma_f32 v38, v101, v86, -v36
	v_fmac_f32_e32 v38, v101, v98
	v_add_f32_e32 v100, v37, v34
	v_add_f32_e32 v34, v36, v38
	v_sub_f32_e32 v37, v35, v34
	v_pk_add_f32 v[96:97], v[34:35], v[36:37] neg_lo:[0,1] neg_hi:[0,1]
	v_mov_b32_e32 v39, v34
	v_pk_add_f32 v[34:35], v[96:97], v[38:39] neg_lo:[0,1] neg_hi:[0,1]
	v_cmp_eq_f32_e32 vcc, s25, v85
	v_add_f32_e32 v35, v100, v35
	v_add_f32_e32 v34, v34, v35
	v_add_f32_e32 v35, v37, v34
	v_mul_f32_e32 v100, v99, v35
	v_mul_f32_e32 v36, v86, v100
	v_fma_f32 v38, v100, v86, -v36
	v_fmac_f32_e32 v38, v100, v98
	v_sub_f32_e32 v37, v37, v35
	v_add_f32_e32 v86, v34, v37
	v_add_f32_e32 v34, v36, v38
	v_sub_f32_e32 v37, v35, v34
	v_pk_add_f32 v[96:97], v[34:35], v[36:37] neg_lo:[0,1] neg_hi:[0,1]
	v_mov_b32_e32 v39, v34
	v_pk_add_f32 v[34:35], v[96:97], v[38:39] neg_lo:[0,1] neg_hi:[0,1]
	v_cvt_f32_i32_e32 v36, v82
	v_add_f32_e32 v35, v86, v35
	v_add_f32_e32 v34, v34, v35
	;; [unrolled: 1-line block ×4, first 2 shown]
	v_sub_f32_e32 v35, v37, v101
	v_mul_f32_e32 v34, v99, v34
	v_sub_f32_e32 v35, v100, v35
	v_add_f32_e32 v34, v35, v34
	v_add_f32_e32 v38, v37, v34
	v_mul_f32_e32 v86, v38, v38
	v_mov_b32_e32 v35, 0x3ecc95a3
	v_sub_f32_e32 v37, v38, v37
	v_fmac_f32_e32 v35, 0x3e9b6dac, v86
	v_sub_f32_e32 v34, v34, v37
	v_fmaak_f32 v35, v86, v35, 0x3f2aaada
	v_ldexp_f32 v82, v34, 1
	v_mul_f32_e32 v37, v38, v86
	v_mov_b32_e32 v34, 0x3f317218
	v_pk_mul_f32 v[34:35], v[36:37], v[34:35]
	v_ldexp_f32 v39, v38, 1
	v_fma_f32 v37, v36, s13, -v34
	v_fmamk_f32 v38, v36, 0xb102e308, v37
	v_pk_add_f32 v[36:37], v[34:35], v[38:39]
	v_mov_b32_e32 v96, v34
	v_sub_f32_e32 v39, v37, v39
	v_sub_f32_e32 v39, v35, v39
	v_add_f32_e32 v97, v82, v39
	v_pk_add_f32 v[34:35], v[36:37], v[34:35] neg_lo:[0,1] neg_hi:[0,1]
	v_pk_add_f32 v[98:99], v[36:37], v[96:97]
	v_mov_b32_e32 v39, v36
	v_mov_b32_e32 v35, v99
	v_pk_add_f32 v[100:101], v[38:39], v[34:35] neg_lo:[0,1] neg_hi:[0,1]
	v_pk_add_f32 v[34:35], v[38:39], v[34:35]
	v_mov_b32_e32 v96, v97
	v_mov_b32_e32 v38, v35
	v_pk_add_f32 v[102:103], v[38:39], v[36:37] neg_lo:[0,1] neg_hi:[0,1]
	v_mov_b32_e32 v34, v99
	v_mov_b32_e32 v39, v102
	v_pk_add_f32 v[112:113], v[98:99], v[38:39] neg_lo:[0,1] neg_hi:[0,1]
	v_mov_b32_e32 v98, v37
	v_mov_b32_e32 v99, v102
	;; [unrolled: 1-line block ×3, first 2 shown]
	v_pk_add_f32 v[34:35], v[34:35], v[98:99] neg_lo:[0,1] neg_hi:[0,1]
	v_mov_b32_e32 v97, v36
	v_pk_add_f32 v[34:35], v[96:97], v[34:35] neg_lo:[0,1] neg_hi:[0,1]
	v_mov_b32_e32 v112, v100
	v_pk_add_f32 v[36:37], v[112:113], v[34:35]
	s_mov_b32 s13, 0x33800000
	v_mov_b32_e32 v82, v37
	v_pk_add_f32 v[96:97], v[36:37], v[82:83]
	v_cmp_lt_f32_e64 s[26:27], |v85|, s13
	v_pk_add_f32 v[38:39], v[38:39], v[96:97]
	v_mov_b32_e32 v35, v96
	v_mov_b32_e32 v37, v38
	v_pk_add_f32 v[98:99], v[36:37], v[100:101] neg_lo:[0,1] neg_hi:[0,1]
	s_or_b64 vcc, vcc, s[26:27]
	v_sub_f32_e32 v36, v36, v98
	v_pk_add_f32 v[34:35], v[34:35], v[98:99] neg_lo:[0,1] neg_hi:[0,1]
	v_sub_f32_e32 v36, v100, v36
	v_add_f32_e32 v34, v34, v36
	v_add_f32_e32 v34, v34, v35
	;; [unrolled: 1-line block ×3, first 2 shown]
	v_cndmask_b32_e32 v34, v34, v85, vcc
	v_add_f32_e32 v34, v32, v34
.LBB451_73:
	s_or_b64 exec, exec, s[22:23]
	v_bfe_u32 v32, v34, 16, 1
	v_add3_u32 v32, v34, v32, s24
	v_and_b32_e32 v32, 0xffff0000, v32
	v_cmp_o_f32_e32 vcc, v34, v34
	s_movk_i32 s13, 0x1f8
	s_nop 0
	v_cndmask_b32_e32 v34, v33, v32, vcc
	v_mov_b32_e32 v32, 16
	v_lshlrev_b32_sdwa v82, v32, v21 dst_sel:DWORD dst_unused:UNUSED_PAD src0_sel:DWORD src1_sel:WORD_1
	v_max_f32_e32 v33, v34, v34
	v_max_f32_e32 v96, v82, v82
	v_min_f32_e32 v35, v33, v96
	v_cmp_u_f32_e32 vcc, v34, v34
	v_max_f32_e32 v33, v33, v96
	v_cmp_u_f32_e64 s[22:23], v82, v82
	v_cndmask_b32_e32 v35, v35, v34, vcc
	v_cndmask_b32_e32 v33, v33, v34, vcc
	v_cndmask_b32_e64 v35, v35, v82, s[22:23]
	v_cndmask_b32_e64 v33, v33, v82, s[22:23]
	v_cmp_neq_f32_e32 vcc, v35, v33
	v_cmp_class_f32_e64 s[24:25], v35, s13
	s_or_b64 s[26:27], vcc, s[24:25]
	s_and_saveexec_b64 s[24:25], s[26:27]
	s_cbranch_execz .LBB451_75
; %bb.74:
	v_sub_f32_e32 v34, v35, v33
	s_mov_b32 s26, 0x3fb8aa3b
	v_mul_f32_e32 v35, 0x3fb8aa3b, v34
	v_fma_f32 v36, v34, s26, -v35
	v_rndne_f32_e32 v37, v35
	v_fmamk_f32 v36, v34, 0x32a5705f, v36
	v_sub_f32_e32 v35, v35, v37
	v_add_f32_e32 v35, v35, v36
	v_exp_f32_e32 v35, v35
	v_cvt_i32_f32_e32 v36, v37
	s_mov_b32 s26, 0xc2ce8ed0
	v_cmp_ngt_f32_e32 vcc, s26, v34
	s_mov_b32 s26, 0x42b17218
	v_ldexp_f32 v35, v35, v36
	v_cndmask_b32_e32 v35, 0, v35, vcc
	v_mov_b32_e32 v36, 0x7f800000
	v_cmp_nlt_f32_e32 vcc, s26, v34
	s_mov_b32 s26, 0x3f2aaaab
	s_mov_b32 s27, 0x7f800000
	v_cndmask_b32_e32 v85, v36, v35, vcc
	v_add_f32_e32 v36, 1.0, v85
	v_add_f32_e32 v34, -1.0, v36
	v_sub_f32_e32 v35, v34, v36
	v_add_f32_e32 v35, 1.0, v35
	v_sub_f32_e32 v34, v85, v34
	v_add_f32_e32 v37, v34, v35
	v_frexp_mant_f32_e32 v38, v36
	v_cvt_f64_f32_e32 v[34:35], v36
	v_frexp_exp_i32_f64_e32 v34, v[34:35]
	v_cmp_gt_f32_e32 vcc, s26, v38
	s_mov_b32 s26, 0x3f317218
	s_nop 0
	v_subbrev_co_u32_e32 v86, vcc, 0, v34, vcc
	v_sub_u32_e32 v34, 0, v86
	v_ldexp_f32 v35, v36, v34
	v_add_f32_e32 v36, -1.0, v35
	v_add_f32_e32 v38, 1.0, v35
	v_ldexp_f32 v34, v37, v34
	v_add_f32_e32 v37, 1.0, v36
	v_add_f32_e32 v39, -1.0, v38
	v_sub_f32_e32 v37, v35, v37
	v_sub_f32_e32 v35, v35, v39
	v_add_f32_e32 v37, v34, v37
	v_add_f32_e32 v34, v34, v35
	;; [unrolled: 1-line block ×3, first 2 shown]
	v_rcp_f32_e32 v101, v97
	v_sub_f32_e32 v35, v38, v97
	v_add_f32_e32 v100, v34, v35
	v_add_f32_e32 v35, v36, v37
	v_mul_f32_e32 v103, v35, v101
	v_sub_f32_e32 v34, v36, v35
	v_mul_f32_e32 v36, v97, v103
	v_fma_f32 v38, v103, v97, -v36
	v_fmac_f32_e32 v38, v103, v100
	v_add_f32_e32 v102, v37, v34
	v_add_f32_e32 v34, v36, v38
	v_sub_f32_e32 v37, v35, v34
	v_pk_add_f32 v[98:99], v[34:35], v[36:37] neg_lo:[0,1] neg_hi:[0,1]
	v_mov_b32_e32 v39, v34
	v_pk_add_f32 v[34:35], v[98:99], v[38:39] neg_lo:[0,1] neg_hi:[0,1]
	v_cmp_eq_f32_e32 vcc, s27, v85
	v_add_f32_e32 v35, v102, v35
	v_add_f32_e32 v34, v34, v35
	v_add_f32_e32 v35, v37, v34
	v_mul_f32_e32 v102, v101, v35
	v_mul_f32_e32 v36, v97, v102
	v_fma_f32 v38, v102, v97, -v36
	v_fmac_f32_e32 v38, v102, v100
	v_sub_f32_e32 v37, v37, v35
	v_add_f32_e32 v97, v34, v37
	v_add_f32_e32 v34, v36, v38
	v_sub_f32_e32 v37, v35, v34
	v_pk_add_f32 v[98:99], v[34:35], v[36:37] neg_lo:[0,1] neg_hi:[0,1]
	v_mov_b32_e32 v39, v34
	v_pk_add_f32 v[34:35], v[98:99], v[38:39] neg_lo:[0,1] neg_hi:[0,1]
	v_cvt_f32_i32_e32 v36, v86
	v_add_f32_e32 v35, v97, v35
	v_add_f32_e32 v34, v34, v35
	v_add_f32_e32 v34, v37, v34
	v_add_f32_e32 v37, v103, v102
	v_sub_f32_e32 v35, v37, v103
	v_mul_f32_e32 v34, v101, v34
	v_sub_f32_e32 v35, v102, v35
	v_add_f32_e32 v34, v35, v34
	v_add_f32_e32 v38, v37, v34
	v_mul_f32_e32 v97, v38, v38
	v_mov_b32_e32 v35, 0x3ecc95a3
	v_sub_f32_e32 v37, v38, v37
	v_fmac_f32_e32 v35, 0x3e9b6dac, v97
	v_sub_f32_e32 v34, v34, v37
	v_fmaak_f32 v35, v97, v35, 0x3f2aaada
	v_ldexp_f32 v86, v34, 1
	v_mul_f32_e32 v37, v38, v97
	v_mov_b32_e32 v34, 0x3f317218
	v_pk_mul_f32 v[34:35], v[36:37], v[34:35]
	v_ldexp_f32 v39, v38, 1
	v_fma_f32 v37, v36, s26, -v34
	v_fmamk_f32 v38, v36, 0xb102e308, v37
	v_pk_add_f32 v[36:37], v[34:35], v[38:39]
	v_mov_b32_e32 v98, v34
	v_sub_f32_e32 v39, v37, v39
	v_sub_f32_e32 v39, v35, v39
	v_add_f32_e32 v99, v86, v39
	v_pk_add_f32 v[34:35], v[36:37], v[34:35] neg_lo:[0,1] neg_hi:[0,1]
	v_pk_add_f32 v[100:101], v[36:37], v[98:99]
	v_mov_b32_e32 v39, v36
	v_mov_b32_e32 v35, v101
	v_pk_add_f32 v[102:103], v[38:39], v[34:35] neg_lo:[0,1] neg_hi:[0,1]
	v_pk_add_f32 v[34:35], v[38:39], v[34:35]
	v_mov_b32_e32 v98, v99
	v_mov_b32_e32 v38, v35
	v_pk_add_f32 v[112:113], v[38:39], v[36:37] neg_lo:[0,1] neg_hi:[0,1]
	v_mov_b32_e32 v34, v101
	v_mov_b32_e32 v39, v112
	v_pk_add_f32 v[114:115], v[100:101], v[38:39] neg_lo:[0,1] neg_hi:[0,1]
	v_mov_b32_e32 v100, v37
	v_mov_b32_e32 v101, v112
	;; [unrolled: 1-line block ×3, first 2 shown]
	v_pk_add_f32 v[34:35], v[34:35], v[100:101] neg_lo:[0,1] neg_hi:[0,1]
	v_mov_b32_e32 v99, v36
	v_pk_add_f32 v[34:35], v[98:99], v[34:35] neg_lo:[0,1] neg_hi:[0,1]
	v_mov_b32_e32 v114, v102
	v_pk_add_f32 v[36:37], v[114:115], v[34:35]
	s_mov_b32 s26, 0x33800000
	v_mov_b32_e32 v86, v37
	v_pk_add_f32 v[98:99], v[36:37], v[86:87]
	v_cmp_lt_f32_e64 s[26:27], |v85|, s26
	v_pk_add_f32 v[38:39], v[38:39], v[98:99]
	v_mov_b32_e32 v35, v98
	v_mov_b32_e32 v37, v38
	v_pk_add_f32 v[100:101], v[36:37], v[102:103] neg_lo:[0,1] neg_hi:[0,1]
	s_or_b64 vcc, vcc, s[26:27]
	v_sub_f32_e32 v36, v36, v100
	v_pk_add_f32 v[34:35], v[34:35], v[100:101] neg_lo:[0,1] neg_hi:[0,1]
	v_sub_f32_e32 v36, v102, v36
	v_add_f32_e32 v34, v34, v36
	v_add_f32_e32 v34, v34, v35
	v_add_f32_e32 v34, v38, v34
	v_cndmask_b32_e32 v34, v34, v85, vcc
	v_add_f32_e32 v34, v33, v34
.LBB451_75:
	s_or_b64 exec, exec, s[24:25]
	v_bfe_u32 v33, v34, 16, 1
	s_movk_i32 s28, 0x7fff
	v_add3_u32 v33, v34, v33, s28
	v_and_b32_e32 v35, 0xffff0000, v33
	v_mov_b32_e32 v33, 0x7fc00000
	v_cmp_o_f32_e32 vcc, v34, v34
	v_lshlrev_b32_sdwa v85, v32, v22 dst_sel:DWORD dst_unused:UNUSED_PAD src0_sel:DWORD src1_sel:WORD_0
	v_max_f32_e32 v99, v85, v85
	v_cndmask_b32_e32 v34, v33, v35, vcc
	v_max_f32_e32 v32, v34, v34
	v_min_f32_e32 v35, v32, v99
	v_cmp_u_f32_e32 vcc, v34, v34
	v_max_f32_e32 v32, v32, v99
	v_cmp_u_f32_e64 s[24:25], v85, v85
	v_cndmask_b32_e32 v35, v35, v34, vcc
	v_cndmask_b32_e32 v32, v32, v34, vcc
	v_cndmask_b32_e64 v35, v35, v85, s[24:25]
	v_cndmask_b32_e64 v32, v32, v85, s[24:25]
	v_cmp_neq_f32_e32 vcc, v35, v32
	v_cmp_class_f32_e64 s[26:27], v35, s13
	s_or_b64 vcc, vcc, s[26:27]
	s_and_saveexec_b64 s[26:27], vcc
	s_cbranch_execz .LBB451_77
; %bb.76:
	v_sub_f32_e32 v34, v35, v32
	s_mov_b32 s13, 0x3fb8aa3b
	v_mul_f32_e32 v35, 0x3fb8aa3b, v34
	v_fma_f32 v36, v34, s13, -v35
	v_rndne_f32_e32 v37, v35
	v_fmamk_f32 v36, v34, 0x32a5705f, v36
	v_sub_f32_e32 v35, v35, v37
	v_add_f32_e32 v35, v35, v36
	v_exp_f32_e32 v35, v35
	v_cvt_i32_f32_e32 v36, v37
	s_mov_b32 s13, 0xc2ce8ed0
	v_cmp_ngt_f32_e32 vcc, s13, v34
	s_mov_b32 s13, 0x42b17218
	v_ldexp_f32 v35, v35, v36
	v_cndmask_b32_e32 v35, 0, v35, vcc
	v_mov_b32_e32 v36, 0x7f800000
	v_cmp_nlt_f32_e32 vcc, s13, v34
	s_mov_b32 s13, 0x3f2aaaab
	s_mov_b32 s29, 0x7f800000
	v_cndmask_b32_e32 v97, v36, v35, vcc
	v_add_f32_e32 v36, 1.0, v97
	v_add_f32_e32 v34, -1.0, v36
	v_sub_f32_e32 v35, v34, v36
	v_add_f32_e32 v35, 1.0, v35
	v_sub_f32_e32 v34, v97, v34
	v_add_f32_e32 v37, v34, v35
	v_frexp_mant_f32_e32 v38, v36
	v_cvt_f64_f32_e32 v[34:35], v36
	v_frexp_exp_i32_f64_e32 v34, v[34:35]
	v_cmp_gt_f32_e32 vcc, s13, v38
	s_mov_b32 s13, 0x3f317218
	s_nop 0
	v_subbrev_co_u32_e32 v86, vcc, 0, v34, vcc
	v_sub_u32_e32 v34, 0, v86
	v_ldexp_f32 v35, v36, v34
	v_add_f32_e32 v36, -1.0, v35
	v_add_f32_e32 v38, 1.0, v35
	v_ldexp_f32 v34, v37, v34
	v_add_f32_e32 v37, 1.0, v36
	v_add_f32_e32 v39, -1.0, v38
	v_sub_f32_e32 v37, v35, v37
	v_sub_f32_e32 v35, v35, v39
	v_add_f32_e32 v37, v34, v37
	v_add_f32_e32 v34, v34, v35
	;; [unrolled: 1-line block ×3, first 2 shown]
	v_rcp_f32_e32 v103, v98
	v_sub_f32_e32 v35, v38, v98
	v_add_f32_e32 v102, v34, v35
	v_add_f32_e32 v35, v36, v37
	v_mul_f32_e32 v113, v35, v103
	v_sub_f32_e32 v34, v36, v35
	v_mul_f32_e32 v36, v98, v113
	v_fma_f32 v38, v113, v98, -v36
	v_fmac_f32_e32 v38, v113, v102
	v_add_f32_e32 v112, v37, v34
	v_add_f32_e32 v34, v36, v38
	v_sub_f32_e32 v37, v35, v34
	v_pk_add_f32 v[100:101], v[34:35], v[36:37] neg_lo:[0,1] neg_hi:[0,1]
	v_mov_b32_e32 v39, v34
	v_pk_add_f32 v[34:35], v[100:101], v[38:39] neg_lo:[0,1] neg_hi:[0,1]
	v_cmp_eq_f32_e32 vcc, s29, v97
	v_add_f32_e32 v35, v112, v35
	v_add_f32_e32 v34, v34, v35
	;; [unrolled: 1-line block ×3, first 2 shown]
	v_mul_f32_e32 v112, v103, v35
	v_mul_f32_e32 v36, v98, v112
	v_fma_f32 v38, v112, v98, -v36
	v_fmac_f32_e32 v38, v112, v102
	v_sub_f32_e32 v37, v37, v35
	v_add_f32_e32 v98, v34, v37
	v_add_f32_e32 v34, v36, v38
	v_sub_f32_e32 v37, v35, v34
	v_pk_add_f32 v[100:101], v[34:35], v[36:37] neg_lo:[0,1] neg_hi:[0,1]
	v_mov_b32_e32 v39, v34
	v_pk_add_f32 v[34:35], v[100:101], v[38:39] neg_lo:[0,1] neg_hi:[0,1]
	v_cvt_f32_i32_e32 v36, v86
	v_add_f32_e32 v35, v98, v35
	v_add_f32_e32 v34, v34, v35
	;; [unrolled: 1-line block ×4, first 2 shown]
	v_sub_f32_e32 v35, v37, v113
	v_mul_f32_e32 v34, v103, v34
	v_sub_f32_e32 v35, v112, v35
	v_add_f32_e32 v34, v35, v34
	v_add_f32_e32 v38, v37, v34
	v_mul_f32_e32 v98, v38, v38
	v_mov_b32_e32 v35, 0x3ecc95a3
	v_sub_f32_e32 v37, v38, v37
	v_fmac_f32_e32 v35, 0x3e9b6dac, v98
	v_sub_f32_e32 v34, v34, v37
	v_fmaak_f32 v35, v98, v35, 0x3f2aaada
	v_ldexp_f32 v86, v34, 1
	v_mul_f32_e32 v37, v38, v98
	v_mov_b32_e32 v34, 0x3f317218
	v_pk_mul_f32 v[34:35], v[36:37], v[34:35]
	v_ldexp_f32 v39, v38, 1
	v_fma_f32 v37, v36, s13, -v34
	v_fmamk_f32 v38, v36, 0xb102e308, v37
	v_pk_add_f32 v[36:37], v[34:35], v[38:39]
	v_mov_b32_e32 v100, v34
	v_sub_f32_e32 v39, v37, v39
	v_sub_f32_e32 v39, v35, v39
	v_add_f32_e32 v101, v86, v39
	v_pk_add_f32 v[34:35], v[36:37], v[34:35] neg_lo:[0,1] neg_hi:[0,1]
	v_pk_add_f32 v[102:103], v[36:37], v[100:101]
	v_mov_b32_e32 v39, v36
	v_mov_b32_e32 v35, v103
	v_pk_add_f32 v[112:113], v[38:39], v[34:35] neg_lo:[0,1] neg_hi:[0,1]
	v_pk_add_f32 v[34:35], v[38:39], v[34:35]
	v_mov_b32_e32 v100, v101
	v_mov_b32_e32 v38, v35
	v_pk_add_f32 v[114:115], v[38:39], v[36:37] neg_lo:[0,1] neg_hi:[0,1]
	v_mov_b32_e32 v34, v103
	v_mov_b32_e32 v39, v114
	v_pk_add_f32 v[116:117], v[102:103], v[38:39] neg_lo:[0,1] neg_hi:[0,1]
	v_mov_b32_e32 v102, v37
	v_mov_b32_e32 v103, v114
	;; [unrolled: 1-line block ×3, first 2 shown]
	v_pk_add_f32 v[34:35], v[34:35], v[102:103] neg_lo:[0,1] neg_hi:[0,1]
	v_mov_b32_e32 v101, v36
	v_pk_add_f32 v[34:35], v[100:101], v[34:35] neg_lo:[0,1] neg_hi:[0,1]
	v_mov_b32_e32 v116, v112
	v_pk_add_f32 v[36:37], v[116:117], v[34:35]
	s_mov_b32 s13, 0x33800000
	v_mov_b32_e32 v86, v37
	v_pk_add_f32 v[100:101], v[36:37], v[86:87]
	v_cmp_lt_f32_e64 s[30:31], |v97|, s13
	v_pk_add_f32 v[38:39], v[38:39], v[100:101]
	v_mov_b32_e32 v35, v100
	v_mov_b32_e32 v37, v38
	v_pk_add_f32 v[102:103], v[36:37], v[112:113] neg_lo:[0,1] neg_hi:[0,1]
	s_or_b64 vcc, vcc, s[30:31]
	v_sub_f32_e32 v36, v36, v102
	v_pk_add_f32 v[34:35], v[34:35], v[102:103] neg_lo:[0,1] neg_hi:[0,1]
	v_sub_f32_e32 v36, v112, v36
	v_add_f32_e32 v34, v34, v36
	v_add_f32_e32 v34, v34, v35
	;; [unrolled: 1-line block ×3, first 2 shown]
	v_cndmask_b32_e32 v34, v34, v97, vcc
	v_add_f32_e32 v34, v32, v34
.LBB451_77:
	s_or_b64 exec, exec, s[26:27]
	v_bfe_u32 v32, v34, 16, 1
	v_add3_u32 v32, v34, v32, s28
	v_and_b32_e32 v32, 0xffff0000, v32
	v_cmp_o_f32_e32 vcc, v34, v34
	s_movk_i32 s13, 0x1f8
	s_nop 0
	v_cndmask_b32_e32 v34, v33, v32, vcc
	v_mov_b32_e32 v32, 16
	v_lshlrev_b32_sdwa v86, v32, v22 dst_sel:DWORD dst_unused:UNUSED_PAD src0_sel:DWORD src1_sel:WORD_1
	v_max_f32_e32 v33, v34, v34
	v_max_f32_e32 v100, v86, v86
	v_min_f32_e32 v35, v33, v100
	v_cmp_u_f32_e32 vcc, v34, v34
	v_max_f32_e32 v33, v33, v100
	v_cmp_u_f32_e64 s[26:27], v86, v86
	v_cndmask_b32_e32 v35, v35, v34, vcc
	v_cndmask_b32_e32 v33, v33, v34, vcc
	v_cndmask_b32_e64 v35, v35, v86, s[26:27]
	v_cndmask_b32_e64 v33, v33, v86, s[26:27]
	v_cmp_neq_f32_e32 vcc, v35, v33
	v_cmp_class_f32_e64 s[28:29], v35, s13
	s_or_b64 vcc, vcc, s[28:29]
	s_and_saveexec_b64 s[28:29], vcc
	s_cbranch_execz .LBB451_79
; %bb.78:
	v_sub_f32_e32 v34, v35, v33
	s_mov_b32 s30, 0x3fb8aa3b
	v_mul_f32_e32 v35, 0x3fb8aa3b, v34
	v_fma_f32 v36, v34, s30, -v35
	v_rndne_f32_e32 v37, v35
	v_fmamk_f32 v36, v34, 0x32a5705f, v36
	v_sub_f32_e32 v35, v35, v37
	v_add_f32_e32 v35, v35, v36
	v_exp_f32_e32 v35, v35
	v_cvt_i32_f32_e32 v36, v37
	s_mov_b32 s30, 0xc2ce8ed0
	v_cmp_ngt_f32_e32 vcc, s30, v34
	s_mov_b32 s30, 0x42b17218
	v_ldexp_f32 v35, v35, v36
	v_cndmask_b32_e32 v35, 0, v35, vcc
	v_mov_b32_e32 v36, 0x7f800000
	v_cmp_nlt_f32_e32 vcc, s30, v34
	s_mov_b32 s30, 0x3f2aaaab
	s_mov_b32 s31, 0x7f800000
	v_cndmask_b32_e32 v97, v36, v35, vcc
	v_add_f32_e32 v36, 1.0, v97
	v_add_f32_e32 v34, -1.0, v36
	v_sub_f32_e32 v35, v34, v36
	v_add_f32_e32 v35, 1.0, v35
	v_sub_f32_e32 v34, v97, v34
	v_add_f32_e32 v37, v34, v35
	v_frexp_mant_f32_e32 v38, v36
	v_cvt_f64_f32_e32 v[34:35], v36
	v_frexp_exp_i32_f64_e32 v34, v[34:35]
	v_cmp_gt_f32_e32 vcc, s30, v38
	s_mov_b32 s30, 0x3f317218
	s_nop 0
	v_subbrev_co_u32_e32 v98, vcc, 0, v34, vcc
	v_sub_u32_e32 v34, 0, v98
	v_ldexp_f32 v35, v36, v34
	v_add_f32_e32 v36, -1.0, v35
	v_add_f32_e32 v38, 1.0, v35
	v_ldexp_f32 v34, v37, v34
	v_add_f32_e32 v37, 1.0, v36
	v_add_f32_e32 v39, -1.0, v38
	v_sub_f32_e32 v37, v35, v37
	v_sub_f32_e32 v35, v35, v39
	v_add_f32_e32 v37, v34, v37
	v_add_f32_e32 v34, v34, v35
	;; [unrolled: 1-line block ×3, first 2 shown]
	v_rcp_f32_e32 v113, v101
	v_sub_f32_e32 v35, v38, v101
	v_add_f32_e32 v112, v34, v35
	v_add_f32_e32 v35, v36, v37
	v_mul_f32_e32 v115, v35, v113
	v_sub_f32_e32 v34, v36, v35
	v_mul_f32_e32 v36, v101, v115
	v_fma_f32 v38, v115, v101, -v36
	v_fmac_f32_e32 v38, v115, v112
	v_add_f32_e32 v114, v37, v34
	v_add_f32_e32 v34, v36, v38
	v_sub_f32_e32 v37, v35, v34
	v_pk_add_f32 v[102:103], v[34:35], v[36:37] neg_lo:[0,1] neg_hi:[0,1]
	v_mov_b32_e32 v39, v34
	v_pk_add_f32 v[34:35], v[102:103], v[38:39] neg_lo:[0,1] neg_hi:[0,1]
	v_cmp_eq_f32_e32 vcc, s31, v97
	v_add_f32_e32 v35, v114, v35
	v_add_f32_e32 v34, v34, v35
	;; [unrolled: 1-line block ×3, first 2 shown]
	v_mul_f32_e32 v114, v113, v35
	v_mul_f32_e32 v36, v101, v114
	v_fma_f32 v38, v114, v101, -v36
	v_fmac_f32_e32 v38, v114, v112
	v_sub_f32_e32 v37, v37, v35
	v_add_f32_e32 v101, v34, v37
	v_add_f32_e32 v34, v36, v38
	v_sub_f32_e32 v37, v35, v34
	v_pk_add_f32 v[102:103], v[34:35], v[36:37] neg_lo:[0,1] neg_hi:[0,1]
	v_mov_b32_e32 v39, v34
	v_pk_add_f32 v[34:35], v[102:103], v[38:39] neg_lo:[0,1] neg_hi:[0,1]
	v_cvt_f32_i32_e32 v36, v98
	v_add_f32_e32 v35, v101, v35
	v_add_f32_e32 v34, v34, v35
	;; [unrolled: 1-line block ×4, first 2 shown]
	v_sub_f32_e32 v35, v37, v115
	v_mul_f32_e32 v34, v113, v34
	v_sub_f32_e32 v35, v114, v35
	v_add_f32_e32 v34, v35, v34
	v_add_f32_e32 v38, v37, v34
	v_mul_f32_e32 v101, v38, v38
	v_mov_b32_e32 v35, 0x3ecc95a3
	v_sub_f32_e32 v37, v38, v37
	v_fmac_f32_e32 v35, 0x3e9b6dac, v101
	v_sub_f32_e32 v34, v34, v37
	v_fmaak_f32 v35, v101, v35, 0x3f2aaada
	v_ldexp_f32 v98, v34, 1
	v_mul_f32_e32 v37, v38, v101
	v_mov_b32_e32 v34, 0x3f317218
	v_pk_mul_f32 v[34:35], v[36:37], v[34:35]
	v_ldexp_f32 v39, v38, 1
	v_fma_f32 v37, v36, s30, -v34
	v_fmamk_f32 v38, v36, 0xb102e308, v37
	v_pk_add_f32 v[36:37], v[34:35], v[38:39]
	v_mov_b32_e32 v102, v34
	v_sub_f32_e32 v39, v37, v39
	v_sub_f32_e32 v39, v35, v39
	v_add_f32_e32 v103, v98, v39
	v_pk_add_f32 v[34:35], v[36:37], v[34:35] neg_lo:[0,1] neg_hi:[0,1]
	v_pk_add_f32 v[112:113], v[36:37], v[102:103]
	v_mov_b32_e32 v39, v36
	v_mov_b32_e32 v35, v113
	v_pk_add_f32 v[114:115], v[38:39], v[34:35] neg_lo:[0,1] neg_hi:[0,1]
	v_pk_add_f32 v[34:35], v[38:39], v[34:35]
	v_mov_b32_e32 v102, v103
	v_mov_b32_e32 v38, v35
	v_pk_add_f32 v[116:117], v[38:39], v[36:37] neg_lo:[0,1] neg_hi:[0,1]
	v_mov_b32_e32 v34, v113
	v_mov_b32_e32 v39, v116
	v_pk_add_f32 v[118:119], v[112:113], v[38:39] neg_lo:[0,1] neg_hi:[0,1]
	v_mov_b32_e32 v112, v37
	v_mov_b32_e32 v113, v116
	;; [unrolled: 1-line block ×3, first 2 shown]
	v_pk_add_f32 v[34:35], v[34:35], v[112:113] neg_lo:[0,1] neg_hi:[0,1]
	v_mov_b32_e32 v103, v36
	v_pk_add_f32 v[34:35], v[102:103], v[34:35] neg_lo:[0,1] neg_hi:[0,1]
	v_mov_b32_e32 v118, v114
	v_pk_add_f32 v[36:37], v[118:119], v[34:35]
	s_mov_b32 s30, 0x33800000
	v_mov_b32_e32 v98, v37
	v_pk_add_f32 v[102:103], v[36:37], v[98:99]
	v_cmp_lt_f32_e64 s[30:31], |v97|, s30
	v_pk_add_f32 v[38:39], v[38:39], v[102:103]
	v_mov_b32_e32 v35, v102
	v_mov_b32_e32 v37, v38
	v_pk_add_f32 v[112:113], v[36:37], v[114:115] neg_lo:[0,1] neg_hi:[0,1]
	s_or_b64 vcc, vcc, s[30:31]
	v_sub_f32_e32 v36, v36, v112
	v_pk_add_f32 v[34:35], v[34:35], v[112:113] neg_lo:[0,1] neg_hi:[0,1]
	v_sub_f32_e32 v36, v114, v36
	v_add_f32_e32 v34, v34, v36
	v_add_f32_e32 v34, v34, v35
	;; [unrolled: 1-line block ×3, first 2 shown]
	v_cndmask_b32_e32 v34, v34, v97, vcc
	v_add_f32_e32 v34, v33, v34
.LBB451_79:
	s_or_b64 exec, exec, s[28:29]
	v_bfe_u32 v33, v34, 16, 1
	s_movk_i32 s34, 0x7fff
	v_add3_u32 v33, v34, v33, s34
	v_and_b32_e32 v35, 0xffff0000, v33
	v_mov_b32_e32 v33, 0x7fc00000
	v_cmp_o_f32_e32 vcc, v34, v34
	v_lshlrev_b32_sdwa v97, v32, v23 dst_sel:DWORD dst_unused:UNUSED_PAD src0_sel:DWORD src1_sel:WORD_0
	v_max_f32_e32 v103, v97, v97
	v_cndmask_b32_e32 v34, v33, v35, vcc
	v_max_f32_e32 v32, v34, v34
	v_min_f32_e32 v35, v32, v103
	v_cmp_u_f32_e32 vcc, v34, v34
	v_max_f32_e32 v32, v32, v103
	v_cmp_u_f32_e64 s[28:29], v97, v97
	v_cndmask_b32_e32 v35, v35, v34, vcc
	v_cndmask_b32_e32 v32, v32, v34, vcc
	v_cndmask_b32_e64 v35, v35, v97, s[28:29]
	v_cndmask_b32_e64 v32, v32, v97, s[28:29]
	v_cmp_neq_f32_e32 vcc, v35, v32
	v_cmp_class_f32_e64 s[30:31], v35, s13
	s_or_b64 vcc, vcc, s[30:31]
	s_and_saveexec_b64 s[30:31], vcc
	s_cbranch_execz .LBB451_81
; %bb.80:
	v_sub_f32_e32 v34, v35, v32
	s_mov_b32 s13, 0x3fb8aa3b
	v_mul_f32_e32 v35, 0x3fb8aa3b, v34
	v_fma_f32 v36, v34, s13, -v35
	v_rndne_f32_e32 v37, v35
	v_fmamk_f32 v36, v34, 0x32a5705f, v36
	v_sub_f32_e32 v35, v35, v37
	v_add_f32_e32 v35, v35, v36
	v_exp_f32_e32 v35, v35
	v_cvt_i32_f32_e32 v36, v37
	s_mov_b32 s13, 0xc2ce8ed0
	v_cmp_ngt_f32_e32 vcc, s13, v34
	s_mov_b32 s13, 0x42b17218
	v_ldexp_f32 v35, v35, v36
	v_cndmask_b32_e32 v35, 0, v35, vcc
	v_mov_b32_e32 v36, 0x7f800000
	v_cmp_nlt_f32_e32 vcc, s13, v34
	s_mov_b32 s13, 0x3f2aaaab
	s_mov_b32 s35, 0x7f800000
	v_cndmask_b32_e32 v101, v36, v35, vcc
	v_add_f32_e32 v36, 1.0, v101
	v_add_f32_e32 v34, -1.0, v36
	v_sub_f32_e32 v35, v34, v36
	v_add_f32_e32 v35, 1.0, v35
	v_sub_f32_e32 v34, v101, v34
	v_add_f32_e32 v37, v34, v35
	v_frexp_mant_f32_e32 v38, v36
	v_cvt_f64_f32_e32 v[34:35], v36
	v_frexp_exp_i32_f64_e32 v34, v[34:35]
	v_cmp_gt_f32_e32 vcc, s13, v38
	s_mov_b32 s13, 0x3f317218
	s_nop 0
	v_subbrev_co_u32_e32 v98, vcc, 0, v34, vcc
	v_sub_u32_e32 v34, 0, v98
	v_ldexp_f32 v35, v36, v34
	v_add_f32_e32 v36, -1.0, v35
	v_add_f32_e32 v38, 1.0, v35
	v_ldexp_f32 v34, v37, v34
	v_add_f32_e32 v37, 1.0, v36
	v_add_f32_e32 v39, -1.0, v38
	v_sub_f32_e32 v37, v35, v37
	v_sub_f32_e32 v35, v35, v39
	v_add_f32_e32 v37, v34, v37
	v_add_f32_e32 v34, v34, v35
	;; [unrolled: 1-line block ×3, first 2 shown]
	v_rcp_f32_e32 v115, v102
	v_sub_f32_e32 v35, v38, v102
	v_add_f32_e32 v114, v34, v35
	v_add_f32_e32 v35, v36, v37
	v_mul_f32_e32 v117, v35, v115
	v_sub_f32_e32 v34, v36, v35
	v_mul_f32_e32 v36, v102, v117
	v_fma_f32 v38, v117, v102, -v36
	v_fmac_f32_e32 v38, v117, v114
	v_add_f32_e32 v116, v37, v34
	v_add_f32_e32 v34, v36, v38
	v_sub_f32_e32 v37, v35, v34
	v_pk_add_f32 v[112:113], v[34:35], v[36:37] neg_lo:[0,1] neg_hi:[0,1]
	v_mov_b32_e32 v39, v34
	v_pk_add_f32 v[34:35], v[112:113], v[38:39] neg_lo:[0,1] neg_hi:[0,1]
	v_cmp_eq_f32_e32 vcc, s35, v101
	v_add_f32_e32 v35, v116, v35
	v_add_f32_e32 v34, v34, v35
	v_add_f32_e32 v35, v37, v34
	v_mul_f32_e32 v116, v115, v35
	v_mul_f32_e32 v36, v102, v116
	v_fma_f32 v38, v116, v102, -v36
	v_fmac_f32_e32 v38, v116, v114
	v_sub_f32_e32 v37, v37, v35
	v_add_f32_e32 v102, v34, v37
	v_add_f32_e32 v34, v36, v38
	v_sub_f32_e32 v37, v35, v34
	v_pk_add_f32 v[112:113], v[34:35], v[36:37] neg_lo:[0,1] neg_hi:[0,1]
	v_mov_b32_e32 v39, v34
	v_pk_add_f32 v[34:35], v[112:113], v[38:39] neg_lo:[0,1] neg_hi:[0,1]
	v_cvt_f32_i32_e32 v36, v98
	v_add_f32_e32 v35, v102, v35
	v_add_f32_e32 v34, v34, v35
	;; [unrolled: 1-line block ×4, first 2 shown]
	v_sub_f32_e32 v35, v37, v117
	v_mul_f32_e32 v34, v115, v34
	v_sub_f32_e32 v35, v116, v35
	v_add_f32_e32 v34, v35, v34
	v_add_f32_e32 v38, v37, v34
	v_mul_f32_e32 v102, v38, v38
	v_mov_b32_e32 v35, 0x3ecc95a3
	v_sub_f32_e32 v37, v38, v37
	v_fmac_f32_e32 v35, 0x3e9b6dac, v102
	v_sub_f32_e32 v34, v34, v37
	v_fmaak_f32 v35, v102, v35, 0x3f2aaada
	v_ldexp_f32 v98, v34, 1
	v_mul_f32_e32 v37, v38, v102
	v_mov_b32_e32 v34, 0x3f317218
	v_pk_mul_f32 v[34:35], v[36:37], v[34:35]
	v_ldexp_f32 v39, v38, 1
	v_fma_f32 v37, v36, s13, -v34
	v_fmamk_f32 v38, v36, 0xb102e308, v37
	v_pk_add_f32 v[36:37], v[34:35], v[38:39]
	v_mov_b32_e32 v112, v34
	v_sub_f32_e32 v39, v37, v39
	v_sub_f32_e32 v39, v35, v39
	v_add_f32_e32 v113, v98, v39
	v_pk_add_f32 v[34:35], v[36:37], v[34:35] neg_lo:[0,1] neg_hi:[0,1]
	v_pk_add_f32 v[114:115], v[36:37], v[112:113]
	v_mov_b32_e32 v39, v36
	v_mov_b32_e32 v35, v115
	v_pk_add_f32 v[116:117], v[38:39], v[34:35] neg_lo:[0,1] neg_hi:[0,1]
	v_pk_add_f32 v[34:35], v[38:39], v[34:35]
	v_mov_b32_e32 v112, v113
	v_mov_b32_e32 v38, v35
	v_pk_add_f32 v[118:119], v[38:39], v[36:37] neg_lo:[0,1] neg_hi:[0,1]
	v_mov_b32_e32 v34, v115
	v_mov_b32_e32 v39, v118
	v_pk_add_f32 v[128:129], v[114:115], v[38:39] neg_lo:[0,1] neg_hi:[0,1]
	v_mov_b32_e32 v114, v37
	v_mov_b32_e32 v115, v118
	;; [unrolled: 1-line block ×3, first 2 shown]
	v_pk_add_f32 v[34:35], v[34:35], v[114:115] neg_lo:[0,1] neg_hi:[0,1]
	v_mov_b32_e32 v113, v36
	v_pk_add_f32 v[34:35], v[112:113], v[34:35] neg_lo:[0,1] neg_hi:[0,1]
	v_mov_b32_e32 v128, v116
	v_pk_add_f32 v[36:37], v[128:129], v[34:35]
	s_mov_b32 s13, 0x33800000
	v_mov_b32_e32 v98, v37
	v_pk_add_f32 v[112:113], v[36:37], v[98:99]
	v_cmp_lt_f32_e64 s[36:37], |v101|, s13
	v_pk_add_f32 v[38:39], v[38:39], v[112:113]
	v_mov_b32_e32 v35, v112
	v_mov_b32_e32 v37, v38
	v_pk_add_f32 v[114:115], v[36:37], v[116:117] neg_lo:[0,1] neg_hi:[0,1]
	s_or_b64 vcc, vcc, s[36:37]
	v_sub_f32_e32 v36, v36, v114
	v_pk_add_f32 v[34:35], v[34:35], v[114:115] neg_lo:[0,1] neg_hi:[0,1]
	v_sub_f32_e32 v36, v116, v36
	v_add_f32_e32 v34, v34, v36
	v_add_f32_e32 v34, v34, v35
	;; [unrolled: 1-line block ×3, first 2 shown]
	v_cndmask_b32_e32 v34, v34, v101, vcc
	v_add_f32_e32 v34, v32, v34
.LBB451_81:
	s_or_b64 exec, exec, s[30:31]
	v_bfe_u32 v32, v34, 16, 1
	v_add3_u32 v32, v34, v32, s34
	v_and_b32_e32 v32, 0xffff0000, v32
	v_cmp_o_f32_e32 vcc, v34, v34
	s_movk_i32 s13, 0x1f8
	s_nop 0
	v_cndmask_b32_e32 v34, v33, v32, vcc
	v_mov_b32_e32 v32, 16
	v_lshlrev_b32_sdwa v98, v32, v23 dst_sel:DWORD dst_unused:UNUSED_PAD src0_sel:DWORD src1_sel:WORD_1
	v_max_f32_e32 v33, v34, v34
	v_max_f32_e32 v112, v98, v98
	v_min_f32_e32 v35, v33, v112
	v_cmp_u_f32_e32 vcc, v34, v34
	v_max_f32_e32 v33, v33, v112
	v_cmp_u_f32_e64 s[30:31], v98, v98
	v_cndmask_b32_e32 v35, v35, v34, vcc
	v_cndmask_b32_e32 v33, v33, v34, vcc
	v_cndmask_b32_e64 v35, v35, v98, s[30:31]
	v_cndmask_b32_e64 v33, v33, v98, s[30:31]
	v_cmp_neq_f32_e32 vcc, v35, v33
	v_cmp_class_f32_e64 s[34:35], v35, s13
	s_or_b64 vcc, vcc, s[34:35]
	s_and_saveexec_b64 s[34:35], vcc
	s_cbranch_execz .LBB451_83
; %bb.82:
	v_sub_f32_e32 v34, v35, v33
	s_mov_b32 s36, 0x3fb8aa3b
	v_mul_f32_e32 v35, 0x3fb8aa3b, v34
	v_fma_f32 v36, v34, s36, -v35
	v_rndne_f32_e32 v37, v35
	v_fmamk_f32 v36, v34, 0x32a5705f, v36
	v_sub_f32_e32 v35, v35, v37
	v_add_f32_e32 v35, v35, v36
	v_exp_f32_e32 v35, v35
	v_cvt_i32_f32_e32 v36, v37
	s_mov_b32 s36, 0xc2ce8ed0
	v_cmp_ngt_f32_e32 vcc, s36, v34
	s_mov_b32 s36, 0x42b17218
	v_ldexp_f32 v35, v35, v36
	v_cndmask_b32_e32 v35, 0, v35, vcc
	v_mov_b32_e32 v36, 0x7f800000
	v_cmp_nlt_f32_e32 vcc, s36, v34
	s_mov_b32 s36, 0x3f2aaaab
	s_mov_b32 s37, 0x7f800000
	v_cndmask_b32_e32 v101, v36, v35, vcc
	v_add_f32_e32 v36, 1.0, v101
	v_add_f32_e32 v34, -1.0, v36
	v_sub_f32_e32 v35, v34, v36
	v_add_f32_e32 v35, 1.0, v35
	v_sub_f32_e32 v34, v101, v34
	v_add_f32_e32 v37, v34, v35
	v_frexp_mant_f32_e32 v38, v36
	v_cvt_f64_f32_e32 v[34:35], v36
	v_frexp_exp_i32_f64_e32 v34, v[34:35]
	v_cmp_gt_f32_e32 vcc, s36, v38
	s_mov_b32 s36, 0x3f317218
	s_nop 0
	v_subbrev_co_u32_e32 v102, vcc, 0, v34, vcc
	v_sub_u32_e32 v34, 0, v102
	v_ldexp_f32 v35, v36, v34
	v_add_f32_e32 v36, -1.0, v35
	v_add_f32_e32 v38, 1.0, v35
	v_ldexp_f32 v34, v37, v34
	v_add_f32_e32 v37, 1.0, v36
	v_add_f32_e32 v39, -1.0, v38
	v_sub_f32_e32 v37, v35, v37
	v_sub_f32_e32 v35, v35, v39
	v_add_f32_e32 v37, v34, v37
	v_add_f32_e32 v34, v34, v35
	;; [unrolled: 1-line block ×3, first 2 shown]
	v_rcp_f32_e32 v117, v113
	v_sub_f32_e32 v35, v38, v113
	v_add_f32_e32 v116, v34, v35
	v_add_f32_e32 v35, v36, v37
	v_mul_f32_e32 v119, v35, v117
	v_sub_f32_e32 v34, v36, v35
	v_mul_f32_e32 v36, v113, v119
	v_fma_f32 v38, v119, v113, -v36
	v_fmac_f32_e32 v38, v119, v116
	v_add_f32_e32 v118, v37, v34
	v_add_f32_e32 v34, v36, v38
	v_sub_f32_e32 v37, v35, v34
	v_pk_add_f32 v[114:115], v[34:35], v[36:37] neg_lo:[0,1] neg_hi:[0,1]
	v_mov_b32_e32 v39, v34
	v_pk_add_f32 v[34:35], v[114:115], v[38:39] neg_lo:[0,1] neg_hi:[0,1]
	v_cmp_eq_f32_e32 vcc, s37, v101
	v_add_f32_e32 v35, v118, v35
	v_add_f32_e32 v34, v34, v35
	;; [unrolled: 1-line block ×3, first 2 shown]
	v_mul_f32_e32 v118, v117, v35
	v_mul_f32_e32 v36, v113, v118
	v_fma_f32 v38, v118, v113, -v36
	v_fmac_f32_e32 v38, v118, v116
	v_sub_f32_e32 v37, v37, v35
	v_add_f32_e32 v113, v34, v37
	v_add_f32_e32 v34, v36, v38
	v_sub_f32_e32 v37, v35, v34
	v_pk_add_f32 v[114:115], v[34:35], v[36:37] neg_lo:[0,1] neg_hi:[0,1]
	v_mov_b32_e32 v39, v34
	v_pk_add_f32 v[34:35], v[114:115], v[38:39] neg_lo:[0,1] neg_hi:[0,1]
	v_cvt_f32_i32_e32 v36, v102
	v_add_f32_e32 v35, v113, v35
	v_add_f32_e32 v34, v34, v35
	;; [unrolled: 1-line block ×4, first 2 shown]
	v_sub_f32_e32 v35, v37, v119
	v_mul_f32_e32 v34, v117, v34
	v_sub_f32_e32 v35, v118, v35
	v_add_f32_e32 v34, v35, v34
	v_add_f32_e32 v38, v37, v34
	v_mul_f32_e32 v113, v38, v38
	v_mov_b32_e32 v35, 0x3ecc95a3
	v_sub_f32_e32 v37, v38, v37
	v_fmac_f32_e32 v35, 0x3e9b6dac, v113
	v_sub_f32_e32 v34, v34, v37
	v_fmaak_f32 v35, v113, v35, 0x3f2aaada
	v_ldexp_f32 v102, v34, 1
	v_mul_f32_e32 v37, v38, v113
	v_mov_b32_e32 v34, 0x3f317218
	v_pk_mul_f32 v[34:35], v[36:37], v[34:35]
	v_ldexp_f32 v39, v38, 1
	v_fma_f32 v37, v36, s36, -v34
	v_fmamk_f32 v38, v36, 0xb102e308, v37
	v_pk_add_f32 v[36:37], v[34:35], v[38:39]
	v_mov_b32_e32 v114, v34
	v_sub_f32_e32 v39, v37, v39
	v_sub_f32_e32 v39, v35, v39
	v_add_f32_e32 v115, v102, v39
	v_pk_add_f32 v[34:35], v[36:37], v[34:35] neg_lo:[0,1] neg_hi:[0,1]
	v_pk_add_f32 v[116:117], v[36:37], v[114:115]
	v_mov_b32_e32 v39, v36
	v_mov_b32_e32 v35, v117
	v_pk_add_f32 v[118:119], v[38:39], v[34:35] neg_lo:[0,1] neg_hi:[0,1]
	v_pk_add_f32 v[34:35], v[38:39], v[34:35]
	v_mov_b32_e32 v114, v115
	v_mov_b32_e32 v38, v35
	v_pk_add_f32 v[128:129], v[38:39], v[36:37] neg_lo:[0,1] neg_hi:[0,1]
	v_mov_b32_e32 v34, v117
	v_mov_b32_e32 v39, v128
	v_pk_add_f32 v[130:131], v[116:117], v[38:39] neg_lo:[0,1] neg_hi:[0,1]
	v_mov_b32_e32 v116, v37
	v_mov_b32_e32 v117, v128
	;; [unrolled: 1-line block ×3, first 2 shown]
	v_pk_add_f32 v[34:35], v[34:35], v[116:117] neg_lo:[0,1] neg_hi:[0,1]
	v_mov_b32_e32 v115, v36
	v_pk_add_f32 v[34:35], v[114:115], v[34:35] neg_lo:[0,1] neg_hi:[0,1]
	v_mov_b32_e32 v130, v118
	v_pk_add_f32 v[36:37], v[130:131], v[34:35]
	s_mov_b32 s36, 0x33800000
	v_mov_b32_e32 v102, v37
	v_pk_add_f32 v[114:115], v[36:37], v[102:103]
	v_cmp_lt_f32_e64 s[36:37], |v101|, s36
	v_pk_add_f32 v[38:39], v[38:39], v[114:115]
	v_mov_b32_e32 v35, v114
	v_mov_b32_e32 v37, v38
	v_pk_add_f32 v[116:117], v[36:37], v[118:119] neg_lo:[0,1] neg_hi:[0,1]
	s_or_b64 vcc, vcc, s[36:37]
	v_sub_f32_e32 v36, v36, v116
	v_pk_add_f32 v[34:35], v[34:35], v[116:117] neg_lo:[0,1] neg_hi:[0,1]
	v_sub_f32_e32 v36, v118, v36
	v_add_f32_e32 v34, v34, v36
	v_add_f32_e32 v34, v34, v35
	;; [unrolled: 1-line block ×3, first 2 shown]
	v_cndmask_b32_e32 v34, v34, v101, vcc
	v_add_f32_e32 v34, v33, v34
.LBB451_83:
	s_or_b64 exec, exec, s[34:35]
	v_bfe_u32 v33, v34, 16, 1
	s_movk_i32 s38, 0x7fff
	v_add3_u32 v33, v34, v33, s38
	v_and_b32_e32 v35, 0xffff0000, v33
	v_mov_b32_e32 v33, 0x7fc00000
	v_cmp_o_f32_e32 vcc, v34, v34
	v_lshlrev_b32_sdwa v101, v32, v16 dst_sel:DWORD dst_unused:UNUSED_PAD src0_sel:DWORD src1_sel:WORD_0
	v_max_f32_e32 v115, v101, v101
	v_cndmask_b32_e32 v34, v33, v35, vcc
	v_max_f32_e32 v32, v34, v34
	v_min_f32_e32 v35, v32, v115
	v_cmp_u_f32_e32 vcc, v34, v34
	v_max_f32_e32 v32, v32, v115
	v_cmp_u_f32_e64 s[34:35], v101, v101
	v_cndmask_b32_e32 v35, v35, v34, vcc
	v_cndmask_b32_e32 v32, v32, v34, vcc
	v_cndmask_b32_e64 v35, v35, v101, s[34:35]
	v_cndmask_b32_e64 v32, v32, v101, s[34:35]
	v_cmp_neq_f32_e32 vcc, v35, v32
	v_cmp_class_f32_e64 s[36:37], v35, s13
	s_or_b64 vcc, vcc, s[36:37]
	s_and_saveexec_b64 s[36:37], vcc
	s_cbranch_execz .LBB451_85
; %bb.84:
	v_sub_f32_e32 v34, v35, v32
	s_mov_b32 s13, 0x3fb8aa3b
	v_mul_f32_e32 v35, 0x3fb8aa3b, v34
	v_fma_f32 v36, v34, s13, -v35
	v_rndne_f32_e32 v37, v35
	v_fmamk_f32 v36, v34, 0x32a5705f, v36
	v_sub_f32_e32 v35, v35, v37
	v_add_f32_e32 v35, v35, v36
	v_exp_f32_e32 v35, v35
	v_cvt_i32_f32_e32 v36, v37
	s_mov_b32 s13, 0xc2ce8ed0
	v_cmp_ngt_f32_e32 vcc, s13, v34
	s_mov_b32 s13, 0x42b17218
	v_ldexp_f32 v35, v35, v36
	v_cndmask_b32_e32 v35, 0, v35, vcc
	v_mov_b32_e32 v36, 0x7f800000
	v_cmp_nlt_f32_e32 vcc, s13, v34
	s_mov_b32 s13, 0x3f2aaaab
	s_mov_b32 s39, 0x7f800000
	v_cndmask_b32_e32 v113, v36, v35, vcc
	v_add_f32_e32 v36, 1.0, v113
	v_add_f32_e32 v34, -1.0, v36
	v_sub_f32_e32 v35, v34, v36
	v_add_f32_e32 v35, 1.0, v35
	v_sub_f32_e32 v34, v113, v34
	v_add_f32_e32 v37, v34, v35
	v_frexp_mant_f32_e32 v38, v36
	v_cvt_f64_f32_e32 v[34:35], v36
	v_frexp_exp_i32_f64_e32 v34, v[34:35]
	v_cmp_gt_f32_e32 vcc, s13, v38
	s_mov_b32 s13, 0x3f317218
	s_nop 0
	v_subbrev_co_u32_e32 v102, vcc, 0, v34, vcc
	v_sub_u32_e32 v34, 0, v102
	v_ldexp_f32 v35, v36, v34
	v_add_f32_e32 v36, -1.0, v35
	v_add_f32_e32 v38, 1.0, v35
	v_ldexp_f32 v34, v37, v34
	v_add_f32_e32 v37, 1.0, v36
	v_add_f32_e32 v39, -1.0, v38
	v_sub_f32_e32 v37, v35, v37
	v_sub_f32_e32 v35, v35, v39
	v_add_f32_e32 v37, v34, v37
	v_add_f32_e32 v34, v34, v35
	;; [unrolled: 1-line block ×3, first 2 shown]
	v_rcp_f32_e32 v119, v114
	v_sub_f32_e32 v35, v38, v114
	v_add_f32_e32 v118, v34, v35
	v_add_f32_e32 v35, v36, v37
	v_mul_f32_e32 v129, v35, v119
	v_sub_f32_e32 v34, v36, v35
	v_mul_f32_e32 v36, v114, v129
	v_fma_f32 v38, v129, v114, -v36
	v_fmac_f32_e32 v38, v129, v118
	v_add_f32_e32 v128, v37, v34
	v_add_f32_e32 v34, v36, v38
	v_sub_f32_e32 v37, v35, v34
	v_pk_add_f32 v[116:117], v[34:35], v[36:37] neg_lo:[0,1] neg_hi:[0,1]
	v_mov_b32_e32 v39, v34
	v_pk_add_f32 v[34:35], v[116:117], v[38:39] neg_lo:[0,1] neg_hi:[0,1]
	v_cmp_eq_f32_e32 vcc, s39, v113
	v_add_f32_e32 v35, v128, v35
	v_add_f32_e32 v34, v34, v35
	;; [unrolled: 1-line block ×3, first 2 shown]
	v_mul_f32_e32 v128, v119, v35
	v_mul_f32_e32 v36, v114, v128
	v_fma_f32 v38, v128, v114, -v36
	v_fmac_f32_e32 v38, v128, v118
	v_sub_f32_e32 v37, v37, v35
	v_add_f32_e32 v114, v34, v37
	v_add_f32_e32 v34, v36, v38
	v_sub_f32_e32 v37, v35, v34
	v_pk_add_f32 v[116:117], v[34:35], v[36:37] neg_lo:[0,1] neg_hi:[0,1]
	v_mov_b32_e32 v39, v34
	v_pk_add_f32 v[34:35], v[116:117], v[38:39] neg_lo:[0,1] neg_hi:[0,1]
	v_cvt_f32_i32_e32 v36, v102
	v_add_f32_e32 v35, v114, v35
	v_add_f32_e32 v34, v34, v35
	;; [unrolled: 1-line block ×4, first 2 shown]
	v_sub_f32_e32 v35, v37, v129
	v_mul_f32_e32 v34, v119, v34
	v_sub_f32_e32 v35, v128, v35
	v_add_f32_e32 v34, v35, v34
	v_add_f32_e32 v38, v37, v34
	v_mul_f32_e32 v114, v38, v38
	v_mov_b32_e32 v35, 0x3ecc95a3
	v_sub_f32_e32 v37, v38, v37
	v_fmac_f32_e32 v35, 0x3e9b6dac, v114
	v_sub_f32_e32 v34, v34, v37
	v_fmaak_f32 v35, v114, v35, 0x3f2aaada
	v_ldexp_f32 v102, v34, 1
	v_mul_f32_e32 v37, v38, v114
	v_mov_b32_e32 v34, 0x3f317218
	v_pk_mul_f32 v[34:35], v[36:37], v[34:35]
	v_ldexp_f32 v39, v38, 1
	v_fma_f32 v37, v36, s13, -v34
	v_fmamk_f32 v38, v36, 0xb102e308, v37
	v_pk_add_f32 v[36:37], v[34:35], v[38:39]
	v_mov_b32_e32 v116, v34
	v_sub_f32_e32 v39, v37, v39
	v_sub_f32_e32 v39, v35, v39
	v_add_f32_e32 v117, v102, v39
	v_pk_add_f32 v[34:35], v[36:37], v[34:35] neg_lo:[0,1] neg_hi:[0,1]
	v_pk_add_f32 v[118:119], v[36:37], v[116:117]
	v_mov_b32_e32 v39, v36
	v_mov_b32_e32 v35, v119
	v_pk_add_f32 v[128:129], v[38:39], v[34:35] neg_lo:[0,1] neg_hi:[0,1]
	v_pk_add_f32 v[34:35], v[38:39], v[34:35]
	v_mov_b32_e32 v116, v117
	v_mov_b32_e32 v38, v35
	v_pk_add_f32 v[130:131], v[38:39], v[36:37] neg_lo:[0,1] neg_hi:[0,1]
	v_mov_b32_e32 v34, v119
	v_mov_b32_e32 v39, v130
	v_pk_add_f32 v[132:133], v[118:119], v[38:39] neg_lo:[0,1] neg_hi:[0,1]
	v_mov_b32_e32 v118, v37
	v_mov_b32_e32 v119, v130
	;; [unrolled: 1-line block ×3, first 2 shown]
	v_pk_add_f32 v[34:35], v[34:35], v[118:119] neg_lo:[0,1] neg_hi:[0,1]
	v_mov_b32_e32 v117, v36
	v_pk_add_f32 v[34:35], v[116:117], v[34:35] neg_lo:[0,1] neg_hi:[0,1]
	v_mov_b32_e32 v132, v128
	v_pk_add_f32 v[36:37], v[132:133], v[34:35]
	s_mov_b32 s13, 0x33800000
	v_mov_b32_e32 v102, v37
	v_pk_add_f32 v[116:117], v[36:37], v[102:103]
	v_cmp_lt_f32_e64 s[40:41], |v113|, s13
	v_pk_add_f32 v[38:39], v[38:39], v[116:117]
	v_mov_b32_e32 v35, v116
	v_mov_b32_e32 v37, v38
	v_pk_add_f32 v[118:119], v[36:37], v[128:129] neg_lo:[0,1] neg_hi:[0,1]
	s_or_b64 vcc, vcc, s[40:41]
	v_sub_f32_e32 v36, v36, v118
	v_pk_add_f32 v[34:35], v[34:35], v[118:119] neg_lo:[0,1] neg_hi:[0,1]
	v_sub_f32_e32 v36, v128, v36
	v_add_f32_e32 v34, v34, v36
	v_add_f32_e32 v34, v34, v35
	;; [unrolled: 1-line block ×3, first 2 shown]
	v_cndmask_b32_e32 v34, v34, v113, vcc
	v_add_f32_e32 v34, v32, v34
.LBB451_85:
	s_or_b64 exec, exec, s[36:37]
	v_bfe_u32 v32, v34, 16, 1
	v_add3_u32 v32, v34, v32, s38
	v_and_b32_e32 v32, 0xffff0000, v32
	v_cmp_o_f32_e32 vcc, v34, v34
	s_movk_i32 s13, 0x1f8
	s_nop 0
	v_cndmask_b32_e32 v34, v33, v32, vcc
	v_mov_b32_e32 v32, 16
	v_lshlrev_b32_sdwa v102, v32, v16 dst_sel:DWORD dst_unused:UNUSED_PAD src0_sel:DWORD src1_sel:WORD_1
	v_max_f32_e32 v33, v34, v34
	v_max_f32_e32 v116, v102, v102
	v_min_f32_e32 v35, v33, v116
	v_cmp_u_f32_e32 vcc, v34, v34
	v_max_f32_e32 v33, v33, v116
	v_cmp_u_f32_e64 s[36:37], v102, v102
	v_cndmask_b32_e32 v35, v35, v34, vcc
	v_cndmask_b32_e32 v33, v33, v34, vcc
	v_cndmask_b32_e64 v35, v35, v102, s[36:37]
	v_cndmask_b32_e64 v33, v33, v102, s[36:37]
	v_cmp_neq_f32_e32 vcc, v35, v33
	v_cmp_class_f32_e64 s[38:39], v35, s13
	s_or_b64 vcc, vcc, s[38:39]
	s_and_saveexec_b64 s[38:39], vcc
	s_cbranch_execz .LBB451_87
; %bb.86:
	v_sub_f32_e32 v34, v35, v33
	s_mov_b32 s40, 0x3fb8aa3b
	v_mul_f32_e32 v35, 0x3fb8aa3b, v34
	v_fma_f32 v36, v34, s40, -v35
	v_rndne_f32_e32 v37, v35
	v_fmamk_f32 v36, v34, 0x32a5705f, v36
	v_sub_f32_e32 v35, v35, v37
	v_add_f32_e32 v35, v35, v36
	v_exp_f32_e32 v35, v35
	v_cvt_i32_f32_e32 v36, v37
	s_mov_b32 s40, 0xc2ce8ed0
	v_cmp_ngt_f32_e32 vcc, s40, v34
	s_mov_b32 s40, 0x42b17218
	v_ldexp_f32 v35, v35, v36
	v_cndmask_b32_e32 v35, 0, v35, vcc
	v_mov_b32_e32 v36, 0x7f800000
	v_cmp_nlt_f32_e32 vcc, s40, v34
	s_mov_b32 s40, 0x3f2aaaab
	s_mov_b32 s41, 0x7f800000
	v_cndmask_b32_e32 v113, v36, v35, vcc
	v_add_f32_e32 v36, 1.0, v113
	v_add_f32_e32 v34, -1.0, v36
	v_sub_f32_e32 v35, v34, v36
	v_add_f32_e32 v35, 1.0, v35
	v_sub_f32_e32 v34, v113, v34
	v_add_f32_e32 v37, v34, v35
	v_frexp_mant_f32_e32 v38, v36
	v_cvt_f64_f32_e32 v[34:35], v36
	v_frexp_exp_i32_f64_e32 v34, v[34:35]
	v_cmp_gt_f32_e32 vcc, s40, v38
	s_mov_b32 s40, 0x3f317218
	s_nop 0
	v_subbrev_co_u32_e32 v114, vcc, 0, v34, vcc
	v_sub_u32_e32 v34, 0, v114
	v_ldexp_f32 v35, v36, v34
	v_add_f32_e32 v36, -1.0, v35
	v_add_f32_e32 v38, 1.0, v35
	v_ldexp_f32 v34, v37, v34
	v_add_f32_e32 v37, 1.0, v36
	v_add_f32_e32 v39, -1.0, v38
	v_sub_f32_e32 v37, v35, v37
	v_sub_f32_e32 v35, v35, v39
	v_add_f32_e32 v37, v34, v37
	v_add_f32_e32 v34, v34, v35
	;; [unrolled: 1-line block ×3, first 2 shown]
	v_rcp_f32_e32 v129, v117
	v_sub_f32_e32 v35, v38, v117
	v_add_f32_e32 v128, v34, v35
	v_add_f32_e32 v35, v36, v37
	v_mul_f32_e32 v131, v35, v129
	v_sub_f32_e32 v34, v36, v35
	v_mul_f32_e32 v36, v117, v131
	v_fma_f32 v38, v131, v117, -v36
	v_fmac_f32_e32 v38, v131, v128
	v_add_f32_e32 v130, v37, v34
	v_add_f32_e32 v34, v36, v38
	v_sub_f32_e32 v37, v35, v34
	v_pk_add_f32 v[118:119], v[34:35], v[36:37] neg_lo:[0,1] neg_hi:[0,1]
	v_mov_b32_e32 v39, v34
	v_pk_add_f32 v[34:35], v[118:119], v[38:39] neg_lo:[0,1] neg_hi:[0,1]
	v_cmp_eq_f32_e32 vcc, s41, v113
	v_add_f32_e32 v35, v130, v35
	v_add_f32_e32 v34, v34, v35
	;; [unrolled: 1-line block ×3, first 2 shown]
	v_mul_f32_e32 v130, v129, v35
	v_mul_f32_e32 v36, v117, v130
	v_fma_f32 v38, v130, v117, -v36
	v_fmac_f32_e32 v38, v130, v128
	v_sub_f32_e32 v37, v37, v35
	v_add_f32_e32 v117, v34, v37
	v_add_f32_e32 v34, v36, v38
	v_sub_f32_e32 v37, v35, v34
	v_pk_add_f32 v[118:119], v[34:35], v[36:37] neg_lo:[0,1] neg_hi:[0,1]
	v_mov_b32_e32 v39, v34
	v_pk_add_f32 v[34:35], v[118:119], v[38:39] neg_lo:[0,1] neg_hi:[0,1]
	v_cvt_f32_i32_e32 v36, v114
	v_add_f32_e32 v35, v117, v35
	v_add_f32_e32 v34, v34, v35
	;; [unrolled: 1-line block ×4, first 2 shown]
	v_sub_f32_e32 v35, v37, v131
	v_mul_f32_e32 v34, v129, v34
	v_sub_f32_e32 v35, v130, v35
	v_add_f32_e32 v34, v35, v34
	v_add_f32_e32 v38, v37, v34
	v_mul_f32_e32 v117, v38, v38
	v_mov_b32_e32 v35, 0x3ecc95a3
	v_sub_f32_e32 v37, v38, v37
	v_fmac_f32_e32 v35, 0x3e9b6dac, v117
	v_sub_f32_e32 v34, v34, v37
	v_fmaak_f32 v35, v117, v35, 0x3f2aaada
	v_ldexp_f32 v114, v34, 1
	v_mul_f32_e32 v37, v38, v117
	v_mov_b32_e32 v34, 0x3f317218
	v_pk_mul_f32 v[34:35], v[36:37], v[34:35]
	v_ldexp_f32 v39, v38, 1
	v_fma_f32 v37, v36, s40, -v34
	v_fmamk_f32 v38, v36, 0xb102e308, v37
	v_pk_add_f32 v[36:37], v[34:35], v[38:39]
	v_mov_b32_e32 v118, v34
	v_sub_f32_e32 v39, v37, v39
	v_sub_f32_e32 v39, v35, v39
	v_add_f32_e32 v119, v114, v39
	v_pk_add_f32 v[34:35], v[36:37], v[34:35] neg_lo:[0,1] neg_hi:[0,1]
	v_pk_add_f32 v[128:129], v[36:37], v[118:119]
	v_mov_b32_e32 v39, v36
	v_mov_b32_e32 v35, v129
	v_pk_add_f32 v[130:131], v[38:39], v[34:35] neg_lo:[0,1] neg_hi:[0,1]
	v_pk_add_f32 v[34:35], v[38:39], v[34:35]
	v_mov_b32_e32 v118, v119
	v_mov_b32_e32 v38, v35
	v_pk_add_f32 v[132:133], v[38:39], v[36:37] neg_lo:[0,1] neg_hi:[0,1]
	v_mov_b32_e32 v34, v129
	v_mov_b32_e32 v39, v132
	v_pk_add_f32 v[144:145], v[128:129], v[38:39] neg_lo:[0,1] neg_hi:[0,1]
	v_mov_b32_e32 v128, v37
	v_mov_b32_e32 v129, v132
	;; [unrolled: 1-line block ×3, first 2 shown]
	v_pk_add_f32 v[34:35], v[34:35], v[128:129] neg_lo:[0,1] neg_hi:[0,1]
	v_mov_b32_e32 v119, v36
	v_pk_add_f32 v[34:35], v[118:119], v[34:35] neg_lo:[0,1] neg_hi:[0,1]
	v_mov_b32_e32 v144, v130
	v_pk_add_f32 v[36:37], v[144:145], v[34:35]
	s_mov_b32 s40, 0x33800000
	v_mov_b32_e32 v114, v37
	v_pk_add_f32 v[118:119], v[36:37], v[114:115]
	v_cmp_lt_f32_e64 s[40:41], |v113|, s40
	v_pk_add_f32 v[38:39], v[38:39], v[118:119]
	v_mov_b32_e32 v35, v118
	v_mov_b32_e32 v37, v38
	v_pk_add_f32 v[128:129], v[36:37], v[130:131] neg_lo:[0,1] neg_hi:[0,1]
	s_or_b64 vcc, vcc, s[40:41]
	v_sub_f32_e32 v36, v36, v128
	v_pk_add_f32 v[34:35], v[34:35], v[128:129] neg_lo:[0,1] neg_hi:[0,1]
	v_sub_f32_e32 v36, v130, v36
	v_add_f32_e32 v34, v34, v36
	v_add_f32_e32 v34, v34, v35
	;; [unrolled: 1-line block ×3, first 2 shown]
	v_cndmask_b32_e32 v34, v34, v113, vcc
	v_add_f32_e32 v34, v33, v34
.LBB451_87:
	s_or_b64 exec, exec, s[38:39]
	v_bfe_u32 v33, v34, 16, 1
	s_movk_i32 s42, 0x7fff
	v_add3_u32 v33, v34, v33, s42
	v_and_b32_e32 v35, 0xffff0000, v33
	v_mov_b32_e32 v33, 0x7fc00000
	v_cmp_o_f32_e32 vcc, v34, v34
	v_lshlrev_b32_sdwa v113, v32, v17 dst_sel:DWORD dst_unused:UNUSED_PAD src0_sel:DWORD src1_sel:WORD_0
	v_max_f32_e32 v119, v113, v113
	v_cndmask_b32_e32 v34, v33, v35, vcc
	v_max_f32_e32 v32, v34, v34
	v_min_f32_e32 v35, v32, v119
	v_cmp_u_f32_e32 vcc, v34, v34
	v_max_f32_e32 v32, v32, v119
	v_cmp_u_f32_e64 s[38:39], v113, v113
	v_cndmask_b32_e32 v35, v35, v34, vcc
	v_cndmask_b32_e32 v32, v32, v34, vcc
	v_cndmask_b32_e64 v35, v35, v113, s[38:39]
	v_cndmask_b32_e64 v32, v32, v113, s[38:39]
	v_cmp_neq_f32_e32 vcc, v35, v32
	v_cmp_class_f32_e64 s[40:41], v35, s13
	s_or_b64 vcc, vcc, s[40:41]
	s_and_saveexec_b64 s[40:41], vcc
	s_cbranch_execz .LBB451_89
; %bb.88:
	v_sub_f32_e32 v34, v35, v32
	s_mov_b32 s13, 0x3fb8aa3b
	v_mul_f32_e32 v35, 0x3fb8aa3b, v34
	v_fma_f32 v36, v34, s13, -v35
	v_rndne_f32_e32 v37, v35
	v_fmamk_f32 v36, v34, 0x32a5705f, v36
	v_sub_f32_e32 v35, v35, v37
	v_add_f32_e32 v35, v35, v36
	v_exp_f32_e32 v35, v35
	v_cvt_i32_f32_e32 v36, v37
	s_mov_b32 s13, 0xc2ce8ed0
	v_cmp_ngt_f32_e32 vcc, s13, v34
	s_mov_b32 s13, 0x42b17218
	v_ldexp_f32 v35, v35, v36
	v_cndmask_b32_e32 v35, 0, v35, vcc
	v_mov_b32_e32 v36, 0x7f800000
	v_cmp_nlt_f32_e32 vcc, s13, v34
	s_mov_b32 s13, 0x3f2aaaab
	s_mov_b32 s43, 0x7f800000
	v_cndmask_b32_e32 v117, v36, v35, vcc
	v_add_f32_e32 v36, 1.0, v117
	v_add_f32_e32 v34, -1.0, v36
	v_sub_f32_e32 v35, v34, v36
	v_add_f32_e32 v35, 1.0, v35
	v_sub_f32_e32 v34, v117, v34
	v_add_f32_e32 v37, v34, v35
	v_frexp_mant_f32_e32 v38, v36
	v_cvt_f64_f32_e32 v[34:35], v36
	v_frexp_exp_i32_f64_e32 v34, v[34:35]
	v_cmp_gt_f32_e32 vcc, s13, v38
	s_mov_b32 s13, 0x3f317218
	s_nop 0
	v_subbrev_co_u32_e32 v114, vcc, 0, v34, vcc
	v_sub_u32_e32 v34, 0, v114
	v_ldexp_f32 v35, v36, v34
	v_add_f32_e32 v36, -1.0, v35
	v_add_f32_e32 v38, 1.0, v35
	v_ldexp_f32 v34, v37, v34
	v_add_f32_e32 v37, 1.0, v36
	v_add_f32_e32 v39, -1.0, v38
	v_sub_f32_e32 v37, v35, v37
	v_sub_f32_e32 v35, v35, v39
	v_add_f32_e32 v37, v34, v37
	v_add_f32_e32 v34, v34, v35
	;; [unrolled: 1-line block ×3, first 2 shown]
	v_rcp_f32_e32 v131, v118
	v_sub_f32_e32 v35, v38, v118
	v_add_f32_e32 v130, v34, v35
	v_add_f32_e32 v35, v36, v37
	v_mul_f32_e32 v133, v35, v131
	v_sub_f32_e32 v34, v36, v35
	v_mul_f32_e32 v36, v118, v133
	v_fma_f32 v38, v133, v118, -v36
	v_fmac_f32_e32 v38, v133, v130
	v_add_f32_e32 v132, v37, v34
	v_add_f32_e32 v34, v36, v38
	v_sub_f32_e32 v37, v35, v34
	v_pk_add_f32 v[128:129], v[34:35], v[36:37] neg_lo:[0,1] neg_hi:[0,1]
	v_mov_b32_e32 v39, v34
	v_pk_add_f32 v[34:35], v[128:129], v[38:39] neg_lo:[0,1] neg_hi:[0,1]
	v_cmp_eq_f32_e32 vcc, s43, v117
	v_add_f32_e32 v35, v132, v35
	v_add_f32_e32 v34, v34, v35
	;; [unrolled: 1-line block ×3, first 2 shown]
	v_mul_f32_e32 v132, v131, v35
	v_mul_f32_e32 v36, v118, v132
	v_fma_f32 v38, v132, v118, -v36
	v_fmac_f32_e32 v38, v132, v130
	v_sub_f32_e32 v37, v37, v35
	v_add_f32_e32 v118, v34, v37
	v_add_f32_e32 v34, v36, v38
	v_sub_f32_e32 v37, v35, v34
	v_pk_add_f32 v[128:129], v[34:35], v[36:37] neg_lo:[0,1] neg_hi:[0,1]
	v_mov_b32_e32 v39, v34
	v_pk_add_f32 v[34:35], v[128:129], v[38:39] neg_lo:[0,1] neg_hi:[0,1]
	v_cvt_f32_i32_e32 v36, v114
	v_add_f32_e32 v35, v118, v35
	v_add_f32_e32 v34, v34, v35
	;; [unrolled: 1-line block ×4, first 2 shown]
	v_sub_f32_e32 v35, v37, v133
	v_mul_f32_e32 v34, v131, v34
	v_sub_f32_e32 v35, v132, v35
	v_add_f32_e32 v34, v35, v34
	v_add_f32_e32 v38, v37, v34
	v_mul_f32_e32 v118, v38, v38
	v_mov_b32_e32 v35, 0x3ecc95a3
	v_sub_f32_e32 v37, v38, v37
	v_fmac_f32_e32 v35, 0x3e9b6dac, v118
	v_sub_f32_e32 v34, v34, v37
	v_fmaak_f32 v35, v118, v35, 0x3f2aaada
	v_ldexp_f32 v114, v34, 1
	v_mul_f32_e32 v37, v38, v118
	v_mov_b32_e32 v34, 0x3f317218
	v_pk_mul_f32 v[34:35], v[36:37], v[34:35]
	v_ldexp_f32 v39, v38, 1
	v_fma_f32 v37, v36, s13, -v34
	v_fmamk_f32 v38, v36, 0xb102e308, v37
	v_pk_add_f32 v[36:37], v[34:35], v[38:39]
	v_mov_b32_e32 v128, v34
	v_sub_f32_e32 v39, v37, v39
	v_sub_f32_e32 v39, v35, v39
	v_add_f32_e32 v129, v114, v39
	v_pk_add_f32 v[34:35], v[36:37], v[34:35] neg_lo:[0,1] neg_hi:[0,1]
	v_pk_add_f32 v[130:131], v[36:37], v[128:129]
	v_mov_b32_e32 v39, v36
	v_mov_b32_e32 v35, v131
	v_pk_add_f32 v[132:133], v[38:39], v[34:35] neg_lo:[0,1] neg_hi:[0,1]
	v_pk_add_f32 v[34:35], v[38:39], v[34:35]
	v_mov_b32_e32 v128, v129
	v_mov_b32_e32 v38, v35
	v_pk_add_f32 v[144:145], v[38:39], v[36:37] neg_lo:[0,1] neg_hi:[0,1]
	v_mov_b32_e32 v34, v131
	v_mov_b32_e32 v39, v144
	v_pk_add_f32 v[146:147], v[130:131], v[38:39] neg_lo:[0,1] neg_hi:[0,1]
	v_mov_b32_e32 v130, v37
	v_mov_b32_e32 v131, v144
	;; [unrolled: 1-line block ×3, first 2 shown]
	v_pk_add_f32 v[34:35], v[34:35], v[130:131] neg_lo:[0,1] neg_hi:[0,1]
	v_mov_b32_e32 v129, v36
	v_pk_add_f32 v[34:35], v[128:129], v[34:35] neg_lo:[0,1] neg_hi:[0,1]
	v_mov_b32_e32 v146, v132
	v_pk_add_f32 v[36:37], v[146:147], v[34:35]
	s_mov_b32 s13, 0x33800000
	v_mov_b32_e32 v114, v37
	v_pk_add_f32 v[128:129], v[36:37], v[114:115]
	v_cmp_lt_f32_e64 s[44:45], |v117|, s13
	v_pk_add_f32 v[38:39], v[38:39], v[128:129]
	v_mov_b32_e32 v35, v128
	v_mov_b32_e32 v37, v38
	v_pk_add_f32 v[130:131], v[36:37], v[132:133] neg_lo:[0,1] neg_hi:[0,1]
	s_or_b64 vcc, vcc, s[44:45]
	v_sub_f32_e32 v36, v36, v130
	v_pk_add_f32 v[34:35], v[34:35], v[130:131] neg_lo:[0,1] neg_hi:[0,1]
	v_sub_f32_e32 v36, v132, v36
	v_add_f32_e32 v34, v34, v36
	v_add_f32_e32 v34, v34, v35
	;; [unrolled: 1-line block ×3, first 2 shown]
	v_cndmask_b32_e32 v34, v34, v117, vcc
	v_add_f32_e32 v34, v32, v34
.LBB451_89:
	s_or_b64 exec, exec, s[40:41]
	v_bfe_u32 v32, v34, 16, 1
	v_add3_u32 v32, v34, v32, s42
	v_and_b32_e32 v32, 0xffff0000, v32
	v_cmp_o_f32_e32 vcc, v34, v34
	s_movk_i32 s13, 0x1f8
	s_nop 0
	v_cndmask_b32_e32 v34, v33, v32, vcc
	v_mov_b32_e32 v32, 16
	v_lshlrev_b32_sdwa v114, v32, v17 dst_sel:DWORD dst_unused:UNUSED_PAD src0_sel:DWORD src1_sel:WORD_1
	v_max_f32_e32 v33, v34, v34
	v_max_f32_e32 v128, v114, v114
	v_min_f32_e32 v35, v33, v128
	v_cmp_u_f32_e32 vcc, v34, v34
	v_max_f32_e32 v33, v33, v128
	v_cmp_u_f32_e64 s[40:41], v114, v114
	v_cndmask_b32_e32 v35, v35, v34, vcc
	v_cndmask_b32_e32 v33, v33, v34, vcc
	v_cndmask_b32_e64 v35, v35, v114, s[40:41]
	v_cndmask_b32_e64 v33, v33, v114, s[40:41]
	v_cmp_neq_f32_e32 vcc, v35, v33
	v_cmp_class_f32_e64 s[42:43], v35, s13
	s_or_b64 vcc, vcc, s[42:43]
	s_and_saveexec_b64 s[42:43], vcc
	s_cbranch_execz .LBB451_91
; %bb.90:
	v_sub_f32_e32 v34, v35, v33
	s_mov_b32 s44, 0x3fb8aa3b
	v_mul_f32_e32 v35, 0x3fb8aa3b, v34
	v_fma_f32 v36, v34, s44, -v35
	v_rndne_f32_e32 v37, v35
	v_fmamk_f32 v36, v34, 0x32a5705f, v36
	v_sub_f32_e32 v35, v35, v37
	v_add_f32_e32 v35, v35, v36
	v_exp_f32_e32 v35, v35
	v_cvt_i32_f32_e32 v36, v37
	s_mov_b32 s44, 0xc2ce8ed0
	v_cmp_ngt_f32_e32 vcc, s44, v34
	s_mov_b32 s44, 0x42b17218
	v_ldexp_f32 v35, v35, v36
	v_cndmask_b32_e32 v35, 0, v35, vcc
	v_mov_b32_e32 v36, 0x7f800000
	v_cmp_nlt_f32_e32 vcc, s44, v34
	s_mov_b32 s44, 0x3f2aaaab
	s_mov_b32 s45, 0x7f800000
	v_cndmask_b32_e32 v117, v36, v35, vcc
	v_add_f32_e32 v36, 1.0, v117
	v_add_f32_e32 v34, -1.0, v36
	v_sub_f32_e32 v35, v34, v36
	v_add_f32_e32 v35, 1.0, v35
	v_sub_f32_e32 v34, v117, v34
	v_add_f32_e32 v37, v34, v35
	v_frexp_mant_f32_e32 v38, v36
	v_cvt_f64_f32_e32 v[34:35], v36
	v_frexp_exp_i32_f64_e32 v34, v[34:35]
	v_cmp_gt_f32_e32 vcc, s44, v38
	s_mov_b32 s44, 0x3f317218
	s_nop 0
	v_subbrev_co_u32_e32 v118, vcc, 0, v34, vcc
	v_sub_u32_e32 v34, 0, v118
	v_ldexp_f32 v35, v36, v34
	v_add_f32_e32 v36, -1.0, v35
	v_add_f32_e32 v38, 1.0, v35
	v_ldexp_f32 v34, v37, v34
	v_add_f32_e32 v37, 1.0, v36
	v_add_f32_e32 v39, -1.0, v38
	v_sub_f32_e32 v37, v35, v37
	v_sub_f32_e32 v35, v35, v39
	v_add_f32_e32 v37, v34, v37
	v_add_f32_e32 v34, v34, v35
	;; [unrolled: 1-line block ×3, first 2 shown]
	v_rcp_f32_e32 v133, v129
	v_sub_f32_e32 v35, v38, v129
	v_add_f32_e32 v132, v34, v35
	v_add_f32_e32 v35, v36, v37
	v_mul_f32_e32 v144, v35, v133
	v_sub_f32_e32 v34, v36, v35
	v_mul_f32_e32 v36, v129, v144
	v_fma_f32 v38, v144, v129, -v36
	v_fmac_f32_e32 v38, v144, v132
	v_add_f32_e32 v134, v37, v34
	v_add_f32_e32 v34, v36, v38
	v_sub_f32_e32 v37, v35, v34
	v_pk_add_f32 v[130:131], v[34:35], v[36:37] neg_lo:[0,1] neg_hi:[0,1]
	v_mov_b32_e32 v39, v34
	v_pk_add_f32 v[34:35], v[130:131], v[38:39] neg_lo:[0,1] neg_hi:[0,1]
	v_cmp_eq_f32_e32 vcc, s45, v117
	v_add_f32_e32 v35, v134, v35
	v_add_f32_e32 v34, v34, v35
	v_add_f32_e32 v35, v37, v34
	v_mul_f32_e32 v134, v133, v35
	v_mul_f32_e32 v36, v129, v134
	v_fma_f32 v38, v134, v129, -v36
	v_fmac_f32_e32 v38, v134, v132
	v_sub_f32_e32 v37, v37, v35
	v_add_f32_e32 v129, v34, v37
	v_add_f32_e32 v34, v36, v38
	v_sub_f32_e32 v37, v35, v34
	v_pk_add_f32 v[130:131], v[34:35], v[36:37] neg_lo:[0,1] neg_hi:[0,1]
	v_mov_b32_e32 v39, v34
	v_pk_add_f32 v[34:35], v[130:131], v[38:39] neg_lo:[0,1] neg_hi:[0,1]
	v_cvt_f32_i32_e32 v36, v118
	v_add_f32_e32 v35, v129, v35
	v_add_f32_e32 v34, v34, v35
	;; [unrolled: 1-line block ×4, first 2 shown]
	v_sub_f32_e32 v35, v37, v144
	v_mul_f32_e32 v34, v133, v34
	v_sub_f32_e32 v35, v134, v35
	v_add_f32_e32 v34, v35, v34
	v_add_f32_e32 v38, v37, v34
	v_mul_f32_e32 v129, v38, v38
	v_mov_b32_e32 v35, 0x3ecc95a3
	v_sub_f32_e32 v37, v38, v37
	v_fmac_f32_e32 v35, 0x3e9b6dac, v129
	v_sub_f32_e32 v34, v34, v37
	v_fmaak_f32 v35, v129, v35, 0x3f2aaada
	v_ldexp_f32 v118, v34, 1
	v_mul_f32_e32 v37, v38, v129
	v_mov_b32_e32 v34, 0x3f317218
	v_pk_mul_f32 v[34:35], v[36:37], v[34:35]
	v_ldexp_f32 v39, v38, 1
	v_fma_f32 v37, v36, s44, -v34
	v_fmamk_f32 v38, v36, 0xb102e308, v37
	v_pk_add_f32 v[36:37], v[34:35], v[38:39]
	v_mov_b32_e32 v130, v34
	v_sub_f32_e32 v39, v37, v39
	v_sub_f32_e32 v39, v35, v39
	v_add_f32_e32 v131, v118, v39
	v_pk_add_f32 v[34:35], v[36:37], v[34:35] neg_lo:[0,1] neg_hi:[0,1]
	v_pk_add_f32 v[132:133], v[36:37], v[130:131]
	v_mov_b32_e32 v39, v36
	v_mov_b32_e32 v35, v133
	v_pk_add_f32 v[144:145], v[38:39], v[34:35] neg_lo:[0,1] neg_hi:[0,1]
	v_pk_add_f32 v[34:35], v[38:39], v[34:35]
	v_mov_b32_e32 v130, v131
	v_mov_b32_e32 v38, v35
	v_pk_add_f32 v[146:147], v[38:39], v[36:37] neg_lo:[0,1] neg_hi:[0,1]
	v_mov_b32_e32 v34, v133
	v_mov_b32_e32 v39, v146
	v_pk_add_f32 v[148:149], v[132:133], v[38:39] neg_lo:[0,1] neg_hi:[0,1]
	v_mov_b32_e32 v132, v37
	v_mov_b32_e32 v133, v146
	;; [unrolled: 1-line block ×3, first 2 shown]
	v_pk_add_f32 v[34:35], v[34:35], v[132:133] neg_lo:[0,1] neg_hi:[0,1]
	v_mov_b32_e32 v131, v36
	v_pk_add_f32 v[34:35], v[130:131], v[34:35] neg_lo:[0,1] neg_hi:[0,1]
	v_mov_b32_e32 v148, v144
	v_pk_add_f32 v[36:37], v[148:149], v[34:35]
	s_mov_b32 s44, 0x33800000
	v_mov_b32_e32 v118, v37
	v_pk_add_f32 v[130:131], v[36:37], v[118:119]
	v_cmp_lt_f32_e64 s[44:45], |v117|, s44
	v_pk_add_f32 v[38:39], v[38:39], v[130:131]
	v_mov_b32_e32 v35, v130
	v_mov_b32_e32 v37, v38
	v_pk_add_f32 v[132:133], v[36:37], v[144:145] neg_lo:[0,1] neg_hi:[0,1]
	s_or_b64 vcc, vcc, s[44:45]
	v_sub_f32_e32 v36, v36, v132
	v_pk_add_f32 v[34:35], v[34:35], v[132:133] neg_lo:[0,1] neg_hi:[0,1]
	v_sub_f32_e32 v36, v144, v36
	v_add_f32_e32 v34, v34, v36
	v_add_f32_e32 v34, v34, v35
	;; [unrolled: 1-line block ×3, first 2 shown]
	v_cndmask_b32_e32 v34, v34, v117, vcc
	v_add_f32_e32 v34, v33, v34
.LBB451_91:
	s_or_b64 exec, exec, s[42:43]
	v_bfe_u32 v33, v34, 16, 1
	s_movk_i32 s46, 0x7fff
	v_add3_u32 v33, v34, v33, s46
	v_and_b32_e32 v35, 0xffff0000, v33
	v_mov_b32_e32 v33, 0x7fc00000
	v_cmp_o_f32_e32 vcc, v34, v34
	v_lshlrev_b32_sdwa v117, v32, v18 dst_sel:DWORD dst_unused:UNUSED_PAD src0_sel:DWORD src1_sel:WORD_0
	v_max_f32_e32 v131, v117, v117
	v_cndmask_b32_e32 v34, v33, v35, vcc
	v_max_f32_e32 v32, v34, v34
	v_min_f32_e32 v35, v32, v131
	v_cmp_u_f32_e32 vcc, v34, v34
	v_max_f32_e32 v32, v32, v131
	v_cmp_u_f32_e64 s[42:43], v117, v117
	v_cndmask_b32_e32 v35, v35, v34, vcc
	v_cndmask_b32_e32 v32, v32, v34, vcc
	v_cndmask_b32_e64 v35, v35, v117, s[42:43]
	v_cndmask_b32_e64 v32, v32, v117, s[42:43]
	v_cmp_neq_f32_e32 vcc, v35, v32
	v_cmp_class_f32_e64 s[44:45], v35, s13
	s_or_b64 vcc, vcc, s[44:45]
	s_and_saveexec_b64 s[44:45], vcc
	s_cbranch_execz .LBB451_93
; %bb.92:
	v_sub_f32_e32 v34, v35, v32
	s_mov_b32 s13, 0x3fb8aa3b
	v_mul_f32_e32 v35, 0x3fb8aa3b, v34
	v_fma_f32 v36, v34, s13, -v35
	v_rndne_f32_e32 v37, v35
	v_fmamk_f32 v36, v34, 0x32a5705f, v36
	v_sub_f32_e32 v35, v35, v37
	v_add_f32_e32 v35, v35, v36
	v_exp_f32_e32 v35, v35
	v_cvt_i32_f32_e32 v36, v37
	s_mov_b32 s13, 0xc2ce8ed0
	v_cmp_ngt_f32_e32 vcc, s13, v34
	s_mov_b32 s13, 0x42b17218
	v_ldexp_f32 v35, v35, v36
	v_cndmask_b32_e32 v35, 0, v35, vcc
	v_mov_b32_e32 v36, 0x7f800000
	v_cmp_nlt_f32_e32 vcc, s13, v34
	s_mov_b32 s13, 0x3f2aaaab
	s_mov_b32 s47, 0x7f800000
	v_cndmask_b32_e32 v129, v36, v35, vcc
	v_add_f32_e32 v36, 1.0, v129
	v_add_f32_e32 v34, -1.0, v36
	v_sub_f32_e32 v35, v34, v36
	v_add_f32_e32 v35, 1.0, v35
	v_sub_f32_e32 v34, v129, v34
	v_add_f32_e32 v37, v34, v35
	v_frexp_mant_f32_e32 v38, v36
	v_cvt_f64_f32_e32 v[34:35], v36
	v_frexp_exp_i32_f64_e32 v34, v[34:35]
	v_cmp_gt_f32_e32 vcc, s13, v38
	s_mov_b32 s13, 0x3f317218
	s_nop 0
	v_subbrev_co_u32_e32 v118, vcc, 0, v34, vcc
	v_sub_u32_e32 v34, 0, v118
	v_ldexp_f32 v35, v36, v34
	v_add_f32_e32 v36, -1.0, v35
	v_add_f32_e32 v38, 1.0, v35
	v_ldexp_f32 v34, v37, v34
	v_add_f32_e32 v37, 1.0, v36
	v_add_f32_e32 v39, -1.0, v38
	v_sub_f32_e32 v37, v35, v37
	v_sub_f32_e32 v35, v35, v39
	v_add_f32_e32 v37, v34, v37
	v_add_f32_e32 v34, v34, v35
	;; [unrolled: 1-line block ×3, first 2 shown]
	v_rcp_f32_e32 v144, v130
	v_sub_f32_e32 v35, v38, v130
	v_add_f32_e32 v134, v34, v35
	v_add_f32_e32 v35, v36, v37
	v_mul_f32_e32 v146, v35, v144
	v_sub_f32_e32 v34, v36, v35
	v_mul_f32_e32 v36, v130, v146
	v_fma_f32 v38, v146, v130, -v36
	v_fmac_f32_e32 v38, v146, v134
	v_add_f32_e32 v145, v37, v34
	v_add_f32_e32 v34, v36, v38
	v_sub_f32_e32 v37, v35, v34
	v_pk_add_f32 v[132:133], v[34:35], v[36:37] neg_lo:[0,1] neg_hi:[0,1]
	v_mov_b32_e32 v39, v34
	v_pk_add_f32 v[34:35], v[132:133], v[38:39] neg_lo:[0,1] neg_hi:[0,1]
	v_cmp_eq_f32_e32 vcc, s47, v129
	v_add_f32_e32 v35, v145, v35
	v_add_f32_e32 v34, v34, v35
	;; [unrolled: 1-line block ×3, first 2 shown]
	v_mul_f32_e32 v145, v144, v35
	v_mul_f32_e32 v36, v130, v145
	v_fma_f32 v38, v145, v130, -v36
	v_fmac_f32_e32 v38, v145, v134
	v_sub_f32_e32 v37, v37, v35
	v_add_f32_e32 v130, v34, v37
	v_add_f32_e32 v34, v36, v38
	v_sub_f32_e32 v37, v35, v34
	v_pk_add_f32 v[132:133], v[34:35], v[36:37] neg_lo:[0,1] neg_hi:[0,1]
	v_mov_b32_e32 v39, v34
	v_pk_add_f32 v[34:35], v[132:133], v[38:39] neg_lo:[0,1] neg_hi:[0,1]
	v_cvt_f32_i32_e32 v36, v118
	v_add_f32_e32 v35, v130, v35
	v_add_f32_e32 v34, v34, v35
	;; [unrolled: 1-line block ×4, first 2 shown]
	v_sub_f32_e32 v35, v37, v146
	v_mul_f32_e32 v34, v144, v34
	v_sub_f32_e32 v35, v145, v35
	v_add_f32_e32 v34, v35, v34
	v_add_f32_e32 v38, v37, v34
	v_mul_f32_e32 v130, v38, v38
	v_mov_b32_e32 v35, 0x3ecc95a3
	v_sub_f32_e32 v37, v38, v37
	v_fmac_f32_e32 v35, 0x3e9b6dac, v130
	v_sub_f32_e32 v34, v34, v37
	v_fmaak_f32 v35, v130, v35, 0x3f2aaada
	v_ldexp_f32 v118, v34, 1
	v_mul_f32_e32 v37, v38, v130
	v_mov_b32_e32 v34, 0x3f317218
	v_pk_mul_f32 v[34:35], v[36:37], v[34:35]
	v_ldexp_f32 v39, v38, 1
	v_fma_f32 v37, v36, s13, -v34
	v_fmamk_f32 v38, v36, 0xb102e308, v37
	v_pk_add_f32 v[36:37], v[34:35], v[38:39]
	v_mov_b32_e32 v132, v34
	v_sub_f32_e32 v39, v37, v39
	v_sub_f32_e32 v39, v35, v39
	v_add_f32_e32 v133, v118, v39
	v_pk_add_f32 v[34:35], v[36:37], v[34:35] neg_lo:[0,1] neg_hi:[0,1]
	v_pk_add_f32 v[144:145], v[36:37], v[132:133]
	v_mov_b32_e32 v39, v36
	v_mov_b32_e32 v35, v145
	v_pk_add_f32 v[146:147], v[38:39], v[34:35] neg_lo:[0,1] neg_hi:[0,1]
	v_pk_add_f32 v[34:35], v[38:39], v[34:35]
	v_mov_b32_e32 v132, v133
	v_mov_b32_e32 v38, v35
	v_pk_add_f32 v[148:149], v[38:39], v[36:37] neg_lo:[0,1] neg_hi:[0,1]
	v_mov_b32_e32 v34, v145
	v_mov_b32_e32 v39, v148
	v_pk_add_f32 v[150:151], v[144:145], v[38:39] neg_lo:[0,1] neg_hi:[0,1]
	v_mov_b32_e32 v144, v37
	v_mov_b32_e32 v145, v148
	;; [unrolled: 1-line block ×3, first 2 shown]
	v_pk_add_f32 v[34:35], v[34:35], v[144:145] neg_lo:[0,1] neg_hi:[0,1]
	v_mov_b32_e32 v133, v36
	v_pk_add_f32 v[34:35], v[132:133], v[34:35] neg_lo:[0,1] neg_hi:[0,1]
	v_mov_b32_e32 v150, v146
	v_pk_add_f32 v[36:37], v[150:151], v[34:35]
	s_mov_b32 s13, 0x33800000
	v_mov_b32_e32 v118, v37
	v_pk_add_f32 v[132:133], v[36:37], v[118:119]
	v_cmp_lt_f32_e64 s[48:49], |v129|, s13
	v_pk_add_f32 v[38:39], v[38:39], v[132:133]
	v_mov_b32_e32 v35, v132
	v_mov_b32_e32 v37, v38
	v_pk_add_f32 v[144:145], v[36:37], v[146:147] neg_lo:[0,1] neg_hi:[0,1]
	s_or_b64 vcc, vcc, s[48:49]
	v_sub_f32_e32 v36, v36, v144
	v_pk_add_f32 v[34:35], v[34:35], v[144:145] neg_lo:[0,1] neg_hi:[0,1]
	v_sub_f32_e32 v36, v146, v36
	v_add_f32_e32 v34, v34, v36
	v_add_f32_e32 v34, v34, v35
	;; [unrolled: 1-line block ×3, first 2 shown]
	v_cndmask_b32_e32 v34, v34, v129, vcc
	v_add_f32_e32 v34, v32, v34
.LBB451_93:
	s_or_b64 exec, exec, s[44:45]
	v_bfe_u32 v32, v34, 16, 1
	v_add3_u32 v32, v34, v32, s46
	v_and_b32_e32 v32, 0xffff0000, v32
	v_cmp_o_f32_e32 vcc, v34, v34
	s_movk_i32 s13, 0x1f8
	s_nop 0
	v_cndmask_b32_e32 v34, v33, v32, vcc
	v_mov_b32_e32 v32, 16
	v_lshlrev_b32_sdwa v118, v32, v18 dst_sel:DWORD dst_unused:UNUSED_PAD src0_sel:DWORD src1_sel:WORD_1
	v_max_f32_e32 v33, v34, v34
	v_max_f32_e32 v132, v118, v118
	v_min_f32_e32 v35, v33, v132
	v_cmp_u_f32_e32 vcc, v34, v34
	v_max_f32_e32 v33, v33, v132
	v_cmp_u_f32_e64 s[44:45], v118, v118
	v_cndmask_b32_e32 v35, v35, v34, vcc
	v_cndmask_b32_e32 v33, v33, v34, vcc
	v_cndmask_b32_e64 v35, v35, v118, s[44:45]
	v_cndmask_b32_e64 v33, v33, v118, s[44:45]
	v_cmp_neq_f32_e32 vcc, v35, v33
	v_cmp_class_f32_e64 s[46:47], v35, s13
	s_or_b64 vcc, vcc, s[46:47]
	s_and_saveexec_b64 s[46:47], vcc
	s_cbranch_execz .LBB451_95
; %bb.94:
	v_sub_f32_e32 v34, v35, v33
	s_mov_b32 s48, 0x3fb8aa3b
	v_mul_f32_e32 v35, 0x3fb8aa3b, v34
	v_fma_f32 v36, v34, s48, -v35
	v_rndne_f32_e32 v37, v35
	v_fmamk_f32 v36, v34, 0x32a5705f, v36
	v_sub_f32_e32 v35, v35, v37
	v_add_f32_e32 v35, v35, v36
	v_exp_f32_e32 v35, v35
	v_cvt_i32_f32_e32 v36, v37
	s_mov_b32 s48, 0xc2ce8ed0
	v_cmp_ngt_f32_e32 vcc, s48, v34
	s_mov_b32 s48, 0x42b17218
	v_ldexp_f32 v35, v35, v36
	v_cndmask_b32_e32 v35, 0, v35, vcc
	v_mov_b32_e32 v36, 0x7f800000
	v_cmp_nlt_f32_e32 vcc, s48, v34
	s_mov_b32 s48, 0x3f2aaaab
	s_mov_b32 s49, 0x7f800000
	v_cndmask_b32_e32 v129, v36, v35, vcc
	v_add_f32_e32 v36, 1.0, v129
	v_add_f32_e32 v34, -1.0, v36
	v_sub_f32_e32 v35, v34, v36
	v_add_f32_e32 v35, 1.0, v35
	v_sub_f32_e32 v34, v129, v34
	v_add_f32_e32 v37, v34, v35
	v_frexp_mant_f32_e32 v38, v36
	v_cvt_f64_f32_e32 v[34:35], v36
	v_frexp_exp_i32_f64_e32 v34, v[34:35]
	v_cmp_gt_f32_e32 vcc, s48, v38
	s_mov_b32 s48, 0x3f317218
	s_nop 0
	v_subbrev_co_u32_e32 v130, vcc, 0, v34, vcc
	v_sub_u32_e32 v34, 0, v130
	v_ldexp_f32 v35, v36, v34
	v_add_f32_e32 v36, -1.0, v35
	v_add_f32_e32 v38, 1.0, v35
	v_ldexp_f32 v34, v37, v34
	v_add_f32_e32 v37, 1.0, v36
	v_add_f32_e32 v39, -1.0, v38
	v_sub_f32_e32 v37, v35, v37
	v_sub_f32_e32 v35, v35, v39
	v_add_f32_e32 v37, v34, v37
	v_add_f32_e32 v34, v34, v35
	;; [unrolled: 1-line block ×3, first 2 shown]
	v_rcp_f32_e32 v146, v133
	v_sub_f32_e32 v35, v38, v133
	v_add_f32_e32 v134, v34, v35
	v_add_f32_e32 v35, v36, v37
	v_mul_f32_e32 v148, v35, v146
	v_sub_f32_e32 v34, v36, v35
	v_mul_f32_e32 v36, v133, v148
	v_fma_f32 v38, v148, v133, -v36
	v_fmac_f32_e32 v38, v148, v134
	v_add_f32_e32 v147, v37, v34
	v_add_f32_e32 v34, v36, v38
	v_sub_f32_e32 v37, v35, v34
	v_pk_add_f32 v[144:145], v[34:35], v[36:37] neg_lo:[0,1] neg_hi:[0,1]
	v_mov_b32_e32 v39, v34
	v_pk_add_f32 v[34:35], v[144:145], v[38:39] neg_lo:[0,1] neg_hi:[0,1]
	v_cmp_eq_f32_e32 vcc, s49, v129
	v_add_f32_e32 v35, v147, v35
	v_add_f32_e32 v34, v34, v35
	;; [unrolled: 1-line block ×3, first 2 shown]
	v_mul_f32_e32 v147, v146, v35
	v_mul_f32_e32 v36, v133, v147
	v_fma_f32 v38, v147, v133, -v36
	v_fmac_f32_e32 v38, v147, v134
	v_sub_f32_e32 v37, v37, v35
	v_add_f32_e32 v133, v34, v37
	v_add_f32_e32 v34, v36, v38
	v_sub_f32_e32 v37, v35, v34
	v_pk_add_f32 v[144:145], v[34:35], v[36:37] neg_lo:[0,1] neg_hi:[0,1]
	v_mov_b32_e32 v39, v34
	v_pk_add_f32 v[34:35], v[144:145], v[38:39] neg_lo:[0,1] neg_hi:[0,1]
	v_cvt_f32_i32_e32 v36, v130
	v_add_f32_e32 v35, v133, v35
	v_add_f32_e32 v34, v34, v35
	;; [unrolled: 1-line block ×4, first 2 shown]
	v_sub_f32_e32 v35, v37, v148
	v_mul_f32_e32 v34, v146, v34
	v_sub_f32_e32 v35, v147, v35
	v_add_f32_e32 v34, v35, v34
	v_add_f32_e32 v38, v37, v34
	v_mul_f32_e32 v133, v38, v38
	v_mov_b32_e32 v35, 0x3ecc95a3
	v_sub_f32_e32 v37, v38, v37
	v_fmac_f32_e32 v35, 0x3e9b6dac, v133
	v_sub_f32_e32 v34, v34, v37
	v_fmaak_f32 v35, v133, v35, 0x3f2aaada
	v_ldexp_f32 v130, v34, 1
	v_mul_f32_e32 v37, v38, v133
	v_mov_b32_e32 v34, 0x3f317218
	v_pk_mul_f32 v[34:35], v[36:37], v[34:35]
	v_ldexp_f32 v39, v38, 1
	v_fma_f32 v37, v36, s48, -v34
	v_fmamk_f32 v38, v36, 0xb102e308, v37
	v_pk_add_f32 v[36:37], v[34:35], v[38:39]
	v_mov_b32_e32 v144, v34
	v_sub_f32_e32 v39, v37, v39
	v_sub_f32_e32 v39, v35, v39
	v_add_f32_e32 v145, v130, v39
	v_pk_add_f32 v[34:35], v[36:37], v[34:35] neg_lo:[0,1] neg_hi:[0,1]
	v_pk_add_f32 v[146:147], v[36:37], v[144:145]
	v_mov_b32_e32 v39, v36
	v_mov_b32_e32 v35, v147
	v_pk_add_f32 v[148:149], v[38:39], v[34:35] neg_lo:[0,1] neg_hi:[0,1]
	v_pk_add_f32 v[34:35], v[38:39], v[34:35]
	v_mov_b32_e32 v144, v145
	v_mov_b32_e32 v38, v35
	v_pk_add_f32 v[150:151], v[38:39], v[36:37] neg_lo:[0,1] neg_hi:[0,1]
	v_mov_b32_e32 v34, v147
	v_mov_b32_e32 v39, v150
	v_pk_add_f32 v[160:161], v[146:147], v[38:39] neg_lo:[0,1] neg_hi:[0,1]
	v_mov_b32_e32 v146, v37
	v_mov_b32_e32 v147, v150
	;; [unrolled: 1-line block ×3, first 2 shown]
	v_pk_add_f32 v[34:35], v[34:35], v[146:147] neg_lo:[0,1] neg_hi:[0,1]
	v_mov_b32_e32 v145, v36
	v_pk_add_f32 v[34:35], v[144:145], v[34:35] neg_lo:[0,1] neg_hi:[0,1]
	v_mov_b32_e32 v160, v148
	v_pk_add_f32 v[36:37], v[160:161], v[34:35]
	s_mov_b32 s48, 0x33800000
	v_mov_b32_e32 v130, v37
	v_pk_add_f32 v[144:145], v[36:37], v[130:131]
	v_cmp_lt_f32_e64 s[48:49], |v129|, s48
	v_pk_add_f32 v[38:39], v[38:39], v[144:145]
	v_mov_b32_e32 v35, v144
	v_mov_b32_e32 v37, v38
	v_pk_add_f32 v[146:147], v[36:37], v[148:149] neg_lo:[0,1] neg_hi:[0,1]
	s_or_b64 vcc, vcc, s[48:49]
	v_sub_f32_e32 v36, v36, v146
	v_pk_add_f32 v[34:35], v[34:35], v[146:147] neg_lo:[0,1] neg_hi:[0,1]
	v_sub_f32_e32 v36, v148, v36
	v_add_f32_e32 v34, v34, v36
	v_add_f32_e32 v34, v34, v35
	;; [unrolled: 1-line block ×3, first 2 shown]
	v_cndmask_b32_e32 v34, v34, v129, vcc
	v_add_f32_e32 v34, v33, v34
.LBB451_95:
	s_or_b64 exec, exec, s[46:47]
	v_bfe_u32 v33, v34, 16, 1
	s_movk_i32 s52, 0x7fff
	v_add3_u32 v33, v34, v33, s52
	v_and_b32_e32 v35, 0xffff0000, v33
	v_mov_b32_e32 v33, 0x7fc00000
	v_cmp_o_f32_e32 vcc, v34, v34
	v_lshlrev_b32_sdwa v129, v32, v19 dst_sel:DWORD dst_unused:UNUSED_PAD src0_sel:DWORD src1_sel:WORD_0
	v_max_f32_e32 v133, v129, v129
	v_cndmask_b32_e32 v34, v33, v35, vcc
	v_max_f32_e32 v32, v34, v34
	v_min_f32_e32 v35, v32, v133
	v_cmp_u_f32_e32 vcc, v34, v34
	v_max_f32_e32 v32, v32, v133
	v_cmp_u_f32_e64 s[46:47], v129, v129
	v_cndmask_b32_e32 v35, v35, v34, vcc
	v_cndmask_b32_e32 v32, v32, v34, vcc
	v_cndmask_b32_e64 v35, v35, v129, s[46:47]
	v_cndmask_b32_e64 v32, v32, v129, s[46:47]
	v_cmp_neq_f32_e32 vcc, v35, v32
	v_cmp_class_f32_e64 s[48:49], v35, s13
	s_or_b64 vcc, vcc, s[48:49]
	s_and_saveexec_b64 s[48:49], vcc
	s_cbranch_execz .LBB451_97
; %bb.96:
	v_sub_f32_e32 v34, v35, v32
	s_mov_b32 s13, 0x3fb8aa3b
	v_mul_f32_e32 v35, 0x3fb8aa3b, v34
	v_fma_f32 v36, v34, s13, -v35
	v_rndne_f32_e32 v37, v35
	v_fmamk_f32 v36, v34, 0x32a5705f, v36
	v_sub_f32_e32 v35, v35, v37
	v_add_f32_e32 v35, v35, v36
	v_exp_f32_e32 v35, v35
	v_cvt_i32_f32_e32 v36, v37
	s_mov_b32 s13, 0xc2ce8ed0
	v_cmp_ngt_f32_e32 vcc, s13, v34
	s_mov_b32 s13, 0x42b17218
	v_ldexp_f32 v35, v35, v36
	v_cndmask_b32_e32 v35, 0, v35, vcc
	v_mov_b32_e32 v36, 0x7f800000
	v_cmp_nlt_f32_e32 vcc, s13, v34
	s_mov_b32 s13, 0x3f2aaaab
	s_mov_b32 s53, 0x7f800000
	v_cndmask_b32_e32 v134, v36, v35, vcc
	v_add_f32_e32 v36, 1.0, v134
	v_add_f32_e32 v34, -1.0, v36
	v_sub_f32_e32 v35, v34, v36
	v_add_f32_e32 v35, 1.0, v35
	v_sub_f32_e32 v34, v134, v34
	v_add_f32_e32 v37, v34, v35
	v_frexp_mant_f32_e32 v38, v36
	v_cvt_f64_f32_e32 v[34:35], v36
	v_frexp_exp_i32_f64_e32 v34, v[34:35]
	v_cmp_gt_f32_e32 vcc, s13, v38
	s_mov_b32 s13, 0x3f317218
	s_nop 0
	v_subbrev_co_u32_e32 v130, vcc, 0, v34, vcc
	v_sub_u32_e32 v34, 0, v130
	v_ldexp_f32 v35, v36, v34
	v_add_f32_e32 v36, -1.0, v35
	v_add_f32_e32 v38, 1.0, v35
	v_ldexp_f32 v34, v37, v34
	v_add_f32_e32 v37, 1.0, v36
	v_add_f32_e32 v39, -1.0, v38
	v_sub_f32_e32 v37, v35, v37
	v_sub_f32_e32 v35, v35, v39
	v_add_f32_e32 v37, v34, v37
	v_add_f32_e32 v34, v34, v35
	;; [unrolled: 1-line block ×3, first 2 shown]
	v_rcp_f32_e32 v148, v146
	v_sub_f32_e32 v35, v38, v146
	v_add_f32_e32 v147, v34, v35
	v_add_f32_e32 v35, v36, v37
	v_mul_f32_e32 v150, v35, v148
	v_sub_f32_e32 v34, v36, v35
	v_mul_f32_e32 v36, v146, v150
	v_fma_f32 v38, v150, v146, -v36
	v_fmac_f32_e32 v38, v150, v147
	v_add_f32_e32 v149, v37, v34
	v_add_f32_e32 v34, v36, v38
	v_sub_f32_e32 v37, v35, v34
	v_pk_add_f32 v[144:145], v[34:35], v[36:37] neg_lo:[0,1] neg_hi:[0,1]
	v_mov_b32_e32 v39, v34
	v_pk_add_f32 v[34:35], v[144:145], v[38:39] neg_lo:[0,1] neg_hi:[0,1]
	v_cmp_eq_f32_e32 vcc, s53, v134
	v_add_f32_e32 v35, v149, v35
	v_add_f32_e32 v34, v34, v35
	;; [unrolled: 1-line block ×3, first 2 shown]
	v_mul_f32_e32 v149, v148, v35
	v_mul_f32_e32 v36, v146, v149
	v_fma_f32 v38, v149, v146, -v36
	v_fmac_f32_e32 v38, v149, v147
	v_sub_f32_e32 v37, v37, v35
	v_add_f32_e32 v146, v34, v37
	v_add_f32_e32 v34, v36, v38
	v_sub_f32_e32 v37, v35, v34
	v_pk_add_f32 v[144:145], v[34:35], v[36:37] neg_lo:[0,1] neg_hi:[0,1]
	v_mov_b32_e32 v39, v34
	v_pk_add_f32 v[34:35], v[144:145], v[38:39] neg_lo:[0,1] neg_hi:[0,1]
	v_cvt_f32_i32_e32 v36, v130
	v_add_f32_e32 v35, v146, v35
	v_add_f32_e32 v34, v34, v35
	v_add_f32_e32 v34, v37, v34
	v_add_f32_e32 v37, v150, v149
	v_sub_f32_e32 v35, v37, v150
	v_mul_f32_e32 v34, v148, v34
	v_sub_f32_e32 v35, v149, v35
	v_add_f32_e32 v34, v35, v34
	v_add_f32_e32 v38, v37, v34
	v_mul_f32_e32 v144, v38, v38
	v_mov_b32_e32 v35, 0x3ecc95a3
	v_sub_f32_e32 v37, v38, v37
	v_fmac_f32_e32 v35, 0x3e9b6dac, v144
	v_sub_f32_e32 v34, v34, v37
	v_fmaak_f32 v35, v144, v35, 0x3f2aaada
	v_ldexp_f32 v130, v34, 1
	v_mul_f32_e32 v37, v38, v144
	v_mov_b32_e32 v34, 0x3f317218
	v_pk_mul_f32 v[34:35], v[36:37], v[34:35]
	v_ldexp_f32 v39, v38, 1
	v_fma_f32 v37, v36, s13, -v34
	v_fmamk_f32 v38, v36, 0xb102e308, v37
	v_pk_add_f32 v[36:37], v[34:35], v[38:39]
	v_mov_b32_e32 v144, v34
	v_sub_f32_e32 v39, v37, v39
	v_sub_f32_e32 v39, v35, v39
	v_add_f32_e32 v145, v130, v39
	v_pk_add_f32 v[34:35], v[36:37], v[34:35] neg_lo:[0,1] neg_hi:[0,1]
	v_pk_add_f32 v[146:147], v[36:37], v[144:145]
	v_mov_b32_e32 v39, v36
	v_mov_b32_e32 v35, v147
	v_pk_add_f32 v[148:149], v[38:39], v[34:35] neg_lo:[0,1] neg_hi:[0,1]
	v_pk_add_f32 v[34:35], v[38:39], v[34:35]
	v_mov_b32_e32 v144, v145
	v_mov_b32_e32 v38, v35
	v_pk_add_f32 v[150:151], v[38:39], v[36:37] neg_lo:[0,1] neg_hi:[0,1]
	v_mov_b32_e32 v34, v147
	v_mov_b32_e32 v39, v150
	v_pk_add_f32 v[160:161], v[146:147], v[38:39] neg_lo:[0,1] neg_hi:[0,1]
	v_mov_b32_e32 v146, v37
	v_mov_b32_e32 v147, v150
	v_mov_b32_e32 v149, v35
	v_pk_add_f32 v[34:35], v[34:35], v[146:147] neg_lo:[0,1] neg_hi:[0,1]
	v_mov_b32_e32 v145, v36
	v_pk_add_f32 v[34:35], v[144:145], v[34:35] neg_lo:[0,1] neg_hi:[0,1]
	v_mov_b32_e32 v160, v148
	v_pk_add_f32 v[36:37], v[160:161], v[34:35]
	s_mov_b32 s13, 0x33800000
	v_mov_b32_e32 v130, v37
	v_pk_add_f32 v[144:145], v[36:37], v[130:131]
	v_cmp_lt_f32_e64 s[56:57], |v134|, s13
	v_pk_add_f32 v[38:39], v[38:39], v[144:145]
	v_mov_b32_e32 v35, v144
	v_mov_b32_e32 v37, v38
	v_pk_add_f32 v[146:147], v[36:37], v[148:149] neg_lo:[0,1] neg_hi:[0,1]
	s_or_b64 vcc, vcc, s[56:57]
	v_sub_f32_e32 v36, v36, v146
	v_pk_add_f32 v[34:35], v[34:35], v[146:147] neg_lo:[0,1] neg_hi:[0,1]
	v_sub_f32_e32 v36, v148, v36
	v_add_f32_e32 v34, v34, v36
	v_add_f32_e32 v34, v34, v35
	v_add_f32_e32 v34, v38, v34
	v_cndmask_b32_e32 v34, v34, v134, vcc
	v_add_f32_e32 v34, v32, v34
.LBB451_97:
	s_or_b64 exec, exec, s[48:49]
	v_bfe_u32 v32, v34, 16, 1
	v_add3_u32 v32, v34, v32, s52
	v_and_b32_e32 v32, 0xffff0000, v32
	v_cmp_o_f32_e32 vcc, v34, v34
	s_movk_i32 s13, 0x1f8
	s_nop 0
	v_cndmask_b32_e32 v33, v33, v32, vcc
	v_mov_b32_e32 v32, 16
	v_lshlrev_b32_sdwa v130, v32, v19 dst_sel:DWORD dst_unused:UNUSED_PAD src0_sel:DWORD src1_sel:WORD_1
	v_max_f32_e32 v32, v33, v33
	v_max_f32_e32 v134, v130, v130
	v_min_f32_e32 v34, v32, v134
	v_cmp_u_f32_e32 vcc, v33, v33
	v_max_f32_e32 v32, v32, v134
	v_cmp_u_f32_e64 s[48:49], v130, v130
	v_cndmask_b32_e32 v34, v34, v33, vcc
	v_cndmask_b32_e32 v32, v32, v33, vcc
	v_cndmask_b32_e64 v34, v34, v130, s[48:49]
	v_cndmask_b32_e64 v32, v32, v130, s[48:49]
	v_cmp_neq_f32_e32 vcc, v34, v32
	v_cmp_class_f32_e64 s[52:53], v34, s13
	s_or_b64 vcc, vcc, s[52:53]
	s_and_saveexec_b64 s[52:53], vcc
	s_cbranch_execz .LBB451_99
; %bb.98:
	v_sub_f32_e32 v33, v34, v32
	s_mov_b32 s13, 0x3fb8aa3b
	v_mul_f32_e32 v34, 0x3fb8aa3b, v33
	v_fma_f32 v35, v33, s13, -v34
	v_rndne_f32_e32 v36, v34
	v_fmamk_f32 v35, v33, 0x32a5705f, v35
	v_sub_f32_e32 v34, v34, v36
	v_add_f32_e32 v34, v34, v35
	v_exp_f32_e32 v34, v34
	v_cvt_i32_f32_e32 v35, v36
	s_mov_b32 s13, 0xc2ce8ed0
	v_cmp_ngt_f32_e32 vcc, s13, v33
	s_mov_b32 s13, 0x42b17218
	v_ldexp_f32 v34, v34, v35
	v_cndmask_b32_e32 v34, 0, v34, vcc
	v_mov_b32_e32 v35, 0x7f800000
	v_cmp_nlt_f32_e32 vcc, s13, v33
	s_mov_b32 s13, 0x3f2aaaab
	s_mov_b32 s56, 0x7f800000
	v_cndmask_b32_e32 v162, v35, v34, vcc
	v_add_f32_e32 v33, 1.0, v162
	v_add_f32_e32 v34, -1.0, v33
	v_sub_f32_e32 v35, v34, v33
	v_add_f32_e32 v35, 1.0, v35
	v_sub_f32_e32 v34, v162, v34
	v_add_f32_e32 v36, v34, v35
	v_frexp_mant_f32_e32 v37, v33
	v_cvt_f64_f32_e32 v[34:35], v33
	v_frexp_exp_i32_f64_e32 v34, v[34:35]
	v_cmp_gt_f32_e32 vcc, s13, v37
	s_mov_b32 s13, 0x3f317218
	s_nop 0
	v_subbrev_co_u32_e32 v146, vcc, 0, v34, vcc
	v_sub_u32_e32 v34, 0, v146
	v_ldexp_f32 v33, v33, v34
	v_ldexp_f32 v34, v36, v34
	v_add_f32_e32 v36, -1.0, v33
	v_add_f32_e32 v35, 1.0, v36
	v_sub_f32_e32 v35, v33, v35
	v_add_f32_e32 v37, v34, v35
	v_add_f32_e32 v35, 1.0, v33
	v_add_f32_e32 v38, -1.0, v35
	v_sub_f32_e32 v33, v33, v38
	v_add_f32_e32 v33, v34, v33
	v_add_f32_e32 v147, v35, v33
	v_rcp_f32_e32 v148, v147
	v_sub_f32_e32 v34, v35, v147
	v_add_f32_e32 v35, v36, v37
	v_add_f32_e32 v33, v33, v34
	v_mul_f32_e32 v150, v35, v148
	v_sub_f32_e32 v34, v36, v35
	v_mul_f32_e32 v36, v147, v150
	v_fma_f32 v38, v150, v147, -v36
	v_fmac_f32_e32 v38, v150, v33
	v_add_f32_e32 v149, v37, v34
	v_add_f32_e32 v34, v36, v38
	v_sub_f32_e32 v37, v35, v34
	v_pk_add_f32 v[144:145], v[34:35], v[36:37] neg_lo:[0,1] neg_hi:[0,1]
	v_mov_b32_e32 v39, v34
	v_pk_add_f32 v[34:35], v[144:145], v[38:39] neg_lo:[0,1] neg_hi:[0,1]
	v_cmp_eq_f32_e32 vcc, s56, v162
	v_add_f32_e32 v35, v149, v35
	v_add_f32_e32 v34, v34, v35
	;; [unrolled: 1-line block ×3, first 2 shown]
	v_mul_f32_e32 v149, v148, v35
	v_mul_f32_e32 v36, v147, v149
	v_fma_f32 v38, v149, v147, -v36
	v_fmac_f32_e32 v38, v149, v33
	v_sub_f32_e32 v33, v37, v35
	v_add_f32_e32 v33, v34, v33
	v_add_f32_e32 v34, v36, v38
	v_sub_f32_e32 v37, v35, v34
	v_pk_add_f32 v[144:145], v[34:35], v[36:37] neg_lo:[0,1] neg_hi:[0,1]
	v_mov_b32_e32 v39, v34
	v_pk_add_f32 v[34:35], v[144:145], v[38:39] neg_lo:[0,1] neg_hi:[0,1]
	v_cvt_f32_i32_e32 v36, v146
	v_add_f32_e32 v33, v33, v35
	v_add_f32_e32 v33, v34, v33
	;; [unrolled: 1-line block ×4, first 2 shown]
	v_sub_f32_e32 v35, v34, v150
	v_mul_f32_e32 v33, v148, v33
	v_sub_f32_e32 v35, v149, v35
	v_add_f32_e32 v33, v35, v33
	v_add_f32_e32 v37, v34, v33
	v_mul_f32_e32 v38, v37, v37
	v_mov_b32_e32 v35, 0x3ecc95a3
	v_fmac_f32_e32 v35, 0x3e9b6dac, v38
	v_sub_f32_e32 v34, v37, v34
	v_fmaak_f32 v35, v38, v35, 0x3f2aaada
	v_sub_f32_e32 v33, v33, v34
	v_ldexp_f32 v39, v37, 1
	v_mul_f32_e32 v37, v37, v38
	v_mov_b32_e32 v34, 0x3f317218
	v_pk_mul_f32 v[34:35], v[36:37], v[34:35]
	v_ldexp_f32 v33, v33, 1
	v_fma_f32 v37, v36, s13, -v34
	v_fmamk_f32 v38, v36, 0xb102e308, v37
	v_pk_add_f32 v[36:37], v[34:35], v[38:39]
	v_mov_b32_e32 v144, v34
	v_sub_f32_e32 v39, v37, v39
	v_sub_f32_e32 v39, v35, v39
	v_add_f32_e32 v145, v33, v39
	v_pk_add_f32 v[34:35], v[36:37], v[34:35] neg_lo:[0,1] neg_hi:[0,1]
	v_pk_add_f32 v[146:147], v[36:37], v[144:145]
	v_mov_b32_e32 v39, v36
	v_mov_b32_e32 v35, v147
	v_pk_add_f32 v[148:149], v[38:39], v[34:35] neg_lo:[0,1] neg_hi:[0,1]
	v_pk_add_f32 v[34:35], v[38:39], v[34:35]
	v_mov_b32_e32 v144, v145
	v_mov_b32_e32 v38, v35
	v_pk_add_f32 v[150:151], v[38:39], v[36:37] neg_lo:[0,1] neg_hi:[0,1]
	v_mov_b32_e32 v34, v147
	v_mov_b32_e32 v33, v150
	v_pk_add_f32 v[160:161], v[146:147], v[32:33] neg_lo:[0,1] neg_hi:[0,1]
	v_mov_b32_e32 v146, v37
	v_mov_b32_e32 v147, v150
	;; [unrolled: 1-line block ×3, first 2 shown]
	v_pk_add_f32 v[34:35], v[34:35], v[146:147] neg_lo:[0,1] neg_hi:[0,1]
	v_mov_b32_e32 v145, v36
	v_pk_add_f32 v[34:35], v[144:145], v[34:35] neg_lo:[0,1] neg_hi:[0,1]
	v_mov_b32_e32 v160, v148
	v_pk_add_f32 v[36:37], v[160:161], v[34:35]
	s_mov_b32 s13, 0x33800000
	v_mov_b32_e32 v144, v37
	v_pk_add_f32 v[144:145], v[36:37], v[144:145]
	v_cmp_lt_f32_e64 s[56:57], |v162|, s13
	v_pk_add_f32 v[38:39], v[38:39], v[144:145]
	v_mov_b32_e32 v35, v144
	v_mov_b32_e32 v37, v38
	v_pk_add_f32 v[146:147], v[36:37], v[148:149] neg_lo:[0,1] neg_hi:[0,1]
	s_or_b64 vcc, vcc, s[56:57]
	v_sub_f32_e32 v33, v36, v146
	v_pk_add_f32 v[34:35], v[34:35], v[146:147] neg_lo:[0,1] neg_hi:[0,1]
	v_sub_f32_e32 v33, v148, v33
	v_add_f32_e32 v33, v34, v33
	v_add_f32_e32 v33, v33, v35
	;; [unrolled: 1-line block ×3, first 2 shown]
	v_cndmask_b32_e32 v33, v33, v162, vcc
	v_add_f32_e32 v33, v32, v33
.LBB451_99:
	s_or_b64 exec, exec, s[52:53]
	v_bfe_u32 v32, v33, 16, 1
	s_movk_i32 s13, 0x7fff
	v_add3_u32 v32, v33, v32, s13
	v_lshrrev_b32_e32 v32, 16, v32
	v_mov_b32_e32 v34, 0x7fc0
	v_cmp_o_f32_e32 vcc, v33, v33
	s_nop 1
	v_cndmask_b32_e32 v34, v34, v32, vcc
	v_mbcnt_lo_u32_b32 v32, -1, 0
	v_mbcnt_hi_u32_b32 v33, -1, v32
	v_and_b32_e32 v32, 15, v33
	v_and_b32_e32 v35, 0xffff, v34
	v_cmp_ne_u32_e32 vcc, 0, v32
	s_nop 0
	v_mov_b32_dpp v36, v35 row_shr:1 row_mask:0xf bank_mask:0xf
	s_and_saveexec_b64 s[56:57], vcc
	s_cbranch_execz .LBB451_103
; %bb.100:
	v_lshlrev_b32_e32 v36, 16, v36
	v_lshlrev_b32_e32 v34, 16, v35
	v_max_f32_e32 v37, v34, v34
	v_max_f32_e32 v38, v36, v36
	v_min_f32_e32 v35, v38, v37
	v_cmp_u_f32_e32 vcc, v36, v36
	v_max_f32_e32 v37, v38, v37
	v_cmp_u_f32_e64 s[52:53], v34, v34
	v_cndmask_b32_e32 v35, v35, v36, vcc
	v_cndmask_b32_e32 v37, v37, v36, vcc
	v_cndmask_b32_e64 v35, v35, v34, s[52:53]
	v_cndmask_b32_e64 v34, v37, v34, s[52:53]
	s_movk_i32 s13, 0x1f8
	v_cmp_neq_f32_e32 vcc, v35, v34
	v_cmp_class_f32_e64 s[52:53], v35, s13
	s_or_b64 vcc, vcc, s[52:53]
	s_and_saveexec_b64 s[52:53], vcc
	s_cbranch_execz .LBB451_102
; %bb.101:
	v_sub_f32_e32 v35, v35, v34
	s_mov_b32 s13, 0x3fb8aa3b
	v_mul_f32_e32 v36, 0x3fb8aa3b, v35
	v_fma_f32 v37, v35, s13, -v36
	v_rndne_f32_e32 v38, v36
	v_fmamk_f32 v37, v35, 0x32a5705f, v37
	v_sub_f32_e32 v36, v36, v38
	v_add_f32_e32 v36, v36, v37
	v_exp_f32_e32 v36, v36
	v_cvt_i32_f32_e32 v37, v38
	s_mov_b32 s13, 0xc2ce8ed0
	v_cmp_ngt_f32_e32 vcc, s13, v35
	s_mov_b32 s13, 0x42b17218
	v_ldexp_f32 v36, v36, v37
	v_cndmask_b32_e32 v36, 0, v36, vcc
	v_mov_b32_e32 v37, 0x7f800000
	v_cmp_nlt_f32_e32 vcc, s13, v35
	s_mov_b32 s13, 0x3f2aaaab
	s_mov_b32 s60, 0x7f800000
	v_cndmask_b32_e32 v164, v37, v36, vcc
	v_add_f32_e32 v35, 1.0, v164
	v_add_f32_e32 v36, -1.0, v35
	v_sub_f32_e32 v37, v36, v35
	v_add_f32_e32 v37, 1.0, v37
	v_sub_f32_e32 v36, v164, v36
	v_add_f32_e32 v38, v36, v37
	v_frexp_mant_f32_e32 v39, v35
	v_cvt_f64_f32_e32 v[36:37], v35
	v_frexp_exp_i32_f64_e32 v36, v[36:37]
	v_cmp_gt_f32_e32 vcc, s13, v39
	s_mov_b32 s13, 0x3f317218
	s_nop 0
	v_subbrev_co_u32_e32 v148, vcc, 0, v36, vcc
	v_sub_u32_e32 v36, 0, v148
	v_ldexp_f32 v35, v35, v36
	v_ldexp_f32 v36, v38, v36
	v_add_f32_e32 v38, -1.0, v35
	v_add_f32_e32 v37, 1.0, v38
	v_sub_f32_e32 v37, v35, v37
	v_add_f32_e32 v39, v36, v37
	v_add_f32_e32 v37, 1.0, v35
	v_add_f32_e32 v144, -1.0, v37
	v_sub_f32_e32 v35, v35, v144
	v_add_f32_e32 v35, v36, v35
	v_add_f32_e32 v149, v37, v35
	v_rcp_f32_e32 v150, v149
	v_sub_f32_e32 v36, v37, v149
	v_add_f32_e32 v37, v38, v39
	v_add_f32_e32 v35, v35, v36
	v_mul_f32_e32 v160, v37, v150
	v_sub_f32_e32 v36, v38, v37
	v_mul_f32_e32 v38, v149, v160
	v_fma_f32 v144, v160, v149, -v38
	v_fmac_f32_e32 v144, v160, v35
	v_add_f32_e32 v151, v39, v36
	v_add_f32_e32 v36, v38, v144
	v_sub_f32_e32 v39, v37, v36
	v_pk_add_f32 v[146:147], v[36:37], v[38:39] neg_lo:[0,1] neg_hi:[0,1]
	v_mov_b32_e32 v145, v36
	v_pk_add_f32 v[36:37], v[146:147], v[144:145] neg_lo:[0,1] neg_hi:[0,1]
	v_cmp_eq_f32_e32 vcc, s60, v164
	v_add_f32_e32 v37, v151, v37
	v_add_f32_e32 v36, v36, v37
	;; [unrolled: 1-line block ×3, first 2 shown]
	v_mul_f32_e32 v151, v150, v37
	v_mul_f32_e32 v38, v149, v151
	v_fma_f32 v144, v151, v149, -v38
	v_fmac_f32_e32 v144, v151, v35
	v_sub_f32_e32 v35, v39, v37
	v_add_f32_e32 v35, v36, v35
	v_add_f32_e32 v36, v38, v144
	v_sub_f32_e32 v39, v37, v36
	v_pk_add_f32 v[146:147], v[36:37], v[38:39] neg_lo:[0,1] neg_hi:[0,1]
	v_mov_b32_e32 v145, v36
	v_pk_add_f32 v[36:37], v[146:147], v[144:145] neg_lo:[0,1] neg_hi:[0,1]
	v_cvt_f32_i32_e32 v38, v148
	v_add_f32_e32 v35, v35, v37
	v_add_f32_e32 v35, v36, v35
	;; [unrolled: 1-line block ×4, first 2 shown]
	v_sub_f32_e32 v37, v36, v160
	v_mul_f32_e32 v35, v150, v35
	v_sub_f32_e32 v37, v151, v37
	v_add_f32_e32 v35, v37, v35
	v_add_f32_e32 v39, v36, v35
	v_mul_f32_e32 v144, v39, v39
	v_mov_b32_e32 v37, 0x3ecc95a3
	v_fmac_f32_e32 v37, 0x3e9b6dac, v144
	v_sub_f32_e32 v36, v39, v36
	v_fmaak_f32 v37, v144, v37, 0x3f2aaada
	v_sub_f32_e32 v35, v35, v36
	v_ldexp_f32 v145, v39, 1
	v_mul_f32_e32 v39, v39, v144
	v_mov_b32_e32 v36, 0x3f317218
	v_pk_mul_f32 v[36:37], v[38:39], v[36:37]
	v_ldexp_f32 v35, v35, 1
	v_fma_f32 v39, v38, s13, -v36
	v_fmamk_f32 v144, v38, 0xb102e308, v39
	v_pk_add_f32 v[38:39], v[36:37], v[144:145]
	v_mov_b32_e32 v146, v36
	v_sub_f32_e32 v145, v39, v145
	v_sub_f32_e32 v145, v37, v145
	v_add_f32_e32 v147, v35, v145
	v_pk_add_f32 v[36:37], v[38:39], v[36:37] neg_lo:[0,1] neg_hi:[0,1]
	v_pk_add_f32 v[148:149], v[38:39], v[146:147]
	v_mov_b32_e32 v145, v38
	v_mov_b32_e32 v37, v149
	v_pk_add_f32 v[150:151], v[144:145], v[36:37] neg_lo:[0,1] neg_hi:[0,1]
	v_pk_add_f32 v[36:37], v[144:145], v[36:37]
	v_mov_b32_e32 v146, v147
	v_mov_b32_e32 v144, v37
	v_pk_add_f32 v[160:161], v[144:145], v[38:39] neg_lo:[0,1] neg_hi:[0,1]
	v_mov_b32_e32 v36, v149
	v_mov_b32_e32 v35, v160
	v_pk_add_f32 v[162:163], v[148:149], v[34:35] neg_lo:[0,1] neg_hi:[0,1]
	v_mov_b32_e32 v148, v39
	v_mov_b32_e32 v149, v160
	;; [unrolled: 1-line block ×3, first 2 shown]
	v_pk_add_f32 v[36:37], v[36:37], v[148:149] neg_lo:[0,1] neg_hi:[0,1]
	v_mov_b32_e32 v147, v38
	v_pk_add_f32 v[36:37], v[146:147], v[36:37] neg_lo:[0,1] neg_hi:[0,1]
	v_mov_b32_e32 v162, v150
	v_pk_add_f32 v[38:39], v[162:163], v[36:37]
	s_mov_b32 s13, 0x33800000
	v_mov_b32_e32 v146, v39
	v_pk_add_f32 v[146:147], v[38:39], v[146:147]
	v_cmp_lt_f32_e64 s[60:61], |v164|, s13
	v_pk_add_f32 v[144:145], v[144:145], v[146:147]
	v_mov_b32_e32 v37, v146
	v_mov_b32_e32 v39, v144
	v_pk_add_f32 v[148:149], v[38:39], v[150:151] neg_lo:[0,1] neg_hi:[0,1]
	s_or_b64 vcc, vcc, s[60:61]
	v_sub_f32_e32 v35, v38, v148
	v_pk_add_f32 v[36:37], v[36:37], v[148:149] neg_lo:[0,1] neg_hi:[0,1]
	v_sub_f32_e32 v35, v150, v35
	v_add_f32_e32 v35, v36, v35
	v_add_f32_e32 v35, v35, v37
	;; [unrolled: 1-line block ×3, first 2 shown]
	v_cndmask_b32_e32 v35, v35, v164, vcc
	v_add_f32_e32 v36, v34, v35
.LBB451_102:
	s_or_b64 exec, exec, s[52:53]
	v_bfe_u32 v34, v36, 16, 1
	s_movk_i32 s13, 0x7fff
	v_add3_u32 v34, v36, v34, s13
	v_lshrrev_b32_e32 v34, 16, v34
	v_mov_b32_e32 v35, 0x7fc0
	v_cmp_o_f32_e32 vcc, v36, v36
	s_nop 1
	v_cndmask_b32_e32 v34, v35, v34, vcc
	v_and_b32_e32 v35, 0xffff, v34
.LBB451_103:
	s_or_b64 exec, exec, s[56:57]
	s_nop 0
	v_mov_b32_dpp v36, v35 row_shr:2 row_mask:0xf bank_mask:0xf
	v_cmp_lt_u32_e32 vcc, 1, v32
	s_and_saveexec_b64 s[56:57], vcc
	s_cbranch_execz .LBB451_107
; %bb.104:
	v_lshlrev_b32_e32 v36, 16, v36
	v_lshlrev_b32_e32 v34, 16, v35
	v_max_f32_e32 v37, v34, v34
	v_max_f32_e32 v38, v36, v36
	v_min_f32_e32 v35, v38, v37
	v_cmp_u_f32_e32 vcc, v36, v36
	v_max_f32_e32 v37, v38, v37
	v_cmp_u_f32_e64 s[52:53], v34, v34
	v_cndmask_b32_e32 v35, v35, v36, vcc
	v_cndmask_b32_e32 v37, v37, v36, vcc
	v_cndmask_b32_e64 v35, v35, v34, s[52:53]
	v_cndmask_b32_e64 v34, v37, v34, s[52:53]
	s_movk_i32 s13, 0x1f8
	v_cmp_neq_f32_e32 vcc, v35, v34
	v_cmp_class_f32_e64 s[52:53], v35, s13
	s_or_b64 vcc, vcc, s[52:53]
	s_and_saveexec_b64 s[52:53], vcc
	s_cbranch_execz .LBB451_106
; %bb.105:
	v_sub_f32_e32 v35, v35, v34
	s_mov_b32 s13, 0x3fb8aa3b
	v_mul_f32_e32 v36, 0x3fb8aa3b, v35
	v_fma_f32 v37, v35, s13, -v36
	v_rndne_f32_e32 v38, v36
	v_fmamk_f32 v37, v35, 0x32a5705f, v37
	v_sub_f32_e32 v36, v36, v38
	v_add_f32_e32 v36, v36, v37
	v_exp_f32_e32 v36, v36
	v_cvt_i32_f32_e32 v37, v38
	s_mov_b32 s13, 0xc2ce8ed0
	v_cmp_ngt_f32_e32 vcc, s13, v35
	s_mov_b32 s13, 0x42b17218
	v_ldexp_f32 v36, v36, v37
	v_cndmask_b32_e32 v36, 0, v36, vcc
	v_mov_b32_e32 v37, 0x7f800000
	v_cmp_nlt_f32_e32 vcc, s13, v35
	s_mov_b32 s13, 0x3f2aaaab
	s_mov_b32 s60, 0x7f800000
	v_cndmask_b32_e32 v164, v37, v36, vcc
	v_add_f32_e32 v35, 1.0, v164
	v_add_f32_e32 v36, -1.0, v35
	v_sub_f32_e32 v37, v36, v35
	v_add_f32_e32 v37, 1.0, v37
	v_sub_f32_e32 v36, v164, v36
	v_add_f32_e32 v38, v36, v37
	v_frexp_mant_f32_e32 v39, v35
	v_cvt_f64_f32_e32 v[36:37], v35
	v_frexp_exp_i32_f64_e32 v36, v[36:37]
	v_cmp_gt_f32_e32 vcc, s13, v39
	s_mov_b32 s13, 0x3f317218
	s_nop 0
	v_subbrev_co_u32_e32 v148, vcc, 0, v36, vcc
	v_sub_u32_e32 v36, 0, v148
	v_ldexp_f32 v35, v35, v36
	v_ldexp_f32 v36, v38, v36
	v_add_f32_e32 v38, -1.0, v35
	v_add_f32_e32 v37, 1.0, v38
	v_sub_f32_e32 v37, v35, v37
	v_add_f32_e32 v39, v36, v37
	v_add_f32_e32 v37, 1.0, v35
	v_add_f32_e32 v144, -1.0, v37
	v_sub_f32_e32 v35, v35, v144
	v_add_f32_e32 v35, v36, v35
	v_add_f32_e32 v149, v37, v35
	v_rcp_f32_e32 v150, v149
	v_sub_f32_e32 v36, v37, v149
	v_add_f32_e32 v37, v38, v39
	v_add_f32_e32 v35, v35, v36
	v_mul_f32_e32 v160, v37, v150
	v_sub_f32_e32 v36, v38, v37
	v_mul_f32_e32 v38, v149, v160
	v_fma_f32 v144, v160, v149, -v38
	v_fmac_f32_e32 v144, v160, v35
	v_add_f32_e32 v151, v39, v36
	v_add_f32_e32 v36, v38, v144
	v_sub_f32_e32 v39, v37, v36
	v_pk_add_f32 v[146:147], v[36:37], v[38:39] neg_lo:[0,1] neg_hi:[0,1]
	v_mov_b32_e32 v145, v36
	v_pk_add_f32 v[36:37], v[146:147], v[144:145] neg_lo:[0,1] neg_hi:[0,1]
	v_cmp_eq_f32_e32 vcc, s60, v164
	v_add_f32_e32 v37, v151, v37
	v_add_f32_e32 v36, v36, v37
	v_add_f32_e32 v37, v39, v36
	v_mul_f32_e32 v151, v150, v37
	v_mul_f32_e32 v38, v149, v151
	v_fma_f32 v144, v151, v149, -v38
	v_fmac_f32_e32 v144, v151, v35
	v_sub_f32_e32 v35, v39, v37
	v_add_f32_e32 v35, v36, v35
	v_add_f32_e32 v36, v38, v144
	v_sub_f32_e32 v39, v37, v36
	v_pk_add_f32 v[146:147], v[36:37], v[38:39] neg_lo:[0,1] neg_hi:[0,1]
	v_mov_b32_e32 v145, v36
	v_pk_add_f32 v[36:37], v[146:147], v[144:145] neg_lo:[0,1] neg_hi:[0,1]
	v_cvt_f32_i32_e32 v38, v148
	v_add_f32_e32 v35, v35, v37
	v_add_f32_e32 v35, v36, v35
	v_add_f32_e32 v36, v160, v151
	v_add_f32_e32 v35, v39, v35
	v_sub_f32_e32 v37, v36, v160
	v_mul_f32_e32 v35, v150, v35
	v_sub_f32_e32 v37, v151, v37
	v_add_f32_e32 v35, v37, v35
	v_add_f32_e32 v39, v36, v35
	v_mul_f32_e32 v144, v39, v39
	v_mov_b32_e32 v37, 0x3ecc95a3
	v_fmac_f32_e32 v37, 0x3e9b6dac, v144
	v_sub_f32_e32 v36, v39, v36
	v_fmaak_f32 v37, v144, v37, 0x3f2aaada
	v_sub_f32_e32 v35, v35, v36
	v_ldexp_f32 v145, v39, 1
	v_mul_f32_e32 v39, v39, v144
	v_mov_b32_e32 v36, 0x3f317218
	v_pk_mul_f32 v[36:37], v[38:39], v[36:37]
	v_ldexp_f32 v35, v35, 1
	v_fma_f32 v39, v38, s13, -v36
	v_fmamk_f32 v144, v38, 0xb102e308, v39
	v_pk_add_f32 v[38:39], v[36:37], v[144:145]
	v_mov_b32_e32 v146, v36
	v_sub_f32_e32 v145, v39, v145
	v_sub_f32_e32 v145, v37, v145
	v_add_f32_e32 v147, v35, v145
	v_pk_add_f32 v[36:37], v[38:39], v[36:37] neg_lo:[0,1] neg_hi:[0,1]
	v_pk_add_f32 v[148:149], v[38:39], v[146:147]
	v_mov_b32_e32 v145, v38
	v_mov_b32_e32 v37, v149
	v_pk_add_f32 v[150:151], v[144:145], v[36:37] neg_lo:[0,1] neg_hi:[0,1]
	v_pk_add_f32 v[36:37], v[144:145], v[36:37]
	v_mov_b32_e32 v146, v147
	v_mov_b32_e32 v144, v37
	v_pk_add_f32 v[160:161], v[144:145], v[38:39] neg_lo:[0,1] neg_hi:[0,1]
	v_mov_b32_e32 v36, v149
	v_mov_b32_e32 v35, v160
	v_pk_add_f32 v[162:163], v[148:149], v[34:35] neg_lo:[0,1] neg_hi:[0,1]
	v_mov_b32_e32 v148, v39
	v_mov_b32_e32 v149, v160
	;; [unrolled: 1-line block ×3, first 2 shown]
	v_pk_add_f32 v[36:37], v[36:37], v[148:149] neg_lo:[0,1] neg_hi:[0,1]
	v_mov_b32_e32 v147, v38
	v_pk_add_f32 v[36:37], v[146:147], v[36:37] neg_lo:[0,1] neg_hi:[0,1]
	v_mov_b32_e32 v162, v150
	v_pk_add_f32 v[38:39], v[162:163], v[36:37]
	s_mov_b32 s13, 0x33800000
	v_mov_b32_e32 v146, v39
	v_pk_add_f32 v[146:147], v[38:39], v[146:147]
	v_cmp_lt_f32_e64 s[60:61], |v164|, s13
	v_pk_add_f32 v[144:145], v[144:145], v[146:147]
	v_mov_b32_e32 v37, v146
	v_mov_b32_e32 v39, v144
	v_pk_add_f32 v[148:149], v[38:39], v[150:151] neg_lo:[0,1] neg_hi:[0,1]
	s_or_b64 vcc, vcc, s[60:61]
	v_sub_f32_e32 v35, v38, v148
	v_pk_add_f32 v[36:37], v[36:37], v[148:149] neg_lo:[0,1] neg_hi:[0,1]
	v_sub_f32_e32 v35, v150, v35
	v_add_f32_e32 v35, v36, v35
	v_add_f32_e32 v35, v35, v37
	v_add_f32_e32 v35, v144, v35
	v_cndmask_b32_e32 v35, v35, v164, vcc
	v_add_f32_e32 v36, v34, v35
.LBB451_106:
	s_or_b64 exec, exec, s[52:53]
	v_bfe_u32 v34, v36, 16, 1
	s_movk_i32 s13, 0x7fff
	v_add3_u32 v34, v36, v34, s13
	v_lshrrev_b32_e32 v34, 16, v34
	v_mov_b32_e32 v35, 0x7fc0
	v_cmp_o_f32_e32 vcc, v36, v36
	s_nop 1
	v_cndmask_b32_e32 v34, v35, v34, vcc
	v_and_b32_e32 v35, 0xffff, v34
.LBB451_107:
	s_or_b64 exec, exec, s[56:57]
	s_nop 0
	v_mov_b32_dpp v36, v35 row_shr:4 row_mask:0xf bank_mask:0xf
	v_cmp_lt_u32_e32 vcc, 3, v32
	s_and_saveexec_b64 s[56:57], vcc
	s_cbranch_execz .LBB451_111
; %bb.108:
	v_lshlrev_b32_e32 v36, 16, v36
	v_lshlrev_b32_e32 v34, 16, v35
	v_max_f32_e32 v37, v34, v34
	v_max_f32_e32 v38, v36, v36
	v_min_f32_e32 v35, v38, v37
	v_cmp_u_f32_e32 vcc, v36, v36
	v_max_f32_e32 v37, v38, v37
	v_cmp_u_f32_e64 s[52:53], v34, v34
	v_cndmask_b32_e32 v35, v35, v36, vcc
	v_cndmask_b32_e32 v37, v37, v36, vcc
	v_cndmask_b32_e64 v35, v35, v34, s[52:53]
	v_cndmask_b32_e64 v34, v37, v34, s[52:53]
	s_movk_i32 s13, 0x1f8
	v_cmp_neq_f32_e32 vcc, v35, v34
	v_cmp_class_f32_e64 s[52:53], v35, s13
	s_or_b64 vcc, vcc, s[52:53]
	s_and_saveexec_b64 s[52:53], vcc
	s_cbranch_execz .LBB451_110
; %bb.109:
	v_sub_f32_e32 v35, v35, v34
	s_mov_b32 s13, 0x3fb8aa3b
	v_mul_f32_e32 v36, 0x3fb8aa3b, v35
	v_fma_f32 v37, v35, s13, -v36
	v_rndne_f32_e32 v38, v36
	v_fmamk_f32 v37, v35, 0x32a5705f, v37
	v_sub_f32_e32 v36, v36, v38
	v_add_f32_e32 v36, v36, v37
	v_exp_f32_e32 v36, v36
	v_cvt_i32_f32_e32 v37, v38
	s_mov_b32 s13, 0xc2ce8ed0
	v_cmp_ngt_f32_e32 vcc, s13, v35
	s_mov_b32 s13, 0x42b17218
	v_ldexp_f32 v36, v36, v37
	v_cndmask_b32_e32 v36, 0, v36, vcc
	v_mov_b32_e32 v37, 0x7f800000
	v_cmp_nlt_f32_e32 vcc, s13, v35
	s_mov_b32 s13, 0x3f2aaaab
	s_mov_b32 s60, 0x7f800000
	v_cndmask_b32_e32 v164, v37, v36, vcc
	v_add_f32_e32 v35, 1.0, v164
	v_add_f32_e32 v36, -1.0, v35
	v_sub_f32_e32 v37, v36, v35
	v_add_f32_e32 v37, 1.0, v37
	v_sub_f32_e32 v36, v164, v36
	v_add_f32_e32 v38, v36, v37
	v_frexp_mant_f32_e32 v39, v35
	v_cvt_f64_f32_e32 v[36:37], v35
	v_frexp_exp_i32_f64_e32 v36, v[36:37]
	v_cmp_gt_f32_e32 vcc, s13, v39
	s_mov_b32 s13, 0x3f317218
	s_nop 0
	v_subbrev_co_u32_e32 v148, vcc, 0, v36, vcc
	v_sub_u32_e32 v36, 0, v148
	v_ldexp_f32 v35, v35, v36
	v_ldexp_f32 v36, v38, v36
	v_add_f32_e32 v38, -1.0, v35
	v_add_f32_e32 v37, 1.0, v38
	v_sub_f32_e32 v37, v35, v37
	v_add_f32_e32 v39, v36, v37
	v_add_f32_e32 v37, 1.0, v35
	v_add_f32_e32 v144, -1.0, v37
	v_sub_f32_e32 v35, v35, v144
	v_add_f32_e32 v35, v36, v35
	v_add_f32_e32 v149, v37, v35
	v_rcp_f32_e32 v150, v149
	v_sub_f32_e32 v36, v37, v149
	v_add_f32_e32 v37, v38, v39
	v_add_f32_e32 v35, v35, v36
	v_mul_f32_e32 v160, v37, v150
	v_sub_f32_e32 v36, v38, v37
	v_mul_f32_e32 v38, v149, v160
	v_fma_f32 v144, v160, v149, -v38
	v_fmac_f32_e32 v144, v160, v35
	v_add_f32_e32 v151, v39, v36
	v_add_f32_e32 v36, v38, v144
	v_sub_f32_e32 v39, v37, v36
	v_pk_add_f32 v[146:147], v[36:37], v[38:39] neg_lo:[0,1] neg_hi:[0,1]
	v_mov_b32_e32 v145, v36
	v_pk_add_f32 v[36:37], v[146:147], v[144:145] neg_lo:[0,1] neg_hi:[0,1]
	v_cmp_eq_f32_e32 vcc, s60, v164
	v_add_f32_e32 v37, v151, v37
	v_add_f32_e32 v36, v36, v37
	;; [unrolled: 1-line block ×3, first 2 shown]
	v_mul_f32_e32 v151, v150, v37
	v_mul_f32_e32 v38, v149, v151
	v_fma_f32 v144, v151, v149, -v38
	v_fmac_f32_e32 v144, v151, v35
	v_sub_f32_e32 v35, v39, v37
	v_add_f32_e32 v35, v36, v35
	v_add_f32_e32 v36, v38, v144
	v_sub_f32_e32 v39, v37, v36
	v_pk_add_f32 v[146:147], v[36:37], v[38:39] neg_lo:[0,1] neg_hi:[0,1]
	v_mov_b32_e32 v145, v36
	v_pk_add_f32 v[36:37], v[146:147], v[144:145] neg_lo:[0,1] neg_hi:[0,1]
	v_cvt_f32_i32_e32 v38, v148
	v_add_f32_e32 v35, v35, v37
	v_add_f32_e32 v35, v36, v35
	;; [unrolled: 1-line block ×4, first 2 shown]
	v_sub_f32_e32 v37, v36, v160
	v_mul_f32_e32 v35, v150, v35
	v_sub_f32_e32 v37, v151, v37
	v_add_f32_e32 v35, v37, v35
	v_add_f32_e32 v39, v36, v35
	v_mul_f32_e32 v144, v39, v39
	v_mov_b32_e32 v37, 0x3ecc95a3
	v_fmac_f32_e32 v37, 0x3e9b6dac, v144
	v_sub_f32_e32 v36, v39, v36
	v_fmaak_f32 v37, v144, v37, 0x3f2aaada
	v_sub_f32_e32 v35, v35, v36
	v_ldexp_f32 v145, v39, 1
	v_mul_f32_e32 v39, v39, v144
	v_mov_b32_e32 v36, 0x3f317218
	v_pk_mul_f32 v[36:37], v[38:39], v[36:37]
	v_ldexp_f32 v35, v35, 1
	v_fma_f32 v39, v38, s13, -v36
	v_fmamk_f32 v144, v38, 0xb102e308, v39
	v_pk_add_f32 v[38:39], v[36:37], v[144:145]
	v_mov_b32_e32 v146, v36
	v_sub_f32_e32 v145, v39, v145
	v_sub_f32_e32 v145, v37, v145
	v_add_f32_e32 v147, v35, v145
	v_pk_add_f32 v[36:37], v[38:39], v[36:37] neg_lo:[0,1] neg_hi:[0,1]
	v_pk_add_f32 v[148:149], v[38:39], v[146:147]
	v_mov_b32_e32 v145, v38
	v_mov_b32_e32 v37, v149
	v_pk_add_f32 v[150:151], v[144:145], v[36:37] neg_lo:[0,1] neg_hi:[0,1]
	v_pk_add_f32 v[36:37], v[144:145], v[36:37]
	v_mov_b32_e32 v146, v147
	v_mov_b32_e32 v144, v37
	v_pk_add_f32 v[160:161], v[144:145], v[38:39] neg_lo:[0,1] neg_hi:[0,1]
	v_mov_b32_e32 v36, v149
	v_mov_b32_e32 v35, v160
	v_pk_add_f32 v[162:163], v[148:149], v[34:35] neg_lo:[0,1] neg_hi:[0,1]
	v_mov_b32_e32 v148, v39
	v_mov_b32_e32 v149, v160
	;; [unrolled: 1-line block ×3, first 2 shown]
	v_pk_add_f32 v[36:37], v[36:37], v[148:149] neg_lo:[0,1] neg_hi:[0,1]
	v_mov_b32_e32 v147, v38
	v_pk_add_f32 v[36:37], v[146:147], v[36:37] neg_lo:[0,1] neg_hi:[0,1]
	v_mov_b32_e32 v162, v150
	v_pk_add_f32 v[38:39], v[162:163], v[36:37]
	s_mov_b32 s13, 0x33800000
	v_mov_b32_e32 v146, v39
	v_pk_add_f32 v[146:147], v[38:39], v[146:147]
	v_cmp_lt_f32_e64 s[60:61], |v164|, s13
	v_pk_add_f32 v[144:145], v[144:145], v[146:147]
	v_mov_b32_e32 v37, v146
	v_mov_b32_e32 v39, v144
	v_pk_add_f32 v[148:149], v[38:39], v[150:151] neg_lo:[0,1] neg_hi:[0,1]
	s_or_b64 vcc, vcc, s[60:61]
	v_sub_f32_e32 v35, v38, v148
	v_pk_add_f32 v[36:37], v[36:37], v[148:149] neg_lo:[0,1] neg_hi:[0,1]
	v_sub_f32_e32 v35, v150, v35
	v_add_f32_e32 v35, v36, v35
	v_add_f32_e32 v35, v35, v37
	;; [unrolled: 1-line block ×3, first 2 shown]
	v_cndmask_b32_e32 v35, v35, v164, vcc
	v_add_f32_e32 v36, v34, v35
.LBB451_110:
	s_or_b64 exec, exec, s[52:53]
	v_bfe_u32 v34, v36, 16, 1
	s_movk_i32 s13, 0x7fff
	v_add3_u32 v34, v36, v34, s13
	v_lshrrev_b32_e32 v34, 16, v34
	v_mov_b32_e32 v35, 0x7fc0
	v_cmp_o_f32_e32 vcc, v36, v36
	s_nop 1
	v_cndmask_b32_e32 v34, v35, v34, vcc
	v_and_b32_e32 v35, 0xffff, v34
.LBB451_111:
	s_or_b64 exec, exec, s[56:57]
	s_nop 0
	v_mov_b32_dpp v36, v35 row_shr:8 row_mask:0xf bank_mask:0xf
	v_cmp_lt_u32_e32 vcc, 7, v32
	s_and_saveexec_b64 s[56:57], vcc
	s_cbranch_execz .LBB451_115
; %bb.112:
	v_lshlrev_b32_e32 v34, 16, v36
	v_lshlrev_b32_e32 v32, 16, v35
	v_max_f32_e32 v36, v32, v32
	v_max_f32_e32 v37, v34, v34
	v_min_f32_e32 v35, v37, v36
	v_cmp_u_f32_e32 vcc, v34, v34
	v_max_f32_e32 v36, v37, v36
	v_cmp_u_f32_e64 s[52:53], v32, v32
	v_cndmask_b32_e32 v35, v35, v34, vcc
	v_cndmask_b32_e32 v36, v36, v34, vcc
	v_cndmask_b32_e64 v35, v35, v32, s[52:53]
	v_cndmask_b32_e64 v32, v36, v32, s[52:53]
	s_movk_i32 s13, 0x1f8
	v_cmp_neq_f32_e32 vcc, v35, v32
	v_cmp_class_f32_e64 s[52:53], v35, s13
	s_or_b64 vcc, vcc, s[52:53]
	s_and_saveexec_b64 s[52:53], vcc
	s_cbranch_execz .LBB451_114
; %bb.113:
	v_sub_f32_e32 v34, v35, v32
	s_mov_b32 s13, 0x3fb8aa3b
	v_mul_f32_e32 v35, 0x3fb8aa3b, v34
	v_fma_f32 v36, v34, s13, -v35
	v_rndne_f32_e32 v37, v35
	v_fmamk_f32 v36, v34, 0x32a5705f, v36
	v_sub_f32_e32 v35, v35, v37
	v_add_f32_e32 v35, v35, v36
	v_exp_f32_e32 v35, v35
	v_cvt_i32_f32_e32 v36, v37
	s_mov_b32 s13, 0xc2ce8ed0
	v_cmp_ngt_f32_e32 vcc, s13, v34
	s_mov_b32 s13, 0x42b17218
	v_ldexp_f32 v35, v35, v36
	v_cndmask_b32_e32 v35, 0, v35, vcc
	v_mov_b32_e32 v36, 0x7f800000
	v_cmp_nlt_f32_e32 vcc, s13, v34
	s_mov_b32 s13, 0x3f2aaaab
	s_mov_b32 s60, 0x7f800000
	v_cndmask_b32_e32 v162, v36, v35, vcc
	v_add_f32_e32 v36, 1.0, v162
	v_add_f32_e32 v34, -1.0, v36
	v_sub_f32_e32 v35, v34, v36
	v_add_f32_e32 v35, 1.0, v35
	v_sub_f32_e32 v34, v162, v34
	v_add_f32_e32 v37, v34, v35
	v_frexp_mant_f32_e32 v38, v36
	v_cvt_f64_f32_e32 v[34:35], v36
	v_frexp_exp_i32_f64_e32 v34, v[34:35]
	v_cmp_gt_f32_e32 vcc, s13, v38
	s_mov_b32 s13, 0x3f317218
	s_nop 0
	v_subbrev_co_u32_e32 v146, vcc, 0, v34, vcc
	v_sub_u32_e32 v34, 0, v146
	v_ldexp_f32 v35, v36, v34
	v_add_f32_e32 v36, -1.0, v35
	v_add_f32_e32 v38, 1.0, v35
	v_ldexp_f32 v34, v37, v34
	v_add_f32_e32 v37, 1.0, v36
	v_add_f32_e32 v39, -1.0, v38
	v_sub_f32_e32 v37, v35, v37
	v_sub_f32_e32 v35, v35, v39
	v_add_f32_e32 v37, v34, v37
	v_add_f32_e32 v34, v34, v35
	;; [unrolled: 1-line block ×3, first 2 shown]
	v_rcp_f32_e32 v149, v147
	v_sub_f32_e32 v35, v38, v147
	v_add_f32_e32 v148, v34, v35
	v_add_f32_e32 v35, v36, v37
	v_mul_f32_e32 v151, v35, v149
	v_sub_f32_e32 v34, v36, v35
	v_mul_f32_e32 v36, v147, v151
	v_fma_f32 v38, v151, v147, -v36
	v_fmac_f32_e32 v38, v151, v148
	v_add_f32_e32 v150, v37, v34
	v_add_f32_e32 v34, v36, v38
	v_sub_f32_e32 v37, v35, v34
	v_pk_add_f32 v[144:145], v[34:35], v[36:37] neg_lo:[0,1] neg_hi:[0,1]
	v_mov_b32_e32 v39, v34
	v_pk_add_f32 v[34:35], v[144:145], v[38:39] neg_lo:[0,1] neg_hi:[0,1]
	v_cmp_eq_f32_e32 vcc, s60, v162
	v_add_f32_e32 v35, v150, v35
	v_add_f32_e32 v34, v34, v35
	;; [unrolled: 1-line block ×3, first 2 shown]
	v_mul_f32_e32 v150, v149, v35
	v_mul_f32_e32 v36, v147, v150
	v_fma_f32 v38, v150, v147, -v36
	v_fmac_f32_e32 v38, v150, v148
	v_sub_f32_e32 v37, v37, v35
	v_add_f32_e32 v147, v34, v37
	v_add_f32_e32 v34, v36, v38
	v_sub_f32_e32 v37, v35, v34
	v_pk_add_f32 v[144:145], v[34:35], v[36:37] neg_lo:[0,1] neg_hi:[0,1]
	v_mov_b32_e32 v39, v34
	v_pk_add_f32 v[34:35], v[144:145], v[38:39] neg_lo:[0,1] neg_hi:[0,1]
	v_cvt_f32_i32_e32 v36, v146
	v_add_f32_e32 v35, v147, v35
	v_add_f32_e32 v34, v34, v35
	;; [unrolled: 1-line block ×4, first 2 shown]
	v_sub_f32_e32 v35, v37, v151
	v_mul_f32_e32 v34, v149, v34
	v_sub_f32_e32 v35, v150, v35
	v_add_f32_e32 v34, v35, v34
	v_add_f32_e32 v38, v37, v34
	v_mul_f32_e32 v144, v38, v38
	v_mov_b32_e32 v35, 0x3ecc95a3
	v_sub_f32_e32 v37, v38, v37
	v_fmac_f32_e32 v35, 0x3e9b6dac, v144
	v_sub_f32_e32 v34, v34, v37
	v_fmaak_f32 v35, v144, v35, 0x3f2aaada
	v_ldexp_f32 v145, v34, 1
	v_mul_f32_e32 v37, v38, v144
	v_mov_b32_e32 v34, 0x3f317218
	v_pk_mul_f32 v[34:35], v[36:37], v[34:35]
	v_ldexp_f32 v39, v38, 1
	v_fma_f32 v37, v36, s13, -v34
	v_fmamk_f32 v38, v36, 0xb102e308, v37
	v_pk_add_f32 v[36:37], v[34:35], v[38:39]
	v_mov_b32_e32 v144, v34
	v_sub_f32_e32 v39, v37, v39
	v_sub_f32_e32 v39, v35, v39
	v_add_f32_e32 v145, v145, v39
	v_pk_add_f32 v[34:35], v[36:37], v[34:35] neg_lo:[0,1] neg_hi:[0,1]
	v_pk_add_f32 v[146:147], v[36:37], v[144:145]
	v_mov_b32_e32 v39, v36
	v_mov_b32_e32 v35, v147
	v_pk_add_f32 v[148:149], v[38:39], v[34:35] neg_lo:[0,1] neg_hi:[0,1]
	v_pk_add_f32 v[34:35], v[38:39], v[34:35]
	v_mov_b32_e32 v144, v145
	v_mov_b32_e32 v38, v35
	v_pk_add_f32 v[150:151], v[38:39], v[36:37] neg_lo:[0,1] neg_hi:[0,1]
	v_mov_b32_e32 v34, v147
	v_mov_b32_e32 v39, v150
	v_pk_add_f32 v[160:161], v[146:147], v[38:39] neg_lo:[0,1] neg_hi:[0,1]
	v_mov_b32_e32 v146, v37
	v_mov_b32_e32 v147, v150
	;; [unrolled: 1-line block ×3, first 2 shown]
	v_pk_add_f32 v[34:35], v[34:35], v[146:147] neg_lo:[0,1] neg_hi:[0,1]
	v_mov_b32_e32 v145, v36
	v_pk_add_f32 v[34:35], v[144:145], v[34:35] neg_lo:[0,1] neg_hi:[0,1]
	v_mov_b32_e32 v160, v148
	v_pk_add_f32 v[36:37], v[160:161], v[34:35]
	s_mov_b32 s13, 0x33800000
	v_mov_b32_e32 v144, v37
	v_pk_add_f32 v[144:145], v[36:37], v[144:145]
	v_cmp_lt_f32_e64 s[60:61], |v162|, s13
	v_pk_add_f32 v[38:39], v[38:39], v[144:145]
	v_mov_b32_e32 v35, v144
	v_mov_b32_e32 v37, v38
	v_pk_add_f32 v[146:147], v[36:37], v[148:149] neg_lo:[0,1] neg_hi:[0,1]
	s_or_b64 vcc, vcc, s[60:61]
	v_sub_f32_e32 v36, v36, v146
	v_pk_add_f32 v[34:35], v[34:35], v[146:147] neg_lo:[0,1] neg_hi:[0,1]
	v_sub_f32_e32 v36, v148, v36
	v_add_f32_e32 v34, v34, v36
	v_add_f32_e32 v34, v34, v35
	;; [unrolled: 1-line block ×3, first 2 shown]
	v_cndmask_b32_e32 v34, v34, v162, vcc
	v_add_f32_e32 v34, v32, v34
.LBB451_114:
	s_or_b64 exec, exec, s[52:53]
	v_bfe_u32 v32, v34, 16, 1
	s_movk_i32 s13, 0x7fff
	v_add3_u32 v32, v34, v32, s13
	v_lshrrev_b32_e32 v32, 16, v32
	v_mov_b32_e32 v35, 0x7fc0
	v_cmp_o_f32_e32 vcc, v34, v34
	s_nop 1
	v_cndmask_b32_e32 v34, v35, v32, vcc
	v_and_b32_e32 v35, 0xffff, v34
.LBB451_115:
	s_or_b64 exec, exec, s[56:57]
	v_and_b32_e32 v36, 16, v33
	v_mov_b32_dpp v32, v35 row_bcast:15 row_mask:0xf bank_mask:0xf
	v_cmp_ne_u32_e32 vcc, 0, v36
	s_and_saveexec_b64 s[56:57], vcc
	s_cbranch_execz .LBB451_119
; %bb.116:
	v_lshlrev_b32_e32 v34, 16, v32
	v_lshlrev_b32_e32 v32, 16, v35
	v_max_f32_e32 v36, v32, v32
	v_max_f32_e32 v37, v34, v34
	v_min_f32_e32 v35, v37, v36
	v_cmp_u_f32_e32 vcc, v34, v34
	v_max_f32_e32 v36, v37, v36
	v_cmp_u_f32_e64 s[52:53], v32, v32
	v_cndmask_b32_e32 v35, v35, v34, vcc
	v_cndmask_b32_e32 v36, v36, v34, vcc
	v_cndmask_b32_e64 v35, v35, v32, s[52:53]
	v_cndmask_b32_e64 v32, v36, v32, s[52:53]
	s_movk_i32 s13, 0x1f8
	v_cmp_neq_f32_e32 vcc, v35, v32
	v_cmp_class_f32_e64 s[52:53], v35, s13
	s_or_b64 vcc, vcc, s[52:53]
	s_and_saveexec_b64 s[52:53], vcc
	s_cbranch_execz .LBB451_118
; %bb.117:
	v_sub_f32_e32 v34, v35, v32
	s_mov_b32 s13, 0x3fb8aa3b
	v_mul_f32_e32 v35, 0x3fb8aa3b, v34
	v_fma_f32 v36, v34, s13, -v35
	v_rndne_f32_e32 v37, v35
	v_fmamk_f32 v36, v34, 0x32a5705f, v36
	v_sub_f32_e32 v35, v35, v37
	v_add_f32_e32 v35, v35, v36
	v_exp_f32_e32 v35, v35
	v_cvt_i32_f32_e32 v36, v37
	s_mov_b32 s13, 0xc2ce8ed0
	v_cmp_ngt_f32_e32 vcc, s13, v34
	s_mov_b32 s13, 0x42b17218
	v_ldexp_f32 v35, v35, v36
	v_cndmask_b32_e32 v35, 0, v35, vcc
	v_mov_b32_e32 v36, 0x7f800000
	v_cmp_nlt_f32_e32 vcc, s13, v34
	s_mov_b32 s13, 0x3f2aaaab
	s_mov_b32 s60, 0x7f800000
	v_cndmask_b32_e32 v162, v36, v35, vcc
	v_add_f32_e32 v36, 1.0, v162
	v_add_f32_e32 v34, -1.0, v36
	v_sub_f32_e32 v35, v34, v36
	v_add_f32_e32 v35, 1.0, v35
	v_sub_f32_e32 v34, v162, v34
	v_add_f32_e32 v37, v34, v35
	v_frexp_mant_f32_e32 v38, v36
	v_cvt_f64_f32_e32 v[34:35], v36
	v_frexp_exp_i32_f64_e32 v34, v[34:35]
	v_cmp_gt_f32_e32 vcc, s13, v38
	s_mov_b32 s13, 0x3f317218
	s_nop 0
	v_subbrev_co_u32_e32 v146, vcc, 0, v34, vcc
	v_sub_u32_e32 v34, 0, v146
	v_ldexp_f32 v35, v36, v34
	v_add_f32_e32 v36, -1.0, v35
	v_add_f32_e32 v38, 1.0, v35
	v_ldexp_f32 v34, v37, v34
	v_add_f32_e32 v37, 1.0, v36
	v_add_f32_e32 v39, -1.0, v38
	v_sub_f32_e32 v37, v35, v37
	v_sub_f32_e32 v35, v35, v39
	v_add_f32_e32 v37, v34, v37
	v_add_f32_e32 v34, v34, v35
	;; [unrolled: 1-line block ×3, first 2 shown]
	v_rcp_f32_e32 v149, v147
	v_sub_f32_e32 v35, v38, v147
	v_add_f32_e32 v148, v34, v35
	v_add_f32_e32 v35, v36, v37
	v_mul_f32_e32 v151, v35, v149
	v_sub_f32_e32 v34, v36, v35
	v_mul_f32_e32 v36, v147, v151
	v_fma_f32 v38, v151, v147, -v36
	v_fmac_f32_e32 v38, v151, v148
	v_add_f32_e32 v150, v37, v34
	v_add_f32_e32 v34, v36, v38
	v_sub_f32_e32 v37, v35, v34
	v_pk_add_f32 v[144:145], v[34:35], v[36:37] neg_lo:[0,1] neg_hi:[0,1]
	v_mov_b32_e32 v39, v34
	v_pk_add_f32 v[34:35], v[144:145], v[38:39] neg_lo:[0,1] neg_hi:[0,1]
	v_cmp_eq_f32_e32 vcc, s60, v162
	v_add_f32_e32 v35, v150, v35
	v_add_f32_e32 v34, v34, v35
	;; [unrolled: 1-line block ×3, first 2 shown]
	v_mul_f32_e32 v150, v149, v35
	v_mul_f32_e32 v36, v147, v150
	v_fma_f32 v38, v150, v147, -v36
	v_fmac_f32_e32 v38, v150, v148
	v_sub_f32_e32 v37, v37, v35
	v_add_f32_e32 v147, v34, v37
	v_add_f32_e32 v34, v36, v38
	v_sub_f32_e32 v37, v35, v34
	v_pk_add_f32 v[144:145], v[34:35], v[36:37] neg_lo:[0,1] neg_hi:[0,1]
	v_mov_b32_e32 v39, v34
	v_pk_add_f32 v[34:35], v[144:145], v[38:39] neg_lo:[0,1] neg_hi:[0,1]
	v_cvt_f32_i32_e32 v36, v146
	v_add_f32_e32 v35, v147, v35
	v_add_f32_e32 v34, v34, v35
	;; [unrolled: 1-line block ×4, first 2 shown]
	v_sub_f32_e32 v35, v37, v151
	v_mul_f32_e32 v34, v149, v34
	v_sub_f32_e32 v35, v150, v35
	v_add_f32_e32 v34, v35, v34
	v_add_f32_e32 v38, v37, v34
	v_mul_f32_e32 v144, v38, v38
	v_mov_b32_e32 v35, 0x3ecc95a3
	v_sub_f32_e32 v37, v38, v37
	v_fmac_f32_e32 v35, 0x3e9b6dac, v144
	v_sub_f32_e32 v34, v34, v37
	v_fmaak_f32 v35, v144, v35, 0x3f2aaada
	v_ldexp_f32 v145, v34, 1
	v_mul_f32_e32 v37, v38, v144
	v_mov_b32_e32 v34, 0x3f317218
	v_pk_mul_f32 v[34:35], v[36:37], v[34:35]
	v_ldexp_f32 v39, v38, 1
	v_fma_f32 v37, v36, s13, -v34
	v_fmamk_f32 v38, v36, 0xb102e308, v37
	v_pk_add_f32 v[36:37], v[34:35], v[38:39]
	v_mov_b32_e32 v144, v34
	v_sub_f32_e32 v39, v37, v39
	v_sub_f32_e32 v39, v35, v39
	v_add_f32_e32 v145, v145, v39
	v_pk_add_f32 v[34:35], v[36:37], v[34:35] neg_lo:[0,1] neg_hi:[0,1]
	v_pk_add_f32 v[146:147], v[36:37], v[144:145]
	v_mov_b32_e32 v39, v36
	v_mov_b32_e32 v35, v147
	v_pk_add_f32 v[148:149], v[38:39], v[34:35] neg_lo:[0,1] neg_hi:[0,1]
	v_pk_add_f32 v[34:35], v[38:39], v[34:35]
	v_mov_b32_e32 v144, v145
	v_mov_b32_e32 v38, v35
	v_pk_add_f32 v[150:151], v[38:39], v[36:37] neg_lo:[0,1] neg_hi:[0,1]
	v_mov_b32_e32 v34, v147
	v_mov_b32_e32 v39, v150
	v_pk_add_f32 v[160:161], v[146:147], v[38:39] neg_lo:[0,1] neg_hi:[0,1]
	v_mov_b32_e32 v146, v37
	v_mov_b32_e32 v147, v150
	v_mov_b32_e32 v149, v35
	v_pk_add_f32 v[34:35], v[34:35], v[146:147] neg_lo:[0,1] neg_hi:[0,1]
	v_mov_b32_e32 v145, v36
	v_pk_add_f32 v[34:35], v[144:145], v[34:35] neg_lo:[0,1] neg_hi:[0,1]
	v_mov_b32_e32 v160, v148
	v_pk_add_f32 v[36:37], v[160:161], v[34:35]
	s_mov_b32 s13, 0x33800000
	v_mov_b32_e32 v144, v37
	v_pk_add_f32 v[144:145], v[36:37], v[144:145]
	v_cmp_lt_f32_e64 s[60:61], |v162|, s13
	v_pk_add_f32 v[38:39], v[38:39], v[144:145]
	v_mov_b32_e32 v35, v144
	v_mov_b32_e32 v37, v38
	v_pk_add_f32 v[146:147], v[36:37], v[148:149] neg_lo:[0,1] neg_hi:[0,1]
	s_or_b64 vcc, vcc, s[60:61]
	v_sub_f32_e32 v36, v36, v146
	v_pk_add_f32 v[34:35], v[34:35], v[146:147] neg_lo:[0,1] neg_hi:[0,1]
	v_sub_f32_e32 v36, v148, v36
	v_add_f32_e32 v34, v34, v36
	v_add_f32_e32 v34, v34, v35
	v_add_f32_e32 v34, v38, v34
	v_cndmask_b32_e32 v34, v34, v162, vcc
	v_add_f32_e32 v34, v32, v34
.LBB451_118:
	s_or_b64 exec, exec, s[52:53]
	v_bfe_u32 v32, v34, 16, 1
	s_movk_i32 s13, 0x7fff
	v_add3_u32 v32, v34, v32, s13
	v_lshrrev_b32_e32 v32, 16, v32
	v_mov_b32_e32 v35, 0x7fc0
	v_cmp_o_f32_e32 vcc, v34, v34
	s_nop 1
	v_cndmask_b32_e32 v34, v35, v32, vcc
	v_and_b32_e32 v35, 0xffff, v34
.LBB451_119:
	s_or_b64 exec, exec, s[56:57]
	s_nop 0
	v_mov_b32_dpp v32, v35 row_bcast:31 row_mask:0xf bank_mask:0xf
	v_cmp_lt_u32_e32 vcc, 31, v33
	s_and_saveexec_b64 s[56:57], vcc
	s_cbranch_execz .LBB451_123
; %bb.120:
	v_lshlrev_b32_e32 v34, 16, v32
	v_lshlrev_b32_e32 v32, 16, v35
	v_max_f32_e32 v36, v32, v32
	v_max_f32_e32 v37, v34, v34
	v_min_f32_e32 v35, v37, v36
	v_cmp_u_f32_e32 vcc, v34, v34
	v_max_f32_e32 v36, v37, v36
	v_cmp_u_f32_e64 s[52:53], v32, v32
	v_cndmask_b32_e32 v35, v35, v34, vcc
	v_cndmask_b32_e32 v36, v36, v34, vcc
	v_cndmask_b32_e64 v35, v35, v32, s[52:53]
	v_cndmask_b32_e64 v32, v36, v32, s[52:53]
	s_movk_i32 s13, 0x1f8
	v_cmp_neq_f32_e32 vcc, v35, v32
	v_cmp_class_f32_e64 s[52:53], v35, s13
	s_or_b64 vcc, vcc, s[52:53]
	s_and_saveexec_b64 s[52:53], vcc
	s_cbranch_execz .LBB451_122
; %bb.121:
	v_sub_f32_e32 v34, v35, v32
	s_mov_b32 s13, 0x3fb8aa3b
	v_mul_f32_e32 v35, 0x3fb8aa3b, v34
	v_fma_f32 v36, v34, s13, -v35
	v_rndne_f32_e32 v37, v35
	v_fmamk_f32 v36, v34, 0x32a5705f, v36
	v_sub_f32_e32 v35, v35, v37
	v_add_f32_e32 v35, v35, v36
	v_exp_f32_e32 v35, v35
	v_cvt_i32_f32_e32 v36, v37
	s_mov_b32 s13, 0xc2ce8ed0
	v_cmp_ngt_f32_e32 vcc, s13, v34
	s_mov_b32 s13, 0x42b17218
	v_ldexp_f32 v35, v35, v36
	v_cndmask_b32_e32 v35, 0, v35, vcc
	v_mov_b32_e32 v36, 0x7f800000
	v_cmp_nlt_f32_e32 vcc, s13, v34
	s_mov_b32 s13, 0x3f2aaaab
	s_mov_b32 s60, 0x7f800000
	v_cndmask_b32_e32 v162, v36, v35, vcc
	v_add_f32_e32 v36, 1.0, v162
	v_add_f32_e32 v34, -1.0, v36
	v_sub_f32_e32 v35, v34, v36
	v_add_f32_e32 v35, 1.0, v35
	v_sub_f32_e32 v34, v162, v34
	v_add_f32_e32 v37, v34, v35
	v_frexp_mant_f32_e32 v38, v36
	v_cvt_f64_f32_e32 v[34:35], v36
	v_frexp_exp_i32_f64_e32 v34, v[34:35]
	v_cmp_gt_f32_e32 vcc, s13, v38
	s_mov_b32 s13, 0x3f317218
	s_nop 0
	v_subbrev_co_u32_e32 v146, vcc, 0, v34, vcc
	v_sub_u32_e32 v34, 0, v146
	v_ldexp_f32 v35, v36, v34
	v_add_f32_e32 v36, -1.0, v35
	v_add_f32_e32 v38, 1.0, v35
	v_ldexp_f32 v34, v37, v34
	v_add_f32_e32 v37, 1.0, v36
	v_add_f32_e32 v39, -1.0, v38
	v_sub_f32_e32 v37, v35, v37
	v_sub_f32_e32 v35, v35, v39
	v_add_f32_e32 v37, v34, v37
	v_add_f32_e32 v34, v34, v35
	;; [unrolled: 1-line block ×3, first 2 shown]
	v_rcp_f32_e32 v149, v147
	v_sub_f32_e32 v35, v38, v147
	v_add_f32_e32 v148, v34, v35
	v_add_f32_e32 v35, v36, v37
	v_mul_f32_e32 v151, v35, v149
	v_sub_f32_e32 v34, v36, v35
	v_mul_f32_e32 v36, v147, v151
	v_fma_f32 v38, v151, v147, -v36
	v_fmac_f32_e32 v38, v151, v148
	v_add_f32_e32 v150, v37, v34
	v_add_f32_e32 v34, v36, v38
	v_sub_f32_e32 v37, v35, v34
	v_pk_add_f32 v[144:145], v[34:35], v[36:37] neg_lo:[0,1] neg_hi:[0,1]
	v_mov_b32_e32 v39, v34
	v_pk_add_f32 v[34:35], v[144:145], v[38:39] neg_lo:[0,1] neg_hi:[0,1]
	v_cmp_eq_f32_e32 vcc, s60, v162
	v_add_f32_e32 v35, v150, v35
	v_add_f32_e32 v34, v34, v35
	;; [unrolled: 1-line block ×3, first 2 shown]
	v_mul_f32_e32 v150, v149, v35
	v_mul_f32_e32 v36, v147, v150
	v_fma_f32 v38, v150, v147, -v36
	v_fmac_f32_e32 v38, v150, v148
	v_sub_f32_e32 v37, v37, v35
	v_add_f32_e32 v147, v34, v37
	v_add_f32_e32 v34, v36, v38
	v_sub_f32_e32 v37, v35, v34
	v_pk_add_f32 v[144:145], v[34:35], v[36:37] neg_lo:[0,1] neg_hi:[0,1]
	v_mov_b32_e32 v39, v34
	v_pk_add_f32 v[34:35], v[144:145], v[38:39] neg_lo:[0,1] neg_hi:[0,1]
	v_cvt_f32_i32_e32 v36, v146
	v_add_f32_e32 v35, v147, v35
	v_add_f32_e32 v34, v34, v35
	;; [unrolled: 1-line block ×4, first 2 shown]
	v_sub_f32_e32 v35, v37, v151
	v_mul_f32_e32 v34, v149, v34
	v_sub_f32_e32 v35, v150, v35
	v_add_f32_e32 v34, v35, v34
	v_add_f32_e32 v38, v37, v34
	v_mul_f32_e32 v144, v38, v38
	v_mov_b32_e32 v35, 0x3ecc95a3
	v_sub_f32_e32 v37, v38, v37
	v_fmac_f32_e32 v35, 0x3e9b6dac, v144
	v_sub_f32_e32 v34, v34, v37
	v_fmaak_f32 v35, v144, v35, 0x3f2aaada
	v_ldexp_f32 v145, v34, 1
	v_mul_f32_e32 v37, v38, v144
	v_mov_b32_e32 v34, 0x3f317218
	v_pk_mul_f32 v[34:35], v[36:37], v[34:35]
	v_ldexp_f32 v39, v38, 1
	v_fma_f32 v37, v36, s13, -v34
	v_fmamk_f32 v38, v36, 0xb102e308, v37
	v_pk_add_f32 v[36:37], v[34:35], v[38:39]
	v_mov_b32_e32 v144, v34
	v_sub_f32_e32 v39, v37, v39
	v_sub_f32_e32 v39, v35, v39
	v_add_f32_e32 v145, v145, v39
	v_pk_add_f32 v[34:35], v[36:37], v[34:35] neg_lo:[0,1] neg_hi:[0,1]
	v_pk_add_f32 v[146:147], v[36:37], v[144:145]
	v_mov_b32_e32 v39, v36
	v_mov_b32_e32 v35, v147
	v_pk_add_f32 v[148:149], v[38:39], v[34:35] neg_lo:[0,1] neg_hi:[0,1]
	v_pk_add_f32 v[34:35], v[38:39], v[34:35]
	v_mov_b32_e32 v144, v145
	v_mov_b32_e32 v38, v35
	v_pk_add_f32 v[150:151], v[38:39], v[36:37] neg_lo:[0,1] neg_hi:[0,1]
	v_mov_b32_e32 v34, v147
	v_mov_b32_e32 v39, v150
	v_pk_add_f32 v[160:161], v[146:147], v[38:39] neg_lo:[0,1] neg_hi:[0,1]
	v_mov_b32_e32 v146, v37
	v_mov_b32_e32 v147, v150
	;; [unrolled: 1-line block ×3, first 2 shown]
	v_pk_add_f32 v[34:35], v[34:35], v[146:147] neg_lo:[0,1] neg_hi:[0,1]
	v_mov_b32_e32 v145, v36
	v_pk_add_f32 v[34:35], v[144:145], v[34:35] neg_lo:[0,1] neg_hi:[0,1]
	v_mov_b32_e32 v160, v148
	v_pk_add_f32 v[36:37], v[160:161], v[34:35]
	s_mov_b32 s13, 0x33800000
	v_mov_b32_e32 v144, v37
	v_pk_add_f32 v[144:145], v[36:37], v[144:145]
	v_cmp_lt_f32_e64 s[60:61], |v162|, s13
	v_pk_add_f32 v[38:39], v[38:39], v[144:145]
	v_mov_b32_e32 v35, v144
	v_mov_b32_e32 v37, v38
	v_pk_add_f32 v[146:147], v[36:37], v[148:149] neg_lo:[0,1] neg_hi:[0,1]
	s_or_b64 vcc, vcc, s[60:61]
	v_sub_f32_e32 v36, v36, v146
	v_pk_add_f32 v[34:35], v[34:35], v[146:147] neg_lo:[0,1] neg_hi:[0,1]
	v_sub_f32_e32 v36, v148, v36
	v_add_f32_e32 v34, v34, v36
	v_add_f32_e32 v34, v34, v35
	;; [unrolled: 1-line block ×3, first 2 shown]
	v_cndmask_b32_e32 v34, v34, v162, vcc
	v_add_f32_e32 v34, v32, v34
.LBB451_122:
	s_or_b64 exec, exec, s[52:53]
	v_bfe_u32 v32, v34, 16, 1
	s_movk_i32 s13, 0x7fff
	v_add3_u32 v32, v34, v32, s13
	v_lshrrev_b32_e32 v32, 16, v32
	v_mov_b32_e32 v35, 0x7fc0
	v_cmp_o_f32_e32 vcc, v34, v34
	s_nop 1
	v_cndmask_b32_e32 v34, v35, v32, vcc
.LBB451_123:
	s_or_b64 exec, exec, s[56:57]
	v_and_b32_e32 v35, 0x3c0, v0
	v_min_u32_e32 v35, 0xc0, v35
	v_or_b32_e32 v35, 63, v35
	v_lshrrev_b32_e32 v32, 6, v0
	v_cmp_eq_u32_e32 vcc, v35, v0
	s_and_saveexec_b64 s[52:53], vcc
	s_cbranch_execz .LBB451_125
; %bb.124:
	v_lshlrev_b32_e32 v35, 1, v32
	ds_write_b16 v35, v34
.LBB451_125:
	s_or_b64 exec, exec, s[52:53]
	v_cmp_gt_u32_e32 vcc, 4, v0
	s_waitcnt lgkmcnt(0)
	s_barrier
	s_and_saveexec_b64 s[56:57], vcc
	s_cbranch_execz .LBB451_135
; %bb.126:
	ds_read_u16 v36, v10
	v_and_b32_e32 v35, 3, v33
	v_cmp_ne_u32_e32 vcc, 0, v35
	s_waitcnt lgkmcnt(0)
	v_and_b32_e32 v38, 0xffff, v36
	s_nop 1
	v_mov_b32_dpp v37, v38 row_shr:1 row_mask:0xf bank_mask:0xf
	s_and_saveexec_b64 s[60:61], vcc
	s_cbranch_execz .LBB451_130
; %bb.127:
	v_lshlrev_b32_e32 v37, 16, v37
	v_lshlrev_b32_e32 v36, 16, v38
	v_max_f32_e32 v39, v36, v36
	v_max_f32_e32 v144, v37, v37
	v_min_f32_e32 v38, v144, v39
	v_cmp_u_f32_e32 vcc, v37, v37
	v_max_f32_e32 v39, v144, v39
	v_cmp_u_f32_e64 s[52:53], v36, v36
	v_cndmask_b32_e32 v38, v38, v37, vcc
	v_cndmask_b32_e32 v39, v39, v37, vcc
	v_cndmask_b32_e64 v38, v38, v36, s[52:53]
	v_cndmask_b32_e64 v36, v39, v36, s[52:53]
	s_movk_i32 s13, 0x1f8
	v_cmp_neq_f32_e32 vcc, v38, v36
	v_cmp_class_f32_e64 s[52:53], v38, s13
	s_or_b64 vcc, vcc, s[52:53]
	s_and_saveexec_b64 s[52:53], vcc
	s_cbranch_execz .LBB451_129
; %bb.128:
	v_sub_f32_e32 v37, v38, v36
	s_mov_b32 s13, 0x3fb8aa3b
	v_mul_f32_e32 v38, 0x3fb8aa3b, v37
	v_fma_f32 v39, v37, s13, -v38
	v_rndne_f32_e32 v144, v38
	v_fmamk_f32 v39, v37, 0x32a5705f, v39
	v_sub_f32_e32 v38, v38, v144
	v_add_f32_e32 v38, v38, v39
	v_exp_f32_e32 v38, v38
	v_cvt_i32_f32_e32 v39, v144
	s_mov_b32 s13, 0xc2ce8ed0
	v_cmp_ngt_f32_e32 vcc, s13, v37
	s_mov_b32 s13, 0x42b17218
	v_ldexp_f32 v38, v38, v39
	v_cndmask_b32_e32 v38, 0, v38, vcc
	v_mov_b32_e32 v39, 0x7f800000
	v_cmp_nlt_f32_e32 vcc, s13, v37
	s_mov_b32 s13, 0x3f2aaaab
	s_mov_b32 s62, 0x7f800000
	v_cndmask_b32_e32 v166, v39, v38, vcc
	v_add_f32_e32 v37, 1.0, v166
	v_add_f32_e32 v38, -1.0, v37
	v_sub_f32_e32 v39, v38, v37
	v_add_f32_e32 v39, 1.0, v39
	v_sub_f32_e32 v38, v166, v38
	v_add_f32_e32 v144, v38, v39
	v_frexp_mant_f32_e32 v145, v37
	v_cvt_f64_f32_e32 v[38:39], v37
	v_frexp_exp_i32_f64_e32 v38, v[38:39]
	v_cmp_gt_f32_e32 vcc, s13, v145
	s_mov_b32 s13, 0x3f317218
	s_nop 0
	v_subbrev_co_u32_e32 v150, vcc, 0, v38, vcc
	v_sub_u32_e32 v38, 0, v150
	v_ldexp_f32 v37, v37, v38
	v_ldexp_f32 v38, v144, v38
	v_add_f32_e32 v144, -1.0, v37
	v_add_f32_e32 v39, 1.0, v144
	v_sub_f32_e32 v39, v37, v39
	v_add_f32_e32 v145, v38, v39
	v_add_f32_e32 v39, 1.0, v37
	v_add_f32_e32 v146, -1.0, v39
	v_sub_f32_e32 v37, v37, v146
	v_add_f32_e32 v37, v38, v37
	v_add_f32_e32 v151, v39, v37
	v_rcp_f32_e32 v160, v151
	v_sub_f32_e32 v38, v39, v151
	v_add_f32_e32 v39, v144, v145
	v_add_f32_e32 v37, v37, v38
	v_mul_f32_e32 v162, v39, v160
	v_sub_f32_e32 v38, v144, v39
	v_mul_f32_e32 v144, v151, v162
	v_fma_f32 v146, v162, v151, -v144
	v_fmac_f32_e32 v146, v162, v37
	v_add_f32_e32 v161, v145, v38
	v_add_f32_e32 v38, v144, v146
	v_sub_f32_e32 v145, v39, v38
	v_pk_add_f32 v[148:149], v[38:39], v[144:145] neg_lo:[0,1] neg_hi:[0,1]
	v_mov_b32_e32 v147, v38
	v_pk_add_f32 v[38:39], v[148:149], v[146:147] neg_lo:[0,1] neg_hi:[0,1]
	v_cmp_eq_f32_e32 vcc, s62, v166
	v_add_f32_e32 v39, v161, v39
	v_add_f32_e32 v38, v38, v39
	;; [unrolled: 1-line block ×3, first 2 shown]
	v_mul_f32_e32 v161, v160, v39
	v_mul_f32_e32 v144, v151, v161
	v_fma_f32 v146, v161, v151, -v144
	v_fmac_f32_e32 v146, v161, v37
	v_sub_f32_e32 v37, v145, v39
	v_add_f32_e32 v37, v38, v37
	v_add_f32_e32 v38, v144, v146
	v_sub_f32_e32 v145, v39, v38
	v_pk_add_f32 v[148:149], v[38:39], v[144:145] neg_lo:[0,1] neg_hi:[0,1]
	v_mov_b32_e32 v147, v38
	v_pk_add_f32 v[38:39], v[148:149], v[146:147] neg_lo:[0,1] neg_hi:[0,1]
	v_cvt_f32_i32_e32 v144, v150
	v_add_f32_e32 v37, v37, v39
	v_add_f32_e32 v37, v38, v37
	;; [unrolled: 1-line block ×4, first 2 shown]
	v_sub_f32_e32 v39, v38, v162
	v_mul_f32_e32 v37, v160, v37
	v_sub_f32_e32 v39, v161, v39
	v_add_f32_e32 v37, v39, v37
	v_add_f32_e32 v145, v38, v37
	v_mul_f32_e32 v146, v145, v145
	v_mov_b32_e32 v39, 0x3ecc95a3
	v_fmac_f32_e32 v39, 0x3e9b6dac, v146
	v_sub_f32_e32 v38, v145, v38
	v_fmaak_f32 v39, v146, v39, 0x3f2aaada
	v_sub_f32_e32 v37, v37, v38
	v_ldexp_f32 v147, v145, 1
	v_mul_f32_e32 v145, v145, v146
	v_mov_b32_e32 v38, 0x3f317218
	v_pk_mul_f32 v[38:39], v[144:145], v[38:39]
	v_ldexp_f32 v37, v37, 1
	v_fma_f32 v145, v144, s13, -v38
	v_fmamk_f32 v146, v144, 0xb102e308, v145
	v_pk_add_f32 v[144:145], v[38:39], v[146:147]
	v_mov_b32_e32 v148, v38
	v_sub_f32_e32 v147, v145, v147
	v_sub_f32_e32 v147, v39, v147
	v_add_f32_e32 v149, v37, v147
	v_pk_add_f32 v[38:39], v[144:145], v[38:39] neg_lo:[0,1] neg_hi:[0,1]
	v_pk_add_f32 v[150:151], v[144:145], v[148:149]
	v_mov_b32_e32 v147, v144
	v_mov_b32_e32 v39, v151
	v_pk_add_f32 v[160:161], v[146:147], v[38:39] neg_lo:[0,1] neg_hi:[0,1]
	v_pk_add_f32 v[38:39], v[146:147], v[38:39]
	v_mov_b32_e32 v148, v149
	v_mov_b32_e32 v146, v39
	v_pk_add_f32 v[162:163], v[146:147], v[144:145] neg_lo:[0,1] neg_hi:[0,1]
	v_mov_b32_e32 v38, v151
	v_mov_b32_e32 v37, v162
	v_pk_add_f32 v[164:165], v[150:151], v[36:37] neg_lo:[0,1] neg_hi:[0,1]
	v_mov_b32_e32 v150, v145
	v_mov_b32_e32 v151, v162
	;; [unrolled: 1-line block ×3, first 2 shown]
	v_pk_add_f32 v[38:39], v[38:39], v[150:151] neg_lo:[0,1] neg_hi:[0,1]
	v_mov_b32_e32 v149, v144
	v_pk_add_f32 v[38:39], v[148:149], v[38:39] neg_lo:[0,1] neg_hi:[0,1]
	v_mov_b32_e32 v164, v160
	v_pk_add_f32 v[144:145], v[164:165], v[38:39]
	s_mov_b32 s13, 0x33800000
	v_mov_b32_e32 v148, v145
	v_pk_add_f32 v[148:149], v[144:145], v[148:149]
	v_cmp_lt_f32_e64 s[62:63], |v166|, s13
	v_pk_add_f32 v[146:147], v[146:147], v[148:149]
	v_mov_b32_e32 v39, v148
	v_mov_b32_e32 v145, v146
	v_pk_add_f32 v[150:151], v[144:145], v[160:161] neg_lo:[0,1] neg_hi:[0,1]
	s_or_b64 vcc, vcc, s[62:63]
	v_sub_f32_e32 v37, v144, v150
	v_pk_add_f32 v[38:39], v[38:39], v[150:151] neg_lo:[0,1] neg_hi:[0,1]
	v_sub_f32_e32 v37, v160, v37
	v_add_f32_e32 v37, v38, v37
	v_add_f32_e32 v37, v37, v39
	;; [unrolled: 1-line block ×3, first 2 shown]
	v_cndmask_b32_e32 v37, v37, v166, vcc
	v_add_f32_e32 v37, v36, v37
.LBB451_129:
	s_or_b64 exec, exec, s[52:53]
	v_bfe_u32 v36, v37, 16, 1
	s_movk_i32 s13, 0x7fff
	v_add3_u32 v36, v37, v36, s13
	v_lshrrev_b32_e32 v36, 16, v36
	v_mov_b32_e32 v38, 0x7fc0
	v_cmp_o_f32_e32 vcc, v37, v37
	s_nop 1
	v_cndmask_b32_e32 v36, v38, v36, vcc
	v_and_b32_e32 v38, 0xffff, v36
.LBB451_130:
	s_or_b64 exec, exec, s[60:61]
	s_nop 0
	v_mov_b32_dpp v37, v38 row_shr:2 row_mask:0xf bank_mask:0xf
	v_cmp_lt_u32_e32 vcc, 1, v35
	s_and_saveexec_b64 s[60:61], vcc
	s_cbranch_execz .LBB451_134
; %bb.131:
	v_lshlrev_b32_e32 v36, 16, v37
	v_lshlrev_b32_e32 v35, 16, v38
	v_max_f32_e32 v38, v35, v35
	v_max_f32_e32 v39, v36, v36
	v_min_f32_e32 v37, v39, v38
	v_cmp_u_f32_e32 vcc, v36, v36
	v_max_f32_e32 v38, v39, v38
	v_cmp_u_f32_e64 s[52:53], v35, v35
	v_cndmask_b32_e32 v37, v37, v36, vcc
	v_cndmask_b32_e32 v38, v38, v36, vcc
	v_cndmask_b32_e64 v37, v37, v35, s[52:53]
	v_cndmask_b32_e64 v35, v38, v35, s[52:53]
	s_movk_i32 s13, 0x1f8
	v_cmp_neq_f32_e32 vcc, v37, v35
	v_cmp_class_f32_e64 s[52:53], v37, s13
	s_or_b64 vcc, vcc, s[52:53]
	s_and_saveexec_b64 s[52:53], vcc
	s_cbranch_execz .LBB451_133
; %bb.132:
	v_sub_f32_e32 v36, v37, v35
	s_mov_b32 s13, 0x3fb8aa3b
	v_mul_f32_e32 v37, 0x3fb8aa3b, v36
	v_fma_f32 v38, v36, s13, -v37
	v_rndne_f32_e32 v39, v37
	v_fmamk_f32 v38, v36, 0x32a5705f, v38
	v_sub_f32_e32 v37, v37, v39
	v_add_f32_e32 v37, v37, v38
	v_exp_f32_e32 v37, v37
	v_cvt_i32_f32_e32 v38, v39
	s_mov_b32 s13, 0xc2ce8ed0
	v_cmp_ngt_f32_e32 vcc, s13, v36
	s_mov_b32 s13, 0x42b17218
	v_ldexp_f32 v37, v37, v38
	v_cndmask_b32_e32 v37, 0, v37, vcc
	v_mov_b32_e32 v38, 0x7f800000
	v_cmp_nlt_f32_e32 vcc, s13, v36
	s_mov_b32 s13, 0x3f2aaaab
	s_mov_b32 s62, 0x7f800000
	v_cndmask_b32_e32 v164, v38, v37, vcc
	v_add_f32_e32 v38, 1.0, v164
	v_add_f32_e32 v36, -1.0, v38
	v_sub_f32_e32 v37, v36, v38
	v_add_f32_e32 v37, 1.0, v37
	v_sub_f32_e32 v36, v164, v36
	v_add_f32_e32 v39, v36, v37
	v_frexp_mant_f32_e32 v144, v38
	v_cvt_f64_f32_e32 v[36:37], v38
	v_frexp_exp_i32_f64_e32 v36, v[36:37]
	v_cmp_gt_f32_e32 vcc, s13, v144
	s_mov_b32 s13, 0x3f317218
	s_nop 0
	v_subbrev_co_u32_e32 v148, vcc, 0, v36, vcc
	v_sub_u32_e32 v36, 0, v148
	v_ldexp_f32 v37, v38, v36
	v_add_f32_e32 v38, -1.0, v37
	v_add_f32_e32 v144, 1.0, v37
	v_ldexp_f32 v36, v39, v36
	v_add_f32_e32 v39, 1.0, v38
	v_add_f32_e32 v145, -1.0, v144
	v_sub_f32_e32 v39, v37, v39
	v_sub_f32_e32 v37, v37, v145
	v_add_f32_e32 v39, v36, v39
	v_add_f32_e32 v36, v36, v37
	;; [unrolled: 1-line block ×3, first 2 shown]
	v_rcp_f32_e32 v151, v149
	v_sub_f32_e32 v37, v144, v149
	v_add_f32_e32 v150, v36, v37
	v_add_f32_e32 v37, v38, v39
	v_mul_f32_e32 v161, v37, v151
	v_sub_f32_e32 v36, v38, v37
	v_mul_f32_e32 v38, v149, v161
	v_fma_f32 v144, v161, v149, -v38
	v_fmac_f32_e32 v144, v161, v150
	v_add_f32_e32 v160, v39, v36
	v_add_f32_e32 v36, v38, v144
	v_sub_f32_e32 v39, v37, v36
	v_pk_add_f32 v[146:147], v[36:37], v[38:39] neg_lo:[0,1] neg_hi:[0,1]
	v_mov_b32_e32 v145, v36
	v_pk_add_f32 v[36:37], v[146:147], v[144:145] neg_lo:[0,1] neg_hi:[0,1]
	v_cmp_eq_f32_e32 vcc, s62, v164
	v_add_f32_e32 v37, v160, v37
	v_add_f32_e32 v36, v36, v37
	;; [unrolled: 1-line block ×3, first 2 shown]
	v_mul_f32_e32 v160, v151, v37
	v_mul_f32_e32 v38, v149, v160
	v_fma_f32 v144, v160, v149, -v38
	v_fmac_f32_e32 v144, v160, v150
	v_sub_f32_e32 v39, v39, v37
	v_add_f32_e32 v149, v36, v39
	v_add_f32_e32 v36, v38, v144
	v_sub_f32_e32 v39, v37, v36
	v_pk_add_f32 v[146:147], v[36:37], v[38:39] neg_lo:[0,1] neg_hi:[0,1]
	v_mov_b32_e32 v145, v36
	v_pk_add_f32 v[36:37], v[146:147], v[144:145] neg_lo:[0,1] neg_hi:[0,1]
	v_cvt_f32_i32_e32 v38, v148
	v_add_f32_e32 v37, v149, v37
	v_add_f32_e32 v36, v36, v37
	;; [unrolled: 1-line block ×4, first 2 shown]
	v_sub_f32_e32 v37, v39, v161
	v_mul_f32_e32 v36, v151, v36
	v_sub_f32_e32 v37, v160, v37
	v_add_f32_e32 v36, v37, v36
	v_add_f32_e32 v144, v39, v36
	v_mul_f32_e32 v146, v144, v144
	v_mov_b32_e32 v37, 0x3ecc95a3
	v_sub_f32_e32 v39, v144, v39
	v_fmac_f32_e32 v37, 0x3e9b6dac, v146
	v_sub_f32_e32 v36, v36, v39
	v_fmaak_f32 v37, v146, v37, 0x3f2aaada
	v_ldexp_f32 v147, v36, 1
	v_mul_f32_e32 v39, v144, v146
	v_mov_b32_e32 v36, 0x3f317218
	v_pk_mul_f32 v[36:37], v[38:39], v[36:37]
	v_ldexp_f32 v145, v144, 1
	v_fma_f32 v39, v38, s13, -v36
	v_fmamk_f32 v144, v38, 0xb102e308, v39
	v_pk_add_f32 v[38:39], v[36:37], v[144:145]
	v_mov_b32_e32 v146, v36
	v_sub_f32_e32 v145, v39, v145
	v_sub_f32_e32 v145, v37, v145
	v_add_f32_e32 v147, v147, v145
	v_pk_add_f32 v[36:37], v[38:39], v[36:37] neg_lo:[0,1] neg_hi:[0,1]
	v_pk_add_f32 v[148:149], v[38:39], v[146:147]
	v_mov_b32_e32 v145, v38
	v_mov_b32_e32 v37, v149
	v_pk_add_f32 v[150:151], v[144:145], v[36:37] neg_lo:[0,1] neg_hi:[0,1]
	v_pk_add_f32 v[36:37], v[144:145], v[36:37]
	v_mov_b32_e32 v146, v147
	v_mov_b32_e32 v144, v37
	v_pk_add_f32 v[160:161], v[144:145], v[38:39] neg_lo:[0,1] neg_hi:[0,1]
	v_mov_b32_e32 v36, v149
	v_mov_b32_e32 v145, v160
	v_pk_add_f32 v[162:163], v[148:149], v[144:145] neg_lo:[0,1] neg_hi:[0,1]
	v_mov_b32_e32 v148, v39
	v_mov_b32_e32 v149, v160
	;; [unrolled: 1-line block ×3, first 2 shown]
	v_pk_add_f32 v[36:37], v[36:37], v[148:149] neg_lo:[0,1] neg_hi:[0,1]
	v_mov_b32_e32 v147, v38
	v_pk_add_f32 v[36:37], v[146:147], v[36:37] neg_lo:[0,1] neg_hi:[0,1]
	v_mov_b32_e32 v162, v150
	v_pk_add_f32 v[38:39], v[162:163], v[36:37]
	s_mov_b32 s13, 0x33800000
	v_mov_b32_e32 v146, v39
	v_pk_add_f32 v[146:147], v[38:39], v[146:147]
	v_cmp_lt_f32_e64 s[62:63], |v164|, s13
	v_pk_add_f32 v[144:145], v[144:145], v[146:147]
	v_mov_b32_e32 v37, v146
	v_mov_b32_e32 v39, v144
	v_pk_add_f32 v[148:149], v[38:39], v[150:151] neg_lo:[0,1] neg_hi:[0,1]
	s_or_b64 vcc, vcc, s[62:63]
	v_sub_f32_e32 v38, v38, v148
	v_pk_add_f32 v[36:37], v[36:37], v[148:149] neg_lo:[0,1] neg_hi:[0,1]
	v_sub_f32_e32 v38, v150, v38
	v_add_f32_e32 v36, v36, v38
	v_add_f32_e32 v36, v36, v37
	;; [unrolled: 1-line block ×3, first 2 shown]
	v_cndmask_b32_e32 v36, v36, v164, vcc
	v_add_f32_e32 v36, v35, v36
.LBB451_133:
	s_or_b64 exec, exec, s[52:53]
	v_bfe_u32 v35, v36, 16, 1
	s_movk_i32 s13, 0x7fff
	v_add3_u32 v35, v36, v35, s13
	v_lshrrev_b32_e32 v35, 16, v35
	v_mov_b32_e32 v37, 0x7fc0
	v_cmp_o_f32_e32 vcc, v36, v36
	s_nop 1
	v_cndmask_b32_e32 v36, v37, v35, vcc
.LBB451_134:
	s_or_b64 exec, exec, s[60:61]
	ds_write_b16 v10, v36
.LBB451_135:
	s_or_b64 exec, exec, s[56:57]
	v_cmp_gt_u32_e32 vcc, 64, v0
	v_cmp_lt_u32_e64 s[52:53], 63, v0
	s_waitcnt lgkmcnt(0)
	s_barrier
	s_waitcnt lgkmcnt(0)
                                        ; implicit-def: $vgpr144
	s_and_saveexec_b64 s[60:61], s[52:53]
	s_cbranch_execz .LBB451_139
; %bb.136:
	v_lshl_add_u32 v32, v32, 1, -2
	ds_read_u16 v144, v32
	v_lshlrev_b32_e32 v32, 16, v34
	v_max_f32_e32 v36, v32, v32
	v_cmp_u_f32_e64 s[56:57], v32, v32
	s_movk_i32 s13, 0x1f8
	s_waitcnt lgkmcnt(0)
	v_lshlrev_b32_e32 v34, 16, v144
	v_max_f32_e32 v37, v34, v34
	v_min_f32_e32 v35, v37, v36
	v_cmp_u_f32_e64 s[52:53], v34, v34
	v_max_f32_e32 v36, v37, v36
	s_nop 0
	v_cndmask_b32_e64 v35, v35, v34, s[52:53]
	v_cndmask_b32_e64 v36, v36, v34, s[52:53]
	;; [unrolled: 1-line block ×4, first 2 shown]
	v_cmp_neq_f32_e64 s[52:53], v35, v32
	v_cmp_class_f32_e64 s[56:57], v35, s13
	s_or_b64 s[52:53], s[52:53], s[56:57]
	s_and_saveexec_b64 s[56:57], s[52:53]
	s_cbranch_execz .LBB451_138
; %bb.137:
	v_sub_f32_e32 v34, v35, v32
	s_mov_b32 s13, 0x3fb8aa3b
	v_mul_f32_e32 v35, 0x3fb8aa3b, v34
	v_fma_f32 v36, v34, s13, -v35
	v_rndne_f32_e32 v37, v35
	v_fmamk_f32 v36, v34, 0x32a5705f, v36
	v_sub_f32_e32 v35, v35, v37
	v_add_f32_e32 v35, v35, v36
	v_exp_f32_e32 v35, v35
	v_cvt_i32_f32_e32 v36, v37
	s_mov_b32 s13, 0xc2ce8ed0
	v_cmp_ngt_f32_e64 s[52:53], s13, v34
	s_mov_b32 s13, 0x42b17218
	v_ldexp_f32 v35, v35, v36
	v_cndmask_b32_e64 v35, 0, v35, s[52:53]
	v_mov_b32_e32 v36, 0x7f800000
	v_cmp_nlt_f32_e64 s[52:53], s13, v34
	s_mov_b32 s13, 0x3f2aaaab
	s_mov_b32 s62, 0x7f800000
	v_cndmask_b32_e64 v145, v36, v35, s[52:53]
	v_add_f32_e32 v36, 1.0, v145
	v_add_f32_e32 v34, -1.0, v36
	v_sub_f32_e32 v35, v34, v36
	v_add_f32_e32 v35, 1.0, v35
	v_sub_f32_e32 v34, v145, v34
	v_add_f32_e32 v37, v34, v35
	v_frexp_mant_f32_e32 v38, v36
	v_cvt_f64_f32_e32 v[34:35], v36
	v_frexp_exp_i32_f64_e32 v34, v[34:35]
	v_cmp_gt_f32_e64 s[52:53], s13, v38
	s_mov_b32 s13, 0x3f317218
	s_nop 0
	v_subbrev_co_u32_e64 v148, s[52:53], 0, v34, s[52:53]
	v_sub_u32_e32 v34, 0, v148
	v_ldexp_f32 v35, v36, v34
	v_add_f32_e32 v36, -1.0, v35
	v_add_f32_e32 v38, 1.0, v35
	v_ldexp_f32 v34, v37, v34
	v_add_f32_e32 v37, 1.0, v36
	v_add_f32_e32 v39, -1.0, v38
	v_sub_f32_e32 v37, v35, v37
	v_sub_f32_e32 v35, v35, v39
	v_add_f32_e32 v37, v34, v37
	v_add_f32_e32 v34, v34, v35
	;; [unrolled: 1-line block ×3, first 2 shown]
	v_rcp_f32_e32 v151, v149
	v_sub_f32_e32 v35, v38, v149
	v_add_f32_e32 v150, v34, v35
	v_add_f32_e32 v35, v36, v37
	v_mul_f32_e32 v161, v35, v151
	v_sub_f32_e32 v34, v36, v35
	v_mul_f32_e32 v36, v149, v161
	v_fma_f32 v38, v161, v149, -v36
	v_fmac_f32_e32 v38, v161, v150
	v_add_f32_e32 v160, v37, v34
	v_add_f32_e32 v34, v36, v38
	v_sub_f32_e32 v37, v35, v34
	v_pk_add_f32 v[146:147], v[34:35], v[36:37] neg_lo:[0,1] neg_hi:[0,1]
	v_mov_b32_e32 v39, v34
	v_pk_add_f32 v[34:35], v[146:147], v[38:39] neg_lo:[0,1] neg_hi:[0,1]
	v_cmp_eq_f32_e64 s[52:53], s62, v145
	v_add_f32_e32 v35, v160, v35
	v_add_f32_e32 v34, v34, v35
	;; [unrolled: 1-line block ×3, first 2 shown]
	v_mul_f32_e32 v160, v151, v35
	v_mul_f32_e32 v36, v149, v160
	v_fma_f32 v38, v160, v149, -v36
	v_fmac_f32_e32 v38, v160, v150
	v_sub_f32_e32 v37, v37, v35
	v_add_f32_e32 v149, v34, v37
	v_add_f32_e32 v34, v36, v38
	v_sub_f32_e32 v37, v35, v34
	v_pk_add_f32 v[146:147], v[34:35], v[36:37] neg_lo:[0,1] neg_hi:[0,1]
	v_mov_b32_e32 v39, v34
	v_pk_add_f32 v[34:35], v[146:147], v[38:39] neg_lo:[0,1] neg_hi:[0,1]
	v_cvt_f32_i32_e32 v36, v148
	v_add_f32_e32 v35, v149, v35
	v_add_f32_e32 v34, v34, v35
	;; [unrolled: 1-line block ×4, first 2 shown]
	v_sub_f32_e32 v35, v37, v161
	v_mul_f32_e32 v34, v151, v34
	v_sub_f32_e32 v35, v160, v35
	v_add_f32_e32 v34, v35, v34
	v_add_f32_e32 v38, v37, v34
	v_mul_f32_e32 v146, v38, v38
	v_mov_b32_e32 v35, 0x3ecc95a3
	v_sub_f32_e32 v37, v38, v37
	v_fmac_f32_e32 v35, 0x3e9b6dac, v146
	v_sub_f32_e32 v34, v34, v37
	v_fmaak_f32 v35, v146, v35, 0x3f2aaada
	v_ldexp_f32 v147, v34, 1
	v_mul_f32_e32 v37, v38, v146
	v_mov_b32_e32 v34, 0x3f317218
	v_pk_mul_f32 v[34:35], v[36:37], v[34:35]
	v_ldexp_f32 v39, v38, 1
	v_fma_f32 v37, v36, s13, -v34
	v_fmamk_f32 v38, v36, 0xb102e308, v37
	v_pk_add_f32 v[36:37], v[34:35], v[38:39]
	v_mov_b32_e32 v146, v34
	v_sub_f32_e32 v39, v37, v39
	v_sub_f32_e32 v39, v35, v39
	v_add_f32_e32 v147, v147, v39
	v_pk_add_f32 v[34:35], v[36:37], v[34:35] neg_lo:[0,1] neg_hi:[0,1]
	v_pk_add_f32 v[148:149], v[36:37], v[146:147]
	v_mov_b32_e32 v39, v36
	v_mov_b32_e32 v35, v149
	v_pk_add_f32 v[150:151], v[38:39], v[34:35] neg_lo:[0,1] neg_hi:[0,1]
	v_pk_add_f32 v[34:35], v[38:39], v[34:35]
	v_mov_b32_e32 v146, v147
	v_mov_b32_e32 v38, v35
	v_pk_add_f32 v[160:161], v[38:39], v[36:37] neg_lo:[0,1] neg_hi:[0,1]
	v_mov_b32_e32 v34, v149
	v_mov_b32_e32 v39, v160
	v_pk_add_f32 v[162:163], v[148:149], v[38:39] neg_lo:[0,1] neg_hi:[0,1]
	v_mov_b32_e32 v148, v37
	v_mov_b32_e32 v149, v160
	;; [unrolled: 1-line block ×3, first 2 shown]
	v_pk_add_f32 v[34:35], v[34:35], v[148:149] neg_lo:[0,1] neg_hi:[0,1]
	v_mov_b32_e32 v147, v36
	v_pk_add_f32 v[34:35], v[146:147], v[34:35] neg_lo:[0,1] neg_hi:[0,1]
	v_mov_b32_e32 v162, v150
	v_pk_add_f32 v[36:37], v[162:163], v[34:35]
	s_mov_b32 s13, 0x33800000
	v_mov_b32_e32 v146, v37
	v_pk_add_f32 v[146:147], v[36:37], v[146:147]
	v_cmp_lt_f32_e64 s[62:63], |v145|, s13
	v_pk_add_f32 v[38:39], v[38:39], v[146:147]
	v_mov_b32_e32 v35, v146
	v_mov_b32_e32 v37, v38
	v_pk_add_f32 v[148:149], v[36:37], v[150:151] neg_lo:[0,1] neg_hi:[0,1]
	s_or_b64 s[52:53], s[52:53], s[62:63]
	v_sub_f32_e32 v36, v36, v148
	v_pk_add_f32 v[34:35], v[34:35], v[148:149] neg_lo:[0,1] neg_hi:[0,1]
	v_sub_f32_e32 v36, v150, v36
	v_add_f32_e32 v34, v34, v36
	v_add_f32_e32 v34, v34, v35
	;; [unrolled: 1-line block ×3, first 2 shown]
	v_cndmask_b32_e64 v34, v34, v145, s[52:53]
	v_add_f32_e32 v34, v32, v34
.LBB451_138:
	s_or_b64 exec, exec, s[56:57]
	v_bfe_u32 v32, v34, 16, 1
	s_movk_i32 s13, 0x7fff
	v_add3_u32 v32, v34, v32, s13
	v_lshrrev_b32_e32 v32, 16, v32
	v_mov_b32_e32 v35, 0x7fc0
	v_cmp_o_f32_e64 s[52:53], v34, v34
	s_nop 1
	v_cndmask_b32_e64 v34, v35, v32, s[52:53]
.LBB451_139:
	s_or_b64 exec, exec, s[60:61]
	v_and_b32_e32 v32, 0xffff, v34
	v_add_u32_e32 v34, -1, v33
	v_and_b32_e32 v35, 64, v33
	v_cmp_lt_i32_e64 s[52:53], v34, v35
	s_nop 1
	v_cndmask_b32_e64 v34, v34, v33, s[52:53]
	v_lshlrev_b32_e32 v34, 2, v34
	ds_bpermute_b32 v145, v34, v32
	v_cmp_eq_u32_e64 s[52:53], 0, v33
	s_and_saveexec_b64 s[60:61], vcc
	s_cbranch_execz .LBB451_210
; %bb.140:
	v_mov_b32_e32 v37, 0
	ds_read_u16 v146, v37 offset:6
	s_and_saveexec_b64 vcc, s[52:53]
	s_cbranch_execz .LBB451_142
; %bb.141:
	s_add_i32 s56, s12, 64
	s_mov_b32 s57, 0
	v_lshl_add_u64 v[34:35], s[56:57], 2, v[28:29]
	s_waitcnt lgkmcnt(0)
	v_or_b32_e32 v32, 0x10000, v146
	flat_store_dword v[34:35], v32 sc1
.LBB451_142:
	s_or_b64 exec, exec, vcc
	v_xad_u32 v32, v33, -1, s12
	v_add_u32_e32 v36, 64, v32
	v_lshl_add_u64 v[34:35], v[36:37], 2, v[28:29]
	flat_load_dword v38, v[34:35] sc1
	s_waitcnt vmcnt(0) lgkmcnt(0)
	v_lshrrev_b32_e32 v147, 16, v38
	v_cmp_eq_u16_sdwa s[56:57], v147, v37 src0_sel:BYTE_0 src1_sel:DWORD
	s_and_saveexec_b64 vcc, s[56:57]
	s_cbranch_execz .LBB451_146
; %bb.143:
	s_mov_b64 s[56:57], 0
	v_mov_b32_e32 v36, 0
.LBB451_144:                            ; =>This Inner Loop Header: Depth=1
	flat_load_dword v38, v[34:35] sc1
	s_waitcnt vmcnt(0) lgkmcnt(0)
	v_lshrrev_b32_e32 v147, 16, v38
	v_cmp_ne_u16_sdwa s[62:63], v147, v36 src0_sel:BYTE_0 src1_sel:DWORD
	s_or_b64 s[56:57], s[62:63], s[56:57]
	s_andn2_b64 exec, exec, s[56:57]
	s_cbranch_execnz .LBB451_144
; %bb.145:
	s_or_b64 exec, exec, s[56:57]
.LBB451_146:
	s_or_b64 exec, exec, vcc
	v_mov_b32_e32 v34, 2
	v_cmp_eq_u16_sdwa vcc, v147, v34 src0_sel:BYTE_0 src1_sel:DWORD
	v_lshlrev_b64 v[34:35], v33, -1
	v_and_b32_e32 v148, 63, v33
	v_and_b32_e32 v36, vcc_hi, v35
	v_and_b32_e32 v150, vcc_lo, v34
	v_cmp_ne_u32_e32 vcc, 63, v148
	v_and_b32_e32 v37, 0xffff, v38
	v_or_b32_e32 v36, 0x80000000, v36
	v_addc_co_u32_e32 v39, vcc, 0, v33, vcc
	v_lshlrev_b32_e32 v149, 2, v39
	ds_bpermute_b32 v39, v149, v37
	v_ffbl_b32_e32 v36, v36
	v_add_u32_e32 v36, 32, v36
	v_ffbl_b32_e32 v150, v150
	v_min_u32_e32 v36, v150, v36
	v_cmp_lt_u32_e32 vcc, v148, v36
	s_and_saveexec_b64 s[62:63], vcc
	s_cbranch_execz .LBB451_150
; %bb.147:
	s_waitcnt lgkmcnt(0)
	v_lshlrev_b32_e32 v38, 16, v39
	v_lshlrev_b32_e32 v37, 16, v37
	v_max_f32_e32 v150, v37, v37
	v_max_f32_e32 v151, v38, v38
	v_min_f32_e32 v39, v151, v150
	v_cmp_u_f32_e32 vcc, v38, v38
	v_max_f32_e32 v150, v151, v150
	v_cmp_u_f32_e64 s[56:57], v37, v37
	v_cndmask_b32_e32 v39, v39, v38, vcc
	v_cndmask_b32_e32 v150, v150, v38, vcc
	v_cndmask_b32_e64 v39, v39, v37, s[56:57]
	v_cndmask_b32_e64 v37, v150, v37, s[56:57]
	s_movk_i32 s13, 0x1f8
	v_cmp_neq_f32_e32 vcc, v39, v37
	v_cmp_class_f32_e64 s[56:57], v39, s13
	s_or_b64 vcc, vcc, s[56:57]
	s_and_saveexec_b64 s[56:57], vcc
	s_cbranch_execz .LBB451_149
; %bb.148:
	v_sub_f32_e32 v38, v39, v37
	s_mov_b32 s13, 0x3fb8aa3b
	v_mul_f32_e32 v39, 0x3fb8aa3b, v38
	v_fma_f32 v150, v38, s13, -v39
	v_rndne_f32_e32 v151, v39
	v_fmamk_f32 v150, v38, 0x32a5705f, v150
	v_sub_f32_e32 v39, v39, v151
	v_add_f32_e32 v39, v39, v150
	v_exp_f32_e32 v39, v39
	v_cvt_i32_f32_e32 v150, v151
	s_mov_b32 s13, 0xc2ce8ed0
	v_cmp_ngt_f32_e32 vcc, s13, v38
	s_mov_b32 s13, 0x42b17218
	v_ldexp_f32 v39, v39, v150
	v_cndmask_b32_e32 v39, 0, v39, vcc
	v_mov_b32_e32 v150, 0x7f800000
	v_cmp_nlt_f32_e32 vcc, s13, v38
	s_mov_b32 s13, 0x3f2aaaab
	s_mov_b32 s64, 0x7f800000
	v_cndmask_b32_e32 v180, v150, v39, vcc
	v_add_f32_e32 v150, 1.0, v180
	v_add_f32_e32 v38, -1.0, v150
	v_sub_f32_e32 v39, v38, v150
	v_add_f32_e32 v39, 1.0, v39
	v_sub_f32_e32 v38, v180, v38
	v_add_f32_e32 v151, v38, v39
	v_frexp_mant_f32_e32 v160, v150
	v_cvt_f64_f32_e32 v[38:39], v150
	v_frexp_exp_i32_f64_e32 v38, v[38:39]
	v_cmp_gt_f32_e32 vcc, s13, v160
	s_mov_b32 s13, 0x3f317218
	s_nop 0
	v_subbrev_co_u32_e32 v164, vcc, 0, v38, vcc
	v_sub_u32_e32 v38, 0, v164
	v_ldexp_f32 v39, v150, v38
	v_add_f32_e32 v150, -1.0, v39
	v_add_f32_e32 v160, 1.0, v39
	v_ldexp_f32 v38, v151, v38
	v_add_f32_e32 v151, 1.0, v150
	v_add_f32_e32 v161, -1.0, v160
	v_sub_f32_e32 v151, v39, v151
	v_sub_f32_e32 v39, v39, v161
	v_add_f32_e32 v151, v38, v151
	v_add_f32_e32 v38, v38, v39
	;; [unrolled: 1-line block ×3, first 2 shown]
	v_rcp_f32_e32 v167, v165
	v_sub_f32_e32 v39, v160, v165
	v_add_f32_e32 v166, v38, v39
	v_add_f32_e32 v39, v150, v151
	v_mul_f32_e32 v177, v39, v167
	v_sub_f32_e32 v38, v150, v39
	v_mul_f32_e32 v150, v165, v177
	v_fma_f32 v160, v177, v165, -v150
	v_fmac_f32_e32 v160, v177, v166
	v_add_f32_e32 v176, v151, v38
	v_add_f32_e32 v38, v150, v160
	v_sub_f32_e32 v151, v39, v38
	v_pk_add_f32 v[162:163], v[38:39], v[150:151] neg_lo:[0,1] neg_hi:[0,1]
	v_mov_b32_e32 v161, v38
	v_pk_add_f32 v[38:39], v[162:163], v[160:161] neg_lo:[0,1] neg_hi:[0,1]
	v_cmp_eq_f32_e32 vcc, s64, v180
	v_add_f32_e32 v39, v176, v39
	v_add_f32_e32 v38, v38, v39
	;; [unrolled: 1-line block ×3, first 2 shown]
	v_mul_f32_e32 v176, v167, v39
	v_mul_f32_e32 v150, v165, v176
	v_fma_f32 v160, v176, v165, -v150
	v_fmac_f32_e32 v160, v176, v166
	v_sub_f32_e32 v151, v151, v39
	v_add_f32_e32 v165, v38, v151
	v_add_f32_e32 v38, v150, v160
	v_sub_f32_e32 v151, v39, v38
	v_pk_add_f32 v[162:163], v[38:39], v[150:151] neg_lo:[0,1] neg_hi:[0,1]
	v_mov_b32_e32 v161, v38
	v_pk_add_f32 v[38:39], v[162:163], v[160:161] neg_lo:[0,1] neg_hi:[0,1]
	v_cvt_f32_i32_e32 v150, v164
	v_add_f32_e32 v39, v165, v39
	v_add_f32_e32 v38, v38, v39
	;; [unrolled: 1-line block ×4, first 2 shown]
	v_sub_f32_e32 v39, v151, v177
	v_mul_f32_e32 v38, v167, v38
	v_sub_f32_e32 v39, v176, v39
	v_add_f32_e32 v38, v39, v38
	v_add_f32_e32 v160, v151, v38
	v_mul_f32_e32 v162, v160, v160
	v_mov_b32_e32 v39, 0x3ecc95a3
	v_sub_f32_e32 v151, v160, v151
	v_fmac_f32_e32 v39, 0x3e9b6dac, v162
	v_sub_f32_e32 v38, v38, v151
	v_fmaak_f32 v39, v162, v39, 0x3f2aaada
	v_ldexp_f32 v163, v38, 1
	v_mul_f32_e32 v151, v160, v162
	v_mov_b32_e32 v38, 0x3f317218
	v_pk_mul_f32 v[38:39], v[150:151], v[38:39]
	v_ldexp_f32 v161, v160, 1
	v_fma_f32 v151, v150, s13, -v38
	v_fmamk_f32 v160, v150, 0xb102e308, v151
	v_pk_add_f32 v[150:151], v[38:39], v[160:161]
	v_mov_b32_e32 v162, v38
	v_sub_f32_e32 v161, v151, v161
	v_sub_f32_e32 v161, v39, v161
	v_add_f32_e32 v163, v163, v161
	v_pk_add_f32 v[38:39], v[150:151], v[38:39] neg_lo:[0,1] neg_hi:[0,1]
	v_pk_add_f32 v[164:165], v[150:151], v[162:163]
	v_mov_b32_e32 v161, v150
	v_mov_b32_e32 v39, v165
	v_pk_add_f32 v[166:167], v[160:161], v[38:39] neg_lo:[0,1] neg_hi:[0,1]
	v_pk_add_f32 v[38:39], v[160:161], v[38:39]
	v_mov_b32_e32 v162, v163
	v_mov_b32_e32 v160, v39
	v_pk_add_f32 v[176:177], v[160:161], v[150:151] neg_lo:[0,1] neg_hi:[0,1]
	v_mov_b32_e32 v38, v165
	v_mov_b32_e32 v161, v176
	v_pk_add_f32 v[178:179], v[164:165], v[160:161] neg_lo:[0,1] neg_hi:[0,1]
	v_mov_b32_e32 v164, v151
	v_mov_b32_e32 v165, v176
	;; [unrolled: 1-line block ×3, first 2 shown]
	v_pk_add_f32 v[38:39], v[38:39], v[164:165] neg_lo:[0,1] neg_hi:[0,1]
	v_mov_b32_e32 v163, v150
	v_pk_add_f32 v[38:39], v[162:163], v[38:39] neg_lo:[0,1] neg_hi:[0,1]
	v_mov_b32_e32 v178, v166
	v_pk_add_f32 v[150:151], v[178:179], v[38:39]
	s_mov_b32 s13, 0x33800000
	v_mov_b32_e32 v162, v151
	v_pk_add_f32 v[162:163], v[150:151], v[162:163]
	v_cmp_lt_f32_e64 s[64:65], |v180|, s13
	v_pk_add_f32 v[160:161], v[160:161], v[162:163]
	v_mov_b32_e32 v39, v162
	v_mov_b32_e32 v151, v160
	v_pk_add_f32 v[164:165], v[150:151], v[166:167] neg_lo:[0,1] neg_hi:[0,1]
	s_or_b64 vcc, vcc, s[64:65]
	v_sub_f32_e32 v150, v150, v164
	v_pk_add_f32 v[38:39], v[38:39], v[164:165] neg_lo:[0,1] neg_hi:[0,1]
	v_sub_f32_e32 v150, v166, v150
	v_add_f32_e32 v38, v38, v150
	v_add_f32_e32 v38, v38, v39
	;; [unrolled: 1-line block ×3, first 2 shown]
	v_cndmask_b32_e32 v38, v38, v180, vcc
	v_add_f32_e32 v38, v37, v38
.LBB451_149:
	s_or_b64 exec, exec, s[56:57]
	v_bfe_u32 v37, v38, 16, 1
	s_movk_i32 s13, 0x7fff
	v_add3_u32 v37, v38, v37, s13
	v_lshrrev_b32_e32 v37, 16, v37
	v_mov_b32_e32 v39, 0x7fc0
	v_cmp_o_f32_e32 vcc, v38, v38
	s_nop 1
	v_cndmask_b32_e32 v38, v39, v37, vcc
	v_and_b32_e32 v37, 0xffff, v38
.LBB451_150:
	s_or_b64 exec, exec, s[62:63]
	v_cmp_gt_u32_e32 vcc, 62, v148
	v_add_u32_e32 v151, 2, v148
	s_waitcnt lgkmcnt(0)
	v_cndmask_b32_e64 v39, 0, 1, vcc
	v_lshlrev_b32_e32 v39, 1, v39
	v_add_lshl_u32 v150, v39, v33, 2
	ds_bpermute_b32 v39, v150, v37
	v_cmp_le_u32_e32 vcc, v151, v36
	s_and_saveexec_b64 s[62:63], vcc
	s_cbranch_execz .LBB451_154
; %bb.151:
	s_waitcnt lgkmcnt(0)
	v_lshlrev_b32_e32 v38, 16, v39
	v_lshlrev_b32_e32 v37, 16, v37
	v_max_f32_e32 v160, v37, v37
	v_max_f32_e32 v161, v38, v38
	v_min_f32_e32 v39, v161, v160
	v_cmp_u_f32_e32 vcc, v38, v38
	v_max_f32_e32 v160, v161, v160
	v_cmp_u_f32_e64 s[56:57], v37, v37
	v_cndmask_b32_e32 v39, v39, v38, vcc
	v_cndmask_b32_e32 v160, v160, v38, vcc
	v_cndmask_b32_e64 v39, v39, v37, s[56:57]
	v_cndmask_b32_e64 v37, v160, v37, s[56:57]
	s_movk_i32 s13, 0x1f8
	v_cmp_neq_f32_e32 vcc, v39, v37
	v_cmp_class_f32_e64 s[56:57], v39, s13
	s_or_b64 vcc, vcc, s[56:57]
	s_and_saveexec_b64 s[56:57], vcc
	s_cbranch_execz .LBB451_153
; %bb.152:
	v_sub_f32_e32 v38, v39, v37
	s_mov_b32 s13, 0x3fb8aa3b
	v_mul_f32_e32 v39, 0x3fb8aa3b, v38
	v_fma_f32 v160, v38, s13, -v39
	v_rndne_f32_e32 v161, v39
	v_fmamk_f32 v160, v38, 0x32a5705f, v160
	v_sub_f32_e32 v39, v39, v161
	v_add_f32_e32 v39, v39, v160
	v_exp_f32_e32 v39, v39
	v_cvt_i32_f32_e32 v160, v161
	s_mov_b32 s13, 0xc2ce8ed0
	v_cmp_ngt_f32_e32 vcc, s13, v38
	s_mov_b32 s13, 0x42b17218
	v_ldexp_f32 v39, v39, v160
	v_cndmask_b32_e32 v39, 0, v39, vcc
	v_mov_b32_e32 v160, 0x7f800000
	v_cmp_nlt_f32_e32 vcc, s13, v38
	s_mov_b32 s13, 0x3f2aaaab
	s_mov_b32 s64, 0x7f800000
	v_cndmask_b32_e32 v182, v160, v39, vcc
	v_add_f32_e32 v160, 1.0, v182
	v_add_f32_e32 v38, -1.0, v160
	v_sub_f32_e32 v39, v38, v160
	v_add_f32_e32 v39, 1.0, v39
	v_sub_f32_e32 v38, v182, v38
	v_add_f32_e32 v161, v38, v39
	v_frexp_mant_f32_e32 v162, v160
	v_cvt_f64_f32_e32 v[38:39], v160
	v_frexp_exp_i32_f64_e32 v38, v[38:39]
	v_cmp_gt_f32_e32 vcc, s13, v162
	s_mov_b32 s13, 0x3f317218
	s_nop 0
	v_subbrev_co_u32_e32 v166, vcc, 0, v38, vcc
	v_sub_u32_e32 v38, 0, v166
	v_ldexp_f32 v39, v160, v38
	v_add_f32_e32 v160, -1.0, v39
	v_add_f32_e32 v162, 1.0, v39
	v_ldexp_f32 v38, v161, v38
	v_add_f32_e32 v161, 1.0, v160
	v_add_f32_e32 v163, -1.0, v162
	v_sub_f32_e32 v161, v39, v161
	v_sub_f32_e32 v39, v39, v163
	v_add_f32_e32 v161, v38, v161
	v_add_f32_e32 v38, v38, v39
	;; [unrolled: 1-line block ×3, first 2 shown]
	v_rcp_f32_e32 v177, v167
	v_sub_f32_e32 v39, v162, v167
	v_add_f32_e32 v176, v38, v39
	v_add_f32_e32 v39, v160, v161
	v_mul_f32_e32 v179, v39, v177
	v_sub_f32_e32 v38, v160, v39
	v_mul_f32_e32 v160, v167, v179
	v_fma_f32 v162, v179, v167, -v160
	v_fmac_f32_e32 v162, v179, v176
	v_add_f32_e32 v178, v161, v38
	v_add_f32_e32 v38, v160, v162
	v_sub_f32_e32 v161, v39, v38
	v_pk_add_f32 v[164:165], v[38:39], v[160:161] neg_lo:[0,1] neg_hi:[0,1]
	v_mov_b32_e32 v163, v38
	v_pk_add_f32 v[38:39], v[164:165], v[162:163] neg_lo:[0,1] neg_hi:[0,1]
	v_cmp_eq_f32_e32 vcc, s64, v182
	v_add_f32_e32 v39, v178, v39
	v_add_f32_e32 v38, v38, v39
	;; [unrolled: 1-line block ×3, first 2 shown]
	v_mul_f32_e32 v178, v177, v39
	v_mul_f32_e32 v160, v167, v178
	v_fma_f32 v162, v178, v167, -v160
	v_fmac_f32_e32 v162, v178, v176
	v_sub_f32_e32 v161, v161, v39
	v_add_f32_e32 v167, v38, v161
	v_add_f32_e32 v38, v160, v162
	v_sub_f32_e32 v161, v39, v38
	v_pk_add_f32 v[164:165], v[38:39], v[160:161] neg_lo:[0,1] neg_hi:[0,1]
	v_mov_b32_e32 v163, v38
	v_pk_add_f32 v[38:39], v[164:165], v[162:163] neg_lo:[0,1] neg_hi:[0,1]
	v_cvt_f32_i32_e32 v160, v166
	v_add_f32_e32 v39, v167, v39
	v_add_f32_e32 v38, v38, v39
	;; [unrolled: 1-line block ×4, first 2 shown]
	v_sub_f32_e32 v39, v161, v179
	v_mul_f32_e32 v38, v177, v38
	v_sub_f32_e32 v39, v178, v39
	v_add_f32_e32 v38, v39, v38
	v_add_f32_e32 v162, v161, v38
	v_mul_f32_e32 v164, v162, v162
	v_mov_b32_e32 v39, 0x3ecc95a3
	v_sub_f32_e32 v161, v162, v161
	v_fmac_f32_e32 v39, 0x3e9b6dac, v164
	v_sub_f32_e32 v38, v38, v161
	v_fmaak_f32 v39, v164, v39, 0x3f2aaada
	v_ldexp_f32 v165, v38, 1
	v_mul_f32_e32 v161, v162, v164
	v_mov_b32_e32 v38, 0x3f317218
	v_pk_mul_f32 v[38:39], v[160:161], v[38:39]
	v_ldexp_f32 v163, v162, 1
	v_fma_f32 v161, v160, s13, -v38
	v_fmamk_f32 v162, v160, 0xb102e308, v161
	v_pk_add_f32 v[160:161], v[38:39], v[162:163]
	v_mov_b32_e32 v164, v38
	v_sub_f32_e32 v163, v161, v163
	v_sub_f32_e32 v163, v39, v163
	v_add_f32_e32 v165, v165, v163
	v_pk_add_f32 v[38:39], v[160:161], v[38:39] neg_lo:[0,1] neg_hi:[0,1]
	v_pk_add_f32 v[166:167], v[160:161], v[164:165]
	v_mov_b32_e32 v163, v160
	v_mov_b32_e32 v39, v167
	v_pk_add_f32 v[176:177], v[162:163], v[38:39] neg_lo:[0,1] neg_hi:[0,1]
	v_pk_add_f32 v[38:39], v[162:163], v[38:39]
	v_mov_b32_e32 v164, v165
	v_mov_b32_e32 v162, v39
	v_pk_add_f32 v[178:179], v[162:163], v[160:161] neg_lo:[0,1] neg_hi:[0,1]
	v_mov_b32_e32 v38, v167
	v_mov_b32_e32 v163, v178
	v_pk_add_f32 v[180:181], v[166:167], v[162:163] neg_lo:[0,1] neg_hi:[0,1]
	v_mov_b32_e32 v166, v161
	v_mov_b32_e32 v167, v178
	;; [unrolled: 1-line block ×3, first 2 shown]
	v_pk_add_f32 v[38:39], v[38:39], v[166:167] neg_lo:[0,1] neg_hi:[0,1]
	v_mov_b32_e32 v165, v160
	v_pk_add_f32 v[38:39], v[164:165], v[38:39] neg_lo:[0,1] neg_hi:[0,1]
	v_mov_b32_e32 v180, v176
	v_pk_add_f32 v[160:161], v[180:181], v[38:39]
	s_mov_b32 s13, 0x33800000
	v_mov_b32_e32 v164, v161
	v_pk_add_f32 v[164:165], v[160:161], v[164:165]
	v_cmp_lt_f32_e64 s[64:65], |v182|, s13
	v_pk_add_f32 v[162:163], v[162:163], v[164:165]
	v_mov_b32_e32 v39, v164
	v_mov_b32_e32 v161, v162
	v_pk_add_f32 v[166:167], v[160:161], v[176:177] neg_lo:[0,1] neg_hi:[0,1]
	s_or_b64 vcc, vcc, s[64:65]
	v_sub_f32_e32 v160, v160, v166
	v_pk_add_f32 v[38:39], v[38:39], v[166:167] neg_lo:[0,1] neg_hi:[0,1]
	v_sub_f32_e32 v160, v176, v160
	v_add_f32_e32 v38, v38, v160
	v_add_f32_e32 v38, v38, v39
	;; [unrolled: 1-line block ×3, first 2 shown]
	v_cndmask_b32_e32 v38, v38, v182, vcc
	v_add_f32_e32 v38, v37, v38
.LBB451_153:
	s_or_b64 exec, exec, s[56:57]
	v_bfe_u32 v37, v38, 16, 1
	s_movk_i32 s13, 0x7fff
	v_add3_u32 v37, v38, v37, s13
	v_lshrrev_b32_e32 v37, 16, v37
	v_mov_b32_e32 v39, 0x7fc0
	v_cmp_o_f32_e32 vcc, v38, v38
	s_nop 1
	v_cndmask_b32_e32 v38, v39, v37, vcc
	v_and_b32_e32 v37, 0xffff, v38
.LBB451_154:
	s_or_b64 exec, exec, s[62:63]
	v_cmp_gt_u32_e32 vcc, 60, v148
	v_add_u32_e32 v161, 4, v148
	s_waitcnt lgkmcnt(0)
	v_cndmask_b32_e64 v39, 0, 1, vcc
	v_lshlrev_b32_e32 v39, 2, v39
	v_add_lshl_u32 v160, v39, v33, 2
	ds_bpermute_b32 v39, v160, v37
	v_cmp_le_u32_e32 vcc, v161, v36
	s_and_saveexec_b64 s[62:63], vcc
	s_cbranch_execz .LBB451_158
; %bb.155:
	s_waitcnt lgkmcnt(0)
	v_lshlrev_b32_e32 v38, 16, v39
	v_lshlrev_b32_e32 v37, 16, v37
	v_max_f32_e32 v162, v37, v37
	v_max_f32_e32 v163, v38, v38
	v_min_f32_e32 v39, v163, v162
	v_cmp_u_f32_e32 vcc, v38, v38
	v_max_f32_e32 v162, v163, v162
	v_cmp_u_f32_e64 s[56:57], v37, v37
	v_cndmask_b32_e32 v39, v39, v38, vcc
	v_cndmask_b32_e32 v162, v162, v38, vcc
	v_cndmask_b32_e64 v39, v39, v37, s[56:57]
	v_cndmask_b32_e64 v37, v162, v37, s[56:57]
	s_movk_i32 s13, 0x1f8
	v_cmp_neq_f32_e32 vcc, v39, v37
	v_cmp_class_f32_e64 s[56:57], v39, s13
	s_or_b64 vcc, vcc, s[56:57]
	s_and_saveexec_b64 s[56:57], vcc
	s_cbranch_execz .LBB451_157
; %bb.156:
	v_sub_f32_e32 v38, v39, v37
	s_mov_b32 s13, 0x3fb8aa3b
	v_mul_f32_e32 v39, 0x3fb8aa3b, v38
	v_fma_f32 v162, v38, s13, -v39
	v_rndne_f32_e32 v163, v39
	v_fmamk_f32 v162, v38, 0x32a5705f, v162
	v_sub_f32_e32 v39, v39, v163
	v_add_f32_e32 v39, v39, v162
	v_exp_f32_e32 v39, v39
	v_cvt_i32_f32_e32 v162, v163
	s_mov_b32 s13, 0xc2ce8ed0
	v_cmp_ngt_f32_e32 vcc, s13, v38
	s_mov_b32 s13, 0x42b17218
	v_ldexp_f32 v39, v39, v162
	v_cndmask_b32_e32 v39, 0, v39, vcc
	v_mov_b32_e32 v162, 0x7f800000
	v_cmp_nlt_f32_e32 vcc, s13, v38
	s_mov_b32 s13, 0x3f2aaaab
	s_mov_b32 s64, 0x7f800000
	v_cndmask_b32_e32 v192, v162, v39, vcc
	v_add_f32_e32 v162, 1.0, v192
	v_add_f32_e32 v38, -1.0, v162
	v_sub_f32_e32 v39, v38, v162
	v_add_f32_e32 v39, 1.0, v39
	v_sub_f32_e32 v38, v192, v38
	v_add_f32_e32 v163, v38, v39
	v_frexp_mant_f32_e32 v164, v162
	v_cvt_f64_f32_e32 v[38:39], v162
	v_frexp_exp_i32_f64_e32 v38, v[38:39]
	v_cmp_gt_f32_e32 vcc, s13, v164
	s_mov_b32 s13, 0x3f317218
	s_nop 0
	v_subbrev_co_u32_e32 v176, vcc, 0, v38, vcc
	v_sub_u32_e32 v38, 0, v176
	v_ldexp_f32 v39, v162, v38
	v_add_f32_e32 v162, -1.0, v39
	v_add_f32_e32 v164, 1.0, v39
	v_ldexp_f32 v38, v163, v38
	v_add_f32_e32 v163, 1.0, v162
	v_add_f32_e32 v165, -1.0, v164
	v_sub_f32_e32 v163, v39, v163
	v_sub_f32_e32 v39, v39, v165
	v_add_f32_e32 v163, v38, v163
	v_add_f32_e32 v38, v38, v39
	;; [unrolled: 1-line block ×3, first 2 shown]
	v_rcp_f32_e32 v179, v177
	v_sub_f32_e32 v39, v164, v177
	v_add_f32_e32 v178, v38, v39
	v_add_f32_e32 v39, v162, v163
	v_mul_f32_e32 v181, v39, v179
	v_sub_f32_e32 v38, v162, v39
	v_mul_f32_e32 v162, v177, v181
	v_fma_f32 v164, v181, v177, -v162
	v_fmac_f32_e32 v164, v181, v178
	v_add_f32_e32 v180, v163, v38
	v_add_f32_e32 v38, v162, v164
	v_sub_f32_e32 v163, v39, v38
	v_pk_add_f32 v[166:167], v[38:39], v[162:163] neg_lo:[0,1] neg_hi:[0,1]
	v_mov_b32_e32 v165, v38
	v_pk_add_f32 v[38:39], v[166:167], v[164:165] neg_lo:[0,1] neg_hi:[0,1]
	v_cmp_eq_f32_e32 vcc, s64, v192
	v_add_f32_e32 v39, v180, v39
	v_add_f32_e32 v38, v38, v39
	;; [unrolled: 1-line block ×3, first 2 shown]
	v_mul_f32_e32 v180, v179, v39
	v_mul_f32_e32 v162, v177, v180
	v_fma_f32 v164, v180, v177, -v162
	v_fmac_f32_e32 v164, v180, v178
	v_sub_f32_e32 v163, v163, v39
	v_add_f32_e32 v177, v38, v163
	v_add_f32_e32 v38, v162, v164
	v_sub_f32_e32 v163, v39, v38
	v_pk_add_f32 v[166:167], v[38:39], v[162:163] neg_lo:[0,1] neg_hi:[0,1]
	v_mov_b32_e32 v165, v38
	v_pk_add_f32 v[38:39], v[166:167], v[164:165] neg_lo:[0,1] neg_hi:[0,1]
	v_cvt_f32_i32_e32 v162, v176
	v_add_f32_e32 v39, v177, v39
	v_add_f32_e32 v38, v38, v39
	;; [unrolled: 1-line block ×4, first 2 shown]
	v_sub_f32_e32 v39, v163, v181
	v_mul_f32_e32 v38, v179, v38
	v_sub_f32_e32 v39, v180, v39
	v_add_f32_e32 v38, v39, v38
	v_add_f32_e32 v164, v163, v38
	v_mul_f32_e32 v166, v164, v164
	v_mov_b32_e32 v39, 0x3ecc95a3
	v_sub_f32_e32 v163, v164, v163
	v_fmac_f32_e32 v39, 0x3e9b6dac, v166
	v_sub_f32_e32 v38, v38, v163
	v_fmaak_f32 v39, v166, v39, 0x3f2aaada
	v_ldexp_f32 v167, v38, 1
	v_mul_f32_e32 v163, v164, v166
	v_mov_b32_e32 v38, 0x3f317218
	v_pk_mul_f32 v[38:39], v[162:163], v[38:39]
	v_ldexp_f32 v165, v164, 1
	v_fma_f32 v163, v162, s13, -v38
	v_fmamk_f32 v164, v162, 0xb102e308, v163
	v_pk_add_f32 v[162:163], v[38:39], v[164:165]
	v_mov_b32_e32 v166, v38
	v_sub_f32_e32 v165, v163, v165
	v_sub_f32_e32 v165, v39, v165
	v_add_f32_e32 v167, v167, v165
	v_pk_add_f32 v[38:39], v[162:163], v[38:39] neg_lo:[0,1] neg_hi:[0,1]
	v_pk_add_f32 v[176:177], v[162:163], v[166:167]
	v_mov_b32_e32 v165, v162
	v_mov_b32_e32 v39, v177
	v_pk_add_f32 v[178:179], v[164:165], v[38:39] neg_lo:[0,1] neg_hi:[0,1]
	v_pk_add_f32 v[38:39], v[164:165], v[38:39]
	v_mov_b32_e32 v166, v167
	v_mov_b32_e32 v164, v39
	v_pk_add_f32 v[180:181], v[164:165], v[162:163] neg_lo:[0,1] neg_hi:[0,1]
	v_mov_b32_e32 v38, v177
	v_mov_b32_e32 v165, v180
	v_pk_add_f32 v[182:183], v[176:177], v[164:165] neg_lo:[0,1] neg_hi:[0,1]
	v_mov_b32_e32 v176, v163
	v_mov_b32_e32 v177, v180
	;; [unrolled: 1-line block ×3, first 2 shown]
	v_pk_add_f32 v[38:39], v[38:39], v[176:177] neg_lo:[0,1] neg_hi:[0,1]
	v_mov_b32_e32 v167, v162
	v_pk_add_f32 v[38:39], v[166:167], v[38:39] neg_lo:[0,1] neg_hi:[0,1]
	v_mov_b32_e32 v182, v178
	v_pk_add_f32 v[162:163], v[182:183], v[38:39]
	s_mov_b32 s13, 0x33800000
	v_mov_b32_e32 v166, v163
	v_pk_add_f32 v[166:167], v[162:163], v[166:167]
	v_cmp_lt_f32_e64 s[64:65], |v192|, s13
	v_pk_add_f32 v[164:165], v[164:165], v[166:167]
	v_mov_b32_e32 v39, v166
	v_mov_b32_e32 v163, v164
	v_pk_add_f32 v[176:177], v[162:163], v[178:179] neg_lo:[0,1] neg_hi:[0,1]
	s_or_b64 vcc, vcc, s[64:65]
	v_sub_f32_e32 v162, v162, v176
	v_pk_add_f32 v[38:39], v[38:39], v[176:177] neg_lo:[0,1] neg_hi:[0,1]
	v_sub_f32_e32 v162, v178, v162
	v_add_f32_e32 v38, v38, v162
	v_add_f32_e32 v38, v38, v39
	;; [unrolled: 1-line block ×3, first 2 shown]
	v_cndmask_b32_e32 v38, v38, v192, vcc
	v_add_f32_e32 v38, v37, v38
.LBB451_157:
	s_or_b64 exec, exec, s[56:57]
	v_bfe_u32 v37, v38, 16, 1
	s_movk_i32 s13, 0x7fff
	v_add3_u32 v37, v38, v37, s13
	v_lshrrev_b32_e32 v37, 16, v37
	v_mov_b32_e32 v39, 0x7fc0
	v_cmp_o_f32_e32 vcc, v38, v38
	s_nop 1
	v_cndmask_b32_e32 v38, v39, v37, vcc
	v_and_b32_e32 v37, 0xffff, v38
.LBB451_158:
	s_or_b64 exec, exec, s[62:63]
	v_cmp_gt_u32_e32 vcc, 56, v148
	v_add_u32_e32 v163, 8, v148
	s_waitcnt lgkmcnt(0)
	v_cndmask_b32_e64 v39, 0, 1, vcc
	v_lshlrev_b32_e32 v39, 3, v39
	v_add_lshl_u32 v162, v39, v33, 2
	ds_bpermute_b32 v39, v162, v37
	v_cmp_le_u32_e32 vcc, v163, v36
	s_and_saveexec_b64 s[62:63], vcc
	s_cbranch_execz .LBB451_162
; %bb.159:
	s_waitcnt lgkmcnt(0)
	v_lshlrev_b32_e32 v38, 16, v39
	v_lshlrev_b32_e32 v37, 16, v37
	v_max_f32_e32 v164, v37, v37
	v_max_f32_e32 v165, v38, v38
	v_min_f32_e32 v39, v165, v164
	v_cmp_u_f32_e32 vcc, v38, v38
	v_max_f32_e32 v164, v165, v164
	v_cmp_u_f32_e64 s[56:57], v37, v37
	v_cndmask_b32_e32 v39, v39, v38, vcc
	v_cndmask_b32_e32 v164, v164, v38, vcc
	v_cndmask_b32_e64 v39, v39, v37, s[56:57]
	v_cndmask_b32_e64 v37, v164, v37, s[56:57]
	s_movk_i32 s13, 0x1f8
	v_cmp_neq_f32_e32 vcc, v39, v37
	v_cmp_class_f32_e64 s[56:57], v39, s13
	s_or_b64 vcc, vcc, s[56:57]
	s_and_saveexec_b64 s[56:57], vcc
	s_cbranch_execz .LBB451_161
; %bb.160:
	v_sub_f32_e32 v38, v39, v37
	s_mov_b32 s13, 0x3fb8aa3b
	v_mul_f32_e32 v39, 0x3fb8aa3b, v38
	v_fma_f32 v164, v38, s13, -v39
	v_rndne_f32_e32 v165, v39
	v_fmamk_f32 v164, v38, 0x32a5705f, v164
	v_sub_f32_e32 v39, v39, v165
	v_add_f32_e32 v39, v39, v164
	v_exp_f32_e32 v39, v39
	v_cvt_i32_f32_e32 v164, v165
	s_mov_b32 s13, 0xc2ce8ed0
	v_cmp_ngt_f32_e32 vcc, s13, v38
	s_mov_b32 s13, 0x42b17218
	v_ldexp_f32 v39, v39, v164
	v_cndmask_b32_e32 v39, 0, v39, vcc
	v_mov_b32_e32 v164, 0x7f800000
	v_cmp_nlt_f32_e32 vcc, s13, v38
	s_mov_b32 s13, 0x3f2aaaab
	s_mov_b32 s64, 0x7f800000
	v_cndmask_b32_e32 v194, v164, v39, vcc
	v_add_f32_e32 v164, 1.0, v194
	v_add_f32_e32 v38, -1.0, v164
	v_sub_f32_e32 v39, v38, v164
	v_add_f32_e32 v39, 1.0, v39
	v_sub_f32_e32 v38, v194, v38
	v_add_f32_e32 v165, v38, v39
	v_frexp_mant_f32_e32 v166, v164
	v_cvt_f64_f32_e32 v[38:39], v164
	v_frexp_exp_i32_f64_e32 v38, v[38:39]
	v_cmp_gt_f32_e32 vcc, s13, v166
	s_mov_b32 s13, 0x3f317218
	s_nop 0
	v_subbrev_co_u32_e32 v178, vcc, 0, v38, vcc
	v_sub_u32_e32 v38, 0, v178
	v_ldexp_f32 v39, v164, v38
	v_add_f32_e32 v164, -1.0, v39
	v_add_f32_e32 v166, 1.0, v39
	v_ldexp_f32 v38, v165, v38
	v_add_f32_e32 v165, 1.0, v164
	v_add_f32_e32 v167, -1.0, v166
	v_sub_f32_e32 v165, v39, v165
	v_sub_f32_e32 v39, v39, v167
	v_add_f32_e32 v165, v38, v165
	v_add_f32_e32 v38, v38, v39
	;; [unrolled: 1-line block ×3, first 2 shown]
	v_rcp_f32_e32 v181, v179
	v_sub_f32_e32 v39, v166, v179
	v_add_f32_e32 v180, v38, v39
	v_add_f32_e32 v39, v164, v165
	v_mul_f32_e32 v183, v39, v181
	v_sub_f32_e32 v38, v164, v39
	v_mul_f32_e32 v164, v179, v183
	v_fma_f32 v166, v183, v179, -v164
	v_fmac_f32_e32 v166, v183, v180
	v_add_f32_e32 v182, v165, v38
	v_add_f32_e32 v38, v164, v166
	v_sub_f32_e32 v165, v39, v38
	v_pk_add_f32 v[176:177], v[38:39], v[164:165] neg_lo:[0,1] neg_hi:[0,1]
	v_mov_b32_e32 v167, v38
	v_pk_add_f32 v[38:39], v[176:177], v[166:167] neg_lo:[0,1] neg_hi:[0,1]
	v_cmp_eq_f32_e32 vcc, s64, v194
	v_add_f32_e32 v39, v182, v39
	v_add_f32_e32 v38, v38, v39
	;; [unrolled: 1-line block ×3, first 2 shown]
	v_mul_f32_e32 v182, v181, v39
	v_mul_f32_e32 v164, v179, v182
	v_fma_f32 v166, v182, v179, -v164
	v_fmac_f32_e32 v166, v182, v180
	v_sub_f32_e32 v165, v165, v39
	v_add_f32_e32 v179, v38, v165
	v_add_f32_e32 v38, v164, v166
	v_sub_f32_e32 v165, v39, v38
	v_pk_add_f32 v[176:177], v[38:39], v[164:165] neg_lo:[0,1] neg_hi:[0,1]
	v_mov_b32_e32 v167, v38
	v_pk_add_f32 v[38:39], v[176:177], v[166:167] neg_lo:[0,1] neg_hi:[0,1]
	v_cvt_f32_i32_e32 v164, v178
	v_add_f32_e32 v39, v179, v39
	v_add_f32_e32 v38, v38, v39
	;; [unrolled: 1-line block ×4, first 2 shown]
	v_sub_f32_e32 v39, v165, v183
	v_mul_f32_e32 v38, v181, v38
	v_sub_f32_e32 v39, v182, v39
	v_add_f32_e32 v38, v39, v38
	v_add_f32_e32 v166, v165, v38
	v_mul_f32_e32 v176, v166, v166
	v_mov_b32_e32 v39, 0x3ecc95a3
	v_sub_f32_e32 v165, v166, v165
	v_fmac_f32_e32 v39, 0x3e9b6dac, v176
	v_sub_f32_e32 v38, v38, v165
	v_fmaak_f32 v39, v176, v39, 0x3f2aaada
	v_ldexp_f32 v177, v38, 1
	v_mul_f32_e32 v165, v166, v176
	v_mov_b32_e32 v38, 0x3f317218
	v_pk_mul_f32 v[38:39], v[164:165], v[38:39]
	v_ldexp_f32 v167, v166, 1
	v_fma_f32 v165, v164, s13, -v38
	v_fmamk_f32 v166, v164, 0xb102e308, v165
	v_pk_add_f32 v[164:165], v[38:39], v[166:167]
	v_mov_b32_e32 v176, v38
	v_sub_f32_e32 v167, v165, v167
	v_sub_f32_e32 v167, v39, v167
	v_add_f32_e32 v177, v177, v167
	v_pk_add_f32 v[38:39], v[164:165], v[38:39] neg_lo:[0,1] neg_hi:[0,1]
	v_pk_add_f32 v[178:179], v[164:165], v[176:177]
	v_mov_b32_e32 v167, v164
	v_mov_b32_e32 v39, v179
	v_pk_add_f32 v[180:181], v[166:167], v[38:39] neg_lo:[0,1] neg_hi:[0,1]
	v_pk_add_f32 v[38:39], v[166:167], v[38:39]
	v_mov_b32_e32 v176, v177
	v_mov_b32_e32 v166, v39
	v_pk_add_f32 v[182:183], v[166:167], v[164:165] neg_lo:[0,1] neg_hi:[0,1]
	v_mov_b32_e32 v38, v179
	v_mov_b32_e32 v167, v182
	v_pk_add_f32 v[192:193], v[178:179], v[166:167] neg_lo:[0,1] neg_hi:[0,1]
	v_mov_b32_e32 v178, v165
	v_mov_b32_e32 v179, v182
	;; [unrolled: 1-line block ×3, first 2 shown]
	v_pk_add_f32 v[38:39], v[38:39], v[178:179] neg_lo:[0,1] neg_hi:[0,1]
	v_mov_b32_e32 v177, v164
	v_pk_add_f32 v[38:39], v[176:177], v[38:39] neg_lo:[0,1] neg_hi:[0,1]
	v_mov_b32_e32 v192, v180
	v_pk_add_f32 v[164:165], v[192:193], v[38:39]
	s_mov_b32 s13, 0x33800000
	v_mov_b32_e32 v176, v165
	v_pk_add_f32 v[176:177], v[164:165], v[176:177]
	v_cmp_lt_f32_e64 s[64:65], |v194|, s13
	v_pk_add_f32 v[166:167], v[166:167], v[176:177]
	v_mov_b32_e32 v39, v176
	v_mov_b32_e32 v165, v166
	v_pk_add_f32 v[178:179], v[164:165], v[180:181] neg_lo:[0,1] neg_hi:[0,1]
	s_or_b64 vcc, vcc, s[64:65]
	v_sub_f32_e32 v164, v164, v178
	v_pk_add_f32 v[38:39], v[38:39], v[178:179] neg_lo:[0,1] neg_hi:[0,1]
	v_sub_f32_e32 v164, v180, v164
	v_add_f32_e32 v38, v38, v164
	v_add_f32_e32 v38, v38, v39
	;; [unrolled: 1-line block ×3, first 2 shown]
	v_cndmask_b32_e32 v38, v38, v194, vcc
	v_add_f32_e32 v38, v37, v38
.LBB451_161:
	s_or_b64 exec, exec, s[56:57]
	v_bfe_u32 v37, v38, 16, 1
	s_movk_i32 s13, 0x7fff
	v_add3_u32 v37, v38, v37, s13
	v_lshrrev_b32_e32 v37, 16, v37
	v_mov_b32_e32 v39, 0x7fc0
	v_cmp_o_f32_e32 vcc, v38, v38
	s_nop 1
	v_cndmask_b32_e32 v38, v39, v37, vcc
	v_and_b32_e32 v37, 0xffff, v38
.LBB451_162:
	s_or_b64 exec, exec, s[62:63]
	v_cmp_gt_u32_e32 vcc, 48, v148
	v_add_u32_e32 v165, 16, v148
	s_waitcnt lgkmcnt(0)
	v_cndmask_b32_e64 v39, 0, 1, vcc
	v_lshlrev_b32_e32 v39, 4, v39
	v_add_lshl_u32 v164, v39, v33, 2
	ds_bpermute_b32 v39, v164, v37
	v_cmp_le_u32_e32 vcc, v165, v36
	s_and_saveexec_b64 s[62:63], vcc
	s_cbranch_execz .LBB451_166
; %bb.163:
	s_waitcnt lgkmcnt(0)
	v_lshlrev_b32_e32 v38, 16, v39
	v_lshlrev_b32_e32 v37, 16, v37
	v_max_f32_e32 v166, v37, v37
	v_max_f32_e32 v167, v38, v38
	v_min_f32_e32 v39, v167, v166
	v_cmp_u_f32_e32 vcc, v38, v38
	v_max_f32_e32 v166, v167, v166
	v_cmp_u_f32_e64 s[56:57], v37, v37
	v_cndmask_b32_e32 v39, v39, v38, vcc
	v_cndmask_b32_e32 v166, v166, v38, vcc
	v_cndmask_b32_e64 v39, v39, v37, s[56:57]
	v_cndmask_b32_e64 v37, v166, v37, s[56:57]
	s_movk_i32 s13, 0x1f8
	v_cmp_neq_f32_e32 vcc, v39, v37
	v_cmp_class_f32_e64 s[56:57], v39, s13
	s_or_b64 vcc, vcc, s[56:57]
	s_and_saveexec_b64 s[56:57], vcc
	s_cbranch_execz .LBB451_165
; %bb.164:
	v_sub_f32_e32 v38, v39, v37
	s_mov_b32 s13, 0x3fb8aa3b
	v_mul_f32_e32 v39, 0x3fb8aa3b, v38
	v_fma_f32 v166, v38, s13, -v39
	v_rndne_f32_e32 v167, v39
	v_fmamk_f32 v166, v38, 0x32a5705f, v166
	v_sub_f32_e32 v39, v39, v167
	v_add_f32_e32 v39, v39, v166
	v_exp_f32_e32 v39, v39
	v_cvt_i32_f32_e32 v166, v167
	s_mov_b32 s13, 0xc2ce8ed0
	v_cmp_ngt_f32_e32 vcc, s13, v38
	s_mov_b32 s13, 0x42b17218
	v_ldexp_f32 v39, v39, v166
	v_cndmask_b32_e32 v39, 0, v39, vcc
	v_mov_b32_e32 v166, 0x7f800000
	v_cmp_nlt_f32_e32 vcc, s13, v38
	s_mov_b32 s13, 0x3f2aaaab
	s_mov_b32 s64, 0x7f800000
	v_cndmask_b32_e32 v196, v166, v39, vcc
	v_add_f32_e32 v166, 1.0, v196
	v_add_f32_e32 v38, -1.0, v166
	v_sub_f32_e32 v39, v38, v166
	v_add_f32_e32 v39, 1.0, v39
	v_sub_f32_e32 v38, v196, v38
	v_add_f32_e32 v167, v38, v39
	v_frexp_mant_f32_e32 v176, v166
	v_cvt_f64_f32_e32 v[38:39], v166
	v_frexp_exp_i32_f64_e32 v38, v[38:39]
	v_cmp_gt_f32_e32 vcc, s13, v176
	s_mov_b32 s13, 0x3f317218
	s_nop 0
	v_subbrev_co_u32_e32 v180, vcc, 0, v38, vcc
	v_sub_u32_e32 v38, 0, v180
	v_ldexp_f32 v39, v166, v38
	v_add_f32_e32 v166, -1.0, v39
	v_add_f32_e32 v176, 1.0, v39
	v_ldexp_f32 v38, v167, v38
	v_add_f32_e32 v167, 1.0, v166
	v_add_f32_e32 v177, -1.0, v176
	v_sub_f32_e32 v167, v39, v167
	v_sub_f32_e32 v39, v39, v177
	v_add_f32_e32 v167, v38, v167
	v_add_f32_e32 v38, v38, v39
	;; [unrolled: 1-line block ×3, first 2 shown]
	v_rcp_f32_e32 v183, v181
	v_sub_f32_e32 v39, v176, v181
	v_add_f32_e32 v182, v38, v39
	v_add_f32_e32 v39, v166, v167
	v_mul_f32_e32 v193, v39, v183
	v_sub_f32_e32 v38, v166, v39
	v_mul_f32_e32 v166, v181, v193
	v_fma_f32 v176, v193, v181, -v166
	v_fmac_f32_e32 v176, v193, v182
	v_add_f32_e32 v192, v167, v38
	v_add_f32_e32 v38, v166, v176
	v_sub_f32_e32 v167, v39, v38
	v_pk_add_f32 v[178:179], v[38:39], v[166:167] neg_lo:[0,1] neg_hi:[0,1]
	v_mov_b32_e32 v177, v38
	v_pk_add_f32 v[38:39], v[178:179], v[176:177] neg_lo:[0,1] neg_hi:[0,1]
	v_cmp_eq_f32_e32 vcc, s64, v196
	v_add_f32_e32 v39, v192, v39
	v_add_f32_e32 v38, v38, v39
	;; [unrolled: 1-line block ×3, first 2 shown]
	v_mul_f32_e32 v192, v183, v39
	v_mul_f32_e32 v166, v181, v192
	v_fma_f32 v176, v192, v181, -v166
	v_fmac_f32_e32 v176, v192, v182
	v_sub_f32_e32 v167, v167, v39
	v_add_f32_e32 v181, v38, v167
	v_add_f32_e32 v38, v166, v176
	v_sub_f32_e32 v167, v39, v38
	v_pk_add_f32 v[178:179], v[38:39], v[166:167] neg_lo:[0,1] neg_hi:[0,1]
	v_mov_b32_e32 v177, v38
	v_pk_add_f32 v[38:39], v[178:179], v[176:177] neg_lo:[0,1] neg_hi:[0,1]
	v_cvt_f32_i32_e32 v166, v180
	v_add_f32_e32 v39, v181, v39
	v_add_f32_e32 v38, v38, v39
	;; [unrolled: 1-line block ×4, first 2 shown]
	v_sub_f32_e32 v39, v167, v193
	v_mul_f32_e32 v38, v183, v38
	v_sub_f32_e32 v39, v192, v39
	v_add_f32_e32 v38, v39, v38
	v_add_f32_e32 v176, v167, v38
	v_mul_f32_e32 v178, v176, v176
	v_mov_b32_e32 v39, 0x3ecc95a3
	v_sub_f32_e32 v167, v176, v167
	v_fmac_f32_e32 v39, 0x3e9b6dac, v178
	v_sub_f32_e32 v38, v38, v167
	v_fmaak_f32 v39, v178, v39, 0x3f2aaada
	v_ldexp_f32 v179, v38, 1
	v_mul_f32_e32 v167, v176, v178
	v_mov_b32_e32 v38, 0x3f317218
	v_pk_mul_f32 v[38:39], v[166:167], v[38:39]
	v_ldexp_f32 v177, v176, 1
	v_fma_f32 v167, v166, s13, -v38
	v_fmamk_f32 v176, v166, 0xb102e308, v167
	v_pk_add_f32 v[166:167], v[38:39], v[176:177]
	v_mov_b32_e32 v178, v38
	v_sub_f32_e32 v177, v167, v177
	v_sub_f32_e32 v177, v39, v177
	v_add_f32_e32 v179, v179, v177
	v_pk_add_f32 v[38:39], v[166:167], v[38:39] neg_lo:[0,1] neg_hi:[0,1]
	v_pk_add_f32 v[180:181], v[166:167], v[178:179]
	v_mov_b32_e32 v177, v166
	v_mov_b32_e32 v39, v181
	v_pk_add_f32 v[182:183], v[176:177], v[38:39] neg_lo:[0,1] neg_hi:[0,1]
	v_pk_add_f32 v[38:39], v[176:177], v[38:39]
	v_mov_b32_e32 v178, v179
	v_mov_b32_e32 v176, v39
	v_pk_add_f32 v[192:193], v[176:177], v[166:167] neg_lo:[0,1] neg_hi:[0,1]
	v_mov_b32_e32 v38, v181
	v_mov_b32_e32 v177, v192
	v_pk_add_f32 v[194:195], v[180:181], v[176:177] neg_lo:[0,1] neg_hi:[0,1]
	v_mov_b32_e32 v180, v167
	v_mov_b32_e32 v181, v192
	;; [unrolled: 1-line block ×3, first 2 shown]
	v_pk_add_f32 v[38:39], v[38:39], v[180:181] neg_lo:[0,1] neg_hi:[0,1]
	v_mov_b32_e32 v179, v166
	v_pk_add_f32 v[38:39], v[178:179], v[38:39] neg_lo:[0,1] neg_hi:[0,1]
	v_mov_b32_e32 v194, v182
	v_pk_add_f32 v[166:167], v[194:195], v[38:39]
	s_mov_b32 s13, 0x33800000
	v_mov_b32_e32 v178, v167
	v_pk_add_f32 v[178:179], v[166:167], v[178:179]
	v_cmp_lt_f32_e64 s[64:65], |v196|, s13
	v_pk_add_f32 v[176:177], v[176:177], v[178:179]
	v_mov_b32_e32 v39, v178
	v_mov_b32_e32 v167, v176
	v_pk_add_f32 v[180:181], v[166:167], v[182:183] neg_lo:[0,1] neg_hi:[0,1]
	s_or_b64 vcc, vcc, s[64:65]
	v_sub_f32_e32 v166, v166, v180
	v_pk_add_f32 v[38:39], v[38:39], v[180:181] neg_lo:[0,1] neg_hi:[0,1]
	v_sub_f32_e32 v166, v182, v166
	v_add_f32_e32 v38, v38, v166
	v_add_f32_e32 v38, v38, v39
	;; [unrolled: 1-line block ×3, first 2 shown]
	v_cndmask_b32_e32 v38, v38, v196, vcc
	v_add_f32_e32 v38, v37, v38
.LBB451_165:
	s_or_b64 exec, exec, s[56:57]
	v_bfe_u32 v37, v38, 16, 1
	s_movk_i32 s13, 0x7fff
	v_add3_u32 v37, v38, v37, s13
	v_lshrrev_b32_e32 v37, 16, v37
	v_mov_b32_e32 v39, 0x7fc0
	v_cmp_o_f32_e32 vcc, v38, v38
	s_nop 1
	v_cndmask_b32_e32 v38, v39, v37, vcc
	v_and_b32_e32 v37, 0xffff, v38
.LBB451_166:
	s_or_b64 exec, exec, s[62:63]
	v_cmp_gt_u32_e32 vcc, 32, v148
	v_add_u32_e32 v167, 32, v148
	s_waitcnt lgkmcnt(0)
	v_cndmask_b32_e64 v39, 0, 1, vcc
	v_lshlrev_b32_e32 v39, 5, v39
	v_add_lshl_u32 v166, v39, v33, 2
	ds_bpermute_b32 v33, v166, v37
	v_cmp_le_u32_e32 vcc, v167, v36
	s_and_saveexec_b64 s[62:63], vcc
	s_cbranch_execz .LBB451_170
; %bb.167:
	s_waitcnt lgkmcnt(0)
	v_lshlrev_b32_e32 v36, 16, v33
	v_lshlrev_b32_e32 v33, 16, v37
	v_max_f32_e32 v38, v33, v33
	v_max_f32_e32 v39, v36, v36
	v_min_f32_e32 v37, v39, v38
	v_cmp_u_f32_e32 vcc, v36, v36
	v_max_f32_e32 v38, v39, v38
	v_cmp_u_f32_e64 s[56:57], v33, v33
	v_cndmask_b32_e32 v37, v37, v36, vcc
	v_cndmask_b32_e32 v38, v38, v36, vcc
	v_cndmask_b32_e64 v37, v37, v33, s[56:57]
	v_cndmask_b32_e64 v33, v38, v33, s[56:57]
	s_movk_i32 s13, 0x1f8
	v_cmp_neq_f32_e32 vcc, v37, v33
	v_cmp_class_f32_e64 s[56:57], v37, s13
	s_or_b64 vcc, vcc, s[56:57]
	s_and_saveexec_b64 s[56:57], vcc
	s_cbranch_execz .LBB451_169
; %bb.168:
	v_sub_f32_e32 v36, v37, v33
	s_mov_b32 s13, 0x3fb8aa3b
	v_mul_f32_e32 v37, 0x3fb8aa3b, v36
	v_fma_f32 v38, v36, s13, -v37
	v_rndne_f32_e32 v39, v37
	v_fmamk_f32 v38, v36, 0x32a5705f, v38
	v_sub_f32_e32 v37, v37, v39
	v_add_f32_e32 v37, v37, v38
	v_exp_f32_e32 v37, v37
	v_cvt_i32_f32_e32 v38, v39
	s_mov_b32 s13, 0xc2ce8ed0
	v_cmp_ngt_f32_e32 vcc, s13, v36
	s_mov_b32 s13, 0x42b17218
	v_ldexp_f32 v37, v37, v38
	v_cndmask_b32_e32 v37, 0, v37, vcc
	v_mov_b32_e32 v38, 0x7f800000
	v_cmp_nlt_f32_e32 vcc, s13, v36
	s_mov_b32 s13, 0x3f2aaaab
	s_mov_b32 s64, 0x7f800000
	v_cndmask_b32_e32 v196, v38, v37, vcc
	v_add_f32_e32 v38, 1.0, v196
	v_add_f32_e32 v36, -1.0, v38
	v_sub_f32_e32 v37, v36, v38
	v_add_f32_e32 v37, 1.0, v37
	v_sub_f32_e32 v36, v196, v36
	v_add_f32_e32 v39, v36, v37
	v_frexp_mant_f32_e32 v176, v38
	v_cvt_f64_f32_e32 v[36:37], v38
	v_frexp_exp_i32_f64_e32 v36, v[36:37]
	v_cmp_gt_f32_e32 vcc, s13, v176
	s_mov_b32 s13, 0x3f317218
	s_nop 0
	v_subbrev_co_u32_e32 v180, vcc, 0, v36, vcc
	v_sub_u32_e32 v36, 0, v180
	v_ldexp_f32 v37, v38, v36
	v_add_f32_e32 v38, -1.0, v37
	v_add_f32_e32 v176, 1.0, v37
	v_ldexp_f32 v36, v39, v36
	v_add_f32_e32 v39, 1.0, v38
	v_add_f32_e32 v177, -1.0, v176
	v_sub_f32_e32 v39, v37, v39
	v_sub_f32_e32 v37, v37, v177
	v_add_f32_e32 v39, v36, v39
	v_add_f32_e32 v36, v36, v37
	;; [unrolled: 1-line block ×3, first 2 shown]
	v_rcp_f32_e32 v183, v181
	v_sub_f32_e32 v37, v176, v181
	v_add_f32_e32 v182, v36, v37
	v_add_f32_e32 v37, v38, v39
	v_mul_f32_e32 v193, v37, v183
	v_sub_f32_e32 v36, v38, v37
	v_mul_f32_e32 v38, v181, v193
	v_fma_f32 v176, v193, v181, -v38
	v_fmac_f32_e32 v176, v193, v182
	v_add_f32_e32 v192, v39, v36
	v_add_f32_e32 v36, v38, v176
	v_sub_f32_e32 v39, v37, v36
	v_pk_add_f32 v[178:179], v[36:37], v[38:39] neg_lo:[0,1] neg_hi:[0,1]
	v_mov_b32_e32 v177, v36
	v_pk_add_f32 v[36:37], v[178:179], v[176:177] neg_lo:[0,1] neg_hi:[0,1]
	v_cmp_eq_f32_e32 vcc, s64, v196
	v_add_f32_e32 v37, v192, v37
	v_add_f32_e32 v36, v36, v37
	;; [unrolled: 1-line block ×3, first 2 shown]
	v_mul_f32_e32 v192, v183, v37
	v_mul_f32_e32 v38, v181, v192
	v_fma_f32 v176, v192, v181, -v38
	v_fmac_f32_e32 v176, v192, v182
	v_sub_f32_e32 v39, v39, v37
	v_add_f32_e32 v181, v36, v39
	v_add_f32_e32 v36, v38, v176
	v_sub_f32_e32 v39, v37, v36
	v_pk_add_f32 v[178:179], v[36:37], v[38:39] neg_lo:[0,1] neg_hi:[0,1]
	v_mov_b32_e32 v177, v36
	v_pk_add_f32 v[36:37], v[178:179], v[176:177] neg_lo:[0,1] neg_hi:[0,1]
	v_cvt_f32_i32_e32 v38, v180
	v_add_f32_e32 v37, v181, v37
	v_add_f32_e32 v36, v36, v37
	;; [unrolled: 1-line block ×4, first 2 shown]
	v_sub_f32_e32 v37, v39, v193
	v_mul_f32_e32 v36, v183, v36
	v_sub_f32_e32 v37, v192, v37
	v_add_f32_e32 v36, v37, v36
	v_add_f32_e32 v176, v39, v36
	v_mul_f32_e32 v178, v176, v176
	v_mov_b32_e32 v37, 0x3ecc95a3
	v_sub_f32_e32 v39, v176, v39
	v_fmac_f32_e32 v37, 0x3e9b6dac, v178
	v_sub_f32_e32 v36, v36, v39
	v_fmaak_f32 v37, v178, v37, 0x3f2aaada
	v_ldexp_f32 v179, v36, 1
	v_mul_f32_e32 v39, v176, v178
	v_mov_b32_e32 v36, 0x3f317218
	v_pk_mul_f32 v[36:37], v[38:39], v[36:37]
	v_ldexp_f32 v177, v176, 1
	v_fma_f32 v39, v38, s13, -v36
	v_fmamk_f32 v176, v38, 0xb102e308, v39
	v_pk_add_f32 v[38:39], v[36:37], v[176:177]
	v_mov_b32_e32 v178, v36
	v_sub_f32_e32 v177, v39, v177
	v_sub_f32_e32 v177, v37, v177
	v_add_f32_e32 v179, v179, v177
	v_pk_add_f32 v[36:37], v[38:39], v[36:37] neg_lo:[0,1] neg_hi:[0,1]
	v_pk_add_f32 v[180:181], v[38:39], v[178:179]
	v_mov_b32_e32 v177, v38
	v_mov_b32_e32 v37, v181
	v_pk_add_f32 v[182:183], v[176:177], v[36:37] neg_lo:[0,1] neg_hi:[0,1]
	v_pk_add_f32 v[36:37], v[176:177], v[36:37]
	v_mov_b32_e32 v178, v179
	v_mov_b32_e32 v176, v37
	v_pk_add_f32 v[192:193], v[176:177], v[38:39] neg_lo:[0,1] neg_hi:[0,1]
	v_mov_b32_e32 v36, v181
	v_mov_b32_e32 v177, v192
	v_pk_add_f32 v[194:195], v[180:181], v[176:177] neg_lo:[0,1] neg_hi:[0,1]
	v_mov_b32_e32 v180, v39
	v_mov_b32_e32 v181, v192
	;; [unrolled: 1-line block ×3, first 2 shown]
	v_pk_add_f32 v[36:37], v[36:37], v[180:181] neg_lo:[0,1] neg_hi:[0,1]
	v_mov_b32_e32 v179, v38
	v_pk_add_f32 v[36:37], v[178:179], v[36:37] neg_lo:[0,1] neg_hi:[0,1]
	v_mov_b32_e32 v194, v182
	v_pk_add_f32 v[38:39], v[194:195], v[36:37]
	s_mov_b32 s13, 0x33800000
	v_mov_b32_e32 v178, v39
	v_pk_add_f32 v[178:179], v[38:39], v[178:179]
	v_cmp_lt_f32_e64 s[64:65], |v196|, s13
	v_pk_add_f32 v[176:177], v[176:177], v[178:179]
	v_mov_b32_e32 v37, v178
	v_mov_b32_e32 v39, v176
	v_pk_add_f32 v[180:181], v[38:39], v[182:183] neg_lo:[0,1] neg_hi:[0,1]
	s_or_b64 vcc, vcc, s[64:65]
	v_sub_f32_e32 v38, v38, v180
	v_pk_add_f32 v[36:37], v[36:37], v[180:181] neg_lo:[0,1] neg_hi:[0,1]
	v_sub_f32_e32 v38, v182, v38
	v_add_f32_e32 v36, v36, v38
	v_add_f32_e32 v36, v36, v37
	;; [unrolled: 1-line block ×3, first 2 shown]
	v_cndmask_b32_e32 v36, v36, v196, vcc
	v_add_f32_e32 v36, v33, v36
.LBB451_169:
	s_or_b64 exec, exec, s[56:57]
	v_bfe_u32 v33, v36, 16, 1
	s_movk_i32 s13, 0x7fff
	v_add3_u32 v33, v36, v33, s13
	v_lshrrev_b32_e32 v33, 16, v33
	v_mov_b32_e32 v37, 0x7fc0
	v_cmp_o_f32_e32 vcc, v36, v36
	s_nop 1
	v_cndmask_b32_e32 v38, v37, v33, vcc
.LBB451_170:
	s_or_b64 exec, exec, s[62:63]
                                        ; implicit-def: $vgpr36
	s_waitcnt lgkmcnt(0)
	v_mov_b32_e32 v33, 0
	s_movk_i32 s13, 0x1f8
	s_mov_b32 s64, 0x3fb8aa3b
	s_mov_b32 s65, 0xc2ce8ed0
	;; [unrolled: 1-line block ×5, first 2 shown]
	v_mov_b32_e32 v177, 0x3ecc95a3
	s_mov_b32 s69, 0x3f317218
	s_mov_b32 s70, 0x33800000
	s_movk_i32 s71, 0x7fff
	v_mov_b32_e32 v178, 2
	v_mov_b32_e32 v179, 0x7f800000
	;; [unrolled: 1-line block ×4, first 2 shown]
	s_branch .LBB451_172
.LBB451_171:                            ;   in Loop: Header=BB451_172 Depth=1
                                        ; implicit-def: $vgpr38
                                        ; implicit-def: $vgpr147
	s_cbranch_execnz .LBB451_204
.LBB451_172:                            ; =>This Loop Header: Depth=1
                                        ;     Child Loop BB451_175 Depth 2
	v_cmp_ne_u16_sdwa vcc, v147, v178 src0_sel:BYTE_0 src1_sel:DWORD
	v_mov_b32_e32 v176, v38
	s_nop 0
	v_cndmask_b32_e64 v37, 0, 1, vcc
	;;#ASMSTART
	;;#ASMEND
	s_nop 0
	v_cmp_ne_u32_e32 vcc, 0, v37
	s_cmp_lg_u64 vcc, exec
	s_cbranch_scc1 .LBB451_171
; %bb.173:                              ;   in Loop: Header=BB451_172 Depth=1
	v_lshl_add_u64 v[38:39], v[32:33], 2, v[28:29]
	flat_load_dword v37, v[38:39] sc1
	s_waitcnt vmcnt(0) lgkmcnt(0)
	v_lshrrev_b32_e32 v147, 16, v37
	v_cmp_eq_u16_sdwa s[56:57], v147, v33 src0_sel:BYTE_0 src1_sel:DWORD
	s_and_saveexec_b64 vcc, s[56:57]
	s_cbranch_execz .LBB451_177
; %bb.174:                              ;   in Loop: Header=BB451_172 Depth=1
	s_mov_b64 s[56:57], 0
.LBB451_175:                            ;   Parent Loop BB451_172 Depth=1
                                        ; =>  This Inner Loop Header: Depth=2
	flat_load_dword v37, v[38:39] sc1
	s_waitcnt vmcnt(0) lgkmcnt(0)
	v_lshrrev_b32_e32 v147, 16, v37
	v_cmp_ne_u16_sdwa s[62:63], v147, v33 src0_sel:BYTE_0 src1_sel:DWORD
	s_or_b64 s[56:57], s[62:63], s[56:57]
	s_andn2_b64 exec, exec, s[56:57]
	s_cbranch_execnz .LBB451_175
; %bb.176:                              ;   in Loop: Header=BB451_172 Depth=1
	s_or_b64 exec, exec, s[56:57]
.LBB451_177:                            ;   in Loop: Header=BB451_172 Depth=1
	s_or_b64 exec, exec, vcc
	v_cmp_eq_u16_sdwa vcc, v147, v178 src0_sel:BYTE_0 src1_sel:DWORD
	v_and_b32_e32 v39, 0xffff, v37
	ds_bpermute_b32 v181, v149, v39
	v_and_b32_e32 v38, vcc_hi, v35
	v_or_b32_e32 v38, 0x80000000, v38
	v_and_b32_e32 v182, vcc_lo, v34
	v_ffbl_b32_e32 v38, v38
	v_add_u32_e32 v38, 32, v38
	v_ffbl_b32_e32 v182, v182
	v_min_u32_e32 v38, v182, v38
	v_cmp_lt_u32_e32 vcc, v148, v38
	s_and_saveexec_b64 s[62:63], vcc
	s_cbranch_execz .LBB451_181
; %bb.178:                              ;   in Loop: Header=BB451_172 Depth=1
	s_waitcnt lgkmcnt(0)
	v_lshlrev_b32_e32 v37, 16, v181
	v_lshlrev_b32_e32 v39, 16, v39
	v_max_f32_e32 v182, v39, v39
	v_max_f32_e32 v183, v37, v37
	v_min_f32_e32 v181, v183, v182
	v_cmp_u_f32_e32 vcc, v37, v37
	v_max_f32_e32 v182, v183, v182
	v_cmp_u_f32_e64 s[56:57], v39, v39
	v_cndmask_b32_e32 v181, v181, v37, vcc
	v_cndmask_b32_e32 v182, v182, v37, vcc
	v_cndmask_b32_e64 v181, v181, v39, s[56:57]
	v_cndmask_b32_e64 v39, v182, v39, s[56:57]
	v_cmp_neq_f32_e32 vcc, v181, v39
	v_cmp_class_f32_e64 s[56:57], v181, s13
	s_or_b64 vcc, vcc, s[56:57]
	s_and_saveexec_b64 s[56:57], vcc
	s_cbranch_execz .LBB451_180
; %bb.179:                              ;   in Loop: Header=BB451_172 Depth=1
	v_sub_f32_e32 v37, v181, v39
	v_mul_f32_e32 v181, 0x3fb8aa3b, v37
	v_fma_f32 v182, v37, s64, -v181
	v_rndne_f32_e32 v183, v181
	v_fmac_f32_e32 v182, 0x32a5705f, v37
	v_sub_f32_e32 v181, v181, v183
	v_add_f32_e32 v181, v181, v182
	v_cvt_i32_f32_e32 v182, v183
	v_exp_f32_e32 v181, v181
	v_cmp_ngt_f32_e32 vcc, s65, v37
	v_ldexp_f32 v181, v181, v182
	s_nop 0
	v_cndmask_b32_e32 v181, 0, v181, vcc
	v_cmp_nlt_f32_e32 vcc, s66, v37
	s_nop 1
	v_cndmask_b32_e32 v181, v179, v181, vcc
	v_add_f32_e32 v37, 1.0, v181
	v_add_f32_e32 v182, -1.0, v37
	v_sub_f32_e32 v183, v182, v37
	v_add_f32_e32 v183, 1.0, v183
	v_sub_f32_e32 v182, v181, v182
	v_add_f32_e32 v192, v182, v183
	v_frexp_mant_f32_e32 v193, v37
	v_cvt_f64_f32_e32 v[182:183], v37
	v_frexp_exp_i32_f64_e32 v182, v[182:183]
	v_cmp_gt_f32_e32 vcc, s68, v193
	v_cmp_lt_f32_e64 s[72:73], |v181|, s70
	s_nop 0
	v_subbrev_co_u32_e32 v198, vcc, 0, v182, vcc
	v_sub_u32_e32 v182, 0, v198
	v_ldexp_f32 v37, v37, v182
	v_ldexp_f32 v182, v192, v182
	v_add_f32_e32 v192, -1.0, v37
	v_add_f32_e32 v183, 1.0, v192
	v_sub_f32_e32 v183, v37, v183
	v_add_f32_e32 v193, v182, v183
	v_add_f32_e32 v183, 1.0, v37
	v_add_f32_e32 v194, -1.0, v183
	v_sub_f32_e32 v37, v37, v194
	v_add_f32_e32 v37, v182, v37
	v_add_f32_e32 v199, v183, v37
	v_rcp_f32_e32 v208, v199
	v_sub_f32_e32 v182, v183, v199
	v_add_f32_e32 v183, v192, v193
	v_add_f32_e32 v37, v37, v182
	v_mul_f32_e32 v210, v183, v208
	v_sub_f32_e32 v182, v192, v183
	v_mul_f32_e32 v192, v199, v210
	v_fma_f32 v194, v210, v199, -v192
	v_fmac_f32_e32 v194, v210, v37
	v_add_f32_e32 v209, v193, v182
	v_add_f32_e32 v182, v192, v194
	v_sub_f32_e32 v193, v183, v182
	v_pk_add_f32 v[196:197], v[182:183], v[192:193] neg_lo:[0,1] neg_hi:[0,1]
	v_mov_b32_e32 v195, v182
	v_pk_add_f32 v[182:183], v[196:197], v[194:195] neg_lo:[0,1] neg_hi:[0,1]
	v_cmp_eq_f32_e32 vcc, s67, v181
	v_add_f32_e32 v183, v209, v183
	v_add_f32_e32 v182, v182, v183
	;; [unrolled: 1-line block ×3, first 2 shown]
	v_mul_f32_e32 v209, v208, v183
	v_mul_f32_e32 v192, v199, v209
	v_fma_f32 v194, v209, v199, -v192
	v_fmac_f32_e32 v194, v209, v37
	v_sub_f32_e32 v37, v193, v183
	v_add_f32_e32 v37, v182, v37
	v_add_f32_e32 v182, v192, v194
	v_sub_f32_e32 v193, v183, v182
	v_pk_add_f32 v[196:197], v[182:183], v[192:193] neg_lo:[0,1] neg_hi:[0,1]
	v_mov_b32_e32 v195, v182
	v_pk_add_f32 v[182:183], v[196:197], v[194:195] neg_lo:[0,1] neg_hi:[0,1]
	s_or_b64 vcc, vcc, s[72:73]
	v_add_f32_e32 v37, v37, v183
	v_add_f32_e32 v37, v182, v37
	;; [unrolled: 1-line block ×4, first 2 shown]
	v_sub_f32_e32 v182, v183, v210
	v_mul_f32_e32 v37, v208, v37
	v_sub_f32_e32 v182, v209, v182
	v_add_f32_e32 v192, v182, v37
	v_add_f32_e32 v194, v183, v192
	v_cvt_f32_i32_e32 v182, v198
	v_mul_f32_e32 v195, v194, v194
	v_sub_f32_e32 v183, v194, v183
	v_fmamk_f32 v37, v195, 0x3e9b6dac, v177
	v_sub_f32_e32 v183, v192, v183
	v_fmaak_f32 v37, v195, v37, 0x3f2aaada
	v_ldexp_f32 v196, v183, 1
	v_mul_f32_e32 v183, v194, v195
	v_ldexp_f32 v193, v194, 1
	v_pk_mul_f32 v[194:195], v[182:183], v[36:37]
	s_nop 0
	v_fma_f32 v192, v182, s69, -v194
	v_fmac_f32_e32 v192, 0xb102e308, v182
	v_pk_add_f32 v[182:183], v[194:195], v[192:193]
	s_nop 0
	v_sub_f32_e32 v37, v183, v193
	v_sub_f32_e32 v37, v195, v37
	v_add_f32_e32 v197, v196, v37
	v_mov_b32_e32 v196, v194
	v_pk_add_f32 v[194:195], v[182:183], v[194:195] neg_lo:[0,1] neg_hi:[0,1]
	v_pk_add_f32 v[198:199], v[182:183], v[196:197]
	v_mov_b32_e32 v193, v182
	v_mov_b32_e32 v195, v199
	v_pk_add_f32 v[208:209], v[192:193], v[194:195] neg_lo:[0,1] neg_hi:[0,1]
	v_pk_add_f32 v[192:193], v[192:193], v[194:195]
	v_mov_b32_e32 v196, v197
	v_mov_b32_e32 v194, v193
	v_pk_add_f32 v[210:211], v[194:195], v[182:183] neg_lo:[0,1] neg_hi:[0,1]
	v_mov_b32_e32 v192, v199
	v_mov_b32_e32 v37, v210
	v_pk_add_f32 v[212:213], v[198:199], v[36:37] neg_lo:[0,1] neg_hi:[0,1]
	v_mov_b32_e32 v198, v183
	v_mov_b32_e32 v199, v210
	;; [unrolled: 1-line block ×3, first 2 shown]
	v_pk_add_f32 v[192:193], v[192:193], v[198:199] neg_lo:[0,1] neg_hi:[0,1]
	v_mov_b32_e32 v197, v182
	v_pk_add_f32 v[182:183], v[196:197], v[192:193] neg_lo:[0,1] neg_hi:[0,1]
	v_mov_b32_e32 v212, v208
	v_pk_add_f32 v[192:193], v[212:213], v[182:183]
	s_nop 0
	v_mov_b32_e32 v196, v193
	v_pk_add_f32 v[196:197], v[192:193], v[196:197]
	s_nop 0
	v_pk_add_f32 v[194:195], v[194:195], v[196:197]
	v_mov_b32_e32 v183, v196
	v_mov_b32_e32 v193, v194
	v_pk_add_f32 v[198:199], v[192:193], v[208:209] neg_lo:[0,1] neg_hi:[0,1]
	s_nop 0
	v_sub_f32_e32 v37, v192, v198
	v_pk_add_f32 v[182:183], v[182:183], v[198:199] neg_lo:[0,1] neg_hi:[0,1]
	v_sub_f32_e32 v37, v208, v37
	v_add_f32_e32 v37, v182, v37
	v_add_f32_e32 v37, v37, v183
	;; [unrolled: 1-line block ×3, first 2 shown]
	v_cndmask_b32_e32 v37, v37, v181, vcc
	v_add_f32_e32 v37, v39, v37
.LBB451_180:                            ;   in Loop: Header=BB451_172 Depth=1
	s_or_b64 exec, exec, s[56:57]
	v_bfe_u32 v39, v37, 16, 1
	v_add3_u32 v39, v37, v39, s71
	v_lshrrev_b32_e32 v39, 16, v39
	v_cmp_o_f32_e32 vcc, v37, v37
	s_nop 1
	v_cndmask_b32_e32 v37, v180, v39, vcc
	v_and_b32_e32 v39, 0xffff, v37
.LBB451_181:                            ;   in Loop: Header=BB451_172 Depth=1
	s_or_b64 exec, exec, s[62:63]
	s_waitcnt lgkmcnt(0)
	ds_bpermute_b32 v181, v150, v39
	v_cmp_le_u32_e32 vcc, v151, v38
	s_and_saveexec_b64 s[62:63], vcc
	s_cbranch_execz .LBB451_185
; %bb.182:                              ;   in Loop: Header=BB451_172 Depth=1
	s_waitcnt lgkmcnt(0)
	v_lshlrev_b32_e32 v37, 16, v181
	v_lshlrev_b32_e32 v39, 16, v39
	v_max_f32_e32 v182, v39, v39
	v_max_f32_e32 v183, v37, v37
	v_min_f32_e32 v181, v183, v182
	v_cmp_u_f32_e32 vcc, v37, v37
	v_max_f32_e32 v182, v183, v182
	v_cmp_u_f32_e64 s[56:57], v39, v39
	v_cndmask_b32_e32 v181, v181, v37, vcc
	v_cndmask_b32_e32 v182, v182, v37, vcc
	v_cndmask_b32_e64 v181, v181, v39, s[56:57]
	v_cndmask_b32_e64 v39, v182, v39, s[56:57]
	v_cmp_neq_f32_e32 vcc, v181, v39
	v_cmp_class_f32_e64 s[56:57], v181, s13
	s_or_b64 vcc, vcc, s[56:57]
	s_and_saveexec_b64 s[56:57], vcc
	s_cbranch_execz .LBB451_184
; %bb.183:                              ;   in Loop: Header=BB451_172 Depth=1
	v_sub_f32_e32 v37, v181, v39
	v_mul_f32_e32 v181, 0x3fb8aa3b, v37
	v_fma_f32 v182, v37, s64, -v181
	v_rndne_f32_e32 v183, v181
	v_fmac_f32_e32 v182, 0x32a5705f, v37
	v_sub_f32_e32 v181, v181, v183
	v_add_f32_e32 v181, v181, v182
	v_cvt_i32_f32_e32 v182, v183
	v_exp_f32_e32 v181, v181
	v_cmp_ngt_f32_e32 vcc, s65, v37
	v_ldexp_f32 v181, v181, v182
	s_nop 0
	v_cndmask_b32_e32 v181, 0, v181, vcc
	v_cmp_nlt_f32_e32 vcc, s66, v37
	s_nop 1
	v_cndmask_b32_e32 v181, v179, v181, vcc
	v_add_f32_e32 v37, 1.0, v181
	v_add_f32_e32 v182, -1.0, v37
	v_sub_f32_e32 v183, v182, v37
	v_add_f32_e32 v183, 1.0, v183
	v_sub_f32_e32 v182, v181, v182
	v_add_f32_e32 v192, v182, v183
	v_frexp_mant_f32_e32 v193, v37
	v_cvt_f64_f32_e32 v[182:183], v37
	v_frexp_exp_i32_f64_e32 v182, v[182:183]
	v_cmp_gt_f32_e32 vcc, s68, v193
	v_cmp_lt_f32_e64 s[72:73], |v181|, s70
	s_nop 0
	v_subbrev_co_u32_e32 v198, vcc, 0, v182, vcc
	v_sub_u32_e32 v182, 0, v198
	v_ldexp_f32 v37, v37, v182
	v_ldexp_f32 v182, v192, v182
	v_add_f32_e32 v192, -1.0, v37
	v_add_f32_e32 v183, 1.0, v192
	v_sub_f32_e32 v183, v37, v183
	v_add_f32_e32 v193, v182, v183
	v_add_f32_e32 v183, 1.0, v37
	v_add_f32_e32 v194, -1.0, v183
	v_sub_f32_e32 v37, v37, v194
	v_add_f32_e32 v37, v182, v37
	v_add_f32_e32 v199, v183, v37
	v_rcp_f32_e32 v208, v199
	v_sub_f32_e32 v182, v183, v199
	v_add_f32_e32 v183, v192, v193
	v_add_f32_e32 v37, v37, v182
	v_mul_f32_e32 v210, v183, v208
	v_sub_f32_e32 v182, v192, v183
	v_mul_f32_e32 v192, v199, v210
	v_fma_f32 v194, v210, v199, -v192
	v_fmac_f32_e32 v194, v210, v37
	v_add_f32_e32 v209, v193, v182
	v_add_f32_e32 v182, v192, v194
	v_sub_f32_e32 v193, v183, v182
	v_pk_add_f32 v[196:197], v[182:183], v[192:193] neg_lo:[0,1] neg_hi:[0,1]
	v_mov_b32_e32 v195, v182
	v_pk_add_f32 v[182:183], v[196:197], v[194:195] neg_lo:[0,1] neg_hi:[0,1]
	v_cmp_eq_f32_e32 vcc, s67, v181
	v_add_f32_e32 v183, v209, v183
	v_add_f32_e32 v182, v182, v183
	;; [unrolled: 1-line block ×3, first 2 shown]
	v_mul_f32_e32 v209, v208, v183
	v_mul_f32_e32 v192, v199, v209
	v_fma_f32 v194, v209, v199, -v192
	v_fmac_f32_e32 v194, v209, v37
	v_sub_f32_e32 v37, v193, v183
	v_add_f32_e32 v37, v182, v37
	v_add_f32_e32 v182, v192, v194
	v_sub_f32_e32 v193, v183, v182
	v_pk_add_f32 v[196:197], v[182:183], v[192:193] neg_lo:[0,1] neg_hi:[0,1]
	v_mov_b32_e32 v195, v182
	v_pk_add_f32 v[182:183], v[196:197], v[194:195] neg_lo:[0,1] neg_hi:[0,1]
	s_or_b64 vcc, vcc, s[72:73]
	v_add_f32_e32 v37, v37, v183
	v_add_f32_e32 v37, v182, v37
	;; [unrolled: 1-line block ×4, first 2 shown]
	v_sub_f32_e32 v182, v183, v210
	v_mul_f32_e32 v37, v208, v37
	v_sub_f32_e32 v182, v209, v182
	v_add_f32_e32 v192, v182, v37
	v_add_f32_e32 v194, v183, v192
	v_cvt_f32_i32_e32 v182, v198
	v_mul_f32_e32 v195, v194, v194
	v_sub_f32_e32 v183, v194, v183
	v_fmamk_f32 v37, v195, 0x3e9b6dac, v177
	v_sub_f32_e32 v183, v192, v183
	v_fmaak_f32 v37, v195, v37, 0x3f2aaada
	v_ldexp_f32 v196, v183, 1
	v_mul_f32_e32 v183, v194, v195
	v_ldexp_f32 v193, v194, 1
	v_pk_mul_f32 v[194:195], v[182:183], v[36:37]
	s_nop 0
	v_fma_f32 v192, v182, s69, -v194
	v_fmac_f32_e32 v192, 0xb102e308, v182
	v_pk_add_f32 v[182:183], v[194:195], v[192:193]
	s_nop 0
	v_sub_f32_e32 v37, v183, v193
	v_sub_f32_e32 v37, v195, v37
	v_add_f32_e32 v197, v196, v37
	v_mov_b32_e32 v196, v194
	v_pk_add_f32 v[194:195], v[182:183], v[194:195] neg_lo:[0,1] neg_hi:[0,1]
	v_pk_add_f32 v[198:199], v[182:183], v[196:197]
	v_mov_b32_e32 v193, v182
	v_mov_b32_e32 v195, v199
	v_pk_add_f32 v[208:209], v[192:193], v[194:195] neg_lo:[0,1] neg_hi:[0,1]
	v_pk_add_f32 v[192:193], v[192:193], v[194:195]
	v_mov_b32_e32 v196, v197
	v_mov_b32_e32 v194, v193
	v_pk_add_f32 v[210:211], v[194:195], v[182:183] neg_lo:[0,1] neg_hi:[0,1]
	v_mov_b32_e32 v192, v199
	v_mov_b32_e32 v37, v210
	v_pk_add_f32 v[212:213], v[198:199], v[36:37] neg_lo:[0,1] neg_hi:[0,1]
	v_mov_b32_e32 v198, v183
	v_mov_b32_e32 v199, v210
	;; [unrolled: 1-line block ×3, first 2 shown]
	v_pk_add_f32 v[192:193], v[192:193], v[198:199] neg_lo:[0,1] neg_hi:[0,1]
	v_mov_b32_e32 v197, v182
	v_pk_add_f32 v[182:183], v[196:197], v[192:193] neg_lo:[0,1] neg_hi:[0,1]
	v_mov_b32_e32 v212, v208
	v_pk_add_f32 v[192:193], v[212:213], v[182:183]
	s_nop 0
	v_mov_b32_e32 v196, v193
	v_pk_add_f32 v[196:197], v[192:193], v[196:197]
	s_nop 0
	v_pk_add_f32 v[194:195], v[194:195], v[196:197]
	v_mov_b32_e32 v183, v196
	v_mov_b32_e32 v193, v194
	v_pk_add_f32 v[198:199], v[192:193], v[208:209] neg_lo:[0,1] neg_hi:[0,1]
	s_nop 0
	v_sub_f32_e32 v37, v192, v198
	v_pk_add_f32 v[182:183], v[182:183], v[198:199] neg_lo:[0,1] neg_hi:[0,1]
	v_sub_f32_e32 v37, v208, v37
	v_add_f32_e32 v37, v182, v37
	v_add_f32_e32 v37, v37, v183
	;; [unrolled: 1-line block ×3, first 2 shown]
	v_cndmask_b32_e32 v37, v37, v181, vcc
	v_add_f32_e32 v37, v39, v37
.LBB451_184:                            ;   in Loop: Header=BB451_172 Depth=1
	s_or_b64 exec, exec, s[56:57]
	v_bfe_u32 v39, v37, 16, 1
	v_add3_u32 v39, v37, v39, s71
	v_lshrrev_b32_e32 v39, 16, v39
	v_cmp_o_f32_e32 vcc, v37, v37
	s_nop 1
	v_cndmask_b32_e32 v37, v180, v39, vcc
	v_and_b32_e32 v39, 0xffff, v37
.LBB451_185:                            ;   in Loop: Header=BB451_172 Depth=1
	s_or_b64 exec, exec, s[62:63]
	s_waitcnt lgkmcnt(0)
	ds_bpermute_b32 v181, v160, v39
	v_cmp_le_u32_e32 vcc, v161, v38
	s_and_saveexec_b64 s[62:63], vcc
	s_cbranch_execz .LBB451_189
; %bb.186:                              ;   in Loop: Header=BB451_172 Depth=1
	s_waitcnt lgkmcnt(0)
	v_lshlrev_b32_e32 v37, 16, v181
	v_lshlrev_b32_e32 v39, 16, v39
	v_max_f32_e32 v182, v39, v39
	v_max_f32_e32 v183, v37, v37
	v_min_f32_e32 v181, v183, v182
	v_cmp_u_f32_e32 vcc, v37, v37
	v_max_f32_e32 v182, v183, v182
	v_cmp_u_f32_e64 s[56:57], v39, v39
	v_cndmask_b32_e32 v181, v181, v37, vcc
	v_cndmask_b32_e32 v182, v182, v37, vcc
	v_cndmask_b32_e64 v181, v181, v39, s[56:57]
	v_cndmask_b32_e64 v39, v182, v39, s[56:57]
	v_cmp_neq_f32_e32 vcc, v181, v39
	v_cmp_class_f32_e64 s[56:57], v181, s13
	s_or_b64 vcc, vcc, s[56:57]
	s_and_saveexec_b64 s[56:57], vcc
	s_cbranch_execz .LBB451_188
; %bb.187:                              ;   in Loop: Header=BB451_172 Depth=1
	v_sub_f32_e32 v37, v181, v39
	v_mul_f32_e32 v181, 0x3fb8aa3b, v37
	v_fma_f32 v182, v37, s64, -v181
	v_rndne_f32_e32 v183, v181
	v_fmac_f32_e32 v182, 0x32a5705f, v37
	v_sub_f32_e32 v181, v181, v183
	v_add_f32_e32 v181, v181, v182
	v_cvt_i32_f32_e32 v182, v183
	v_exp_f32_e32 v181, v181
	v_cmp_ngt_f32_e32 vcc, s65, v37
	v_ldexp_f32 v181, v181, v182
	s_nop 0
	v_cndmask_b32_e32 v181, 0, v181, vcc
	v_cmp_nlt_f32_e32 vcc, s66, v37
	s_nop 1
	v_cndmask_b32_e32 v181, v179, v181, vcc
	v_add_f32_e32 v37, 1.0, v181
	v_add_f32_e32 v182, -1.0, v37
	v_sub_f32_e32 v183, v182, v37
	v_add_f32_e32 v183, 1.0, v183
	v_sub_f32_e32 v182, v181, v182
	v_add_f32_e32 v192, v182, v183
	v_frexp_mant_f32_e32 v193, v37
	v_cvt_f64_f32_e32 v[182:183], v37
	v_frexp_exp_i32_f64_e32 v182, v[182:183]
	v_cmp_gt_f32_e32 vcc, s68, v193
	v_cmp_lt_f32_e64 s[72:73], |v181|, s70
	s_nop 0
	v_subbrev_co_u32_e32 v198, vcc, 0, v182, vcc
	v_sub_u32_e32 v182, 0, v198
	v_ldexp_f32 v37, v37, v182
	v_ldexp_f32 v182, v192, v182
	v_add_f32_e32 v192, -1.0, v37
	v_add_f32_e32 v183, 1.0, v192
	v_sub_f32_e32 v183, v37, v183
	v_add_f32_e32 v193, v182, v183
	v_add_f32_e32 v183, 1.0, v37
	v_add_f32_e32 v194, -1.0, v183
	v_sub_f32_e32 v37, v37, v194
	v_add_f32_e32 v37, v182, v37
	v_add_f32_e32 v199, v183, v37
	v_rcp_f32_e32 v208, v199
	v_sub_f32_e32 v182, v183, v199
	v_add_f32_e32 v183, v192, v193
	v_add_f32_e32 v37, v37, v182
	v_mul_f32_e32 v210, v183, v208
	v_sub_f32_e32 v182, v192, v183
	v_mul_f32_e32 v192, v199, v210
	v_fma_f32 v194, v210, v199, -v192
	v_fmac_f32_e32 v194, v210, v37
	v_add_f32_e32 v209, v193, v182
	v_add_f32_e32 v182, v192, v194
	v_sub_f32_e32 v193, v183, v182
	v_pk_add_f32 v[196:197], v[182:183], v[192:193] neg_lo:[0,1] neg_hi:[0,1]
	v_mov_b32_e32 v195, v182
	v_pk_add_f32 v[182:183], v[196:197], v[194:195] neg_lo:[0,1] neg_hi:[0,1]
	v_cmp_eq_f32_e32 vcc, s67, v181
	v_add_f32_e32 v183, v209, v183
	v_add_f32_e32 v182, v182, v183
	;; [unrolled: 1-line block ×3, first 2 shown]
	v_mul_f32_e32 v209, v208, v183
	v_mul_f32_e32 v192, v199, v209
	v_fma_f32 v194, v209, v199, -v192
	v_fmac_f32_e32 v194, v209, v37
	v_sub_f32_e32 v37, v193, v183
	v_add_f32_e32 v37, v182, v37
	v_add_f32_e32 v182, v192, v194
	v_sub_f32_e32 v193, v183, v182
	v_pk_add_f32 v[196:197], v[182:183], v[192:193] neg_lo:[0,1] neg_hi:[0,1]
	v_mov_b32_e32 v195, v182
	v_pk_add_f32 v[182:183], v[196:197], v[194:195] neg_lo:[0,1] neg_hi:[0,1]
	s_or_b64 vcc, vcc, s[72:73]
	v_add_f32_e32 v37, v37, v183
	v_add_f32_e32 v37, v182, v37
	;; [unrolled: 1-line block ×4, first 2 shown]
	v_sub_f32_e32 v182, v183, v210
	v_mul_f32_e32 v37, v208, v37
	v_sub_f32_e32 v182, v209, v182
	v_add_f32_e32 v192, v182, v37
	v_add_f32_e32 v194, v183, v192
	v_cvt_f32_i32_e32 v182, v198
	v_mul_f32_e32 v195, v194, v194
	v_sub_f32_e32 v183, v194, v183
	v_fmamk_f32 v37, v195, 0x3e9b6dac, v177
	v_sub_f32_e32 v183, v192, v183
	v_fmaak_f32 v37, v195, v37, 0x3f2aaada
	v_ldexp_f32 v196, v183, 1
	v_mul_f32_e32 v183, v194, v195
	v_ldexp_f32 v193, v194, 1
	v_pk_mul_f32 v[194:195], v[182:183], v[36:37]
	s_nop 0
	v_fma_f32 v192, v182, s69, -v194
	v_fmac_f32_e32 v192, 0xb102e308, v182
	v_pk_add_f32 v[182:183], v[194:195], v[192:193]
	s_nop 0
	v_sub_f32_e32 v37, v183, v193
	v_sub_f32_e32 v37, v195, v37
	v_add_f32_e32 v197, v196, v37
	v_mov_b32_e32 v196, v194
	v_pk_add_f32 v[194:195], v[182:183], v[194:195] neg_lo:[0,1] neg_hi:[0,1]
	v_pk_add_f32 v[198:199], v[182:183], v[196:197]
	v_mov_b32_e32 v193, v182
	v_mov_b32_e32 v195, v199
	v_pk_add_f32 v[208:209], v[192:193], v[194:195] neg_lo:[0,1] neg_hi:[0,1]
	v_pk_add_f32 v[192:193], v[192:193], v[194:195]
	v_mov_b32_e32 v196, v197
	v_mov_b32_e32 v194, v193
	v_pk_add_f32 v[210:211], v[194:195], v[182:183] neg_lo:[0,1] neg_hi:[0,1]
	v_mov_b32_e32 v192, v199
	v_mov_b32_e32 v37, v210
	v_pk_add_f32 v[212:213], v[198:199], v[36:37] neg_lo:[0,1] neg_hi:[0,1]
	v_mov_b32_e32 v198, v183
	v_mov_b32_e32 v199, v210
	;; [unrolled: 1-line block ×3, first 2 shown]
	v_pk_add_f32 v[192:193], v[192:193], v[198:199] neg_lo:[0,1] neg_hi:[0,1]
	v_mov_b32_e32 v197, v182
	v_pk_add_f32 v[182:183], v[196:197], v[192:193] neg_lo:[0,1] neg_hi:[0,1]
	v_mov_b32_e32 v212, v208
	v_pk_add_f32 v[192:193], v[212:213], v[182:183]
	s_nop 0
	v_mov_b32_e32 v196, v193
	v_pk_add_f32 v[196:197], v[192:193], v[196:197]
	s_nop 0
	v_pk_add_f32 v[194:195], v[194:195], v[196:197]
	v_mov_b32_e32 v183, v196
	v_mov_b32_e32 v193, v194
	v_pk_add_f32 v[198:199], v[192:193], v[208:209] neg_lo:[0,1] neg_hi:[0,1]
	s_nop 0
	v_sub_f32_e32 v37, v192, v198
	v_pk_add_f32 v[182:183], v[182:183], v[198:199] neg_lo:[0,1] neg_hi:[0,1]
	v_sub_f32_e32 v37, v208, v37
	v_add_f32_e32 v37, v182, v37
	v_add_f32_e32 v37, v37, v183
	;; [unrolled: 1-line block ×3, first 2 shown]
	v_cndmask_b32_e32 v37, v37, v181, vcc
	v_add_f32_e32 v37, v39, v37
.LBB451_188:                            ;   in Loop: Header=BB451_172 Depth=1
	s_or_b64 exec, exec, s[56:57]
	v_bfe_u32 v39, v37, 16, 1
	v_add3_u32 v39, v37, v39, s71
	v_lshrrev_b32_e32 v39, 16, v39
	v_cmp_o_f32_e32 vcc, v37, v37
	s_nop 1
	v_cndmask_b32_e32 v37, v180, v39, vcc
	v_and_b32_e32 v39, 0xffff, v37
.LBB451_189:                            ;   in Loop: Header=BB451_172 Depth=1
	s_or_b64 exec, exec, s[62:63]
	s_waitcnt lgkmcnt(0)
	ds_bpermute_b32 v181, v162, v39
	v_cmp_le_u32_e32 vcc, v163, v38
	s_and_saveexec_b64 s[62:63], vcc
	s_cbranch_execz .LBB451_193
; %bb.190:                              ;   in Loop: Header=BB451_172 Depth=1
	s_waitcnt lgkmcnt(0)
	v_lshlrev_b32_e32 v37, 16, v181
	v_lshlrev_b32_e32 v39, 16, v39
	v_max_f32_e32 v182, v39, v39
	v_max_f32_e32 v183, v37, v37
	v_min_f32_e32 v181, v183, v182
	v_cmp_u_f32_e32 vcc, v37, v37
	v_max_f32_e32 v182, v183, v182
	v_cmp_u_f32_e64 s[56:57], v39, v39
	v_cndmask_b32_e32 v181, v181, v37, vcc
	v_cndmask_b32_e32 v182, v182, v37, vcc
	v_cndmask_b32_e64 v181, v181, v39, s[56:57]
	v_cndmask_b32_e64 v39, v182, v39, s[56:57]
	v_cmp_neq_f32_e32 vcc, v181, v39
	v_cmp_class_f32_e64 s[56:57], v181, s13
	s_or_b64 vcc, vcc, s[56:57]
	s_and_saveexec_b64 s[56:57], vcc
	s_cbranch_execz .LBB451_192
; %bb.191:                              ;   in Loop: Header=BB451_172 Depth=1
	v_sub_f32_e32 v37, v181, v39
	v_mul_f32_e32 v181, 0x3fb8aa3b, v37
	v_fma_f32 v182, v37, s64, -v181
	v_rndne_f32_e32 v183, v181
	v_fmac_f32_e32 v182, 0x32a5705f, v37
	v_sub_f32_e32 v181, v181, v183
	v_add_f32_e32 v181, v181, v182
	v_cvt_i32_f32_e32 v182, v183
	v_exp_f32_e32 v181, v181
	v_cmp_ngt_f32_e32 vcc, s65, v37
	v_ldexp_f32 v181, v181, v182
	s_nop 0
	v_cndmask_b32_e32 v181, 0, v181, vcc
	v_cmp_nlt_f32_e32 vcc, s66, v37
	s_nop 1
	v_cndmask_b32_e32 v181, v179, v181, vcc
	v_add_f32_e32 v37, 1.0, v181
	v_add_f32_e32 v182, -1.0, v37
	v_sub_f32_e32 v183, v182, v37
	v_add_f32_e32 v183, 1.0, v183
	v_sub_f32_e32 v182, v181, v182
	v_add_f32_e32 v192, v182, v183
	v_frexp_mant_f32_e32 v193, v37
	v_cvt_f64_f32_e32 v[182:183], v37
	v_frexp_exp_i32_f64_e32 v182, v[182:183]
	v_cmp_gt_f32_e32 vcc, s68, v193
	v_cmp_lt_f32_e64 s[72:73], |v181|, s70
	s_nop 0
	v_subbrev_co_u32_e32 v198, vcc, 0, v182, vcc
	v_sub_u32_e32 v182, 0, v198
	v_ldexp_f32 v37, v37, v182
	v_ldexp_f32 v182, v192, v182
	v_add_f32_e32 v192, -1.0, v37
	v_add_f32_e32 v183, 1.0, v192
	v_sub_f32_e32 v183, v37, v183
	v_add_f32_e32 v193, v182, v183
	v_add_f32_e32 v183, 1.0, v37
	v_add_f32_e32 v194, -1.0, v183
	v_sub_f32_e32 v37, v37, v194
	v_add_f32_e32 v37, v182, v37
	v_add_f32_e32 v199, v183, v37
	v_rcp_f32_e32 v208, v199
	v_sub_f32_e32 v182, v183, v199
	v_add_f32_e32 v183, v192, v193
	v_add_f32_e32 v37, v37, v182
	v_mul_f32_e32 v210, v183, v208
	v_sub_f32_e32 v182, v192, v183
	v_mul_f32_e32 v192, v199, v210
	v_fma_f32 v194, v210, v199, -v192
	v_fmac_f32_e32 v194, v210, v37
	v_add_f32_e32 v209, v193, v182
	v_add_f32_e32 v182, v192, v194
	v_sub_f32_e32 v193, v183, v182
	v_pk_add_f32 v[196:197], v[182:183], v[192:193] neg_lo:[0,1] neg_hi:[0,1]
	v_mov_b32_e32 v195, v182
	v_pk_add_f32 v[182:183], v[196:197], v[194:195] neg_lo:[0,1] neg_hi:[0,1]
	v_cmp_eq_f32_e32 vcc, s67, v181
	v_add_f32_e32 v183, v209, v183
	v_add_f32_e32 v182, v182, v183
	;; [unrolled: 1-line block ×3, first 2 shown]
	v_mul_f32_e32 v209, v208, v183
	v_mul_f32_e32 v192, v199, v209
	v_fma_f32 v194, v209, v199, -v192
	v_fmac_f32_e32 v194, v209, v37
	v_sub_f32_e32 v37, v193, v183
	v_add_f32_e32 v37, v182, v37
	v_add_f32_e32 v182, v192, v194
	v_sub_f32_e32 v193, v183, v182
	v_pk_add_f32 v[196:197], v[182:183], v[192:193] neg_lo:[0,1] neg_hi:[0,1]
	v_mov_b32_e32 v195, v182
	v_pk_add_f32 v[182:183], v[196:197], v[194:195] neg_lo:[0,1] neg_hi:[0,1]
	s_or_b64 vcc, vcc, s[72:73]
	v_add_f32_e32 v37, v37, v183
	v_add_f32_e32 v37, v182, v37
	;; [unrolled: 1-line block ×4, first 2 shown]
	v_sub_f32_e32 v182, v183, v210
	v_mul_f32_e32 v37, v208, v37
	v_sub_f32_e32 v182, v209, v182
	v_add_f32_e32 v192, v182, v37
	v_add_f32_e32 v194, v183, v192
	v_cvt_f32_i32_e32 v182, v198
	v_mul_f32_e32 v195, v194, v194
	v_sub_f32_e32 v183, v194, v183
	v_fmamk_f32 v37, v195, 0x3e9b6dac, v177
	v_sub_f32_e32 v183, v192, v183
	v_fmaak_f32 v37, v195, v37, 0x3f2aaada
	v_ldexp_f32 v196, v183, 1
	v_mul_f32_e32 v183, v194, v195
	v_ldexp_f32 v193, v194, 1
	v_pk_mul_f32 v[194:195], v[182:183], v[36:37]
	s_nop 0
	v_fma_f32 v192, v182, s69, -v194
	v_fmac_f32_e32 v192, 0xb102e308, v182
	v_pk_add_f32 v[182:183], v[194:195], v[192:193]
	s_nop 0
	v_sub_f32_e32 v37, v183, v193
	v_sub_f32_e32 v37, v195, v37
	v_add_f32_e32 v197, v196, v37
	v_mov_b32_e32 v196, v194
	v_pk_add_f32 v[194:195], v[182:183], v[194:195] neg_lo:[0,1] neg_hi:[0,1]
	v_pk_add_f32 v[198:199], v[182:183], v[196:197]
	v_mov_b32_e32 v193, v182
	v_mov_b32_e32 v195, v199
	v_pk_add_f32 v[208:209], v[192:193], v[194:195] neg_lo:[0,1] neg_hi:[0,1]
	v_pk_add_f32 v[192:193], v[192:193], v[194:195]
	v_mov_b32_e32 v196, v197
	v_mov_b32_e32 v194, v193
	v_pk_add_f32 v[210:211], v[194:195], v[182:183] neg_lo:[0,1] neg_hi:[0,1]
	v_mov_b32_e32 v192, v199
	v_mov_b32_e32 v37, v210
	v_pk_add_f32 v[212:213], v[198:199], v[36:37] neg_lo:[0,1] neg_hi:[0,1]
	v_mov_b32_e32 v198, v183
	v_mov_b32_e32 v199, v210
	v_mov_b32_e32 v209, v193
	v_pk_add_f32 v[192:193], v[192:193], v[198:199] neg_lo:[0,1] neg_hi:[0,1]
	v_mov_b32_e32 v197, v182
	v_pk_add_f32 v[182:183], v[196:197], v[192:193] neg_lo:[0,1] neg_hi:[0,1]
	v_mov_b32_e32 v212, v208
	v_pk_add_f32 v[192:193], v[212:213], v[182:183]
	s_nop 0
	v_mov_b32_e32 v196, v193
	v_pk_add_f32 v[196:197], v[192:193], v[196:197]
	s_nop 0
	v_pk_add_f32 v[194:195], v[194:195], v[196:197]
	v_mov_b32_e32 v183, v196
	v_mov_b32_e32 v193, v194
	v_pk_add_f32 v[198:199], v[192:193], v[208:209] neg_lo:[0,1] neg_hi:[0,1]
	s_nop 0
	v_sub_f32_e32 v37, v192, v198
	v_pk_add_f32 v[182:183], v[182:183], v[198:199] neg_lo:[0,1] neg_hi:[0,1]
	v_sub_f32_e32 v37, v208, v37
	v_add_f32_e32 v37, v182, v37
	v_add_f32_e32 v37, v37, v183
	;; [unrolled: 1-line block ×3, first 2 shown]
	v_cndmask_b32_e32 v37, v37, v181, vcc
	v_add_f32_e32 v37, v39, v37
.LBB451_192:                            ;   in Loop: Header=BB451_172 Depth=1
	s_or_b64 exec, exec, s[56:57]
	v_bfe_u32 v39, v37, 16, 1
	v_add3_u32 v39, v37, v39, s71
	v_lshrrev_b32_e32 v39, 16, v39
	v_cmp_o_f32_e32 vcc, v37, v37
	s_nop 1
	v_cndmask_b32_e32 v37, v180, v39, vcc
	v_and_b32_e32 v39, 0xffff, v37
.LBB451_193:                            ;   in Loop: Header=BB451_172 Depth=1
	s_or_b64 exec, exec, s[62:63]
	s_waitcnt lgkmcnt(0)
	ds_bpermute_b32 v181, v164, v39
	v_cmp_le_u32_e32 vcc, v165, v38
	s_and_saveexec_b64 s[62:63], vcc
	s_cbranch_execz .LBB451_197
; %bb.194:                              ;   in Loop: Header=BB451_172 Depth=1
	s_waitcnt lgkmcnt(0)
	v_lshlrev_b32_e32 v37, 16, v181
	v_lshlrev_b32_e32 v39, 16, v39
	v_max_f32_e32 v182, v39, v39
	v_max_f32_e32 v183, v37, v37
	v_min_f32_e32 v181, v183, v182
	v_cmp_u_f32_e32 vcc, v37, v37
	v_max_f32_e32 v182, v183, v182
	v_cmp_u_f32_e64 s[56:57], v39, v39
	v_cndmask_b32_e32 v181, v181, v37, vcc
	v_cndmask_b32_e32 v182, v182, v37, vcc
	v_cndmask_b32_e64 v181, v181, v39, s[56:57]
	v_cndmask_b32_e64 v39, v182, v39, s[56:57]
	v_cmp_neq_f32_e32 vcc, v181, v39
	v_cmp_class_f32_e64 s[56:57], v181, s13
	s_or_b64 vcc, vcc, s[56:57]
	s_and_saveexec_b64 s[56:57], vcc
	s_cbranch_execz .LBB451_196
; %bb.195:                              ;   in Loop: Header=BB451_172 Depth=1
	v_sub_f32_e32 v37, v181, v39
	v_mul_f32_e32 v181, 0x3fb8aa3b, v37
	v_fma_f32 v182, v37, s64, -v181
	v_rndne_f32_e32 v183, v181
	v_fmac_f32_e32 v182, 0x32a5705f, v37
	v_sub_f32_e32 v181, v181, v183
	v_add_f32_e32 v181, v181, v182
	v_cvt_i32_f32_e32 v182, v183
	v_exp_f32_e32 v181, v181
	v_cmp_ngt_f32_e32 vcc, s65, v37
	v_ldexp_f32 v181, v181, v182
	s_nop 0
	v_cndmask_b32_e32 v181, 0, v181, vcc
	v_cmp_nlt_f32_e32 vcc, s66, v37
	s_nop 1
	v_cndmask_b32_e32 v181, v179, v181, vcc
	v_add_f32_e32 v37, 1.0, v181
	v_add_f32_e32 v182, -1.0, v37
	v_sub_f32_e32 v183, v182, v37
	v_add_f32_e32 v183, 1.0, v183
	v_sub_f32_e32 v182, v181, v182
	v_add_f32_e32 v192, v182, v183
	v_frexp_mant_f32_e32 v193, v37
	v_cvt_f64_f32_e32 v[182:183], v37
	v_frexp_exp_i32_f64_e32 v182, v[182:183]
	v_cmp_gt_f32_e32 vcc, s68, v193
	v_cmp_lt_f32_e64 s[72:73], |v181|, s70
	s_nop 0
	v_subbrev_co_u32_e32 v198, vcc, 0, v182, vcc
	v_sub_u32_e32 v182, 0, v198
	v_ldexp_f32 v37, v37, v182
	v_ldexp_f32 v182, v192, v182
	v_add_f32_e32 v192, -1.0, v37
	v_add_f32_e32 v183, 1.0, v192
	v_sub_f32_e32 v183, v37, v183
	v_add_f32_e32 v193, v182, v183
	v_add_f32_e32 v183, 1.0, v37
	v_add_f32_e32 v194, -1.0, v183
	v_sub_f32_e32 v37, v37, v194
	v_add_f32_e32 v37, v182, v37
	v_add_f32_e32 v199, v183, v37
	v_rcp_f32_e32 v208, v199
	v_sub_f32_e32 v182, v183, v199
	v_add_f32_e32 v183, v192, v193
	v_add_f32_e32 v37, v37, v182
	v_mul_f32_e32 v210, v183, v208
	v_sub_f32_e32 v182, v192, v183
	v_mul_f32_e32 v192, v199, v210
	v_fma_f32 v194, v210, v199, -v192
	v_fmac_f32_e32 v194, v210, v37
	v_add_f32_e32 v209, v193, v182
	v_add_f32_e32 v182, v192, v194
	v_sub_f32_e32 v193, v183, v182
	v_pk_add_f32 v[196:197], v[182:183], v[192:193] neg_lo:[0,1] neg_hi:[0,1]
	v_mov_b32_e32 v195, v182
	v_pk_add_f32 v[182:183], v[196:197], v[194:195] neg_lo:[0,1] neg_hi:[0,1]
	v_cmp_eq_f32_e32 vcc, s67, v181
	v_add_f32_e32 v183, v209, v183
	v_add_f32_e32 v182, v182, v183
	;; [unrolled: 1-line block ×3, first 2 shown]
	v_mul_f32_e32 v209, v208, v183
	v_mul_f32_e32 v192, v199, v209
	v_fma_f32 v194, v209, v199, -v192
	v_fmac_f32_e32 v194, v209, v37
	v_sub_f32_e32 v37, v193, v183
	v_add_f32_e32 v37, v182, v37
	v_add_f32_e32 v182, v192, v194
	v_sub_f32_e32 v193, v183, v182
	v_pk_add_f32 v[196:197], v[182:183], v[192:193] neg_lo:[0,1] neg_hi:[0,1]
	v_mov_b32_e32 v195, v182
	v_pk_add_f32 v[182:183], v[196:197], v[194:195] neg_lo:[0,1] neg_hi:[0,1]
	s_or_b64 vcc, vcc, s[72:73]
	v_add_f32_e32 v37, v37, v183
	v_add_f32_e32 v37, v182, v37
	v_add_f32_e32 v183, v210, v209
	v_add_f32_e32 v37, v193, v37
	v_sub_f32_e32 v182, v183, v210
	v_mul_f32_e32 v37, v208, v37
	v_sub_f32_e32 v182, v209, v182
	v_add_f32_e32 v192, v182, v37
	v_add_f32_e32 v194, v183, v192
	v_cvt_f32_i32_e32 v182, v198
	v_mul_f32_e32 v195, v194, v194
	v_sub_f32_e32 v183, v194, v183
	v_fmamk_f32 v37, v195, 0x3e9b6dac, v177
	v_sub_f32_e32 v183, v192, v183
	v_fmaak_f32 v37, v195, v37, 0x3f2aaada
	v_ldexp_f32 v196, v183, 1
	v_mul_f32_e32 v183, v194, v195
	v_ldexp_f32 v193, v194, 1
	v_pk_mul_f32 v[194:195], v[182:183], v[36:37]
	s_nop 0
	v_fma_f32 v192, v182, s69, -v194
	v_fmac_f32_e32 v192, 0xb102e308, v182
	v_pk_add_f32 v[182:183], v[194:195], v[192:193]
	s_nop 0
	v_sub_f32_e32 v37, v183, v193
	v_sub_f32_e32 v37, v195, v37
	v_add_f32_e32 v197, v196, v37
	v_mov_b32_e32 v196, v194
	v_pk_add_f32 v[194:195], v[182:183], v[194:195] neg_lo:[0,1] neg_hi:[0,1]
	v_pk_add_f32 v[198:199], v[182:183], v[196:197]
	v_mov_b32_e32 v193, v182
	v_mov_b32_e32 v195, v199
	v_pk_add_f32 v[208:209], v[192:193], v[194:195] neg_lo:[0,1] neg_hi:[0,1]
	v_pk_add_f32 v[192:193], v[192:193], v[194:195]
	v_mov_b32_e32 v196, v197
	v_mov_b32_e32 v194, v193
	v_pk_add_f32 v[210:211], v[194:195], v[182:183] neg_lo:[0,1] neg_hi:[0,1]
	v_mov_b32_e32 v192, v199
	v_mov_b32_e32 v37, v210
	v_pk_add_f32 v[212:213], v[198:199], v[36:37] neg_lo:[0,1] neg_hi:[0,1]
	v_mov_b32_e32 v198, v183
	v_mov_b32_e32 v199, v210
	;; [unrolled: 1-line block ×3, first 2 shown]
	v_pk_add_f32 v[192:193], v[192:193], v[198:199] neg_lo:[0,1] neg_hi:[0,1]
	v_mov_b32_e32 v197, v182
	v_pk_add_f32 v[182:183], v[196:197], v[192:193] neg_lo:[0,1] neg_hi:[0,1]
	v_mov_b32_e32 v212, v208
	v_pk_add_f32 v[192:193], v[212:213], v[182:183]
	s_nop 0
	v_mov_b32_e32 v196, v193
	v_pk_add_f32 v[196:197], v[192:193], v[196:197]
	s_nop 0
	v_pk_add_f32 v[194:195], v[194:195], v[196:197]
	v_mov_b32_e32 v183, v196
	v_mov_b32_e32 v193, v194
	v_pk_add_f32 v[198:199], v[192:193], v[208:209] neg_lo:[0,1] neg_hi:[0,1]
	s_nop 0
	v_sub_f32_e32 v37, v192, v198
	v_pk_add_f32 v[182:183], v[182:183], v[198:199] neg_lo:[0,1] neg_hi:[0,1]
	v_sub_f32_e32 v37, v208, v37
	v_add_f32_e32 v37, v182, v37
	v_add_f32_e32 v37, v37, v183
	;; [unrolled: 1-line block ×3, first 2 shown]
	v_cndmask_b32_e32 v37, v37, v181, vcc
	v_add_f32_e32 v37, v39, v37
.LBB451_196:                            ;   in Loop: Header=BB451_172 Depth=1
	s_or_b64 exec, exec, s[56:57]
	v_bfe_u32 v39, v37, 16, 1
	v_add3_u32 v39, v37, v39, s71
	v_lshrrev_b32_e32 v39, 16, v39
	v_cmp_o_f32_e32 vcc, v37, v37
	s_nop 1
	v_cndmask_b32_e32 v37, v180, v39, vcc
	v_and_b32_e32 v39, 0xffff, v37
.LBB451_197:                            ;   in Loop: Header=BB451_172 Depth=1
	s_or_b64 exec, exec, s[62:63]
	s_waitcnt lgkmcnt(0)
	ds_bpermute_b32 v181, v166, v39
	v_cmp_le_u32_e32 vcc, v167, v38
	s_and_saveexec_b64 s[62:63], vcc
	s_cbranch_execz .LBB451_201
; %bb.198:                              ;   in Loop: Header=BB451_172 Depth=1
	s_waitcnt lgkmcnt(0)
	v_lshlrev_b32_e32 v37, 16, v181
	v_lshlrev_b32_e32 v38, 16, v39
	v_max_f32_e32 v181, v38, v38
	v_max_f32_e32 v182, v37, v37
	v_min_f32_e32 v39, v182, v181
	v_cmp_u_f32_e32 vcc, v37, v37
	v_max_f32_e32 v181, v182, v181
	v_cmp_u_f32_e64 s[56:57], v38, v38
	v_cndmask_b32_e32 v39, v39, v37, vcc
	v_cndmask_b32_e32 v181, v181, v37, vcc
	v_cndmask_b32_e64 v39, v39, v38, s[56:57]
	v_cndmask_b32_e64 v38, v181, v38, s[56:57]
	v_cmp_neq_f32_e32 vcc, v39, v38
	v_cmp_class_f32_e64 s[56:57], v39, s13
	s_or_b64 vcc, vcc, s[56:57]
	s_and_saveexec_b64 s[56:57], vcc
	s_cbranch_execz .LBB451_200
; %bb.199:                              ;   in Loop: Header=BB451_172 Depth=1
	v_sub_f32_e32 v37, v39, v38
	v_mul_f32_e32 v39, 0x3fb8aa3b, v37
	v_fma_f32 v181, v37, s64, -v39
	v_rndne_f32_e32 v182, v39
	v_fmac_f32_e32 v181, 0x32a5705f, v37
	v_sub_f32_e32 v39, v39, v182
	v_add_f32_e32 v39, v39, v181
	v_cvt_i32_f32_e32 v181, v182
	v_exp_f32_e32 v39, v39
	v_cmp_ngt_f32_e32 vcc, s65, v37
	v_ldexp_f32 v39, v39, v181
	s_nop 0
	v_cndmask_b32_e32 v39, 0, v39, vcc
	v_cmp_nlt_f32_e32 vcc, s66, v37
	s_nop 1
	v_cndmask_b32_e32 v39, v179, v39, vcc
	v_add_f32_e32 v37, 1.0, v39
	v_add_f32_e32 v181, -1.0, v37
	v_sub_f32_e32 v182, v181, v37
	v_add_f32_e32 v182, 1.0, v182
	v_sub_f32_e32 v181, v39, v181
	v_add_f32_e32 v181, v181, v182
	v_frexp_mant_f32_e32 v192, v37
	v_cvt_f64_f32_e32 v[182:183], v37
	v_frexp_exp_i32_f64_e32 v182, v[182:183]
	v_cmp_gt_f32_e32 vcc, s68, v192
	v_cmp_lt_f32_e64 s[72:73], |v39|, s70
	s_nop 0
	v_subbrev_co_u32_e32 v198, vcc, 0, v182, vcc
	v_sub_u32_e32 v182, 0, v198
	v_ldexp_f32 v37, v37, v182
	v_ldexp_f32 v181, v181, v182
	v_add_f32_e32 v182, -1.0, v37
	v_add_f32_e32 v183, 1.0, v182
	v_sub_f32_e32 v183, v37, v183
	v_add_f32_e32 v192, v181, v183
	v_add_f32_e32 v183, 1.0, v37
	v_add_f32_e32 v193, -1.0, v183
	v_sub_f32_e32 v37, v37, v193
	v_add_f32_e32 v37, v181, v37
	v_add_f32_e32 v181, v183, v37
	v_rcp_f32_e32 v199, v181
	v_sub_f32_e32 v183, v183, v181
	v_add_f32_e32 v37, v37, v183
	v_add_f32_e32 v183, v182, v192
	v_sub_f32_e32 v182, v182, v183
	v_mul_f32_e32 v209, v183, v199
	v_add_f32_e32 v208, v192, v182
	v_mul_f32_e32 v192, v181, v209
	v_fma_f32 v194, v209, v181, -v192
	v_fmac_f32_e32 v194, v209, v37
	v_add_f32_e32 v182, v192, v194
	v_sub_f32_e32 v193, v183, v182
	v_pk_add_f32 v[196:197], v[182:183], v[192:193] neg_lo:[0,1] neg_hi:[0,1]
	v_mov_b32_e32 v195, v182
	v_pk_add_f32 v[182:183], v[196:197], v[194:195] neg_lo:[0,1] neg_hi:[0,1]
	v_cmp_eq_f32_e32 vcc, s67, v39
	v_add_f32_e32 v183, v208, v183
	v_add_f32_e32 v182, v182, v183
	;; [unrolled: 1-line block ×3, first 2 shown]
	v_mul_f32_e32 v208, v199, v183
	v_mul_f32_e32 v192, v181, v208
	v_fma_f32 v194, v208, v181, -v192
	v_fmac_f32_e32 v194, v208, v37
	v_sub_f32_e32 v37, v193, v183
	v_add_f32_e32 v37, v182, v37
	v_add_f32_e32 v182, v192, v194
	v_sub_f32_e32 v193, v183, v182
	v_pk_add_f32 v[196:197], v[182:183], v[192:193] neg_lo:[0,1] neg_hi:[0,1]
	v_mov_b32_e32 v195, v182
	v_pk_add_f32 v[182:183], v[196:197], v[194:195] neg_lo:[0,1] neg_hi:[0,1]
	v_add_f32_e32 v181, v209, v208
	v_add_f32_e32 v37, v37, v183
	;; [unrolled: 1-line block ×4, first 2 shown]
	v_sub_f32_e32 v182, v181, v209
	v_mul_f32_e32 v37, v199, v37
	v_sub_f32_e32 v182, v208, v182
	v_add_f32_e32 v183, v182, v37
	v_add_f32_e32 v192, v181, v183
	v_cvt_f32_i32_e32 v182, v198
	v_mul_f32_e32 v194, v192, v192
	v_fmamk_f32 v37, v194, 0x3e9b6dac, v177
	v_sub_f32_e32 v181, v192, v181
	v_fmaak_f32 v37, v194, v37, 0x3f2aaada
	v_sub_f32_e32 v181, v183, v181
	v_mul_f32_e32 v183, v192, v194
	v_pk_mul_f32 v[194:195], v[182:183], v[36:37]
	v_ldexp_f32 v193, v192, 1
	v_fma_f32 v192, v182, s69, -v194
	v_fmac_f32_e32 v192, 0xb102e308, v182
	v_pk_add_f32 v[182:183], v[194:195], v[192:193]
	v_ldexp_f32 v181, v181, 1
	v_sub_f32_e32 v37, v183, v193
	v_sub_f32_e32 v37, v195, v37
	v_add_f32_e32 v197, v181, v37
	v_mov_b32_e32 v196, v194
	v_pk_add_f32 v[194:195], v[182:183], v[194:195] neg_lo:[0,1] neg_hi:[0,1]
	v_pk_add_f32 v[198:199], v[182:183], v[196:197]
	v_mov_b32_e32 v193, v182
	v_mov_b32_e32 v195, v199
	v_pk_add_f32 v[208:209], v[192:193], v[194:195] neg_lo:[0,1] neg_hi:[0,1]
	v_pk_add_f32 v[192:193], v[192:193], v[194:195]
	v_mov_b32_e32 v196, v197
	v_mov_b32_e32 v194, v193
	v_pk_add_f32 v[210:211], v[194:195], v[182:183] neg_lo:[0,1] neg_hi:[0,1]
	v_mov_b32_e32 v192, v199
	v_mov_b32_e32 v37, v210
	v_pk_add_f32 v[212:213], v[198:199], v[36:37] neg_lo:[0,1] neg_hi:[0,1]
	v_mov_b32_e32 v198, v183
	v_mov_b32_e32 v199, v210
	;; [unrolled: 1-line block ×3, first 2 shown]
	v_pk_add_f32 v[192:193], v[192:193], v[198:199] neg_lo:[0,1] neg_hi:[0,1]
	v_mov_b32_e32 v197, v182
	v_pk_add_f32 v[182:183], v[196:197], v[192:193] neg_lo:[0,1] neg_hi:[0,1]
	v_mov_b32_e32 v212, v208
	v_pk_add_f32 v[192:193], v[212:213], v[182:183]
	s_or_b64 vcc, vcc, s[72:73]
	v_mov_b32_e32 v196, v193
	v_pk_add_f32 v[196:197], v[192:193], v[196:197]
	s_nop 0
	v_pk_add_f32 v[194:195], v[194:195], v[196:197]
	v_mov_b32_e32 v183, v196
	v_mov_b32_e32 v193, v194
	v_pk_add_f32 v[198:199], v[192:193], v[208:209] neg_lo:[0,1] neg_hi:[0,1]
	s_nop 0
	v_sub_f32_e32 v37, v192, v198
	v_pk_add_f32 v[182:183], v[182:183], v[198:199] neg_lo:[0,1] neg_hi:[0,1]
	v_sub_f32_e32 v37, v208, v37
	v_add_f32_e32 v37, v182, v37
	v_add_f32_e32 v37, v37, v183
	;; [unrolled: 1-line block ×3, first 2 shown]
	v_cndmask_b32_e32 v37, v37, v39, vcc
	v_add_f32_e32 v37, v38, v37
.LBB451_200:                            ;   in Loop: Header=BB451_172 Depth=1
	s_or_b64 exec, exec, s[56:57]
	v_bfe_u32 v38, v37, 16, 1
	v_add3_u32 v38, v37, v38, s71
	v_lshrrev_b32_e32 v38, 16, v38
	v_cmp_o_f32_e32 vcc, v37, v37
	s_nop 1
	v_cndmask_b32_e32 v37, v180, v38, vcc
.LBB451_201:                            ;   in Loop: Header=BB451_172 Depth=1
	s_or_b64 exec, exec, s[62:63]
	v_lshlrev_b32_e32 v37, 16, v37
	v_lshlrev_b32_e32 v38, 16, v176
	s_waitcnt lgkmcnt(0)
	v_max_f32_e32 v181, v38, v38
	v_max_f32_e32 v182, v37, v37
	v_min_f32_e32 v39, v182, v181
	v_cmp_u_f32_e32 vcc, v37, v37
	v_max_f32_e32 v181, v182, v181
	v_cmp_u_f32_e64 s[56:57], v38, v38
	v_cndmask_b32_e32 v39, v39, v37, vcc
	v_cndmask_b32_e32 v181, v181, v37, vcc
	v_cndmask_b32_e64 v39, v39, v38, s[56:57]
	v_cndmask_b32_e64 v38, v181, v38, s[56:57]
	v_cmp_neq_f32_e32 vcc, v39, v38
	v_cmp_class_f32_e64 s[56:57], v39, s13
	s_or_b64 vcc, vcc, s[56:57]
	s_and_saveexec_b64 s[56:57], vcc
	s_cbranch_execz .LBB451_203
; %bb.202:                              ;   in Loop: Header=BB451_172 Depth=1
	v_sub_f32_e32 v37, v39, v38
	v_mul_f32_e32 v39, 0x3fb8aa3b, v37
	v_fma_f32 v181, v37, s64, -v39
	v_rndne_f32_e32 v182, v39
	v_fmac_f32_e32 v181, 0x32a5705f, v37
	v_sub_f32_e32 v39, v39, v182
	v_add_f32_e32 v39, v39, v181
	v_cvt_i32_f32_e32 v181, v182
	v_exp_f32_e32 v39, v39
	v_cmp_ngt_f32_e32 vcc, s65, v37
	v_ldexp_f32 v39, v39, v181
	s_nop 0
	v_cndmask_b32_e32 v39, 0, v39, vcc
	v_cmp_nlt_f32_e32 vcc, s66, v37
	s_nop 1
	v_cndmask_b32_e32 v39, v179, v39, vcc
	v_add_f32_e32 v37, 1.0, v39
	v_add_f32_e32 v181, -1.0, v37
	v_sub_f32_e32 v182, v181, v37
	v_add_f32_e32 v182, 1.0, v182
	v_sub_f32_e32 v181, v39, v181
	v_add_f32_e32 v181, v181, v182
	v_frexp_mant_f32_e32 v192, v37
	v_cvt_f64_f32_e32 v[182:183], v37
	v_frexp_exp_i32_f64_e32 v182, v[182:183]
	v_cmp_gt_f32_e32 vcc, s68, v192
	v_cmp_lt_f32_e64 s[62:63], |v39|, s70
	s_nop 0
	v_subbrev_co_u32_e32 v198, vcc, 0, v182, vcc
	v_sub_u32_e32 v182, 0, v198
	v_ldexp_f32 v37, v37, v182
	v_ldexp_f32 v181, v181, v182
	v_add_f32_e32 v182, -1.0, v37
	v_add_f32_e32 v183, 1.0, v182
	v_sub_f32_e32 v183, v37, v183
	v_add_f32_e32 v192, v181, v183
	v_add_f32_e32 v183, 1.0, v37
	v_add_f32_e32 v193, -1.0, v183
	v_sub_f32_e32 v37, v37, v193
	v_add_f32_e32 v37, v181, v37
	v_add_f32_e32 v181, v183, v37
	v_rcp_f32_e32 v199, v181
	v_sub_f32_e32 v183, v183, v181
	v_add_f32_e32 v37, v37, v183
	v_add_f32_e32 v183, v182, v192
	v_sub_f32_e32 v182, v182, v183
	v_mul_f32_e32 v209, v183, v199
	v_add_f32_e32 v208, v192, v182
	v_mul_f32_e32 v192, v181, v209
	v_fma_f32 v194, v209, v181, -v192
	v_fmac_f32_e32 v194, v209, v37
	v_add_f32_e32 v182, v192, v194
	v_sub_f32_e32 v193, v183, v182
	v_pk_add_f32 v[196:197], v[182:183], v[192:193] neg_lo:[0,1] neg_hi:[0,1]
	v_mov_b32_e32 v195, v182
	v_pk_add_f32 v[182:183], v[196:197], v[194:195] neg_lo:[0,1] neg_hi:[0,1]
	v_cmp_eq_f32_e32 vcc, s67, v39
	v_add_f32_e32 v183, v208, v183
	v_add_f32_e32 v182, v182, v183
	;; [unrolled: 1-line block ×3, first 2 shown]
	v_mul_f32_e32 v208, v199, v183
	v_mul_f32_e32 v192, v181, v208
	v_fma_f32 v194, v208, v181, -v192
	v_fmac_f32_e32 v194, v208, v37
	v_sub_f32_e32 v37, v193, v183
	v_add_f32_e32 v37, v182, v37
	v_add_f32_e32 v182, v192, v194
	v_sub_f32_e32 v193, v183, v182
	v_pk_add_f32 v[196:197], v[182:183], v[192:193] neg_lo:[0,1] neg_hi:[0,1]
	v_mov_b32_e32 v195, v182
	v_pk_add_f32 v[182:183], v[196:197], v[194:195] neg_lo:[0,1] neg_hi:[0,1]
	v_add_f32_e32 v181, v209, v208
	v_add_f32_e32 v37, v37, v183
	;; [unrolled: 1-line block ×4, first 2 shown]
	v_sub_f32_e32 v182, v181, v209
	v_mul_f32_e32 v37, v199, v37
	v_sub_f32_e32 v182, v208, v182
	v_add_f32_e32 v183, v182, v37
	v_add_f32_e32 v192, v181, v183
	v_cvt_f32_i32_e32 v182, v198
	v_mul_f32_e32 v194, v192, v192
	v_fmamk_f32 v37, v194, 0x3e9b6dac, v177
	v_sub_f32_e32 v181, v192, v181
	v_fmaak_f32 v37, v194, v37, 0x3f2aaada
	v_sub_f32_e32 v181, v183, v181
	v_mul_f32_e32 v183, v192, v194
	v_pk_mul_f32 v[194:195], v[182:183], v[36:37]
	v_ldexp_f32 v193, v192, 1
	v_fma_f32 v192, v182, s69, -v194
	v_fmac_f32_e32 v192, 0xb102e308, v182
	v_pk_add_f32 v[182:183], v[194:195], v[192:193]
	v_ldexp_f32 v181, v181, 1
	v_sub_f32_e32 v37, v183, v193
	v_sub_f32_e32 v37, v195, v37
	v_add_f32_e32 v197, v181, v37
	v_mov_b32_e32 v196, v194
	v_pk_add_f32 v[194:195], v[182:183], v[194:195] neg_lo:[0,1] neg_hi:[0,1]
	v_pk_add_f32 v[198:199], v[182:183], v[196:197]
	v_mov_b32_e32 v193, v182
	v_mov_b32_e32 v195, v199
	v_pk_add_f32 v[208:209], v[192:193], v[194:195] neg_lo:[0,1] neg_hi:[0,1]
	v_pk_add_f32 v[192:193], v[192:193], v[194:195]
	v_mov_b32_e32 v196, v197
	v_mov_b32_e32 v194, v193
	v_pk_add_f32 v[210:211], v[194:195], v[182:183] neg_lo:[0,1] neg_hi:[0,1]
	v_mov_b32_e32 v192, v199
	v_mov_b32_e32 v37, v210
	v_pk_add_f32 v[212:213], v[198:199], v[36:37] neg_lo:[0,1] neg_hi:[0,1]
	v_mov_b32_e32 v198, v183
	v_mov_b32_e32 v199, v210
	;; [unrolled: 1-line block ×3, first 2 shown]
	v_pk_add_f32 v[192:193], v[192:193], v[198:199] neg_lo:[0,1] neg_hi:[0,1]
	v_mov_b32_e32 v197, v182
	v_pk_add_f32 v[182:183], v[196:197], v[192:193] neg_lo:[0,1] neg_hi:[0,1]
	v_mov_b32_e32 v212, v208
	v_pk_add_f32 v[192:193], v[212:213], v[182:183]
	s_or_b64 vcc, vcc, s[62:63]
	v_mov_b32_e32 v196, v193
	v_pk_add_f32 v[196:197], v[192:193], v[196:197]
	s_nop 0
	v_pk_add_f32 v[194:195], v[194:195], v[196:197]
	v_mov_b32_e32 v183, v196
	v_mov_b32_e32 v193, v194
	v_pk_add_f32 v[198:199], v[192:193], v[208:209] neg_lo:[0,1] neg_hi:[0,1]
	s_nop 0
	v_sub_f32_e32 v37, v192, v198
	v_pk_add_f32 v[182:183], v[182:183], v[198:199] neg_lo:[0,1] neg_hi:[0,1]
	v_sub_f32_e32 v37, v208, v37
	v_add_f32_e32 v37, v182, v37
	v_add_f32_e32 v37, v37, v183
	;; [unrolled: 1-line block ×3, first 2 shown]
	v_cndmask_b32_e32 v37, v37, v39, vcc
	v_add_f32_e32 v37, v38, v37
.LBB451_203:                            ;   in Loop: Header=BB451_172 Depth=1
	s_or_b64 exec, exec, s[56:57]
	v_bfe_u32 v38, v37, 16, 1
	v_add3_u32 v38, v37, v38, s71
	v_lshrrev_b32_e32 v38, 16, v38
	v_cmp_o_f32_e32 vcc, v37, v37
	v_subrev_u32_e32 v32, 64, v32
	s_nop 0
	v_cndmask_b32_e32 v38, v180, v38, vcc
	s_branch .LBB451_172
.LBB451_204:
	s_and_saveexec_b64 s[62:63], s[52:53]
	s_cbranch_execz .LBB451_208
; %bb.205:
	v_lshlrev_b32_e32 v33, 16, v176
	v_lshlrev_b32_e32 v32, 16, v146
	v_max_f32_e32 v35, v32, v32
	v_max_f32_e32 v36, v33, v33
	v_min_f32_e32 v34, v36, v35
	v_cmp_u_f32_e32 vcc, v33, v33
	v_max_f32_e32 v35, v36, v35
	v_cmp_u_f32_e64 s[56:57], v32, v32
	v_cndmask_b32_e32 v34, v34, v33, vcc
	v_cndmask_b32_e32 v35, v35, v33, vcc
	v_cndmask_b32_e64 v34, v34, v32, s[56:57]
	v_cndmask_b32_e64 v32, v35, v32, s[56:57]
	s_movk_i32 s13, 0x1f8
	v_cmp_neq_f32_e32 vcc, v34, v32
	v_cmp_class_f32_e64 s[56:57], v34, s13
	s_or_b64 vcc, vcc, s[56:57]
	s_and_saveexec_b64 s[56:57], vcc
	s_cbranch_execz .LBB451_207
; %bb.206:
	v_sub_f32_e32 v33, v34, v32
	s_mov_b32 s13, 0x3fb8aa3b
	v_mul_f32_e32 v34, 0x3fb8aa3b, v33
	v_fma_f32 v35, v33, s13, -v34
	v_rndne_f32_e32 v36, v34
	v_fmamk_f32 v35, v33, 0x32a5705f, v35
	v_sub_f32_e32 v34, v34, v36
	v_add_f32_e32 v34, v34, v35
	v_exp_f32_e32 v34, v34
	v_cvt_i32_f32_e32 v35, v36
	s_mov_b32 s13, 0xc2ce8ed0
	v_cmp_ngt_f32_e32 vcc, s13, v33
	s_mov_b32 s13, 0x42b17218
	v_ldexp_f32 v34, v34, v35
	v_cndmask_b32_e32 v34, 0, v34, vcc
	v_mov_b32_e32 v35, 0x7f800000
	v_cmp_nlt_f32_e32 vcc, s13, v33
	s_mov_b32 s13, 0x3f2aaaab
	s_mov_b32 s64, 0x7f800000
	v_cndmask_b32_e32 v164, v35, v34, vcc
	v_add_f32_e32 v33, 1.0, v164
	v_add_f32_e32 v34, -1.0, v33
	v_sub_f32_e32 v35, v34, v33
	v_add_f32_e32 v35, 1.0, v35
	v_sub_f32_e32 v34, v164, v34
	v_add_f32_e32 v36, v34, v35
	v_frexp_mant_f32_e32 v37, v33
	v_cvt_f64_f32_e32 v[34:35], v33
	v_frexp_exp_i32_f64_e32 v34, v[34:35]
	v_cmp_gt_f32_e32 vcc, s13, v37
	s_mov_b32 s13, 0x3f317218
	s_nop 0
	v_subbrev_co_u32_e32 v148, vcc, 0, v34, vcc
	v_sub_u32_e32 v34, 0, v148
	v_ldexp_f32 v33, v33, v34
	v_ldexp_f32 v34, v36, v34
	v_add_f32_e32 v36, -1.0, v33
	v_add_f32_e32 v35, 1.0, v36
	v_sub_f32_e32 v35, v33, v35
	v_add_f32_e32 v37, v34, v35
	v_add_f32_e32 v35, 1.0, v33
	v_add_f32_e32 v38, -1.0, v35
	v_sub_f32_e32 v33, v33, v38
	v_add_f32_e32 v33, v34, v33
	v_add_f32_e32 v149, v35, v33
	v_rcp_f32_e32 v150, v149
	v_sub_f32_e32 v34, v35, v149
	v_add_f32_e32 v35, v36, v37
	v_add_f32_e32 v33, v33, v34
	v_mul_f32_e32 v160, v35, v150
	v_sub_f32_e32 v34, v36, v35
	v_mul_f32_e32 v36, v149, v160
	v_fma_f32 v38, v160, v149, -v36
	v_fmac_f32_e32 v38, v160, v33
	v_add_f32_e32 v151, v37, v34
	v_add_f32_e32 v34, v36, v38
	v_sub_f32_e32 v37, v35, v34
	v_pk_add_f32 v[146:147], v[34:35], v[36:37] neg_lo:[0,1] neg_hi:[0,1]
	v_mov_b32_e32 v39, v34
	v_pk_add_f32 v[34:35], v[146:147], v[38:39] neg_lo:[0,1] neg_hi:[0,1]
	v_cmp_eq_f32_e32 vcc, s64, v164
	v_add_f32_e32 v35, v151, v35
	v_add_f32_e32 v34, v34, v35
	v_add_f32_e32 v35, v37, v34
	v_mul_f32_e32 v151, v150, v35
	v_mul_f32_e32 v36, v149, v151
	v_fma_f32 v38, v151, v149, -v36
	v_fmac_f32_e32 v38, v151, v33
	v_sub_f32_e32 v33, v37, v35
	v_add_f32_e32 v33, v34, v33
	v_add_f32_e32 v34, v36, v38
	v_sub_f32_e32 v37, v35, v34
	v_pk_add_f32 v[146:147], v[34:35], v[36:37] neg_lo:[0,1] neg_hi:[0,1]
	v_mov_b32_e32 v39, v34
	v_pk_add_f32 v[34:35], v[146:147], v[38:39] neg_lo:[0,1] neg_hi:[0,1]
	v_cvt_f32_i32_e32 v36, v148
	v_add_f32_e32 v33, v33, v35
	v_add_f32_e32 v33, v34, v33
	;; [unrolled: 1-line block ×4, first 2 shown]
	v_sub_f32_e32 v35, v34, v160
	v_mul_f32_e32 v33, v150, v33
	v_sub_f32_e32 v35, v151, v35
	v_add_f32_e32 v33, v35, v33
	v_add_f32_e32 v37, v34, v33
	v_mul_f32_e32 v38, v37, v37
	v_mov_b32_e32 v35, 0x3ecc95a3
	v_fmac_f32_e32 v35, 0x3e9b6dac, v38
	v_sub_f32_e32 v34, v37, v34
	v_fmaak_f32 v35, v38, v35, 0x3f2aaada
	v_sub_f32_e32 v33, v33, v34
	v_ldexp_f32 v39, v37, 1
	v_mul_f32_e32 v37, v37, v38
	v_mov_b32_e32 v34, 0x3f317218
	v_pk_mul_f32 v[34:35], v[36:37], v[34:35]
	v_ldexp_f32 v33, v33, 1
	v_fma_f32 v37, v36, s13, -v34
	v_fmamk_f32 v38, v36, 0xb102e308, v37
	v_pk_add_f32 v[36:37], v[34:35], v[38:39]
	v_mov_b32_e32 v146, v34
	v_sub_f32_e32 v39, v37, v39
	v_sub_f32_e32 v39, v35, v39
	v_add_f32_e32 v147, v33, v39
	v_pk_add_f32 v[34:35], v[36:37], v[34:35] neg_lo:[0,1] neg_hi:[0,1]
	v_pk_add_f32 v[148:149], v[36:37], v[146:147]
	v_mov_b32_e32 v39, v36
	v_mov_b32_e32 v35, v149
	v_pk_add_f32 v[150:151], v[38:39], v[34:35] neg_lo:[0,1] neg_hi:[0,1]
	v_pk_add_f32 v[34:35], v[38:39], v[34:35]
	v_mov_b32_e32 v146, v147
	v_mov_b32_e32 v38, v35
	v_pk_add_f32 v[160:161], v[38:39], v[36:37] neg_lo:[0,1] neg_hi:[0,1]
	v_mov_b32_e32 v34, v149
	v_mov_b32_e32 v33, v160
	v_pk_add_f32 v[162:163], v[148:149], v[32:33] neg_lo:[0,1] neg_hi:[0,1]
	v_mov_b32_e32 v148, v37
	v_mov_b32_e32 v149, v160
	;; [unrolled: 1-line block ×3, first 2 shown]
	v_pk_add_f32 v[34:35], v[34:35], v[148:149] neg_lo:[0,1] neg_hi:[0,1]
	v_mov_b32_e32 v147, v36
	v_pk_add_f32 v[34:35], v[146:147], v[34:35] neg_lo:[0,1] neg_hi:[0,1]
	v_mov_b32_e32 v162, v150
	v_pk_add_f32 v[36:37], v[162:163], v[34:35]
	s_mov_b32 s13, 0x33800000
	v_mov_b32_e32 v146, v37
	v_pk_add_f32 v[146:147], v[36:37], v[146:147]
	v_cmp_lt_f32_e64 s[64:65], |v164|, s13
	v_pk_add_f32 v[38:39], v[38:39], v[146:147]
	v_mov_b32_e32 v35, v146
	v_mov_b32_e32 v37, v38
	v_pk_add_f32 v[148:149], v[36:37], v[150:151] neg_lo:[0,1] neg_hi:[0,1]
	s_or_b64 vcc, vcc, s[64:65]
	v_sub_f32_e32 v33, v36, v148
	v_pk_add_f32 v[34:35], v[34:35], v[148:149] neg_lo:[0,1] neg_hi:[0,1]
	v_sub_f32_e32 v33, v150, v33
	v_add_f32_e32 v33, v34, v33
	v_add_f32_e32 v33, v33, v35
	;; [unrolled: 1-line block ×3, first 2 shown]
	v_cndmask_b32_e32 v33, v33, v164, vcc
	v_add_f32_e32 v33, v32, v33
.LBB451_207:
	s_or_b64 exec, exec, s[56:57]
	v_bfe_u32 v32, v33, 16, 1
	s_movk_i32 s13, 0x7fff
	v_add3_u32 v32, v33, v32, s13
	s_add_i32 s12, s12, 64
	s_mov_b32 s13, 0
	v_lshl_add_u64 v[34:35], s[12:13], 2, v[28:29]
	s_mov_b32 s12, 0x20000
	v_or_b32_sdwa v32, v32, s12 dst_sel:DWORD dst_unused:UNUSED_PAD src0_sel:WORD_1 src1_sel:DWORD
	v_mov_b32_e32 v36, 0x27fc0
	v_cmp_o_f32_e32 vcc, v33, v33
	s_nop 1
	v_cndmask_b32_e32 v32, v36, v32, vcc
	flat_store_dword v[34:35], v32 sc1
.LBB451_208:
	s_or_b64 exec, exec, s[62:63]
	v_cmp_eq_u32_e32 vcc, 0, v0
	s_and_b64 exec, exec, vcc
	s_cbranch_execz .LBB451_210
; %bb.209:
	v_mov_b32_e32 v32, 0
	ds_write_b16 v32, v176 offset:6
.LBB451_210:
	s_or_b64 exec, exec, s[60:61]
	v_mov_b32_e32 v32, 0
	s_waitcnt lgkmcnt(0)
	s_barrier
	ds_read_u16 v32, v32 offset:6
	v_cmp_ne_u32_e32 vcc, 0, v0
	s_and_saveexec_b64 s[12:13], vcc
	s_cbranch_execz .LBB451_214
; %bb.211:
	v_cndmask_b32_e64 v33, v145, v144, s[52:53]
	v_lshlrev_b32_e32 v33, 16, v33
	v_max_f32_e32 v35, v33, v33
	v_min_f32_e32 v34, v35, v135
	v_cmp_u_f32_e32 vcc, v33, v33
	v_max_f32_e32 v35, v35, v135
	s_nop 0
	v_cndmask_b32_e32 v34, v34, v33, vcc
	v_cndmask_b32_e32 v35, v35, v33, vcc
	v_cndmask_b32_e64 v34, v34, v11, s[50:51]
	v_cndmask_b32_e64 v11, v35, v11, s[50:51]
	s_movk_i32 s50, 0x1f8
	v_cmp_neq_f32_e32 vcc, v34, v11
	v_cmp_class_f32_e64 s[50:51], v34, s50
	s_or_b64 vcc, vcc, s[50:51]
	s_and_saveexec_b64 s[50:51], vcc
	s_cbranch_execz .LBB451_213
; %bb.212:
	v_sub_f32_e32 v33, v34, v11
	s_mov_b32 s52, 0x3fb8aa3b
	v_mul_f32_e32 v34, 0x3fb8aa3b, v33
	v_fma_f32 v35, v33, s52, -v34
	v_rndne_f32_e32 v36, v34
	v_fmamk_f32 v35, v33, 0x32a5705f, v35
	v_sub_f32_e32 v34, v34, v36
	v_add_f32_e32 v34, v34, v35
	v_exp_f32_e32 v34, v34
	v_cvt_i32_f32_e32 v35, v36
	s_mov_b32 s52, 0xc2ce8ed0
	v_cmp_ngt_f32_e32 vcc, s52, v33
	s_mov_b32 s52, 0x42b17218
	v_ldexp_f32 v34, v34, v35
	v_cndmask_b32_e32 v34, 0, v34, vcc
	v_mov_b32_e32 v35, 0x7f800000
	v_cmp_nlt_f32_e32 vcc, s52, v33
	s_mov_b32 s52, 0x3f2aaaab
	s_mov_b32 s53, 0x7f800000
	v_cndmask_b32_e32 v135, v35, v34, vcc
	v_add_f32_e32 v33, 1.0, v135
	v_add_f32_e32 v34, -1.0, v33
	v_sub_f32_e32 v35, v34, v33
	v_add_f32_e32 v35, 1.0, v35
	v_sub_f32_e32 v34, v135, v34
	v_add_f32_e32 v36, v34, v35
	v_frexp_mant_f32_e32 v37, v33
	v_cvt_f64_f32_e32 v[34:35], v33
	v_frexp_exp_i32_f64_e32 v34, v[34:35]
	v_cmp_gt_f32_e32 vcc, s52, v37
	s_mov_b32 s52, 0x3f317218
	s_nop 0
	v_subbrev_co_u32_e32 v146, vcc, 0, v34, vcc
	v_sub_u32_e32 v34, 0, v146
	v_ldexp_f32 v33, v33, v34
	v_ldexp_f32 v34, v36, v34
	v_add_f32_e32 v36, -1.0, v33
	v_add_f32_e32 v35, 1.0, v36
	v_sub_f32_e32 v35, v33, v35
	v_add_f32_e32 v37, v34, v35
	v_add_f32_e32 v35, 1.0, v33
	v_add_f32_e32 v38, -1.0, v35
	v_sub_f32_e32 v33, v33, v38
	v_add_f32_e32 v33, v34, v33
	v_add_f32_e32 v147, v35, v33
	v_rcp_f32_e32 v148, v147
	v_sub_f32_e32 v34, v35, v147
	v_add_f32_e32 v35, v36, v37
	v_add_f32_e32 v33, v33, v34
	v_mul_f32_e32 v150, v35, v148
	v_sub_f32_e32 v34, v36, v35
	v_mul_f32_e32 v36, v147, v150
	v_fma_f32 v38, v150, v147, -v36
	v_fmac_f32_e32 v38, v150, v33
	v_add_f32_e32 v149, v37, v34
	v_add_f32_e32 v34, v36, v38
	v_sub_f32_e32 v37, v35, v34
	v_pk_add_f32 v[144:145], v[34:35], v[36:37] neg_lo:[0,1] neg_hi:[0,1]
	v_mov_b32_e32 v39, v34
	v_pk_add_f32 v[34:35], v[144:145], v[38:39] neg_lo:[0,1] neg_hi:[0,1]
	v_cmp_eq_f32_e32 vcc, s53, v135
	v_add_f32_e32 v35, v149, v35
	v_add_f32_e32 v34, v34, v35
	;; [unrolled: 1-line block ×3, first 2 shown]
	v_mul_f32_e32 v149, v148, v35
	v_mul_f32_e32 v36, v147, v149
	v_fma_f32 v38, v149, v147, -v36
	v_fmac_f32_e32 v38, v149, v33
	v_sub_f32_e32 v33, v37, v35
	v_add_f32_e32 v33, v34, v33
	v_add_f32_e32 v34, v36, v38
	v_sub_f32_e32 v37, v35, v34
	v_pk_add_f32 v[144:145], v[34:35], v[36:37] neg_lo:[0,1] neg_hi:[0,1]
	v_mov_b32_e32 v39, v34
	v_pk_add_f32 v[34:35], v[144:145], v[38:39] neg_lo:[0,1] neg_hi:[0,1]
	v_cvt_f32_i32_e32 v36, v146
	v_add_f32_e32 v33, v33, v35
	v_add_f32_e32 v33, v34, v33
	;; [unrolled: 1-line block ×4, first 2 shown]
	v_sub_f32_e32 v35, v34, v150
	v_mul_f32_e32 v33, v148, v33
	v_sub_f32_e32 v35, v149, v35
	v_add_f32_e32 v33, v35, v33
	v_add_f32_e32 v37, v34, v33
	v_mul_f32_e32 v38, v37, v37
	v_mov_b32_e32 v35, 0x3ecc95a3
	v_fmac_f32_e32 v35, 0x3e9b6dac, v38
	v_sub_f32_e32 v34, v37, v34
	v_fmaak_f32 v35, v38, v35, 0x3f2aaada
	v_sub_f32_e32 v33, v33, v34
	v_ldexp_f32 v39, v37, 1
	v_mul_f32_e32 v37, v37, v38
	v_mov_b32_e32 v34, 0x3f317218
	v_pk_mul_f32 v[34:35], v[36:37], v[34:35]
	v_ldexp_f32 v33, v33, 1
	v_fma_f32 v37, v36, s52, -v34
	v_fmamk_f32 v38, v36, 0xb102e308, v37
	v_pk_add_f32 v[36:37], v[34:35], v[38:39]
	v_mov_b32_e32 v144, v34
	v_sub_f32_e32 v39, v37, v39
	v_sub_f32_e32 v39, v35, v39
	v_add_f32_e32 v145, v33, v39
	v_pk_add_f32 v[34:35], v[36:37], v[34:35] neg_lo:[0,1] neg_hi:[0,1]
	v_pk_add_f32 v[146:147], v[36:37], v[144:145]
	v_mov_b32_e32 v39, v36
	v_mov_b32_e32 v35, v147
	v_pk_add_f32 v[148:149], v[38:39], v[34:35] neg_lo:[0,1] neg_hi:[0,1]
	v_pk_add_f32 v[34:35], v[38:39], v[34:35]
	v_mov_b32_e32 v144, v145
	v_mov_b32_e32 v38, v35
	v_pk_add_f32 v[150:151], v[38:39], v[36:37] neg_lo:[0,1] neg_hi:[0,1]
	v_mov_b32_e32 v34, v147
	v_mov_b32_e32 v33, v150
	s_waitcnt lgkmcnt(0)
	v_pk_add_f32 v[160:161], v[146:147], v[32:33] neg_lo:[0,1] neg_hi:[0,1]
	v_mov_b32_e32 v146, v37
	v_mov_b32_e32 v147, v150
	;; [unrolled: 1-line block ×3, first 2 shown]
	v_pk_add_f32 v[34:35], v[34:35], v[146:147] neg_lo:[0,1] neg_hi:[0,1]
	v_mov_b32_e32 v145, v36
	v_pk_add_f32 v[34:35], v[144:145], v[34:35] neg_lo:[0,1] neg_hi:[0,1]
	v_mov_b32_e32 v160, v148
	v_pk_add_f32 v[36:37], v[160:161], v[34:35]
	s_mov_b32 s52, 0x33800000
	v_mov_b32_e32 v144, v37
	v_pk_add_f32 v[144:145], v[36:37], v[144:145]
	v_cmp_lt_f32_e64 s[52:53], |v135|, s52
	v_pk_add_f32 v[38:39], v[38:39], v[144:145]
	v_mov_b32_e32 v35, v144
	v_mov_b32_e32 v37, v38
	v_pk_add_f32 v[146:147], v[36:37], v[148:149] neg_lo:[0,1] neg_hi:[0,1]
	s_or_b64 vcc, vcc, s[52:53]
	v_sub_f32_e32 v33, v36, v146
	v_pk_add_f32 v[34:35], v[34:35], v[146:147] neg_lo:[0,1] neg_hi:[0,1]
	v_sub_f32_e32 v33, v148, v33
	v_add_f32_e32 v33, v34, v33
	v_add_f32_e32 v33, v33, v35
	;; [unrolled: 1-line block ×3, first 2 shown]
	v_cndmask_b32_e32 v33, v33, v135, vcc
	v_add_f32_e32 v33, v11, v33
.LBB451_213:
	s_or_b64 exec, exec, s[50:51]
	v_bfe_u32 v11, v33, 16, 1
	s_movk_i32 vcc_lo, 0x7fff
	v_add3_u32 v11, v33, v11, vcc_lo
	v_and_b32_e32 v11, 0xffff0000, v11
	v_mov_b32_e32 v34, 0x7fc00000
	v_cmp_o_f32_e32 vcc, v33, v33
	s_nop 1
	v_cndmask_b32_e32 v11, v34, v11, vcc
.LBB451_214:
	s_or_b64 exec, exec, s[12:13]
	s_waitcnt lgkmcnt(0)
	v_lshlrev_b32_e32 v33, 16, v32
	v_max_f32_e32 v34, v11, v11
	v_max_f32_e32 v35, v33, v33
	v_min_f32_e32 v32, v35, v34
	v_cmp_u_f32_e32 vcc, v33, v33
	v_max_f32_e32 v34, v35, v34
	v_cmp_u_f32_e64 s[12:13], v11, v11
	v_cndmask_b32_e32 v32, v32, v33, vcc
	v_cndmask_b32_e32 v34, v34, v33, vcc
	v_cndmask_b32_e64 v32, v32, v11, s[12:13]
	v_cndmask_b32_e64 v11, v34, v11, s[12:13]
	s_movk_i32 s50, 0x1f8
	v_cmp_neq_f32_e32 vcc, v32, v11
	v_cmp_class_f32_e64 s[12:13], v32, s50
	s_or_b64 vcc, vcc, s[12:13]
	s_and_saveexec_b64 s[12:13], vcc
	s_cbranch_execz .LBB451_216
; %bb.215:
	v_sub_f32_e32 v32, v32, v11
	s_mov_b32 s51, 0x3fb8aa3b
	v_mul_f32_e32 v33, 0x3fb8aa3b, v32
	v_fma_f32 v34, v32, s51, -v33
	v_rndne_f32_e32 v35, v33
	v_fmamk_f32 v34, v32, 0x32a5705f, v34
	v_sub_f32_e32 v33, v33, v35
	v_add_f32_e32 v33, v33, v34
	v_exp_f32_e32 v33, v33
	v_cvt_i32_f32_e32 v34, v35
	s_mov_b32 s51, 0xc2ce8ed0
	v_cmp_ngt_f32_e32 vcc, s51, v32
	s_mov_b32 s51, 0x42b17218
	v_ldexp_f32 v33, v33, v34
	v_cndmask_b32_e32 v33, 0, v33, vcc
	v_mov_b32_e32 v34, 0x7f800000
	v_cmp_nlt_f32_e32 vcc, s51, v32
	s_mov_b32 s51, 0x3f2aaaab
	s_mov_b32 s52, 0x7f800000
	v_cndmask_b32_e32 v135, v34, v33, vcc
	v_add_f32_e32 v34, 1.0, v135
	v_add_f32_e32 v32, -1.0, v34
	v_sub_f32_e32 v33, v32, v34
	v_add_f32_e32 v33, 1.0, v33
	v_sub_f32_e32 v32, v135, v32
	v_add_f32_e32 v35, v32, v33
	v_frexp_mant_f32_e32 v36, v34
	v_cvt_f64_f32_e32 v[32:33], v34
	v_frexp_exp_i32_f64_e32 v32, v[32:33]
	v_cmp_gt_f32_e32 vcc, s51, v36
	s_mov_b32 s51, 0x3f317218
	s_nop 0
	v_subbrev_co_u32_e32 v144, vcc, 0, v32, vcc
	v_sub_u32_e32 v32, 0, v144
	v_ldexp_f32 v33, v34, v32
	v_add_f32_e32 v34, -1.0, v33
	v_add_f32_e32 v36, 1.0, v33
	v_ldexp_f32 v32, v35, v32
	v_add_f32_e32 v35, 1.0, v34
	v_add_f32_e32 v37, -1.0, v36
	v_sub_f32_e32 v35, v33, v35
	v_sub_f32_e32 v33, v33, v37
	v_add_f32_e32 v35, v32, v35
	v_add_f32_e32 v32, v32, v33
	;; [unrolled: 1-line block ×3, first 2 shown]
	v_rcp_f32_e32 v147, v145
	v_sub_f32_e32 v33, v36, v145
	v_add_f32_e32 v146, v32, v33
	v_add_f32_e32 v33, v34, v35
	v_mul_f32_e32 v149, v33, v147
	v_sub_f32_e32 v32, v34, v33
	v_mul_f32_e32 v34, v145, v149
	v_fma_f32 v36, v149, v145, -v34
	v_fmac_f32_e32 v36, v149, v146
	v_add_f32_e32 v148, v35, v32
	v_add_f32_e32 v32, v34, v36
	v_sub_f32_e32 v35, v33, v32
	v_pk_add_f32 v[38:39], v[32:33], v[34:35] neg_lo:[0,1] neg_hi:[0,1]
	v_mov_b32_e32 v37, v32
	v_pk_add_f32 v[32:33], v[38:39], v[36:37] neg_lo:[0,1] neg_hi:[0,1]
	v_cmp_eq_f32_e32 vcc, s52, v135
	v_add_f32_e32 v33, v148, v33
	v_add_f32_e32 v32, v32, v33
	;; [unrolled: 1-line block ×3, first 2 shown]
	v_mul_f32_e32 v148, v147, v33
	v_mul_f32_e32 v34, v145, v148
	v_fma_f32 v36, v148, v145, -v34
	v_fmac_f32_e32 v36, v148, v146
	v_sub_f32_e32 v35, v35, v33
	v_add_f32_e32 v145, v32, v35
	v_add_f32_e32 v32, v34, v36
	v_sub_f32_e32 v35, v33, v32
	v_pk_add_f32 v[38:39], v[32:33], v[34:35] neg_lo:[0,1] neg_hi:[0,1]
	v_mov_b32_e32 v37, v32
	v_pk_add_f32 v[32:33], v[38:39], v[36:37] neg_lo:[0,1] neg_hi:[0,1]
	v_cvt_f32_i32_e32 v34, v144
	v_add_f32_e32 v33, v145, v33
	v_add_f32_e32 v32, v32, v33
	;; [unrolled: 1-line block ×4, first 2 shown]
	v_sub_f32_e32 v33, v35, v149
	v_mul_f32_e32 v32, v147, v32
	v_sub_f32_e32 v33, v148, v33
	v_add_f32_e32 v32, v33, v32
	v_add_f32_e32 v36, v35, v32
	v_mul_f32_e32 v38, v36, v36
	v_mov_b32_e32 v33, 0x3ecc95a3
	v_sub_f32_e32 v35, v36, v35
	v_fmac_f32_e32 v33, 0x3e9b6dac, v38
	v_sub_f32_e32 v32, v32, v35
	v_fmaak_f32 v33, v38, v33, 0x3f2aaada
	v_ldexp_f32 v39, v32, 1
	v_mul_f32_e32 v35, v36, v38
	v_mov_b32_e32 v32, 0x3f317218
	v_pk_mul_f32 v[32:33], v[34:35], v[32:33]
	v_ldexp_f32 v37, v36, 1
	v_fma_f32 v35, v34, s51, -v32
	v_fmamk_f32 v36, v34, 0xb102e308, v35
	v_pk_add_f32 v[34:35], v[32:33], v[36:37]
	v_mov_b32_e32 v38, v32
	v_sub_f32_e32 v37, v35, v37
	v_sub_f32_e32 v37, v33, v37
	v_add_f32_e32 v39, v39, v37
	v_pk_add_f32 v[32:33], v[34:35], v[32:33] neg_lo:[0,1] neg_hi:[0,1]
	v_pk_add_f32 v[144:145], v[34:35], v[38:39]
	v_mov_b32_e32 v37, v34
	v_mov_b32_e32 v33, v145
	v_pk_add_f32 v[146:147], v[36:37], v[32:33] neg_lo:[0,1] neg_hi:[0,1]
	v_pk_add_f32 v[32:33], v[36:37], v[32:33]
	v_mov_b32_e32 v38, v39
	v_mov_b32_e32 v36, v33
	v_pk_add_f32 v[148:149], v[36:37], v[34:35] neg_lo:[0,1] neg_hi:[0,1]
	v_mov_b32_e32 v32, v145
	v_mov_b32_e32 v37, v148
	v_pk_add_f32 v[150:151], v[144:145], v[36:37] neg_lo:[0,1] neg_hi:[0,1]
	v_mov_b32_e32 v144, v35
	v_mov_b32_e32 v145, v148
	;; [unrolled: 1-line block ×3, first 2 shown]
	v_pk_add_f32 v[32:33], v[32:33], v[144:145] neg_lo:[0,1] neg_hi:[0,1]
	v_mov_b32_e32 v39, v34
	v_pk_add_f32 v[32:33], v[38:39], v[32:33] neg_lo:[0,1] neg_hi:[0,1]
	v_mov_b32_e32 v150, v146
	v_pk_add_f32 v[34:35], v[150:151], v[32:33]
	s_mov_b32 s51, 0x33800000
	v_mov_b32_e32 v38, v35
	v_pk_add_f32 v[38:39], v[34:35], v[38:39]
	v_cmp_lt_f32_e64 s[52:53], |v135|, s51
	v_pk_add_f32 v[36:37], v[36:37], v[38:39]
	v_mov_b32_e32 v33, v38
	v_mov_b32_e32 v35, v36
	v_pk_add_f32 v[144:145], v[34:35], v[146:147] neg_lo:[0,1] neg_hi:[0,1]
	s_or_b64 vcc, vcc, s[52:53]
	v_sub_f32_e32 v34, v34, v144
	v_pk_add_f32 v[32:33], v[32:33], v[144:145] neg_lo:[0,1] neg_hi:[0,1]
	v_sub_f32_e32 v34, v146, v34
	v_add_f32_e32 v32, v32, v34
	v_add_f32_e32 v32, v32, v33
	;; [unrolled: 1-line block ×3, first 2 shown]
	v_cndmask_b32_e32 v32, v32, v135, vcc
	v_add_f32_e32 v33, v11, v32
.LBB451_216:
	s_or_b64 exec, exec, s[12:13]
	v_bfe_u32 v11, v33, 16, 1
	s_movk_i32 s12, 0x7fff
	v_add3_u32 v11, v33, v11, s12
	v_lshrrev_b32_e32 v11, 16, v11
	v_mov_b32_e32 v32, 0x7fc0
	v_cmp_o_f32_e32 vcc, v33, v33
	s_nop 1
	v_cndmask_b32_e32 v11, v32, v11, vcc
	v_lshlrev_b32_e32 v34, 16, v11
	v_max_f32_e32 v33, v34, v34
	v_min_f32_e32 v35, v33, v50
	v_cmp_u_f32_e32 vcc, v34, v34
	v_max_f32_e32 v33, v33, v50
	s_nop 0
	v_cndmask_b32_e32 v35, v35, v34, vcc
	v_cndmask_b32_e32 v33, v33, v34, vcc
	v_cndmask_b32_e64 v35, v35, v49, s[2:3]
	v_cndmask_b32_e64 v33, v33, v49, s[2:3]
	v_cmp_neq_f32_e32 vcc, v35, v33
	v_cmp_class_f32_e64 s[2:3], v35, s50
	s_or_b64 vcc, vcc, s[2:3]
	s_and_saveexec_b64 s[2:3], vcc
	s_cbranch_execz .LBB451_218
; %bb.217:
	v_sub_f32_e32 v34, v35, v33
	s_mov_b32 s13, 0x3fb8aa3b
	v_mul_f32_e32 v35, 0x3fb8aa3b, v34
	v_fma_f32 v36, v34, s13, -v35
	v_rndne_f32_e32 v37, v35
	v_fmamk_f32 v36, v34, 0x32a5705f, v36
	v_sub_f32_e32 v35, v35, v37
	v_add_f32_e32 v35, v35, v36
	v_exp_f32_e32 v35, v35
	v_cvt_i32_f32_e32 v36, v37
	s_mov_b32 s13, 0xc2ce8ed0
	v_cmp_ngt_f32_e32 vcc, s13, v34
	s_mov_b32 s13, 0x42b17218
	v_ldexp_f32 v35, v35, v36
	v_cndmask_b32_e32 v35, 0, v35, vcc
	v_mov_b32_e32 v36, 0x7f800000
	v_cmp_nlt_f32_e32 vcc, s13, v34
	s_mov_b32 s13, 0x3f2aaaab
	s_mov_b32 s50, 0x7f800000
	v_cndmask_b32_e32 v49, v36, v35, vcc
	v_add_f32_e32 v36, 1.0, v49
	v_add_f32_e32 v34, -1.0, v36
	v_sub_f32_e32 v35, v34, v36
	v_add_f32_e32 v35, 1.0, v35
	v_sub_f32_e32 v34, v49, v34
	v_add_f32_e32 v37, v34, v35
	v_frexp_mant_f32_e32 v38, v36
	v_cvt_f64_f32_e32 v[34:35], v36
	v_frexp_exp_i32_f64_e32 v34, v[34:35]
	v_cmp_gt_f32_e32 vcc, s13, v38
	s_mov_b32 s13, 0x3f317218
	s_nop 0
	v_subbrev_co_u32_e32 v50, vcc, 0, v34, vcc
	v_sub_u32_e32 v34, 0, v50
	v_ldexp_f32 v35, v36, v34
	v_add_f32_e32 v36, -1.0, v35
	v_add_f32_e32 v38, 1.0, v35
	v_ldexp_f32 v34, v37, v34
	v_add_f32_e32 v37, 1.0, v36
	v_add_f32_e32 v39, -1.0, v38
	v_sub_f32_e32 v37, v35, v37
	v_sub_f32_e32 v35, v35, v39
	v_add_f32_e32 v37, v34, v37
	v_add_f32_e32 v34, v34, v35
	v_add_f32_e32 v135, v38, v34
	v_rcp_f32_e32 v147, v135
	v_sub_f32_e32 v35, v38, v135
	v_add_f32_e32 v146, v34, v35
	v_add_f32_e32 v35, v36, v37
	v_mul_f32_e32 v149, v35, v147
	v_sub_f32_e32 v34, v36, v35
	v_mul_f32_e32 v36, v135, v149
	v_fma_f32 v38, v149, v135, -v36
	v_fmac_f32_e32 v38, v149, v146
	v_add_f32_e32 v148, v37, v34
	v_add_f32_e32 v34, v36, v38
	v_sub_f32_e32 v37, v35, v34
	v_pk_add_f32 v[144:145], v[34:35], v[36:37] neg_lo:[0,1] neg_hi:[0,1]
	v_mov_b32_e32 v39, v34
	v_pk_add_f32 v[34:35], v[144:145], v[38:39] neg_lo:[0,1] neg_hi:[0,1]
	v_cmp_eq_f32_e32 vcc, s50, v49
	v_add_f32_e32 v35, v148, v35
	v_add_f32_e32 v34, v34, v35
	;; [unrolled: 1-line block ×3, first 2 shown]
	v_mul_f32_e32 v148, v147, v35
	v_mul_f32_e32 v36, v135, v148
	v_fma_f32 v38, v148, v135, -v36
	v_fmac_f32_e32 v38, v148, v146
	v_sub_f32_e32 v37, v37, v35
	v_add_f32_e32 v135, v34, v37
	v_add_f32_e32 v34, v36, v38
	v_sub_f32_e32 v37, v35, v34
	v_pk_add_f32 v[144:145], v[34:35], v[36:37] neg_lo:[0,1] neg_hi:[0,1]
	v_mov_b32_e32 v39, v34
	v_pk_add_f32 v[34:35], v[144:145], v[38:39] neg_lo:[0,1] neg_hi:[0,1]
	v_cvt_f32_i32_e32 v36, v50
	v_add_f32_e32 v35, v135, v35
	v_add_f32_e32 v34, v34, v35
	;; [unrolled: 1-line block ×4, first 2 shown]
	v_sub_f32_e32 v35, v37, v149
	v_mul_f32_e32 v34, v147, v34
	v_sub_f32_e32 v35, v148, v35
	v_add_f32_e32 v34, v35, v34
	v_add_f32_e32 v38, v37, v34
	v_mul_f32_e32 v135, v38, v38
	v_mov_b32_e32 v35, 0x3ecc95a3
	v_sub_f32_e32 v37, v38, v37
	v_fmac_f32_e32 v35, 0x3e9b6dac, v135
	v_sub_f32_e32 v34, v34, v37
	v_fmaak_f32 v35, v135, v35, 0x3f2aaada
	v_ldexp_f32 v50, v34, 1
	v_mul_f32_e32 v37, v38, v135
	v_mov_b32_e32 v34, 0x3f317218
	v_pk_mul_f32 v[34:35], v[36:37], v[34:35]
	v_ldexp_f32 v39, v38, 1
	v_fma_f32 v37, v36, s13, -v34
	v_fmamk_f32 v38, v36, 0xb102e308, v37
	v_pk_add_f32 v[36:37], v[34:35], v[38:39]
	v_mov_b32_e32 v144, v34
	v_sub_f32_e32 v39, v37, v39
	v_sub_f32_e32 v39, v35, v39
	v_add_f32_e32 v145, v50, v39
	v_pk_add_f32 v[34:35], v[36:37], v[34:35] neg_lo:[0,1] neg_hi:[0,1]
	v_pk_add_f32 v[146:147], v[36:37], v[144:145]
	v_mov_b32_e32 v39, v36
	v_mov_b32_e32 v35, v147
	v_pk_add_f32 v[148:149], v[38:39], v[34:35] neg_lo:[0,1] neg_hi:[0,1]
	v_pk_add_f32 v[34:35], v[38:39], v[34:35]
	v_mov_b32_e32 v144, v145
	v_mov_b32_e32 v38, v35
	v_pk_add_f32 v[150:151], v[38:39], v[36:37] neg_lo:[0,1] neg_hi:[0,1]
	v_mov_b32_e32 v34, v147
	v_mov_b32_e32 v39, v150
	v_pk_add_f32 v[160:161], v[146:147], v[38:39] neg_lo:[0,1] neg_hi:[0,1]
	v_mov_b32_e32 v146, v37
	v_mov_b32_e32 v147, v150
	;; [unrolled: 1-line block ×3, first 2 shown]
	v_pk_add_f32 v[34:35], v[34:35], v[146:147] neg_lo:[0,1] neg_hi:[0,1]
	v_mov_b32_e32 v145, v36
	v_pk_add_f32 v[34:35], v[144:145], v[34:35] neg_lo:[0,1] neg_hi:[0,1]
	v_mov_b32_e32 v160, v148
	v_pk_add_f32 v[36:37], v[160:161], v[34:35]
	s_mov_b32 s13, 0x33800000
	v_mov_b32_e32 v50, v37
	v_pk_add_f32 v[144:145], v[36:37], v[50:51]
	v_cmp_lt_f32_e64 s[50:51], |v49|, s13
	v_pk_add_f32 v[38:39], v[38:39], v[144:145]
	v_mov_b32_e32 v35, v144
	v_mov_b32_e32 v37, v38
	v_pk_add_f32 v[146:147], v[36:37], v[148:149] neg_lo:[0,1] neg_hi:[0,1]
	s_or_b64 vcc, vcc, s[50:51]
	v_sub_f32_e32 v36, v36, v146
	v_pk_add_f32 v[34:35], v[34:35], v[146:147] neg_lo:[0,1] neg_hi:[0,1]
	v_sub_f32_e32 v36, v148, v36
	v_add_f32_e32 v34, v34, v36
	v_add_f32_e32 v34, v34, v35
	;; [unrolled: 1-line block ×3, first 2 shown]
	v_cndmask_b32_e32 v34, v34, v49, vcc
	v_add_f32_e32 v34, v33, v34
.LBB451_218:
	s_or_b64 exec, exec, s[2:3]
	v_bfe_u32 v33, v34, 16, 1
	v_add3_u32 v33, v34, v33, s12
	v_lshrrev_b32_e32 v33, 16, v33
	v_cmp_o_f32_e32 vcc, v34, v34
	s_nop 1
	v_cndmask_b32_e32 v32, v32, v33, vcc
	v_lshlrev_b32_e32 v35, 16, v32
	v_max_f32_e32 v33, v35, v35
	v_min_f32_e32 v34, v33, v55
	v_cmp_u_f32_e32 vcc, v35, v35
	v_max_f32_e32 v33, v33, v55
	s_nop 0
	v_cndmask_b32_e32 v34, v34, v35, vcc
	v_cndmask_b32_e32 v33, v33, v35, vcc
	v_cndmask_b32_e64 v34, v34, v51, s[4:5]
	v_cndmask_b32_e64 v33, v33, v51, s[4:5]
	s_movk_i32 s4, 0x1f8
	v_cmp_neq_f32_e32 vcc, v34, v33
	v_cmp_class_f32_e64 s[2:3], v34, s4
	s_or_b64 s[12:13], vcc, s[2:3]
	s_and_saveexec_b64 s[2:3], s[12:13]
	s_cbranch_execz .LBB451_220
; %bb.219:
	v_sub_f32_e32 v34, v34, v33
	s_mov_b32 s5, 0x3fb8aa3b
	v_mul_f32_e32 v35, 0x3fb8aa3b, v34
	v_fma_f32 v36, v34, s5, -v35
	v_rndne_f32_e32 v37, v35
	v_fmamk_f32 v36, v34, 0x32a5705f, v36
	v_sub_f32_e32 v35, v35, v37
	v_add_f32_e32 v35, v35, v36
	v_exp_f32_e32 v35, v35
	v_cvt_i32_f32_e32 v36, v37
	s_mov_b32 s5, 0xc2ce8ed0
	v_cmp_ngt_f32_e32 vcc, s5, v34
	s_mov_b32 s5, 0x42b17218
	v_ldexp_f32 v35, v35, v36
	v_cndmask_b32_e32 v35, 0, v35, vcc
	v_mov_b32_e32 v36, 0x7f800000
	v_cmp_nlt_f32_e32 vcc, s5, v34
	s_mov_b32 s5, 0x3f2aaaab
	s_mov_b32 s12, 0x7f800000
	v_cndmask_b32_e32 v49, v36, v35, vcc
	v_add_f32_e32 v36, 1.0, v49
	v_add_f32_e32 v34, -1.0, v36
	v_sub_f32_e32 v35, v34, v36
	v_add_f32_e32 v35, 1.0, v35
	v_sub_f32_e32 v34, v49, v34
	v_add_f32_e32 v37, v34, v35
	v_frexp_mant_f32_e32 v38, v36
	v_cvt_f64_f32_e32 v[34:35], v36
	v_frexp_exp_i32_f64_e32 v34, v[34:35]
	v_cmp_gt_f32_e32 vcc, s5, v38
	s_mov_b32 s5, 0x3f317218
	s_nop 0
	v_subbrev_co_u32_e32 v55, vcc, 0, v34, vcc
	v_sub_u32_e32 v34, 0, v55
	v_ldexp_f32 v35, v36, v34
	v_add_f32_e32 v36, -1.0, v35
	v_add_f32_e32 v38, 1.0, v35
	v_ldexp_f32 v34, v37, v34
	v_add_f32_e32 v37, 1.0, v36
	v_add_f32_e32 v39, -1.0, v38
	v_sub_f32_e32 v37, v35, v37
	v_sub_f32_e32 v35, v35, v39
	v_add_f32_e32 v37, v34, v37
	v_add_f32_e32 v34, v34, v35
	;; [unrolled: 1-line block ×3, first 2 shown]
	v_rcp_f32_e32 v145, v135
	v_sub_f32_e32 v35, v38, v135
	v_add_f32_e32 v144, v34, v35
	v_add_f32_e32 v35, v36, v37
	v_mul_f32_e32 v147, v35, v145
	v_sub_f32_e32 v34, v36, v35
	v_mul_f32_e32 v36, v135, v147
	v_fma_f32 v38, v147, v135, -v36
	v_fmac_f32_e32 v38, v147, v144
	v_add_f32_e32 v146, v37, v34
	v_add_f32_e32 v34, v36, v38
	v_sub_f32_e32 v37, v35, v34
	v_pk_add_f32 v[50:51], v[34:35], v[36:37] neg_lo:[0,1] neg_hi:[0,1]
	v_mov_b32_e32 v39, v34
	v_pk_add_f32 v[34:35], v[50:51], v[38:39] neg_lo:[0,1] neg_hi:[0,1]
	v_cmp_eq_f32_e32 vcc, s12, v49
	v_add_f32_e32 v35, v146, v35
	v_add_f32_e32 v34, v34, v35
	;; [unrolled: 1-line block ×3, first 2 shown]
	v_mul_f32_e32 v146, v145, v35
	v_mul_f32_e32 v36, v135, v146
	v_fma_f32 v38, v146, v135, -v36
	v_fmac_f32_e32 v38, v146, v144
	v_sub_f32_e32 v37, v37, v35
	v_add_f32_e32 v135, v34, v37
	v_add_f32_e32 v34, v36, v38
	v_sub_f32_e32 v37, v35, v34
	v_pk_add_f32 v[50:51], v[34:35], v[36:37] neg_lo:[0,1] neg_hi:[0,1]
	v_mov_b32_e32 v39, v34
	v_pk_add_f32 v[34:35], v[50:51], v[38:39] neg_lo:[0,1] neg_hi:[0,1]
	v_cvt_f32_i32_e32 v36, v55
	v_add_f32_e32 v35, v135, v35
	v_add_f32_e32 v34, v34, v35
	v_add_f32_e32 v34, v37, v34
	v_add_f32_e32 v37, v147, v146
	v_sub_f32_e32 v35, v37, v147
	v_mul_f32_e32 v34, v145, v34
	v_sub_f32_e32 v35, v146, v35
	v_add_f32_e32 v34, v35, v34
	v_add_f32_e32 v38, v37, v34
	v_mul_f32_e32 v50, v38, v38
	v_mov_b32_e32 v35, 0x3ecc95a3
	v_sub_f32_e32 v37, v38, v37
	v_fmac_f32_e32 v35, 0x3e9b6dac, v50
	v_sub_f32_e32 v34, v34, v37
	v_fmaak_f32 v35, v50, v35, 0x3f2aaada
	v_ldexp_f32 v51, v34, 1
	v_mul_f32_e32 v37, v38, v50
	v_mov_b32_e32 v34, 0x3f317218
	v_pk_mul_f32 v[34:35], v[36:37], v[34:35]
	v_ldexp_f32 v39, v38, 1
	v_fma_f32 v37, v36, s5, -v34
	v_fmamk_f32 v38, v36, 0xb102e308, v37
	v_pk_add_f32 v[36:37], v[34:35], v[38:39]
	v_mov_b32_e32 v50, v34
	v_sub_f32_e32 v39, v37, v39
	v_sub_f32_e32 v39, v35, v39
	v_add_f32_e32 v51, v51, v39
	v_pk_add_f32 v[34:35], v[36:37], v[34:35] neg_lo:[0,1] neg_hi:[0,1]
	v_pk_add_f32 v[144:145], v[36:37], v[50:51]
	v_mov_b32_e32 v39, v36
	v_mov_b32_e32 v35, v145
	v_pk_add_f32 v[146:147], v[38:39], v[34:35] neg_lo:[0,1] neg_hi:[0,1]
	v_pk_add_f32 v[34:35], v[38:39], v[34:35]
	v_mov_b32_e32 v50, v51
	v_mov_b32_e32 v38, v35
	v_pk_add_f32 v[148:149], v[38:39], v[36:37] neg_lo:[0,1] neg_hi:[0,1]
	v_mov_b32_e32 v34, v145
	v_mov_b32_e32 v39, v148
	v_pk_add_f32 v[150:151], v[144:145], v[38:39] neg_lo:[0,1] neg_hi:[0,1]
	v_mov_b32_e32 v144, v37
	v_mov_b32_e32 v145, v148
	;; [unrolled: 1-line block ×3, first 2 shown]
	v_pk_add_f32 v[34:35], v[34:35], v[144:145] neg_lo:[0,1] neg_hi:[0,1]
	v_mov_b32_e32 v51, v36
	v_pk_add_f32 v[34:35], v[50:51], v[34:35] neg_lo:[0,1] neg_hi:[0,1]
	v_mov_b32_e32 v150, v146
	v_pk_add_f32 v[36:37], v[150:151], v[34:35]
	s_mov_b32 s5, 0x33800000
	v_mov_b32_e32 v50, v37
	v_pk_add_f32 v[50:51], v[36:37], v[50:51]
	v_cmp_lt_f32_e64 s[12:13], |v49|, s5
	v_pk_add_f32 v[38:39], v[38:39], v[50:51]
	v_mov_b32_e32 v35, v50
	v_mov_b32_e32 v37, v38
	v_pk_add_f32 v[144:145], v[36:37], v[146:147] neg_lo:[0,1] neg_hi:[0,1]
	s_or_b64 vcc, vcc, s[12:13]
	v_sub_f32_e32 v36, v36, v144
	v_pk_add_f32 v[34:35], v[34:35], v[144:145] neg_lo:[0,1] neg_hi:[0,1]
	v_sub_f32_e32 v36, v146, v36
	v_add_f32_e32 v34, v34, v36
	v_add_f32_e32 v34, v34, v35
	;; [unrolled: 1-line block ×3, first 2 shown]
	v_cndmask_b32_e32 v34, v34, v49, vcc
	v_add_f32_e32 v35, v33, v34
.LBB451_220:
	s_or_b64 exec, exec, s[2:3]
	v_bfe_u32 v33, v35, 16, 1
	s_movk_i32 s5, 0x7fff
	v_add3_u32 v33, v35, v33, s5
	v_lshrrev_b32_e32 v33, 16, v33
	v_mov_b32_e32 v34, 0x7fc0
	v_cmp_o_f32_e32 vcc, v35, v35
	s_nop 1
	v_cndmask_b32_e32 v33, v34, v33, vcc
	v_lshlrev_b32_e32 v36, 16, v33
	v_max_f32_e32 v35, v36, v36
	v_min_f32_e32 v37, v35, v64
	v_cmp_u_f32_e32 vcc, v36, v36
	v_max_f32_e32 v35, v35, v64
	s_nop 0
	v_cndmask_b32_e32 v37, v37, v36, vcc
	v_cndmask_b32_e32 v35, v35, v36, vcc
	v_cndmask_b32_e64 v37, v37, v52, s[6:7]
	v_cndmask_b32_e64 v35, v35, v52, s[6:7]
	v_cmp_neq_f32_e32 vcc, v37, v35
	v_cmp_class_f32_e64 s[2:3], v37, s4
	s_or_b64 s[6:7], vcc, s[2:3]
	s_and_saveexec_b64 s[2:3], s[6:7]
	s_cbranch_execz .LBB451_222
; %bb.221:
	v_sub_f32_e32 v36, v37, v35
	s_mov_b32 s4, 0x3fb8aa3b
	v_mul_f32_e32 v37, 0x3fb8aa3b, v36
	v_fma_f32 v38, v36, s4, -v37
	v_rndne_f32_e32 v39, v37
	v_fmamk_f32 v38, v36, 0x32a5705f, v38
	v_sub_f32_e32 v37, v37, v39
	v_add_f32_e32 v37, v37, v38
	v_exp_f32_e32 v37, v37
	v_cvt_i32_f32_e32 v38, v39
	s_mov_b32 s4, 0xc2ce8ed0
	v_cmp_ngt_f32_e32 vcc, s4, v36
	s_mov_b32 s4, 0x42b17218
	v_ldexp_f32 v37, v37, v38
	v_cndmask_b32_e32 v37, 0, v37, vcc
	v_mov_b32_e32 v38, 0x7f800000
	v_cmp_nlt_f32_e32 vcc, s4, v36
	s_mov_b32 s4, 0x3f2aaaab
	s_mov_b32 s6, 0x7f800000
	v_cndmask_b32_e32 v55, v38, v37, vcc
	v_add_f32_e32 v38, 1.0, v55
	v_add_f32_e32 v36, -1.0, v38
	v_sub_f32_e32 v37, v36, v38
	v_add_f32_e32 v37, 1.0, v37
	v_sub_f32_e32 v36, v55, v36
	v_add_f32_e32 v39, v36, v37
	v_frexp_mant_f32_e32 v49, v38
	v_cvt_f64_f32_e32 v[36:37], v38
	v_frexp_exp_i32_f64_e32 v36, v[36:37]
	v_cmp_gt_f32_e32 vcc, s4, v49
	s_mov_b32 s4, 0x3f317218
	s_nop 0
	v_subbrev_co_u32_e32 v49, vcc, 0, v36, vcc
	v_sub_u32_e32 v36, 0, v49
	v_ldexp_f32 v37, v38, v36
	v_add_f32_e32 v38, -1.0, v37
	v_add_f32_e32 v50, 1.0, v37
	v_ldexp_f32 v36, v39, v36
	v_add_f32_e32 v39, 1.0, v38
	v_add_f32_e32 v51, -1.0, v50
	v_sub_f32_e32 v39, v37, v39
	v_sub_f32_e32 v37, v37, v51
	v_add_f32_e32 v39, v36, v39
	v_add_f32_e32 v36, v36, v37
	v_add_f32_e32 v52, v50, v36
	v_rcp_f32_e32 v135, v52
	v_sub_f32_e32 v37, v50, v52
	v_add_f32_e32 v64, v36, v37
	v_add_f32_e32 v37, v38, v39
	v_mul_f32_e32 v147, v37, v135
	v_sub_f32_e32 v36, v38, v37
	v_mul_f32_e32 v38, v52, v147
	v_fma_f32 v50, v147, v52, -v38
	v_fmac_f32_e32 v50, v147, v64
	v_add_f32_e32 v146, v39, v36
	v_add_f32_e32 v36, v38, v50
	v_sub_f32_e32 v39, v37, v36
	v_pk_add_f32 v[144:145], v[36:37], v[38:39] neg_lo:[0,1] neg_hi:[0,1]
	v_mov_b32_e32 v51, v36
	v_pk_add_f32 v[36:37], v[144:145], v[50:51] neg_lo:[0,1] neg_hi:[0,1]
	v_cmp_eq_f32_e32 vcc, s6, v55
	v_add_f32_e32 v37, v146, v37
	v_add_f32_e32 v36, v36, v37
	;; [unrolled: 1-line block ×3, first 2 shown]
	v_mul_f32_e32 v146, v135, v37
	v_mul_f32_e32 v38, v52, v146
	v_fma_f32 v50, v146, v52, -v38
	v_fmac_f32_e32 v50, v146, v64
	v_sub_f32_e32 v39, v39, v37
	v_add_f32_e32 v52, v36, v39
	v_add_f32_e32 v36, v38, v50
	v_sub_f32_e32 v39, v37, v36
	v_pk_add_f32 v[144:145], v[36:37], v[38:39] neg_lo:[0,1] neg_hi:[0,1]
	v_mov_b32_e32 v51, v36
	v_pk_add_f32 v[36:37], v[144:145], v[50:51] neg_lo:[0,1] neg_hi:[0,1]
	v_cvt_f32_i32_e32 v38, v49
	v_add_f32_e32 v37, v52, v37
	v_add_f32_e32 v36, v36, v37
	;; [unrolled: 1-line block ×4, first 2 shown]
	v_sub_f32_e32 v37, v39, v147
	v_mul_f32_e32 v36, v135, v36
	v_sub_f32_e32 v37, v146, v37
	v_add_f32_e32 v36, v37, v36
	v_add_f32_e32 v50, v39, v36
	v_mul_f32_e32 v52, v50, v50
	v_mov_b32_e32 v37, 0x3ecc95a3
	v_sub_f32_e32 v39, v50, v39
	v_fmac_f32_e32 v37, 0x3e9b6dac, v52
	v_sub_f32_e32 v36, v36, v39
	v_fmaak_f32 v37, v52, v37, 0x3f2aaada
	v_ldexp_f32 v49, v36, 1
	v_mul_f32_e32 v39, v50, v52
	v_mov_b32_e32 v36, 0x3f317218
	v_pk_mul_f32 v[36:37], v[38:39], v[36:37]
	v_ldexp_f32 v51, v50, 1
	v_fma_f32 v39, v38, s4, -v36
	v_fmamk_f32 v50, v38, 0xb102e308, v39
	v_pk_add_f32 v[38:39], v[36:37], v[50:51]
	v_mov_b32_e32 v144, v36
	v_sub_f32_e32 v51, v39, v51
	v_sub_f32_e32 v51, v37, v51
	v_add_f32_e32 v145, v49, v51
	v_pk_add_f32 v[36:37], v[38:39], v[36:37] neg_lo:[0,1] neg_hi:[0,1]
	v_pk_add_f32 v[146:147], v[38:39], v[144:145]
	v_mov_b32_e32 v51, v38
	v_mov_b32_e32 v37, v147
	v_pk_add_f32 v[148:149], v[50:51], v[36:37] neg_lo:[0,1] neg_hi:[0,1]
	v_pk_add_f32 v[36:37], v[50:51], v[36:37]
	v_mov_b32_e32 v144, v145
	v_mov_b32_e32 v50, v37
	v_pk_add_f32 v[150:151], v[50:51], v[38:39] neg_lo:[0,1] neg_hi:[0,1]
	v_mov_b32_e32 v36, v147
	v_mov_b32_e32 v49, v150
	v_pk_add_f32 v[160:161], v[146:147], v[48:49] neg_lo:[0,1] neg_hi:[0,1]
	v_mov_b32_e32 v146, v39
	v_mov_b32_e32 v147, v150
	;; [unrolled: 1-line block ×3, first 2 shown]
	v_pk_add_f32 v[36:37], v[36:37], v[146:147] neg_lo:[0,1] neg_hi:[0,1]
	v_mov_b32_e32 v145, v38
	v_pk_add_f32 v[36:37], v[144:145], v[36:37] neg_lo:[0,1] neg_hi:[0,1]
	v_mov_b32_e32 v160, v148
	v_pk_add_f32 v[38:39], v[160:161], v[36:37]
	s_mov_b32 s4, 0x33800000
	v_mov_b32_e32 v52, v39
	v_pk_add_f32 v[144:145], v[38:39], v[52:53]
	v_cmp_lt_f32_e64 s[6:7], |v55|, s4
	v_pk_add_f32 v[50:51], v[50:51], v[144:145]
	v_mov_b32_e32 v37, v144
	v_mov_b32_e32 v39, v50
	v_pk_add_f32 v[146:147], v[38:39], v[148:149] neg_lo:[0,1] neg_hi:[0,1]
	s_or_b64 vcc, vcc, s[6:7]
	v_sub_f32_e32 v38, v38, v146
	v_pk_add_f32 v[36:37], v[36:37], v[146:147] neg_lo:[0,1] neg_hi:[0,1]
	v_sub_f32_e32 v38, v148, v38
	v_add_f32_e32 v36, v36, v38
	v_add_f32_e32 v36, v36, v37
	;; [unrolled: 1-line block ×3, first 2 shown]
	v_cndmask_b32_e32 v36, v36, v55, vcc
	v_add_f32_e32 v36, v35, v36
.LBB451_222:
	s_or_b64 exec, exec, s[2:3]
	v_bfe_u32 v35, v36, 16, 1
	v_add3_u32 v35, v36, v35, s5
	v_lshrrev_b32_e32 v35, 16, v35
	v_cmp_o_f32_e32 vcc, v36, v36
	s_movk_i32 s4, 0x1f8
	s_nop 0
	v_cndmask_b32_e32 v34, v34, v35, vcc
	v_lshlrev_b32_e32 v37, 16, v34
	v_max_f32_e32 v35, v37, v37
	v_min_f32_e32 v36, v35, v67
	v_cmp_u_f32_e32 vcc, v37, v37
	v_max_f32_e32 v35, v35, v67
	s_nop 0
	v_cndmask_b32_e32 v36, v36, v37, vcc
	v_cndmask_b32_e32 v35, v35, v37, vcc
	v_cndmask_b32_e64 v36, v36, v53, s[8:9]
	v_cndmask_b32_e64 v35, v35, v53, s[8:9]
	v_cmp_neq_f32_e32 vcc, v36, v35
	v_cmp_class_f32_e64 s[2:3], v36, s4
	s_or_b64 s[6:7], vcc, s[2:3]
	s_and_saveexec_b64 s[2:3], s[6:7]
	s_cbranch_execz .LBB451_224
; %bb.223:
	v_sub_f32_e32 v36, v36, v35
	s_mov_b32 s5, 0x3fb8aa3b
	v_mul_f32_e32 v37, 0x3fb8aa3b, v36
	v_fma_f32 v38, v36, s5, -v37
	v_rndne_f32_e32 v39, v37
	v_fmamk_f32 v38, v36, 0x32a5705f, v38
	v_sub_f32_e32 v37, v37, v39
	v_add_f32_e32 v37, v37, v38
	v_exp_f32_e32 v37, v37
	v_cvt_i32_f32_e32 v38, v39
	s_mov_b32 s5, 0xc2ce8ed0
	v_cmp_ngt_f32_e32 vcc, s5, v36
	s_mov_b32 s5, 0x42b17218
	v_ldexp_f32 v37, v37, v38
	v_cndmask_b32_e32 v37, 0, v37, vcc
	v_mov_b32_e32 v38, 0x7f800000
	v_cmp_nlt_f32_e32 vcc, s5, v36
	s_mov_b32 s5, 0x3f2aaaab
	s_mov_b32 s6, 0x7f800000
	v_cndmask_b32_e32 v55, v38, v37, vcc
	v_add_f32_e32 v38, 1.0, v55
	v_add_f32_e32 v36, -1.0, v38
	v_sub_f32_e32 v37, v36, v38
	v_add_f32_e32 v37, 1.0, v37
	v_sub_f32_e32 v36, v55, v36
	v_add_f32_e32 v39, v36, v37
	v_frexp_mant_f32_e32 v49, v38
	v_cvt_f64_f32_e32 v[36:37], v38
	v_frexp_exp_i32_f64_e32 v36, v[36:37]
	v_cmp_gt_f32_e32 vcc, s5, v49
	s_mov_b32 s5, 0x3f317218
	s_nop 0
	v_subbrev_co_u32_e32 v49, vcc, 0, v36, vcc
	v_sub_u32_e32 v36, 0, v49
	v_ldexp_f32 v37, v38, v36
	v_add_f32_e32 v38, -1.0, v37
	v_add_f32_e32 v50, 1.0, v37
	v_ldexp_f32 v36, v39, v36
	v_add_f32_e32 v39, 1.0, v38
	v_add_f32_e32 v51, -1.0, v50
	v_sub_f32_e32 v39, v37, v39
	v_sub_f32_e32 v37, v37, v51
	v_add_f32_e32 v39, v36, v39
	v_add_f32_e32 v36, v36, v37
	;; [unrolled: 1-line block ×3, first 2 shown]
	v_rcp_f32_e32 v135, v64
	v_sub_f32_e32 v37, v50, v64
	v_add_f32_e32 v67, v36, v37
	v_add_f32_e32 v37, v38, v39
	v_mul_f32_e32 v145, v37, v135
	v_sub_f32_e32 v36, v38, v37
	v_mul_f32_e32 v38, v64, v145
	v_fma_f32 v50, v145, v64, -v38
	v_fmac_f32_e32 v50, v145, v67
	v_add_f32_e32 v144, v39, v36
	v_add_f32_e32 v36, v38, v50
	v_sub_f32_e32 v39, v37, v36
	v_pk_add_f32 v[52:53], v[36:37], v[38:39] neg_lo:[0,1] neg_hi:[0,1]
	v_mov_b32_e32 v51, v36
	v_pk_add_f32 v[36:37], v[52:53], v[50:51] neg_lo:[0,1] neg_hi:[0,1]
	v_cmp_eq_f32_e32 vcc, s6, v55
	v_add_f32_e32 v37, v144, v37
	v_add_f32_e32 v36, v36, v37
	;; [unrolled: 1-line block ×3, first 2 shown]
	v_mul_f32_e32 v144, v135, v37
	v_mul_f32_e32 v38, v64, v144
	v_fma_f32 v50, v144, v64, -v38
	v_fmac_f32_e32 v50, v144, v67
	v_sub_f32_e32 v39, v39, v37
	v_add_f32_e32 v64, v36, v39
	v_add_f32_e32 v36, v38, v50
	v_sub_f32_e32 v39, v37, v36
	v_pk_add_f32 v[52:53], v[36:37], v[38:39] neg_lo:[0,1] neg_hi:[0,1]
	v_mov_b32_e32 v51, v36
	v_pk_add_f32 v[36:37], v[52:53], v[50:51] neg_lo:[0,1] neg_hi:[0,1]
	v_cvt_f32_i32_e32 v38, v49
	v_add_f32_e32 v37, v64, v37
	v_add_f32_e32 v36, v36, v37
	;; [unrolled: 1-line block ×4, first 2 shown]
	v_sub_f32_e32 v37, v39, v145
	v_mul_f32_e32 v36, v135, v36
	v_sub_f32_e32 v37, v144, v37
	v_add_f32_e32 v36, v37, v36
	v_add_f32_e32 v50, v39, v36
	v_mul_f32_e32 v52, v50, v50
	v_mov_b32_e32 v37, 0x3ecc95a3
	v_sub_f32_e32 v39, v50, v39
	v_fmac_f32_e32 v37, 0x3e9b6dac, v52
	v_sub_f32_e32 v36, v36, v39
	v_fmaak_f32 v37, v52, v37, 0x3f2aaada
	v_ldexp_f32 v49, v36, 1
	v_mul_f32_e32 v39, v50, v52
	v_mov_b32_e32 v36, 0x3f317218
	v_pk_mul_f32 v[36:37], v[38:39], v[36:37]
	v_ldexp_f32 v51, v50, 1
	v_fma_f32 v39, v38, s5, -v36
	v_fmamk_f32 v50, v38, 0xb102e308, v39
	v_pk_add_f32 v[38:39], v[36:37], v[50:51]
	v_mov_b32_e32 v52, v36
	v_sub_f32_e32 v51, v39, v51
	v_sub_f32_e32 v51, v37, v51
	v_add_f32_e32 v53, v49, v51
	v_pk_add_f32 v[36:37], v[38:39], v[36:37] neg_lo:[0,1] neg_hi:[0,1]
	v_pk_add_f32 v[144:145], v[38:39], v[52:53]
	v_mov_b32_e32 v51, v38
	v_mov_b32_e32 v37, v145
	v_pk_add_f32 v[146:147], v[50:51], v[36:37] neg_lo:[0,1] neg_hi:[0,1]
	v_pk_add_f32 v[36:37], v[50:51], v[36:37]
	v_mov_b32_e32 v52, v53
	v_mov_b32_e32 v50, v37
	v_pk_add_f32 v[148:149], v[50:51], v[38:39] neg_lo:[0,1] neg_hi:[0,1]
	v_mov_b32_e32 v36, v145
	v_mov_b32_e32 v49, v148
	v_pk_add_f32 v[150:151], v[144:145], v[48:49] neg_lo:[0,1] neg_hi:[0,1]
	v_mov_b32_e32 v144, v39
	v_mov_b32_e32 v145, v148
	;; [unrolled: 1-line block ×3, first 2 shown]
	v_pk_add_f32 v[36:37], v[36:37], v[144:145] neg_lo:[0,1] neg_hi:[0,1]
	v_mov_b32_e32 v53, v38
	v_pk_add_f32 v[36:37], v[52:53], v[36:37] neg_lo:[0,1] neg_hi:[0,1]
	v_mov_b32_e32 v150, v146
	v_pk_add_f32 v[38:39], v[150:151], v[36:37]
	s_mov_b32 s5, 0x33800000
	v_mov_b32_e32 v52, v39
	v_pk_add_f32 v[52:53], v[38:39], v[52:53]
	v_cmp_lt_f32_e64 s[6:7], |v55|, s5
	v_pk_add_f32 v[50:51], v[50:51], v[52:53]
	v_mov_b32_e32 v37, v52
	v_mov_b32_e32 v39, v50
	v_pk_add_f32 v[144:145], v[38:39], v[146:147] neg_lo:[0,1] neg_hi:[0,1]
	s_or_b64 vcc, vcc, s[6:7]
	v_sub_f32_e32 v38, v38, v144
	v_pk_add_f32 v[36:37], v[36:37], v[144:145] neg_lo:[0,1] neg_hi:[0,1]
	v_sub_f32_e32 v38, v146, v38
	v_add_f32_e32 v36, v36, v38
	v_add_f32_e32 v36, v36, v37
	;; [unrolled: 1-line block ×3, first 2 shown]
	v_cndmask_b32_e32 v36, v36, v55, vcc
	v_add_f32_e32 v37, v35, v36
.LBB451_224:
	s_or_b64 exec, exec, s[2:3]
	v_bfe_u32 v35, v37, 16, 1
	s_movk_i32 s5, 0x7fff
	v_add3_u32 v35, v37, v35, s5
	v_lshrrev_b32_e32 v35, 16, v35
	v_mov_b32_e32 v36, 0x7fc0
	v_cmp_o_f32_e32 vcc, v37, v37
	s_nop 1
	v_cndmask_b32_e32 v35, v36, v35, vcc
	v_lshlrev_b32_e32 v38, 16, v35
	v_max_f32_e32 v37, v38, v38
	v_min_f32_e32 v39, v37, v68
	v_cmp_u_f32_e32 vcc, v38, v38
	v_max_f32_e32 v37, v37, v68
	s_nop 0
	v_cndmask_b32_e32 v39, v39, v38, vcc
	v_cndmask_b32_e32 v37, v37, v38, vcc
	v_cndmask_b32_e64 v39, v39, v54, s[10:11]
	v_cndmask_b32_e64 v37, v37, v54, s[10:11]
	v_cmp_neq_f32_e32 vcc, v39, v37
	v_cmp_class_f32_e64 s[2:3], v39, s4
	s_or_b64 s[6:7], vcc, s[2:3]
	s_and_saveexec_b64 s[2:3], s[6:7]
	s_cbranch_execz .LBB451_226
; %bb.225:
	v_sub_f32_e32 v38, v39, v37
	s_mov_b32 s4, 0x3fb8aa3b
	v_mul_f32_e32 v39, 0x3fb8aa3b, v38
	v_fma_f32 v49, v38, s4, -v39
	v_rndne_f32_e32 v50, v39
	v_fmamk_f32 v49, v38, 0x32a5705f, v49
	v_sub_f32_e32 v39, v39, v50
	v_add_f32_e32 v39, v39, v49
	v_exp_f32_e32 v39, v39
	v_cvt_i32_f32_e32 v49, v50
	s_mov_b32 s4, 0xc2ce8ed0
	v_cmp_ngt_f32_e32 vcc, s4, v38
	s_mov_b32 s4, 0x42b17218
	v_ldexp_f32 v39, v39, v49
	v_cndmask_b32_e32 v39, 0, v39, vcc
	v_mov_b32_e32 v49, 0x7f800000
	v_cmp_nlt_f32_e32 vcc, s4, v38
	s_mov_b32 s4, 0x3f2aaaab
	s_mov_b32 s6, 0x7f800000
	v_cndmask_b32_e32 v64, v49, v39, vcc
	v_add_f32_e32 v49, 1.0, v64
	v_add_f32_e32 v38, -1.0, v49
	v_sub_f32_e32 v39, v38, v49
	v_add_f32_e32 v39, 1.0, v39
	v_sub_f32_e32 v38, v64, v38
	v_add_f32_e32 v50, v38, v39
	v_frexp_mant_f32_e32 v51, v49
	v_cvt_f64_f32_e32 v[38:39], v49
	v_frexp_exp_i32_f64_e32 v38, v[38:39]
	v_cmp_gt_f32_e32 vcc, s4, v51
	s_mov_b32 s4, 0x3f317218
	s_nop 0
	v_subbrev_co_u32_e32 v67, vcc, 0, v38, vcc
	v_sub_u32_e32 v38, 0, v67
	v_ldexp_f32 v39, v49, v38
	v_add_f32_e32 v49, -1.0, v39
	v_add_f32_e32 v51, 1.0, v39
	v_ldexp_f32 v38, v50, v38
	v_add_f32_e32 v50, 1.0, v49
	v_add_f32_e32 v52, -1.0, v51
	v_sub_f32_e32 v50, v39, v50
	v_sub_f32_e32 v39, v39, v52
	v_add_f32_e32 v50, v38, v50
	v_add_f32_e32 v38, v38, v39
	;; [unrolled: 1-line block ×3, first 2 shown]
	v_rcp_f32_e32 v144, v68
	v_sub_f32_e32 v39, v51, v68
	v_add_f32_e32 v135, v38, v39
	v_add_f32_e32 v39, v49, v50
	v_sub_f32_e32 v38, v49, v39
	v_mul_f32_e32 v145, v39, v144
	v_add_f32_e32 v49, v50, v38
	v_mul_f32_e32 v50, v68, v145
	v_fma_f32 v52, v145, v68, -v50
	v_fmac_f32_e32 v52, v145, v135
	v_add_f32_e32 v38, v50, v52
	v_sub_f32_e32 v51, v39, v38
	v_pk_add_f32 v[54:55], v[38:39], v[50:51] neg_lo:[0,1] neg_hi:[0,1]
	v_mov_b32_e32 v53, v38
	v_pk_add_f32 v[38:39], v[54:55], v[52:53] neg_lo:[0,1] neg_hi:[0,1]
	v_cmp_eq_f32_e32 vcc, s6, v64
	v_add_f32_e32 v39, v49, v39
	v_add_f32_e32 v38, v38, v39
	;; [unrolled: 1-line block ×3, first 2 shown]
	v_mul_f32_e32 v49, v144, v39
	v_mul_f32_e32 v50, v68, v49
	v_fma_f32 v52, v49, v68, -v50
	v_fmac_f32_e32 v52, v49, v135
	v_sub_f32_e32 v51, v51, v39
	v_add_f32_e32 v68, v38, v51
	v_add_f32_e32 v38, v50, v52
	v_sub_f32_e32 v51, v39, v38
	v_pk_add_f32 v[54:55], v[38:39], v[50:51] neg_lo:[0,1] neg_hi:[0,1]
	v_mov_b32_e32 v53, v38
	v_pk_add_f32 v[38:39], v[54:55], v[52:53] neg_lo:[0,1] neg_hi:[0,1]
	v_cvt_f32_i32_e32 v50, v67
	v_add_f32_e32 v39, v68, v39
	v_add_f32_e32 v38, v38, v39
	;; [unrolled: 1-line block ×4, first 2 shown]
	v_sub_f32_e32 v39, v51, v145
	v_mul_f32_e32 v38, v144, v38
	v_sub_f32_e32 v39, v49, v39
	v_add_f32_e32 v38, v39, v38
	v_add_f32_e32 v49, v51, v38
	v_mul_f32_e32 v52, v49, v49
	v_mov_b32_e32 v39, 0x3ecc95a3
	v_sub_f32_e32 v51, v49, v51
	v_fmac_f32_e32 v39, 0x3e9b6dac, v52
	v_sub_f32_e32 v38, v38, v51
	v_fmaak_f32 v39, v52, v39, 0x3f2aaada
	v_ldexp_f32 v54, v38, 1
	v_mul_f32_e32 v51, v49, v52
	v_mov_b32_e32 v38, 0x3f317218
	v_pk_mul_f32 v[38:39], v[50:51], v[38:39]
	v_ldexp_f32 v53, v49, 1
	v_fma_f32 v49, v50, s4, -v38
	v_fmamk_f32 v52, v50, 0xb102e308, v49
	v_pk_add_f32 v[50:51], v[38:39], v[52:53]
	s_mov_b32 s4, 0x33800000
	v_sub_f32_e32 v49, v51, v53
	v_sub_f32_e32 v49, v39, v49
	v_add_f32_e32 v55, v54, v49
	v_mov_b32_e32 v54, v38
	v_pk_add_f32 v[38:39], v[50:51], v[38:39] neg_lo:[0,1] neg_hi:[0,1]
	v_pk_add_f32 v[144:145], v[50:51], v[54:55]
	v_mov_b32_e32 v53, v50
	v_mov_b32_e32 v39, v145
	v_pk_add_f32 v[146:147], v[52:53], v[38:39] neg_lo:[0,1] neg_hi:[0,1]
	v_pk_add_f32 v[38:39], v[52:53], v[38:39]
	v_mov_b32_e32 v54, v55
	v_mov_b32_e32 v52, v39
	v_pk_add_f32 v[148:149], v[52:53], v[50:51] neg_lo:[0,1] neg_hi:[0,1]
	v_mov_b32_e32 v38, v145
	v_mov_b32_e32 v49, v148
	v_pk_add_f32 v[150:151], v[144:145], v[48:49] neg_lo:[0,1] neg_hi:[0,1]
	v_mov_b32_e32 v144, v51
	v_mov_b32_e32 v145, v148
	;; [unrolled: 1-line block ×3, first 2 shown]
	v_pk_add_f32 v[38:39], v[38:39], v[144:145] neg_lo:[0,1] neg_hi:[0,1]
	v_mov_b32_e32 v55, v50
	v_pk_add_f32 v[38:39], v[54:55], v[38:39] neg_lo:[0,1] neg_hi:[0,1]
	v_mov_b32_e32 v150, v146
	v_pk_add_f32 v[50:51], v[150:151], v[38:39]
	v_cmp_lt_f32_e64 s[6:7], |v64|, s4
	v_mov_b32_e32 v54, v51
	v_pk_add_f32 v[54:55], v[50:51], v[54:55]
	s_or_b64 vcc, vcc, s[6:7]
	v_pk_add_f32 v[52:53], v[52:53], v[54:55]
	v_mov_b32_e32 v39, v54
	v_mov_b32_e32 v51, v52
	v_pk_add_f32 v[144:145], v[50:51], v[146:147] neg_lo:[0,1] neg_hi:[0,1]
	s_nop 0
	v_sub_f32_e32 v49, v50, v144
	v_pk_add_f32 v[38:39], v[38:39], v[144:145] neg_lo:[0,1] neg_hi:[0,1]
	v_sub_f32_e32 v49, v146, v49
	v_add_f32_e32 v38, v38, v49
	v_add_f32_e32 v38, v38, v39
	;; [unrolled: 1-line block ×3, first 2 shown]
	v_cndmask_b32_e32 v38, v38, v64, vcc
	v_add_f32_e32 v38, v37, v38
.LBB451_226:
	s_or_b64 exec, exec, s[2:3]
	v_bfe_u32 v37, v38, 16, 1
	v_add3_u32 v37, v38, v37, s5
	v_lshrrev_b32_e32 v37, 16, v37
	v_cmp_o_f32_e32 vcc, v38, v38
	s_movk_i32 s4, 0x1f8
	s_nop 0
	v_cndmask_b32_e32 v36, v36, v37, vcc
	v_lshlrev_b32_e32 v39, 16, v36
	v_max_f32_e32 v37, v39, v39
	v_min_f32_e32 v38, v37, v71
	v_cmp_u_f32_e32 vcc, v39, v39
	v_max_f32_e32 v37, v37, v71
	s_nop 0
	v_cndmask_b32_e32 v38, v38, v39, vcc
	v_cndmask_b32_e32 v37, v37, v39, vcc
	v_cndmask_b32_e64 v38, v38, v65, s[54:55]
	v_cndmask_b32_e64 v37, v37, v65, s[54:55]
	v_cmp_neq_f32_e32 vcc, v38, v37
	v_cmp_class_f32_e64 s[2:3], v38, s4
	s_or_b64 s[6:7], vcc, s[2:3]
	s_and_saveexec_b64 s[2:3], s[6:7]
	s_cbranch_execz .LBB451_228
; %bb.227:
	v_sub_f32_e32 v38, v38, v37
	s_mov_b32 s5, 0x3fb8aa3b
	v_mul_f32_e32 v39, 0x3fb8aa3b, v38
	v_fma_f32 v49, v38, s5, -v39
	v_rndne_f32_e32 v50, v39
	v_fmamk_f32 v49, v38, 0x32a5705f, v49
	v_sub_f32_e32 v39, v39, v50
	v_add_f32_e32 v39, v39, v49
	v_exp_f32_e32 v39, v39
	v_cvt_i32_f32_e32 v49, v50
	s_mov_b32 s5, 0xc2ce8ed0
	v_cmp_ngt_f32_e32 vcc, s5, v38
	s_mov_b32 s5, 0x42b17218
	v_ldexp_f32 v39, v39, v49
	v_cndmask_b32_e32 v39, 0, v39, vcc
	v_mov_b32_e32 v49, 0x7f800000
	v_cmp_nlt_f32_e32 vcc, s5, v38
	s_mov_b32 s5, 0x3f2aaaab
	s_mov_b32 s6, 0x7f800000
	v_cndmask_b32_e32 v67, v49, v39, vcc
	v_add_f32_e32 v49, 1.0, v67
	v_add_f32_e32 v38, -1.0, v49
	v_sub_f32_e32 v39, v38, v49
	v_add_f32_e32 v39, 1.0, v39
	v_sub_f32_e32 v38, v67, v38
	v_add_f32_e32 v50, v38, v39
	v_frexp_mant_f32_e32 v51, v49
	v_cvt_f64_f32_e32 v[38:39], v49
	v_frexp_exp_i32_f64_e32 v38, v[38:39]
	v_cmp_gt_f32_e32 vcc, s5, v51
	s_mov_b32 s5, 0x3f317218
	s_nop 0
	v_subbrev_co_u32_e32 v64, vcc, 0, v38, vcc
	v_sub_u32_e32 v38, 0, v64
	v_ldexp_f32 v39, v49, v38
	v_add_f32_e32 v49, -1.0, v39
	v_add_f32_e32 v51, 1.0, v39
	v_ldexp_f32 v38, v50, v38
	v_add_f32_e32 v50, 1.0, v49
	v_add_f32_e32 v52, -1.0, v51
	v_sub_f32_e32 v50, v39, v50
	v_sub_f32_e32 v39, v39, v52
	v_add_f32_e32 v50, v38, v50
	v_add_f32_e32 v38, v38, v39
	;; [unrolled: 1-line block ×3, first 2 shown]
	v_rcp_f32_e32 v71, v65
	v_sub_f32_e32 v39, v51, v65
	v_add_f32_e32 v68, v38, v39
	v_add_f32_e32 v39, v49, v50
	v_sub_f32_e32 v38, v49, v39
	v_mul_f32_e32 v135, v39, v71
	v_add_f32_e32 v49, v50, v38
	v_mul_f32_e32 v50, v65, v135
	v_fma_f32 v52, v135, v65, -v50
	v_fmac_f32_e32 v52, v135, v68
	v_add_f32_e32 v38, v50, v52
	v_sub_f32_e32 v51, v39, v38
	v_pk_add_f32 v[54:55], v[38:39], v[50:51] neg_lo:[0,1] neg_hi:[0,1]
	v_mov_b32_e32 v53, v38
	v_pk_add_f32 v[38:39], v[54:55], v[52:53] neg_lo:[0,1] neg_hi:[0,1]
	v_cmp_eq_f32_e32 vcc, s6, v67
	v_add_f32_e32 v39, v49, v39
	v_add_f32_e32 v38, v38, v39
	;; [unrolled: 1-line block ×3, first 2 shown]
	v_mul_f32_e32 v49, v71, v39
	v_mul_f32_e32 v50, v65, v49
	v_fma_f32 v52, v49, v65, -v50
	v_fmac_f32_e32 v52, v49, v68
	v_sub_f32_e32 v51, v51, v39
	v_add_f32_e32 v65, v38, v51
	v_add_f32_e32 v38, v50, v52
	v_sub_f32_e32 v51, v39, v38
	v_pk_add_f32 v[54:55], v[38:39], v[50:51] neg_lo:[0,1] neg_hi:[0,1]
	v_mov_b32_e32 v53, v38
	v_pk_add_f32 v[38:39], v[54:55], v[52:53] neg_lo:[0,1] neg_hi:[0,1]
	v_cvt_f32_i32_e32 v50, v64
	v_add_f32_e32 v39, v65, v39
	v_add_f32_e32 v38, v38, v39
	;; [unrolled: 1-line block ×4, first 2 shown]
	v_sub_f32_e32 v39, v51, v135
	v_mul_f32_e32 v38, v71, v38
	v_sub_f32_e32 v39, v49, v39
	v_add_f32_e32 v38, v39, v38
	v_add_f32_e32 v49, v51, v38
	v_mul_f32_e32 v52, v49, v49
	v_mov_b32_e32 v39, 0x3ecc95a3
	v_sub_f32_e32 v51, v49, v51
	v_fmac_f32_e32 v39, 0x3e9b6dac, v52
	v_sub_f32_e32 v38, v38, v51
	v_fmaak_f32 v39, v52, v39, 0x3f2aaada
	v_ldexp_f32 v54, v38, 1
	v_mul_f32_e32 v51, v49, v52
	v_mov_b32_e32 v38, 0x3f317218
	v_pk_mul_f32 v[38:39], v[50:51], v[38:39]
	v_ldexp_f32 v53, v49, 1
	v_fma_f32 v49, v50, s5, -v38
	v_fmamk_f32 v52, v50, 0xb102e308, v49
	v_pk_add_f32 v[50:51], v[38:39], v[52:53]
	s_mov_b32 s5, 0x33800000
	v_sub_f32_e32 v49, v51, v53
	v_sub_f32_e32 v49, v39, v49
	v_add_f32_e32 v55, v54, v49
	v_mov_b32_e32 v54, v38
	v_pk_add_f32 v[38:39], v[50:51], v[38:39] neg_lo:[0,1] neg_hi:[0,1]
	v_pk_add_f32 v[64:65], v[50:51], v[54:55]
	v_mov_b32_e32 v53, v50
	v_mov_b32_e32 v39, v65
	v_pk_add_f32 v[144:145], v[52:53], v[38:39] neg_lo:[0,1] neg_hi:[0,1]
	v_pk_add_f32 v[38:39], v[52:53], v[38:39]
	v_mov_b32_e32 v54, v55
	v_mov_b32_e32 v52, v39
	v_pk_add_f32 v[146:147], v[52:53], v[50:51] neg_lo:[0,1] neg_hi:[0,1]
	v_mov_b32_e32 v38, v65
	v_mov_b32_e32 v49, v146
	v_pk_add_f32 v[148:149], v[64:65], v[48:49] neg_lo:[0,1] neg_hi:[0,1]
	v_mov_b32_e32 v64, v51
	v_mov_b32_e32 v65, v146
	;; [unrolled: 1-line block ×3, first 2 shown]
	v_pk_add_f32 v[38:39], v[38:39], v[64:65] neg_lo:[0,1] neg_hi:[0,1]
	v_mov_b32_e32 v55, v50
	v_pk_add_f32 v[38:39], v[54:55], v[38:39] neg_lo:[0,1] neg_hi:[0,1]
	v_mov_b32_e32 v148, v144
	v_pk_add_f32 v[50:51], v[148:149], v[38:39]
	v_cmp_lt_f32_e64 s[6:7], |v67|, s5
	v_mov_b32_e32 v54, v51
	v_pk_add_f32 v[54:55], v[50:51], v[54:55]
	s_or_b64 vcc, vcc, s[6:7]
	v_pk_add_f32 v[52:53], v[52:53], v[54:55]
	v_mov_b32_e32 v39, v54
	v_mov_b32_e32 v51, v52
	v_pk_add_f32 v[64:65], v[50:51], v[144:145] neg_lo:[0,1] neg_hi:[0,1]
	s_nop 0
	v_sub_f32_e32 v49, v50, v64
	v_pk_add_f32 v[38:39], v[38:39], v[64:65] neg_lo:[0,1] neg_hi:[0,1]
	v_sub_f32_e32 v49, v144, v49
	v_add_f32_e32 v38, v38, v49
	v_add_f32_e32 v38, v38, v39
	;; [unrolled: 1-line block ×3, first 2 shown]
	v_cndmask_b32_e32 v38, v38, v67, vcc
	v_add_f32_e32 v39, v37, v38
.LBB451_228:
	s_or_b64 exec, exec, s[2:3]
	v_bfe_u32 v37, v39, 16, 1
	s_movk_i32 s5, 0x7fff
	v_add3_u32 v37, v39, v37, s5
	v_lshrrev_b32_e32 v37, 16, v37
	v_mov_b32_e32 v38, 0x7fc0
	v_cmp_o_f32_e32 vcc, v39, v39
	s_nop 1
	v_cndmask_b32_e32 v37, v38, v37, vcc
	v_lshlrev_b32_e32 v49, 16, v37
	v_max_f32_e32 v39, v49, v49
	v_min_f32_e32 v50, v39, v80
	v_cmp_u_f32_e32 vcc, v49, v49
	v_max_f32_e32 v39, v39, v80
	s_nop 0
	v_cndmask_b32_e32 v50, v50, v49, vcc
	v_cndmask_b32_e32 v39, v39, v49, vcc
	v_cndmask_b32_e64 v50, v50, v66, s[14:15]
	v_cndmask_b32_e64 v39, v39, v66, s[14:15]
	v_cmp_neq_f32_e32 vcc, v50, v39
	v_cmp_class_f32_e64 s[2:3], v50, s4
	s_or_b64 s[6:7], vcc, s[2:3]
	s_and_saveexec_b64 s[2:3], s[6:7]
	s_cbranch_execz .LBB451_230
; %bb.229:
	v_sub_f32_e32 v49, v50, v39
	s_mov_b32 s4, 0x3fb8aa3b
	v_mul_f32_e32 v50, 0x3fb8aa3b, v49
	v_fma_f32 v51, v49, s4, -v50
	v_rndne_f32_e32 v52, v50
	v_fmamk_f32 v51, v49, 0x32a5705f, v51
	v_sub_f32_e32 v50, v50, v52
	v_add_f32_e32 v50, v50, v51
	v_exp_f32_e32 v50, v50
	v_cvt_i32_f32_e32 v51, v52
	s_mov_b32 s4, 0xc2ce8ed0
	v_cmp_ngt_f32_e32 vcc, s4, v49
	s_mov_b32 s4, 0x42b17218
	v_ldexp_f32 v50, v50, v51
	v_cndmask_b32_e32 v50, 0, v50, vcc
	v_mov_b32_e32 v51, 0x7f800000
	v_cmp_nlt_f32_e32 vcc, s4, v49
	s_mov_b32 s4, 0x3f2aaaab
	s_mov_b32 s6, 0x7f800000
	v_cndmask_b32_e32 v68, v51, v50, vcc
	v_add_f32_e32 v49, 1.0, v68
	v_add_f32_e32 v50, -1.0, v49
	v_sub_f32_e32 v51, v50, v49
	v_add_f32_e32 v51, 1.0, v51
	v_sub_f32_e32 v50, v68, v50
	v_add_f32_e32 v52, v50, v51
	v_frexp_mant_f32_e32 v53, v49
	v_cvt_f64_f32_e32 v[50:51], v49
	v_frexp_exp_i32_f64_e32 v50, v[50:51]
	v_cmp_gt_f32_e32 vcc, s4, v53
	s_mov_b32 s4, 0x3f317218
	s_nop 0
	v_subbrev_co_u32_e32 v66, vcc, 0, v50, vcc
	v_sub_u32_e32 v50, 0, v66
	v_ldexp_f32 v49, v49, v50
	v_ldexp_f32 v50, v52, v50
	v_add_f32_e32 v52, -1.0, v49
	v_add_f32_e32 v51, 1.0, v52
	v_sub_f32_e32 v51, v49, v51
	v_add_f32_e32 v53, v50, v51
	v_add_f32_e32 v51, 1.0, v49
	v_add_f32_e32 v54, -1.0, v51
	v_sub_f32_e32 v49, v49, v54
	v_add_f32_e32 v49, v50, v49
	v_add_f32_e32 v67, v51, v49
	v_rcp_f32_e32 v71, v67
	v_sub_f32_e32 v50, v51, v67
	v_add_f32_e32 v51, v52, v53
	v_add_f32_e32 v49, v49, v50
	v_mul_f32_e32 v135, v51, v71
	v_sub_f32_e32 v50, v52, v51
	v_mul_f32_e32 v52, v67, v135
	v_fma_f32 v54, v135, v67, -v52
	v_fmac_f32_e32 v54, v135, v49
	v_add_f32_e32 v80, v53, v50
	v_add_f32_e32 v50, v52, v54
	v_sub_f32_e32 v53, v51, v50
	v_pk_add_f32 v[64:65], v[50:51], v[52:53] neg_lo:[0,1] neg_hi:[0,1]
	v_mov_b32_e32 v55, v50
	v_pk_add_f32 v[50:51], v[64:65], v[54:55] neg_lo:[0,1] neg_hi:[0,1]
	v_cmp_eq_f32_e32 vcc, s6, v68
	v_add_f32_e32 v51, v80, v51
	v_add_f32_e32 v50, v50, v51
	v_add_f32_e32 v51, v53, v50
	v_mul_f32_e32 v80, v71, v51
	v_mul_f32_e32 v52, v67, v80
	v_fma_f32 v54, v80, v67, -v52
	v_fmac_f32_e32 v54, v80, v49
	v_sub_f32_e32 v49, v53, v51
	v_add_f32_e32 v49, v50, v49
	v_add_f32_e32 v50, v52, v54
	v_sub_f32_e32 v53, v51, v50
	v_pk_add_f32 v[64:65], v[50:51], v[52:53] neg_lo:[0,1] neg_hi:[0,1]
	v_mov_b32_e32 v55, v50
	v_pk_add_f32 v[50:51], v[64:65], v[54:55] neg_lo:[0,1] neg_hi:[0,1]
	v_cvt_f32_i32_e32 v52, v66
	v_add_f32_e32 v49, v49, v51
	v_add_f32_e32 v49, v50, v49
	;; [unrolled: 1-line block ×4, first 2 shown]
	v_sub_f32_e32 v51, v50, v135
	v_mul_f32_e32 v49, v71, v49
	v_sub_f32_e32 v51, v80, v51
	v_add_f32_e32 v49, v51, v49
	v_add_f32_e32 v53, v50, v49
	v_mul_f32_e32 v54, v53, v53
	v_mov_b32_e32 v51, 0x3ecc95a3
	v_fmac_f32_e32 v51, 0x3e9b6dac, v54
	v_sub_f32_e32 v50, v53, v50
	v_fmaak_f32 v51, v54, v51, 0x3f2aaada
	v_sub_f32_e32 v49, v49, v50
	v_ldexp_f32 v55, v53, 1
	v_mul_f32_e32 v53, v53, v54
	v_mov_b32_e32 v50, 0x3f317218
	v_pk_mul_f32 v[50:51], v[52:53], v[50:51]
	v_ldexp_f32 v49, v49, 1
	v_fma_f32 v53, v52, s4, -v50
	v_fmamk_f32 v54, v52, 0xb102e308, v53
	v_pk_add_f32 v[52:53], v[50:51], v[54:55]
	v_mov_b32_e32 v64, v50
	v_sub_f32_e32 v55, v53, v55
	v_sub_f32_e32 v55, v51, v55
	v_add_f32_e32 v65, v49, v55
	v_pk_add_f32 v[50:51], v[52:53], v[50:51] neg_lo:[0,1] neg_hi:[0,1]
	v_pk_add_f32 v[66:67], v[52:53], v[64:65]
	v_mov_b32_e32 v55, v52
	v_mov_b32_e32 v51, v67
	v_pk_add_f32 v[144:145], v[54:55], v[50:51] neg_lo:[0,1] neg_hi:[0,1]
	v_pk_add_f32 v[50:51], v[54:55], v[50:51]
	v_mov_b32_e32 v64, v65
	v_mov_b32_e32 v54, v51
	v_pk_add_f32 v[146:147], v[54:55], v[52:53] neg_lo:[0,1] neg_hi:[0,1]
	v_mov_b32_e32 v50, v67
	v_mov_b32_e32 v49, v146
	v_pk_add_f32 v[148:149], v[66:67], v[48:49] neg_lo:[0,1] neg_hi:[0,1]
	v_mov_b32_e32 v66, v53
	v_mov_b32_e32 v67, v146
	;; [unrolled: 1-line block ×3, first 2 shown]
	v_pk_add_f32 v[50:51], v[50:51], v[66:67] neg_lo:[0,1] neg_hi:[0,1]
	v_mov_b32_e32 v65, v52
	v_pk_add_f32 v[50:51], v[64:65], v[50:51] neg_lo:[0,1] neg_hi:[0,1]
	v_mov_b32_e32 v148, v144
	v_pk_add_f32 v[52:53], v[148:149], v[50:51]
	s_mov_b32 s4, 0x33800000
	v_mov_b32_e32 v64, v53
	v_pk_add_f32 v[64:65], v[52:53], v[64:65]
	v_cmp_lt_f32_e64 s[6:7], |v68|, s4
	v_pk_add_f32 v[54:55], v[54:55], v[64:65]
	v_mov_b32_e32 v51, v64
	v_mov_b32_e32 v53, v54
	v_pk_add_f32 v[66:67], v[52:53], v[144:145] neg_lo:[0,1] neg_hi:[0,1]
	s_or_b64 vcc, vcc, s[6:7]
	v_sub_f32_e32 v49, v52, v66
	v_pk_add_f32 v[50:51], v[50:51], v[66:67] neg_lo:[0,1] neg_hi:[0,1]
	v_sub_f32_e32 v49, v144, v49
	v_add_f32_e32 v49, v50, v49
	v_add_f32_e32 v49, v49, v51
	;; [unrolled: 1-line block ×3, first 2 shown]
	v_cndmask_b32_e32 v49, v49, v68, vcc
	v_add_f32_e32 v49, v39, v49
.LBB451_230:
	s_or_b64 exec, exec, s[2:3]
	v_bfe_u32 v39, v49, 16, 1
	v_add3_u32 v39, v49, v39, s5
	v_lshrrev_b32_e32 v39, 16, v39
	v_cmp_o_f32_e32 vcc, v49, v49
	s_movk_i32 s4, 0x1f8
	s_nop 0
	v_cndmask_b32_e32 v39, v38, v39, vcc
	v_lshlrev_b32_e32 v50, 16, v39
	v_max_f32_e32 v38, v50, v50
	v_min_f32_e32 v49, v38, v83
	v_cmp_u_f32_e32 vcc, v50, v50
	v_max_f32_e32 v38, v38, v83
	s_nop 0
	v_cndmask_b32_e32 v49, v49, v50, vcc
	v_cndmask_b32_e32 v38, v38, v50, vcc
	v_cndmask_b32_e64 v49, v49, v69, s[16:17]
	v_cndmask_b32_e64 v38, v38, v69, s[16:17]
	v_cmp_neq_f32_e32 vcc, v49, v38
	v_cmp_class_f32_e64 s[2:3], v49, s4
	s_or_b64 s[6:7], vcc, s[2:3]
	s_and_saveexec_b64 s[2:3], s[6:7]
	s_cbranch_execz .LBB451_232
; %bb.231:
	v_sub_f32_e32 v49, v49, v38
	s_mov_b32 s5, 0x3fb8aa3b
	v_mul_f32_e32 v50, 0x3fb8aa3b, v49
	v_fma_f32 v51, v49, s5, -v50
	v_rndne_f32_e32 v52, v50
	v_fmamk_f32 v51, v49, 0x32a5705f, v51
	v_sub_f32_e32 v50, v50, v52
	v_add_f32_e32 v50, v50, v51
	v_exp_f32_e32 v50, v50
	v_cvt_i32_f32_e32 v51, v52
	s_mov_b32 s5, 0xc2ce8ed0
	v_cmp_ngt_f32_e32 vcc, s5, v49
	s_mov_b32 s5, 0x42b17218
	v_ldexp_f32 v50, v50, v51
	v_cndmask_b32_e32 v50, 0, v50, vcc
	v_mov_b32_e32 v51, 0x7f800000
	v_cmp_nlt_f32_e32 vcc, s5, v49
	s_mov_b32 s5, 0x3f2aaaab
	s_mov_b32 s6, 0x7f800000
	v_cndmask_b32_e32 v71, v51, v50, vcc
	v_add_f32_e32 v49, 1.0, v71
	v_add_f32_e32 v50, -1.0, v49
	v_sub_f32_e32 v51, v50, v49
	v_add_f32_e32 v51, 1.0, v51
	v_sub_f32_e32 v50, v71, v50
	v_add_f32_e32 v52, v50, v51
	v_frexp_mant_f32_e32 v53, v49
	v_cvt_f64_f32_e32 v[50:51], v49
	v_frexp_exp_i32_f64_e32 v50, v[50:51]
	v_cmp_gt_f32_e32 vcc, s5, v53
	s_mov_b32 s5, 0x3f317218
	s_nop 0
	v_subbrev_co_u32_e32 v66, vcc, 0, v50, vcc
	v_sub_u32_e32 v50, 0, v66
	v_ldexp_f32 v49, v49, v50
	v_ldexp_f32 v50, v52, v50
	v_add_f32_e32 v52, -1.0, v49
	v_add_f32_e32 v51, 1.0, v52
	v_sub_f32_e32 v51, v49, v51
	v_add_f32_e32 v53, v50, v51
	v_add_f32_e32 v51, 1.0, v49
	v_add_f32_e32 v54, -1.0, v51
	v_sub_f32_e32 v49, v49, v54
	v_add_f32_e32 v49, v50, v49
	v_add_f32_e32 v67, v51, v49
	v_rcp_f32_e32 v68, v67
	v_sub_f32_e32 v50, v51, v67
	v_add_f32_e32 v51, v52, v53
	v_add_f32_e32 v49, v49, v50
	v_mul_f32_e32 v80, v51, v68
	v_sub_f32_e32 v50, v52, v51
	v_mul_f32_e32 v52, v67, v80
	v_fma_f32 v54, v80, v67, -v52
	v_fmac_f32_e32 v54, v80, v49
	v_add_f32_e32 v69, v53, v50
	v_add_f32_e32 v50, v52, v54
	v_sub_f32_e32 v53, v51, v50
	v_pk_add_f32 v[64:65], v[50:51], v[52:53] neg_lo:[0,1] neg_hi:[0,1]
	v_mov_b32_e32 v55, v50
	v_pk_add_f32 v[50:51], v[64:65], v[54:55] neg_lo:[0,1] neg_hi:[0,1]
	v_cmp_eq_f32_e32 vcc, s6, v71
	v_add_f32_e32 v51, v69, v51
	v_add_f32_e32 v50, v50, v51
	v_add_f32_e32 v51, v53, v50
	v_mul_f32_e32 v69, v68, v51
	v_mul_f32_e32 v52, v67, v69
	v_fma_f32 v54, v69, v67, -v52
	v_fmac_f32_e32 v54, v69, v49
	v_sub_f32_e32 v49, v53, v51
	v_add_f32_e32 v49, v50, v49
	v_add_f32_e32 v50, v52, v54
	v_sub_f32_e32 v53, v51, v50
	v_pk_add_f32 v[64:65], v[50:51], v[52:53] neg_lo:[0,1] neg_hi:[0,1]
	v_mov_b32_e32 v55, v50
	v_pk_add_f32 v[50:51], v[64:65], v[54:55] neg_lo:[0,1] neg_hi:[0,1]
	v_cvt_f32_i32_e32 v52, v66
	v_add_f32_e32 v49, v49, v51
	v_add_f32_e32 v49, v50, v49
	;; [unrolled: 1-line block ×4, first 2 shown]
	v_sub_f32_e32 v51, v50, v80
	v_mul_f32_e32 v49, v68, v49
	v_sub_f32_e32 v51, v69, v51
	v_add_f32_e32 v49, v51, v49
	v_add_f32_e32 v53, v50, v49
	v_mul_f32_e32 v54, v53, v53
	v_mov_b32_e32 v51, 0x3ecc95a3
	v_fmac_f32_e32 v51, 0x3e9b6dac, v54
	v_sub_f32_e32 v50, v53, v50
	v_fmaak_f32 v51, v54, v51, 0x3f2aaada
	v_sub_f32_e32 v49, v49, v50
	v_ldexp_f32 v55, v53, 1
	v_mul_f32_e32 v53, v53, v54
	v_mov_b32_e32 v50, 0x3f317218
	v_pk_mul_f32 v[50:51], v[52:53], v[50:51]
	v_ldexp_f32 v49, v49, 1
	v_fma_f32 v53, v52, s5, -v50
	v_fmamk_f32 v54, v52, 0xb102e308, v53
	v_pk_add_f32 v[52:53], v[50:51], v[54:55]
	v_mov_b32_e32 v64, v50
	v_sub_f32_e32 v55, v53, v55
	v_sub_f32_e32 v55, v51, v55
	v_add_f32_e32 v65, v49, v55
	v_pk_add_f32 v[50:51], v[52:53], v[50:51] neg_lo:[0,1] neg_hi:[0,1]
	v_pk_add_f32 v[66:67], v[52:53], v[64:65]
	v_mov_b32_e32 v55, v52
	v_mov_b32_e32 v51, v67
	v_pk_add_f32 v[68:69], v[54:55], v[50:51] neg_lo:[0,1] neg_hi:[0,1]
	v_pk_add_f32 v[50:51], v[54:55], v[50:51]
	v_mov_b32_e32 v64, v65
	v_mov_b32_e32 v54, v51
	v_pk_add_f32 v[144:145], v[54:55], v[52:53] neg_lo:[0,1] neg_hi:[0,1]
	v_mov_b32_e32 v50, v67
	v_mov_b32_e32 v49, v144
	v_pk_add_f32 v[146:147], v[66:67], v[48:49] neg_lo:[0,1] neg_hi:[0,1]
	v_mov_b32_e32 v66, v53
	v_mov_b32_e32 v67, v144
	;; [unrolled: 1-line block ×3, first 2 shown]
	v_pk_add_f32 v[50:51], v[50:51], v[66:67] neg_lo:[0,1] neg_hi:[0,1]
	v_mov_b32_e32 v65, v52
	v_pk_add_f32 v[50:51], v[64:65], v[50:51] neg_lo:[0,1] neg_hi:[0,1]
	v_mov_b32_e32 v146, v68
	v_pk_add_f32 v[52:53], v[146:147], v[50:51]
	s_mov_b32 s5, 0x33800000
	v_mov_b32_e32 v64, v53
	v_pk_add_f32 v[64:65], v[52:53], v[64:65]
	v_cmp_lt_f32_e64 s[6:7], |v71|, s5
	v_pk_add_f32 v[54:55], v[54:55], v[64:65]
	v_mov_b32_e32 v51, v64
	v_mov_b32_e32 v53, v54
	v_pk_add_f32 v[66:67], v[52:53], v[68:69] neg_lo:[0,1] neg_hi:[0,1]
	s_or_b64 vcc, vcc, s[6:7]
	v_sub_f32_e32 v49, v52, v66
	v_pk_add_f32 v[50:51], v[50:51], v[66:67] neg_lo:[0,1] neg_hi:[0,1]
	v_sub_f32_e32 v49, v68, v49
	v_add_f32_e32 v49, v50, v49
	v_add_f32_e32 v49, v49, v51
	;; [unrolled: 1-line block ×3, first 2 shown]
	v_cndmask_b32_e32 v49, v49, v71, vcc
	v_add_f32_e32 v50, v38, v49
.LBB451_232:
	s_or_b64 exec, exec, s[2:3]
	v_bfe_u32 v38, v50, 16, 1
	s_movk_i32 s5, 0x7fff
	v_add3_u32 v38, v50, v38, s5
	v_lshrrev_b32_e32 v38, 16, v38
	v_mov_b32_e32 v49, 0x7fc0
	v_cmp_o_f32_e32 vcc, v50, v50
	s_nop 1
	v_cndmask_b32_e32 v38, v49, v38, vcc
	v_lshlrev_b32_e32 v51, 16, v38
	v_max_f32_e32 v50, v51, v51
	v_min_f32_e32 v52, v50, v84
	v_cmp_u_f32_e32 vcc, v51, v51
	v_max_f32_e32 v50, v50, v84
	s_nop 0
	v_cndmask_b32_e32 v52, v52, v51, vcc
	v_cndmask_b32_e32 v50, v50, v51, vcc
	v_cndmask_b32_e64 v52, v52, v70, s[18:19]
	v_cndmask_b32_e64 v50, v50, v70, s[18:19]
	v_cmp_neq_f32_e32 vcc, v52, v50
	v_cmp_class_f32_e64 s[2:3], v52, s4
	s_or_b64 s[6:7], vcc, s[2:3]
	s_and_saveexec_b64 s[2:3], s[6:7]
	s_cbranch_execz .LBB451_234
; %bb.233:
	v_sub_f32_e32 v51, v52, v50
	s_mov_b32 s4, 0x3fb8aa3b
	v_mul_f32_e32 v52, 0x3fb8aa3b, v51
	v_fma_f32 v53, v51, s4, -v52
	v_rndne_f32_e32 v54, v52
	v_fmamk_f32 v53, v51, 0x32a5705f, v53
	v_sub_f32_e32 v52, v52, v54
	v_add_f32_e32 v52, v52, v53
	v_exp_f32_e32 v52, v52
	v_cvt_i32_f32_e32 v53, v54
	s_mov_b32 s4, 0xc2ce8ed0
	v_cmp_ngt_f32_e32 vcc, s4, v51
	s_mov_b32 s4, 0x42b17218
	v_ldexp_f32 v52, v52, v53
	v_cndmask_b32_e32 v52, 0, v52, vcc
	v_mov_b32_e32 v53, 0x7f800000
	v_cmp_nlt_f32_e32 vcc, s4, v51
	s_mov_b32 s4, 0x3f2aaaab
	s_mov_b32 s6, 0x7f800000
	v_cndmask_b32_e32 v80, v53, v52, vcc
	v_add_f32_e32 v51, 1.0, v80
	v_add_f32_e32 v52, -1.0, v51
	v_sub_f32_e32 v53, v52, v51
	v_add_f32_e32 v53, 1.0, v53
	v_sub_f32_e32 v52, v80, v52
	v_add_f32_e32 v54, v52, v53
	v_frexp_mant_f32_e32 v55, v51
	v_cvt_f64_f32_e32 v[52:53], v51
	v_frexp_exp_i32_f64_e32 v52, v[52:53]
	v_cmp_gt_f32_e32 vcc, s4, v55
	s_mov_b32 s4, 0x3f317218
	s_nop 0
	v_subbrev_co_u32_e32 v68, vcc, 0, v52, vcc
	v_sub_u32_e32 v52, 0, v68
	v_ldexp_f32 v51, v51, v52
	v_ldexp_f32 v52, v54, v52
	v_add_f32_e32 v54, -1.0, v51
	v_add_f32_e32 v53, 1.0, v54
	v_sub_f32_e32 v53, v51, v53
	v_add_f32_e32 v55, v52, v53
	v_add_f32_e32 v53, 1.0, v51
	v_add_f32_e32 v64, -1.0, v53
	v_sub_f32_e32 v51, v51, v64
	v_add_f32_e32 v51, v52, v51
	v_add_f32_e32 v69, v53, v51
	v_rcp_f32_e32 v70, v69
	v_sub_f32_e32 v52, v53, v69
	v_add_f32_e32 v53, v54, v55
	v_add_f32_e32 v51, v51, v52
	v_mul_f32_e32 v83, v53, v70
	v_sub_f32_e32 v52, v54, v53
	v_mul_f32_e32 v54, v69, v83
	v_fma_f32 v64, v83, v69, -v54
	v_fmac_f32_e32 v64, v83, v51
	v_add_f32_e32 v71, v55, v52
	v_add_f32_e32 v52, v54, v64
	v_sub_f32_e32 v55, v53, v52
	v_pk_add_f32 v[66:67], v[52:53], v[54:55] neg_lo:[0,1] neg_hi:[0,1]
	v_mov_b32_e32 v65, v52
	v_pk_add_f32 v[52:53], v[66:67], v[64:65] neg_lo:[0,1] neg_hi:[0,1]
	v_cmp_eq_f32_e32 vcc, s6, v80
	v_add_f32_e32 v53, v71, v53
	v_add_f32_e32 v52, v52, v53
	;; [unrolled: 1-line block ×3, first 2 shown]
	v_mul_f32_e32 v71, v70, v53
	v_mul_f32_e32 v54, v69, v71
	v_fma_f32 v64, v71, v69, -v54
	v_fmac_f32_e32 v64, v71, v51
	v_sub_f32_e32 v51, v55, v53
	v_add_f32_e32 v51, v52, v51
	v_add_f32_e32 v52, v54, v64
	v_sub_f32_e32 v55, v53, v52
	v_pk_add_f32 v[66:67], v[52:53], v[54:55] neg_lo:[0,1] neg_hi:[0,1]
	v_mov_b32_e32 v65, v52
	v_pk_add_f32 v[52:53], v[66:67], v[64:65] neg_lo:[0,1] neg_hi:[0,1]
	v_cvt_f32_i32_e32 v54, v68
	v_add_f32_e32 v51, v51, v53
	v_add_f32_e32 v51, v52, v51
	;; [unrolled: 1-line block ×4, first 2 shown]
	v_sub_f32_e32 v53, v52, v83
	v_mul_f32_e32 v51, v70, v51
	v_sub_f32_e32 v53, v71, v53
	v_add_f32_e32 v51, v53, v51
	v_add_f32_e32 v55, v52, v51
	v_mul_f32_e32 v64, v55, v55
	v_mov_b32_e32 v53, 0x3ecc95a3
	v_fmac_f32_e32 v53, 0x3e9b6dac, v64
	v_sub_f32_e32 v52, v55, v52
	v_fmaak_f32 v53, v64, v53, 0x3f2aaada
	v_sub_f32_e32 v51, v51, v52
	v_ldexp_f32 v65, v55, 1
	v_mul_f32_e32 v55, v55, v64
	v_mov_b32_e32 v52, 0x3f317218
	v_pk_mul_f32 v[52:53], v[54:55], v[52:53]
	v_ldexp_f32 v51, v51, 1
	v_fma_f32 v55, v54, s4, -v52
	v_fmamk_f32 v64, v54, 0xb102e308, v55
	v_pk_add_f32 v[54:55], v[52:53], v[64:65]
	v_mov_b32_e32 v66, v52
	v_sub_f32_e32 v65, v55, v65
	v_sub_f32_e32 v65, v53, v65
	v_add_f32_e32 v67, v51, v65
	v_pk_add_f32 v[52:53], v[54:55], v[52:53] neg_lo:[0,1] neg_hi:[0,1]
	v_pk_add_f32 v[68:69], v[54:55], v[66:67]
	v_mov_b32_e32 v65, v54
	v_mov_b32_e32 v53, v69
	v_pk_add_f32 v[70:71], v[64:65], v[52:53] neg_lo:[0,1] neg_hi:[0,1]
	v_pk_add_f32 v[52:53], v[64:65], v[52:53]
	v_mov_b32_e32 v66, v67
	v_mov_b32_e32 v64, v53
	v_pk_add_f32 v[144:145], v[64:65], v[54:55] neg_lo:[0,1] neg_hi:[0,1]
	v_mov_b32_e32 v52, v69
	v_mov_b32_e32 v51, v144
	v_pk_add_f32 v[146:147], v[68:69], v[50:51] neg_lo:[0,1] neg_hi:[0,1]
	v_mov_b32_e32 v68, v55
	v_mov_b32_e32 v69, v144
	;; [unrolled: 1-line block ×3, first 2 shown]
	v_pk_add_f32 v[52:53], v[52:53], v[68:69] neg_lo:[0,1] neg_hi:[0,1]
	v_mov_b32_e32 v67, v54
	v_pk_add_f32 v[52:53], v[66:67], v[52:53] neg_lo:[0,1] neg_hi:[0,1]
	v_mov_b32_e32 v146, v70
	v_pk_add_f32 v[54:55], v[146:147], v[52:53]
	s_mov_b32 s4, 0x33800000
	v_mov_b32_e32 v66, v55
	v_pk_add_f32 v[66:67], v[54:55], v[66:67]
	v_cmp_lt_f32_e64 s[6:7], |v80|, s4
	v_pk_add_f32 v[64:65], v[64:65], v[66:67]
	v_mov_b32_e32 v53, v66
	v_mov_b32_e32 v55, v64
	v_pk_add_f32 v[68:69], v[54:55], v[70:71] neg_lo:[0,1] neg_hi:[0,1]
	s_or_b64 vcc, vcc, s[6:7]
	v_sub_f32_e32 v51, v54, v68
	v_pk_add_f32 v[52:53], v[52:53], v[68:69] neg_lo:[0,1] neg_hi:[0,1]
	v_sub_f32_e32 v51, v70, v51
	v_add_f32_e32 v51, v52, v51
	v_add_f32_e32 v51, v51, v53
	v_add_f32_e32 v51, v64, v51
	v_cndmask_b32_e32 v51, v51, v80, vcc
	v_add_f32_e32 v51, v50, v51
.LBB451_234:
	s_or_b64 exec, exec, s[2:3]
	v_bfe_u32 v50, v51, 16, 1
	v_add3_u32 v50, v51, v50, s5
	v_lshrrev_b32_e32 v50, 16, v50
	v_cmp_o_f32_e32 vcc, v51, v51
	s_movk_i32 s4, 0x1f8
	s_nop 0
	v_cndmask_b32_e32 v50, v49, v50, vcc
	v_lshlrev_b32_e32 v52, 16, v50
	v_max_f32_e32 v49, v52, v52
	v_min_f32_e32 v51, v49, v87
	v_cmp_u_f32_e32 vcc, v52, v52
	v_max_f32_e32 v49, v49, v87
	s_nop 0
	v_cndmask_b32_e32 v51, v51, v52, vcc
	v_cndmask_b32_e32 v49, v49, v52, vcc
	v_cndmask_b32_e64 v51, v51, v81, s[20:21]
	v_cndmask_b32_e64 v49, v49, v81, s[20:21]
	v_cmp_neq_f32_e32 vcc, v51, v49
	v_cmp_class_f32_e64 s[2:3], v51, s4
	s_or_b64 s[6:7], vcc, s[2:3]
	s_and_saveexec_b64 s[2:3], s[6:7]
	s_cbranch_execz .LBB451_236
; %bb.235:
	v_sub_f32_e32 v51, v51, v49
	s_mov_b32 s5, 0x3fb8aa3b
	v_mul_f32_e32 v52, 0x3fb8aa3b, v51
	v_fma_f32 v53, v51, s5, -v52
	v_rndne_f32_e32 v54, v52
	v_fmamk_f32 v53, v51, 0x32a5705f, v53
	v_sub_f32_e32 v52, v52, v54
	v_add_f32_e32 v52, v52, v53
	v_exp_f32_e32 v52, v52
	v_cvt_i32_f32_e32 v53, v54
	s_mov_b32 s5, 0xc2ce8ed0
	v_cmp_ngt_f32_e32 vcc, s5, v51
	s_mov_b32 s5, 0x42b17218
	v_ldexp_f32 v52, v52, v53
	v_cndmask_b32_e32 v52, 0, v52, vcc
	v_mov_b32_e32 v53, 0x7f800000
	v_cmp_nlt_f32_e32 vcc, s5, v51
	s_mov_b32 s5, 0x3f2aaaab
	s_mov_b32 s6, 0x7f800000
	v_cndmask_b32_e32 v83, v53, v52, vcc
	v_add_f32_e32 v51, 1.0, v83
	v_add_f32_e32 v52, -1.0, v51
	v_sub_f32_e32 v53, v52, v51
	v_add_f32_e32 v53, 1.0, v53
	v_sub_f32_e32 v52, v83, v52
	v_add_f32_e32 v54, v52, v53
	v_frexp_mant_f32_e32 v55, v51
	v_cvt_f64_f32_e32 v[52:53], v51
	v_frexp_exp_i32_f64_e32 v52, v[52:53]
	v_cmp_gt_f32_e32 vcc, s5, v55
	s_mov_b32 s5, 0x3f317218
	s_nop 0
	v_subbrev_co_u32_e32 v68, vcc, 0, v52, vcc
	v_sub_u32_e32 v52, 0, v68
	v_ldexp_f32 v51, v51, v52
	v_ldexp_f32 v52, v54, v52
	v_add_f32_e32 v54, -1.0, v51
	v_add_f32_e32 v53, 1.0, v54
	v_sub_f32_e32 v53, v51, v53
	v_add_f32_e32 v55, v52, v53
	v_add_f32_e32 v53, 1.0, v51
	v_add_f32_e32 v64, -1.0, v53
	v_sub_f32_e32 v51, v51, v64
	v_add_f32_e32 v51, v52, v51
	v_add_f32_e32 v69, v53, v51
	v_rcp_f32_e32 v70, v69
	v_sub_f32_e32 v52, v53, v69
	v_add_f32_e32 v53, v54, v55
	v_add_f32_e32 v51, v51, v52
	v_mul_f32_e32 v80, v53, v70
	v_sub_f32_e32 v52, v54, v53
	v_mul_f32_e32 v54, v69, v80
	v_fma_f32 v64, v80, v69, -v54
	v_fmac_f32_e32 v64, v80, v51
	v_add_f32_e32 v71, v55, v52
	v_add_f32_e32 v52, v54, v64
	v_sub_f32_e32 v55, v53, v52
	v_pk_add_f32 v[66:67], v[52:53], v[54:55] neg_lo:[0,1] neg_hi:[0,1]
	v_mov_b32_e32 v65, v52
	v_pk_add_f32 v[52:53], v[66:67], v[64:65] neg_lo:[0,1] neg_hi:[0,1]
	v_cmp_eq_f32_e32 vcc, s6, v83
	v_add_f32_e32 v53, v71, v53
	v_add_f32_e32 v52, v52, v53
	;; [unrolled: 1-line block ×3, first 2 shown]
	v_mul_f32_e32 v71, v70, v53
	v_mul_f32_e32 v54, v69, v71
	v_fma_f32 v64, v71, v69, -v54
	v_fmac_f32_e32 v64, v71, v51
	v_sub_f32_e32 v51, v55, v53
	v_add_f32_e32 v51, v52, v51
	v_add_f32_e32 v52, v54, v64
	v_sub_f32_e32 v55, v53, v52
	v_pk_add_f32 v[66:67], v[52:53], v[54:55] neg_lo:[0,1] neg_hi:[0,1]
	v_mov_b32_e32 v65, v52
	v_pk_add_f32 v[52:53], v[66:67], v[64:65] neg_lo:[0,1] neg_hi:[0,1]
	v_cvt_f32_i32_e32 v54, v68
	v_add_f32_e32 v51, v51, v53
	v_add_f32_e32 v51, v52, v51
	;; [unrolled: 1-line block ×4, first 2 shown]
	v_sub_f32_e32 v53, v52, v80
	v_mul_f32_e32 v51, v70, v51
	v_sub_f32_e32 v53, v71, v53
	v_add_f32_e32 v51, v53, v51
	v_add_f32_e32 v55, v52, v51
	v_mul_f32_e32 v64, v55, v55
	v_mov_b32_e32 v53, 0x3ecc95a3
	v_fmac_f32_e32 v53, 0x3e9b6dac, v64
	v_sub_f32_e32 v52, v55, v52
	v_fmaak_f32 v53, v64, v53, 0x3f2aaada
	v_sub_f32_e32 v51, v51, v52
	v_ldexp_f32 v65, v55, 1
	v_mul_f32_e32 v55, v55, v64
	v_mov_b32_e32 v52, 0x3f317218
	v_pk_mul_f32 v[52:53], v[54:55], v[52:53]
	v_ldexp_f32 v51, v51, 1
	v_fma_f32 v55, v54, s5, -v52
	v_fmamk_f32 v64, v54, 0xb102e308, v55
	v_pk_add_f32 v[54:55], v[52:53], v[64:65]
	v_mov_b32_e32 v66, v52
	v_sub_f32_e32 v65, v55, v65
	v_sub_f32_e32 v65, v53, v65
	v_add_f32_e32 v67, v51, v65
	v_pk_add_f32 v[52:53], v[54:55], v[52:53] neg_lo:[0,1] neg_hi:[0,1]
	v_pk_add_f32 v[68:69], v[54:55], v[66:67]
	v_mov_b32_e32 v65, v54
	v_mov_b32_e32 v53, v69
	v_pk_add_f32 v[70:71], v[64:65], v[52:53] neg_lo:[0,1] neg_hi:[0,1]
	v_pk_add_f32 v[52:53], v[64:65], v[52:53]
	v_mov_b32_e32 v66, v67
	v_mov_b32_e32 v64, v53
	v_pk_add_f32 v[80:81], v[64:65], v[54:55] neg_lo:[0,1] neg_hi:[0,1]
	v_mov_b32_e32 v52, v69
	v_mov_b32_e32 v51, v80
	v_pk_add_f32 v[144:145], v[68:69], v[50:51] neg_lo:[0,1] neg_hi:[0,1]
	v_mov_b32_e32 v68, v55
	v_mov_b32_e32 v69, v80
	;; [unrolled: 1-line block ×3, first 2 shown]
	v_pk_add_f32 v[52:53], v[52:53], v[68:69] neg_lo:[0,1] neg_hi:[0,1]
	v_mov_b32_e32 v67, v54
	v_pk_add_f32 v[52:53], v[66:67], v[52:53] neg_lo:[0,1] neg_hi:[0,1]
	v_mov_b32_e32 v144, v70
	v_pk_add_f32 v[54:55], v[144:145], v[52:53]
	s_mov_b32 s5, 0x33800000
	v_mov_b32_e32 v66, v55
	v_pk_add_f32 v[66:67], v[54:55], v[66:67]
	v_cmp_lt_f32_e64 s[6:7], |v83|, s5
	v_pk_add_f32 v[64:65], v[64:65], v[66:67]
	v_mov_b32_e32 v53, v66
	v_mov_b32_e32 v55, v64
	v_pk_add_f32 v[68:69], v[54:55], v[70:71] neg_lo:[0,1] neg_hi:[0,1]
	s_or_b64 vcc, vcc, s[6:7]
	v_sub_f32_e32 v51, v54, v68
	v_pk_add_f32 v[52:53], v[52:53], v[68:69] neg_lo:[0,1] neg_hi:[0,1]
	v_sub_f32_e32 v51, v70, v51
	v_add_f32_e32 v51, v52, v51
	v_add_f32_e32 v51, v51, v53
	;; [unrolled: 1-line block ×3, first 2 shown]
	v_cndmask_b32_e32 v51, v51, v83, vcc
	v_add_f32_e32 v52, v49, v51
.LBB451_236:
	s_or_b64 exec, exec, s[2:3]
	v_bfe_u32 v49, v52, 16, 1
	s_movk_i32 s5, 0x7fff
	v_add3_u32 v49, v52, v49, s5
	v_lshrrev_b32_e32 v49, 16, v49
	v_mov_b32_e32 v51, 0x7fc0
	v_cmp_o_f32_e32 vcc, v52, v52
	s_nop 1
	v_cndmask_b32_e32 v49, v51, v49, vcc
	v_lshlrev_b32_e32 v53, 16, v49
	v_max_f32_e32 v52, v53, v53
	v_min_f32_e32 v54, v52, v96
	v_cmp_u_f32_e32 vcc, v53, v53
	v_max_f32_e32 v52, v52, v96
	s_nop 0
	v_cndmask_b32_e32 v54, v54, v53, vcc
	v_cndmask_b32_e32 v52, v52, v53, vcc
	v_cndmask_b32_e64 v54, v54, v82, s[22:23]
	v_cndmask_b32_e64 v52, v52, v82, s[22:23]
	v_cmp_neq_f32_e32 vcc, v54, v52
	v_cmp_class_f32_e64 s[2:3], v54, s4
	s_or_b64 s[6:7], vcc, s[2:3]
	s_and_saveexec_b64 s[2:3], s[6:7]
	s_cbranch_execz .LBB451_238
; %bb.237:
	v_sub_f32_e32 v53, v54, v52
	s_mov_b32 s4, 0x3fb8aa3b
	v_mul_f32_e32 v54, 0x3fb8aa3b, v53
	v_fma_f32 v55, v53, s4, -v54
	v_rndne_f32_e32 v64, v54
	v_fmamk_f32 v55, v53, 0x32a5705f, v55
	v_sub_f32_e32 v54, v54, v64
	v_add_f32_e32 v54, v54, v55
	v_exp_f32_e32 v54, v54
	v_cvt_i32_f32_e32 v55, v64
	s_mov_b32 s4, 0xc2ce8ed0
	v_cmp_ngt_f32_e32 vcc, s4, v53
	s_mov_b32 s4, 0x42b17218
	v_ldexp_f32 v54, v54, v55
	v_cndmask_b32_e32 v54, 0, v54, vcc
	v_mov_b32_e32 v55, 0x7f800000
	v_cmp_nlt_f32_e32 vcc, s4, v53
	s_mov_b32 s4, 0x3f2aaaab
	s_mov_b32 s6, 0x7f800000
	v_cndmask_b32_e32 v84, v55, v54, vcc
	v_add_f32_e32 v53, 1.0, v84
	v_add_f32_e32 v54, -1.0, v53
	v_sub_f32_e32 v55, v54, v53
	v_add_f32_e32 v55, 1.0, v55
	v_sub_f32_e32 v54, v84, v54
	v_add_f32_e32 v64, v54, v55
	v_frexp_mant_f32_e32 v65, v53
	v_cvt_f64_f32_e32 v[54:55], v53
	v_frexp_exp_i32_f64_e32 v54, v[54:55]
	v_cmp_gt_f32_e32 vcc, s4, v65
	s_mov_b32 s4, 0x3f317218
	s_nop 0
	v_subbrev_co_u32_e32 v70, vcc, 0, v54, vcc
	v_sub_u32_e32 v54, 0, v70
	v_ldexp_f32 v53, v53, v54
	v_ldexp_f32 v54, v64, v54
	v_add_f32_e32 v64, -1.0, v53
	v_add_f32_e32 v55, 1.0, v64
	v_sub_f32_e32 v55, v53, v55
	v_add_f32_e32 v65, v54, v55
	v_add_f32_e32 v55, 1.0, v53
	v_add_f32_e32 v66, -1.0, v55
	v_sub_f32_e32 v53, v53, v66
	v_add_f32_e32 v53, v54, v53
	v_add_f32_e32 v71, v55, v53
	v_rcp_f32_e32 v80, v71
	v_sub_f32_e32 v54, v55, v71
	v_add_f32_e32 v55, v64, v65
	v_add_f32_e32 v53, v53, v54
	v_mul_f32_e32 v82, v55, v80
	v_sub_f32_e32 v54, v64, v55
	v_mul_f32_e32 v64, v71, v82
	v_fma_f32 v66, v82, v71, -v64
	v_fmac_f32_e32 v66, v82, v53
	v_add_f32_e32 v81, v65, v54
	v_add_f32_e32 v54, v64, v66
	v_sub_f32_e32 v65, v55, v54
	v_pk_add_f32 v[68:69], v[54:55], v[64:65] neg_lo:[0,1] neg_hi:[0,1]
	v_mov_b32_e32 v67, v54
	v_pk_add_f32 v[54:55], v[68:69], v[66:67] neg_lo:[0,1] neg_hi:[0,1]
	v_cmp_eq_f32_e32 vcc, s6, v84
	v_add_f32_e32 v55, v81, v55
	v_add_f32_e32 v54, v54, v55
	v_add_f32_e32 v55, v65, v54
	v_mul_f32_e32 v81, v80, v55
	v_mul_f32_e32 v64, v71, v81
	v_fma_f32 v66, v81, v71, -v64
	v_fmac_f32_e32 v66, v81, v53
	v_sub_f32_e32 v53, v65, v55
	v_add_f32_e32 v53, v54, v53
	v_add_f32_e32 v54, v64, v66
	v_sub_f32_e32 v65, v55, v54
	v_pk_add_f32 v[68:69], v[54:55], v[64:65] neg_lo:[0,1] neg_hi:[0,1]
	v_mov_b32_e32 v67, v54
	v_pk_add_f32 v[54:55], v[68:69], v[66:67] neg_lo:[0,1] neg_hi:[0,1]
	v_cvt_f32_i32_e32 v64, v70
	v_add_f32_e32 v53, v53, v55
	v_add_f32_e32 v53, v54, v53
	v_add_f32_e32 v54, v82, v81
	v_add_f32_e32 v53, v65, v53
	v_sub_f32_e32 v55, v54, v82
	v_mul_f32_e32 v53, v80, v53
	v_sub_f32_e32 v55, v81, v55
	v_add_f32_e32 v53, v55, v53
	v_add_f32_e32 v65, v54, v53
	v_mul_f32_e32 v66, v65, v65
	v_mov_b32_e32 v55, 0x3ecc95a3
	v_fmac_f32_e32 v55, 0x3e9b6dac, v66
	v_sub_f32_e32 v54, v65, v54
	v_fmaak_f32 v55, v66, v55, 0x3f2aaada
	v_sub_f32_e32 v53, v53, v54
	v_ldexp_f32 v67, v65, 1
	v_mul_f32_e32 v65, v65, v66
	v_mov_b32_e32 v54, 0x3f317218
	v_pk_mul_f32 v[54:55], v[64:65], v[54:55]
	v_ldexp_f32 v53, v53, 1
	v_fma_f32 v65, v64, s4, -v54
	v_fmamk_f32 v66, v64, 0xb102e308, v65
	v_pk_add_f32 v[64:65], v[54:55], v[66:67]
	v_mov_b32_e32 v68, v54
	v_sub_f32_e32 v67, v65, v67
	v_sub_f32_e32 v67, v55, v67
	v_add_f32_e32 v69, v53, v67
	v_pk_add_f32 v[54:55], v[64:65], v[54:55] neg_lo:[0,1] neg_hi:[0,1]
	v_pk_add_f32 v[70:71], v[64:65], v[68:69]
	v_mov_b32_e32 v67, v64
	v_mov_b32_e32 v55, v71
	v_pk_add_f32 v[80:81], v[66:67], v[54:55] neg_lo:[0,1] neg_hi:[0,1]
	v_pk_add_f32 v[54:55], v[66:67], v[54:55]
	v_mov_b32_e32 v68, v69
	v_mov_b32_e32 v66, v55
	v_pk_add_f32 v[82:83], v[66:67], v[64:65] neg_lo:[0,1] neg_hi:[0,1]
	v_mov_b32_e32 v54, v71
	v_mov_b32_e32 v53, v82
	v_pk_add_f32 v[144:145], v[70:71], v[52:53] neg_lo:[0,1] neg_hi:[0,1]
	v_mov_b32_e32 v70, v65
	v_mov_b32_e32 v71, v82
	;; [unrolled: 1-line block ×3, first 2 shown]
	v_pk_add_f32 v[54:55], v[54:55], v[70:71] neg_lo:[0,1] neg_hi:[0,1]
	v_mov_b32_e32 v69, v64
	v_pk_add_f32 v[54:55], v[68:69], v[54:55] neg_lo:[0,1] neg_hi:[0,1]
	v_mov_b32_e32 v144, v80
	v_pk_add_f32 v[64:65], v[144:145], v[54:55]
	s_mov_b32 s4, 0x33800000
	v_mov_b32_e32 v68, v65
	v_pk_add_f32 v[68:69], v[64:65], v[68:69]
	v_cmp_lt_f32_e64 s[6:7], |v84|, s4
	v_pk_add_f32 v[66:67], v[66:67], v[68:69]
	v_mov_b32_e32 v55, v68
	v_mov_b32_e32 v65, v66
	v_pk_add_f32 v[70:71], v[64:65], v[80:81] neg_lo:[0,1] neg_hi:[0,1]
	s_or_b64 vcc, vcc, s[6:7]
	v_sub_f32_e32 v53, v64, v70
	v_pk_add_f32 v[54:55], v[54:55], v[70:71] neg_lo:[0,1] neg_hi:[0,1]
	v_sub_f32_e32 v53, v80, v53
	v_add_f32_e32 v53, v54, v53
	v_add_f32_e32 v53, v53, v55
	;; [unrolled: 1-line block ×3, first 2 shown]
	v_cndmask_b32_e32 v53, v53, v84, vcc
	v_add_f32_e32 v53, v52, v53
.LBB451_238:
	s_or_b64 exec, exec, s[2:3]
	v_bfe_u32 v52, v53, 16, 1
	v_add3_u32 v52, v53, v52, s5
	v_lshrrev_b32_e32 v52, 16, v52
	v_cmp_o_f32_e32 vcc, v53, v53
	s_movk_i32 s4, 0x1f8
	s_nop 0
	v_cndmask_b32_e32 v51, v51, v52, vcc
	v_lshlrev_b32_e32 v54, 16, v51
	v_max_f32_e32 v52, v54, v54
	v_min_f32_e32 v53, v52, v99
	v_cmp_u_f32_e32 vcc, v54, v54
	v_max_f32_e32 v52, v52, v99
	s_nop 0
	v_cndmask_b32_e32 v53, v53, v54, vcc
	v_cndmask_b32_e32 v52, v52, v54, vcc
	v_cndmask_b32_e64 v53, v53, v85, s[24:25]
	v_cndmask_b32_e64 v52, v52, v85, s[24:25]
	v_cmp_neq_f32_e32 vcc, v53, v52
	v_cmp_class_f32_e64 s[2:3], v53, s4
	s_or_b64 s[6:7], vcc, s[2:3]
	s_and_saveexec_b64 s[2:3], s[6:7]
	s_cbranch_execz .LBB451_240
; %bb.239:
	v_sub_f32_e32 v53, v53, v52
	s_mov_b32 s5, 0x3fb8aa3b
	v_mul_f32_e32 v54, 0x3fb8aa3b, v53
	v_fma_f32 v55, v53, s5, -v54
	v_rndne_f32_e32 v64, v54
	v_fmamk_f32 v55, v53, 0x32a5705f, v55
	v_sub_f32_e32 v54, v54, v64
	v_add_f32_e32 v54, v54, v55
	v_exp_f32_e32 v54, v54
	v_cvt_i32_f32_e32 v55, v64
	s_mov_b32 s5, 0xc2ce8ed0
	v_cmp_ngt_f32_e32 vcc, s5, v53
	s_mov_b32 s5, 0x42b17218
	v_ldexp_f32 v54, v54, v55
	v_cndmask_b32_e32 v54, 0, v54, vcc
	v_mov_b32_e32 v55, 0x7f800000
	v_cmp_nlt_f32_e32 vcc, s5, v53
	s_mov_b32 s5, 0x3f2aaaab
	s_mov_b32 s6, 0x7f800000
	v_cndmask_b32_e32 v87, v55, v54, vcc
	v_add_f32_e32 v53, 1.0, v87
	v_add_f32_e32 v54, -1.0, v53
	v_sub_f32_e32 v55, v54, v53
	v_add_f32_e32 v55, 1.0, v55
	v_sub_f32_e32 v54, v87, v54
	v_add_f32_e32 v64, v54, v55
	v_frexp_mant_f32_e32 v65, v53
	v_cvt_f64_f32_e32 v[54:55], v53
	v_frexp_exp_i32_f64_e32 v54, v[54:55]
	v_cmp_gt_f32_e32 vcc, s5, v65
	s_mov_b32 s5, 0x3f317218
	s_nop 0
	v_subbrev_co_u32_e32 v70, vcc, 0, v54, vcc
	v_sub_u32_e32 v54, 0, v70
	v_ldexp_f32 v53, v53, v54
	v_ldexp_f32 v54, v64, v54
	v_add_f32_e32 v64, -1.0, v53
	v_add_f32_e32 v55, 1.0, v64
	v_sub_f32_e32 v55, v53, v55
	v_add_f32_e32 v65, v54, v55
	v_add_f32_e32 v55, 1.0, v53
	v_add_f32_e32 v66, -1.0, v55
	v_sub_f32_e32 v53, v53, v66
	v_add_f32_e32 v53, v54, v53
	v_add_f32_e32 v71, v55, v53
	v_rcp_f32_e32 v80, v71
	v_sub_f32_e32 v54, v55, v71
	v_add_f32_e32 v55, v64, v65
	v_add_f32_e32 v53, v53, v54
	v_mul_f32_e32 v82, v55, v80
	v_sub_f32_e32 v54, v64, v55
	v_mul_f32_e32 v64, v71, v82
	v_fma_f32 v66, v82, v71, -v64
	v_fmac_f32_e32 v66, v82, v53
	v_add_f32_e32 v81, v65, v54
	v_add_f32_e32 v54, v64, v66
	v_sub_f32_e32 v65, v55, v54
	v_pk_add_f32 v[68:69], v[54:55], v[64:65] neg_lo:[0,1] neg_hi:[0,1]
	v_mov_b32_e32 v67, v54
	v_pk_add_f32 v[54:55], v[68:69], v[66:67] neg_lo:[0,1] neg_hi:[0,1]
	v_cmp_eq_f32_e32 vcc, s6, v87
	v_add_f32_e32 v55, v81, v55
	v_add_f32_e32 v54, v54, v55
	;; [unrolled: 1-line block ×3, first 2 shown]
	v_mul_f32_e32 v81, v80, v55
	v_mul_f32_e32 v64, v71, v81
	v_fma_f32 v66, v81, v71, -v64
	v_fmac_f32_e32 v66, v81, v53
	v_sub_f32_e32 v53, v65, v55
	v_add_f32_e32 v53, v54, v53
	v_add_f32_e32 v54, v64, v66
	v_sub_f32_e32 v65, v55, v54
	v_pk_add_f32 v[68:69], v[54:55], v[64:65] neg_lo:[0,1] neg_hi:[0,1]
	v_mov_b32_e32 v67, v54
	v_pk_add_f32 v[54:55], v[68:69], v[66:67] neg_lo:[0,1] neg_hi:[0,1]
	v_cvt_f32_i32_e32 v64, v70
	v_add_f32_e32 v53, v53, v55
	v_add_f32_e32 v53, v54, v53
	v_add_f32_e32 v54, v82, v81
	v_add_f32_e32 v53, v65, v53
	v_sub_f32_e32 v55, v54, v82
	v_mul_f32_e32 v53, v80, v53
	v_sub_f32_e32 v55, v81, v55
	v_add_f32_e32 v53, v55, v53
	v_add_f32_e32 v65, v54, v53
	v_mul_f32_e32 v66, v65, v65
	v_mov_b32_e32 v55, 0x3ecc95a3
	v_fmac_f32_e32 v55, 0x3e9b6dac, v66
	v_sub_f32_e32 v54, v65, v54
	v_fmaak_f32 v55, v66, v55, 0x3f2aaada
	v_sub_f32_e32 v53, v53, v54
	v_ldexp_f32 v67, v65, 1
	v_mul_f32_e32 v65, v65, v66
	v_mov_b32_e32 v54, 0x3f317218
	v_pk_mul_f32 v[54:55], v[64:65], v[54:55]
	v_ldexp_f32 v53, v53, 1
	v_fma_f32 v65, v64, s5, -v54
	v_fmamk_f32 v66, v64, 0xb102e308, v65
	v_pk_add_f32 v[64:65], v[54:55], v[66:67]
	v_mov_b32_e32 v68, v54
	v_sub_f32_e32 v67, v65, v67
	v_sub_f32_e32 v67, v55, v67
	v_add_f32_e32 v69, v53, v67
	v_pk_add_f32 v[54:55], v[64:65], v[54:55] neg_lo:[0,1] neg_hi:[0,1]
	v_pk_add_f32 v[70:71], v[64:65], v[68:69]
	v_mov_b32_e32 v67, v64
	v_mov_b32_e32 v55, v71
	v_pk_add_f32 v[80:81], v[66:67], v[54:55] neg_lo:[0,1] neg_hi:[0,1]
	v_pk_add_f32 v[54:55], v[66:67], v[54:55]
	v_mov_b32_e32 v68, v69
	v_mov_b32_e32 v66, v55
	v_pk_add_f32 v[82:83], v[66:67], v[64:65] neg_lo:[0,1] neg_hi:[0,1]
	v_mov_b32_e32 v54, v71
	v_mov_b32_e32 v53, v82
	v_pk_add_f32 v[84:85], v[70:71], v[52:53] neg_lo:[0,1] neg_hi:[0,1]
	v_mov_b32_e32 v70, v65
	v_mov_b32_e32 v71, v82
	;; [unrolled: 1-line block ×3, first 2 shown]
	v_pk_add_f32 v[54:55], v[54:55], v[70:71] neg_lo:[0,1] neg_hi:[0,1]
	v_mov_b32_e32 v69, v64
	v_pk_add_f32 v[54:55], v[68:69], v[54:55] neg_lo:[0,1] neg_hi:[0,1]
	v_mov_b32_e32 v84, v80
	v_pk_add_f32 v[64:65], v[84:85], v[54:55]
	s_mov_b32 s5, 0x33800000
	v_mov_b32_e32 v68, v65
	v_pk_add_f32 v[68:69], v[64:65], v[68:69]
	v_cmp_lt_f32_e64 s[6:7], |v87|, s5
	v_pk_add_f32 v[66:67], v[66:67], v[68:69]
	v_mov_b32_e32 v55, v68
	v_mov_b32_e32 v65, v66
	v_pk_add_f32 v[70:71], v[64:65], v[80:81] neg_lo:[0,1] neg_hi:[0,1]
	s_or_b64 vcc, vcc, s[6:7]
	v_sub_f32_e32 v53, v64, v70
	v_pk_add_f32 v[54:55], v[54:55], v[70:71] neg_lo:[0,1] neg_hi:[0,1]
	v_sub_f32_e32 v53, v80, v53
	v_add_f32_e32 v53, v54, v53
	v_add_f32_e32 v53, v53, v55
	;; [unrolled: 1-line block ×3, first 2 shown]
	v_cndmask_b32_e32 v53, v53, v87, vcc
	v_add_f32_e32 v54, v52, v53
.LBB451_240:
	s_or_b64 exec, exec, s[2:3]
	v_bfe_u32 v52, v54, 16, 1
	s_movk_i32 s5, 0x7fff
	v_add3_u32 v52, v54, v52, s5
	v_lshrrev_b32_e32 v52, 16, v52
	v_mov_b32_e32 v53, 0x7fc0
	v_cmp_o_f32_e32 vcc, v54, v54
	s_nop 1
	v_cndmask_b32_e32 v52, v53, v52, vcc
	v_lshlrev_b32_e32 v55, 16, v52
	v_max_f32_e32 v54, v55, v55
	v_min_f32_e32 v64, v54, v100
	v_cmp_u_f32_e32 vcc, v55, v55
	v_max_f32_e32 v54, v54, v100
	s_nop 0
	v_cndmask_b32_e32 v64, v64, v55, vcc
	v_cndmask_b32_e32 v54, v54, v55, vcc
	v_cndmask_b32_e64 v64, v64, v86, s[26:27]
	v_cndmask_b32_e64 v54, v54, v86, s[26:27]
	v_cmp_neq_f32_e32 vcc, v64, v54
	v_cmp_class_f32_e64 s[2:3], v64, s4
	s_or_b64 s[6:7], vcc, s[2:3]
	s_and_saveexec_b64 s[2:3], s[6:7]
	s_cbranch_execz .LBB451_242
; %bb.241:
	v_sub_f32_e32 v55, v64, v54
	s_mov_b32 s4, 0x3fb8aa3b
	v_mul_f32_e32 v64, 0x3fb8aa3b, v55
	v_fma_f32 v65, v55, s4, -v64
	v_rndne_f32_e32 v66, v64
	v_fmamk_f32 v65, v55, 0x32a5705f, v65
	v_sub_f32_e32 v64, v64, v66
	v_add_f32_e32 v64, v64, v65
	v_exp_f32_e32 v64, v64
	v_cvt_i32_f32_e32 v65, v66
	s_mov_b32 s4, 0xc2ce8ed0
	v_cmp_ngt_f32_e32 vcc, s4, v55
	s_mov_b32 s4, 0x42b17218
	v_ldexp_f32 v64, v64, v65
	v_cndmask_b32_e32 v64, 0, v64, vcc
	v_mov_b32_e32 v65, 0x7f800000
	v_cmp_nlt_f32_e32 vcc, s4, v55
	s_mov_b32 s4, 0x3f2aaaab
	s_mov_b32 s6, 0x7f800000
	v_cndmask_b32_e32 v96, v65, v64, vcc
	v_add_f32_e32 v55, 1.0, v96
	v_add_f32_e32 v64, -1.0, v55
	v_sub_f32_e32 v65, v64, v55
	v_add_f32_e32 v65, 1.0, v65
	v_sub_f32_e32 v64, v96, v64
	v_add_f32_e32 v66, v64, v65
	v_frexp_mant_f32_e32 v67, v55
	v_cvt_f64_f32_e32 v[64:65], v55
	v_frexp_exp_i32_f64_e32 v64, v[64:65]
	v_cmp_gt_f32_e32 vcc, s4, v67
	s_mov_b32 s4, 0x3f317218
	s_nop 0
	v_subbrev_co_u32_e32 v80, vcc, 0, v64, vcc
	v_sub_u32_e32 v64, 0, v80
	v_ldexp_f32 v55, v55, v64
	v_ldexp_f32 v64, v66, v64
	v_add_f32_e32 v66, -1.0, v55
	v_add_f32_e32 v65, 1.0, v66
	v_sub_f32_e32 v65, v55, v65
	v_add_f32_e32 v67, v64, v65
	v_add_f32_e32 v65, 1.0, v55
	v_add_f32_e32 v68, -1.0, v65
	v_sub_f32_e32 v55, v55, v68
	v_add_f32_e32 v55, v64, v55
	v_add_f32_e32 v81, v65, v55
	v_rcp_f32_e32 v82, v81
	v_sub_f32_e32 v64, v65, v81
	v_add_f32_e32 v65, v66, v67
	v_add_f32_e32 v55, v55, v64
	v_mul_f32_e32 v84, v65, v82
	v_sub_f32_e32 v64, v66, v65
	v_mul_f32_e32 v66, v81, v84
	v_fma_f32 v68, v84, v81, -v66
	v_fmac_f32_e32 v68, v84, v55
	v_add_f32_e32 v83, v67, v64
	v_add_f32_e32 v64, v66, v68
	v_sub_f32_e32 v67, v65, v64
	v_pk_add_f32 v[70:71], v[64:65], v[66:67] neg_lo:[0,1] neg_hi:[0,1]
	v_mov_b32_e32 v69, v64
	v_pk_add_f32 v[64:65], v[70:71], v[68:69] neg_lo:[0,1] neg_hi:[0,1]
	v_cmp_eq_f32_e32 vcc, s6, v96
	v_add_f32_e32 v65, v83, v65
	v_add_f32_e32 v64, v64, v65
	;; [unrolled: 1-line block ×3, first 2 shown]
	v_mul_f32_e32 v83, v82, v65
	v_mul_f32_e32 v66, v81, v83
	v_fma_f32 v68, v83, v81, -v66
	v_fmac_f32_e32 v68, v83, v55
	v_sub_f32_e32 v55, v67, v65
	v_add_f32_e32 v55, v64, v55
	v_add_f32_e32 v64, v66, v68
	v_sub_f32_e32 v67, v65, v64
	v_pk_add_f32 v[70:71], v[64:65], v[66:67] neg_lo:[0,1] neg_hi:[0,1]
	v_mov_b32_e32 v69, v64
	v_pk_add_f32 v[64:65], v[70:71], v[68:69] neg_lo:[0,1] neg_hi:[0,1]
	v_cvt_f32_i32_e32 v66, v80
	v_add_f32_e32 v55, v55, v65
	v_add_f32_e32 v55, v64, v55
	;; [unrolled: 1-line block ×4, first 2 shown]
	v_sub_f32_e32 v65, v64, v84
	v_mul_f32_e32 v55, v82, v55
	v_sub_f32_e32 v65, v83, v65
	v_add_f32_e32 v55, v65, v55
	v_add_f32_e32 v67, v64, v55
	v_mul_f32_e32 v68, v67, v67
	v_mov_b32_e32 v65, 0x3ecc95a3
	v_fmac_f32_e32 v65, 0x3e9b6dac, v68
	v_sub_f32_e32 v64, v67, v64
	v_fmaak_f32 v65, v68, v65, 0x3f2aaada
	v_sub_f32_e32 v55, v55, v64
	v_ldexp_f32 v69, v67, 1
	v_mul_f32_e32 v67, v67, v68
	v_mov_b32_e32 v64, 0x3f317218
	v_pk_mul_f32 v[64:65], v[66:67], v[64:65]
	v_ldexp_f32 v55, v55, 1
	v_fma_f32 v67, v66, s4, -v64
	v_fmamk_f32 v68, v66, 0xb102e308, v67
	v_pk_add_f32 v[66:67], v[64:65], v[68:69]
	v_mov_b32_e32 v70, v64
	v_sub_f32_e32 v69, v67, v69
	v_sub_f32_e32 v69, v65, v69
	v_add_f32_e32 v71, v55, v69
	v_pk_add_f32 v[64:65], v[66:67], v[64:65] neg_lo:[0,1] neg_hi:[0,1]
	v_pk_add_f32 v[80:81], v[66:67], v[70:71]
	v_mov_b32_e32 v69, v66
	v_mov_b32_e32 v65, v81
	v_pk_add_f32 v[82:83], v[68:69], v[64:65] neg_lo:[0,1] neg_hi:[0,1]
	v_pk_add_f32 v[64:65], v[68:69], v[64:65]
	v_mov_b32_e32 v70, v71
	v_mov_b32_e32 v68, v65
	v_pk_add_f32 v[84:85], v[68:69], v[66:67] neg_lo:[0,1] neg_hi:[0,1]
	v_mov_b32_e32 v64, v81
	v_mov_b32_e32 v55, v84
	v_pk_add_f32 v[86:87], v[80:81], v[54:55] neg_lo:[0,1] neg_hi:[0,1]
	v_mov_b32_e32 v80, v67
	v_mov_b32_e32 v81, v84
	;; [unrolled: 1-line block ×3, first 2 shown]
	v_pk_add_f32 v[64:65], v[64:65], v[80:81] neg_lo:[0,1] neg_hi:[0,1]
	v_mov_b32_e32 v71, v66
	v_pk_add_f32 v[64:65], v[70:71], v[64:65] neg_lo:[0,1] neg_hi:[0,1]
	v_mov_b32_e32 v86, v82
	v_pk_add_f32 v[66:67], v[86:87], v[64:65]
	s_mov_b32 s4, 0x33800000
	v_mov_b32_e32 v70, v67
	v_pk_add_f32 v[70:71], v[66:67], v[70:71]
	v_cmp_lt_f32_e64 s[6:7], |v96|, s4
	v_pk_add_f32 v[68:69], v[68:69], v[70:71]
	v_mov_b32_e32 v65, v70
	v_mov_b32_e32 v67, v68
	v_pk_add_f32 v[80:81], v[66:67], v[82:83] neg_lo:[0,1] neg_hi:[0,1]
	s_or_b64 vcc, vcc, s[6:7]
	v_sub_f32_e32 v55, v66, v80
	v_pk_add_f32 v[64:65], v[64:65], v[80:81] neg_lo:[0,1] neg_hi:[0,1]
	v_sub_f32_e32 v55, v82, v55
	v_add_f32_e32 v55, v64, v55
	v_add_f32_e32 v55, v55, v65
	;; [unrolled: 1-line block ×3, first 2 shown]
	v_cndmask_b32_e32 v55, v55, v96, vcc
	v_add_f32_e32 v55, v54, v55
.LBB451_242:
	s_or_b64 exec, exec, s[2:3]
	v_bfe_u32 v54, v55, 16, 1
	v_add3_u32 v54, v55, v54, s5
	v_lshrrev_b32_e32 v54, 16, v54
	v_cmp_o_f32_e32 vcc, v55, v55
	s_movk_i32 s4, 0x1f8
	s_nop 0
	v_cndmask_b32_e32 v53, v53, v54, vcc
	v_lshlrev_b32_e32 v64, 16, v53
	v_max_f32_e32 v54, v64, v64
	v_min_f32_e32 v55, v54, v103
	v_cmp_u_f32_e32 vcc, v64, v64
	v_max_f32_e32 v54, v54, v103
	s_nop 0
	v_cndmask_b32_e32 v55, v55, v64, vcc
	v_cndmask_b32_e32 v54, v54, v64, vcc
	v_cndmask_b32_e64 v55, v55, v97, s[28:29]
	v_cndmask_b32_e64 v54, v54, v97, s[28:29]
	v_cmp_neq_f32_e32 vcc, v55, v54
	v_cmp_class_f32_e64 s[2:3], v55, s4
	s_or_b64 s[6:7], vcc, s[2:3]
	s_and_saveexec_b64 s[2:3], s[6:7]
	s_cbranch_execz .LBB451_244
; %bb.243:
	v_sub_f32_e32 v55, v55, v54
	s_mov_b32 s5, 0x3fb8aa3b
	v_mul_f32_e32 v64, 0x3fb8aa3b, v55
	v_fma_f32 v65, v55, s5, -v64
	v_rndne_f32_e32 v66, v64
	v_fmamk_f32 v65, v55, 0x32a5705f, v65
	v_sub_f32_e32 v64, v64, v66
	v_add_f32_e32 v64, v64, v65
	v_exp_f32_e32 v64, v64
	v_cvt_i32_f32_e32 v65, v66
	s_mov_b32 s5, 0xc2ce8ed0
	v_cmp_ngt_f32_e32 vcc, s5, v55
	s_mov_b32 s5, 0x42b17218
	v_ldexp_f32 v64, v64, v65
	v_cndmask_b32_e32 v64, 0, v64, vcc
	v_mov_b32_e32 v65, 0x7f800000
	v_cmp_nlt_f32_e32 vcc, s5, v55
	s_mov_b32 s5, 0x3f2aaaab
	s_mov_b32 s6, 0x7f800000
	v_cndmask_b32_e32 v96, v65, v64, vcc
	v_add_f32_e32 v55, 1.0, v96
	v_add_f32_e32 v64, -1.0, v55
	v_sub_f32_e32 v65, v64, v55
	v_add_f32_e32 v65, 1.0, v65
	v_sub_f32_e32 v64, v96, v64
	v_add_f32_e32 v66, v64, v65
	v_frexp_mant_f32_e32 v67, v55
	v_cvt_f64_f32_e32 v[64:65], v55
	v_frexp_exp_i32_f64_e32 v64, v[64:65]
	v_cmp_gt_f32_e32 vcc, s5, v67
	s_mov_b32 s5, 0x3f317218
	s_nop 0
	v_subbrev_co_u32_e32 v80, vcc, 0, v64, vcc
	v_sub_u32_e32 v64, 0, v80
	v_ldexp_f32 v55, v55, v64
	v_ldexp_f32 v64, v66, v64
	v_add_f32_e32 v66, -1.0, v55
	v_add_f32_e32 v65, 1.0, v66
	v_sub_f32_e32 v65, v55, v65
	v_add_f32_e32 v67, v64, v65
	v_add_f32_e32 v65, 1.0, v55
	v_add_f32_e32 v68, -1.0, v65
	v_sub_f32_e32 v55, v55, v68
	v_add_f32_e32 v55, v64, v55
	v_add_f32_e32 v81, v65, v55
	v_rcp_f32_e32 v82, v81
	v_sub_f32_e32 v64, v65, v81
	v_add_f32_e32 v65, v66, v67
	v_add_f32_e32 v55, v55, v64
	v_mul_f32_e32 v84, v65, v82
	v_sub_f32_e32 v64, v66, v65
	v_mul_f32_e32 v66, v81, v84
	v_fma_f32 v68, v84, v81, -v66
	v_fmac_f32_e32 v68, v84, v55
	v_add_f32_e32 v83, v67, v64
	v_add_f32_e32 v64, v66, v68
	v_sub_f32_e32 v67, v65, v64
	v_pk_add_f32 v[70:71], v[64:65], v[66:67] neg_lo:[0,1] neg_hi:[0,1]
	v_mov_b32_e32 v69, v64
	v_pk_add_f32 v[64:65], v[70:71], v[68:69] neg_lo:[0,1] neg_hi:[0,1]
	v_cmp_eq_f32_e32 vcc, s6, v96
	v_add_f32_e32 v65, v83, v65
	v_add_f32_e32 v64, v64, v65
	;; [unrolled: 1-line block ×3, first 2 shown]
	v_mul_f32_e32 v83, v82, v65
	v_mul_f32_e32 v66, v81, v83
	v_fma_f32 v68, v83, v81, -v66
	v_fmac_f32_e32 v68, v83, v55
	v_sub_f32_e32 v55, v67, v65
	v_add_f32_e32 v55, v64, v55
	v_add_f32_e32 v64, v66, v68
	v_sub_f32_e32 v67, v65, v64
	v_pk_add_f32 v[70:71], v[64:65], v[66:67] neg_lo:[0,1] neg_hi:[0,1]
	v_mov_b32_e32 v69, v64
	v_pk_add_f32 v[64:65], v[70:71], v[68:69] neg_lo:[0,1] neg_hi:[0,1]
	v_cvt_f32_i32_e32 v66, v80
	v_add_f32_e32 v55, v55, v65
	v_add_f32_e32 v55, v64, v55
	;; [unrolled: 1-line block ×4, first 2 shown]
	v_sub_f32_e32 v65, v64, v84
	v_mul_f32_e32 v55, v82, v55
	v_sub_f32_e32 v65, v83, v65
	v_add_f32_e32 v55, v65, v55
	v_add_f32_e32 v67, v64, v55
	v_mul_f32_e32 v68, v67, v67
	v_mov_b32_e32 v65, 0x3ecc95a3
	v_fmac_f32_e32 v65, 0x3e9b6dac, v68
	v_sub_f32_e32 v64, v67, v64
	v_fmaak_f32 v65, v68, v65, 0x3f2aaada
	v_sub_f32_e32 v55, v55, v64
	v_ldexp_f32 v69, v67, 1
	v_mul_f32_e32 v67, v67, v68
	v_mov_b32_e32 v64, 0x3f317218
	v_pk_mul_f32 v[64:65], v[66:67], v[64:65]
	v_ldexp_f32 v55, v55, 1
	v_fma_f32 v67, v66, s5, -v64
	v_fmamk_f32 v68, v66, 0xb102e308, v67
	v_pk_add_f32 v[66:67], v[64:65], v[68:69]
	v_mov_b32_e32 v70, v64
	v_sub_f32_e32 v69, v67, v69
	v_sub_f32_e32 v69, v65, v69
	v_add_f32_e32 v71, v55, v69
	v_pk_add_f32 v[64:65], v[66:67], v[64:65] neg_lo:[0,1] neg_hi:[0,1]
	v_pk_add_f32 v[80:81], v[66:67], v[70:71]
	v_mov_b32_e32 v69, v66
	v_mov_b32_e32 v65, v81
	v_pk_add_f32 v[82:83], v[68:69], v[64:65] neg_lo:[0,1] neg_hi:[0,1]
	v_pk_add_f32 v[64:65], v[68:69], v[64:65]
	v_mov_b32_e32 v70, v71
	v_mov_b32_e32 v68, v65
	v_pk_add_f32 v[84:85], v[68:69], v[66:67] neg_lo:[0,1] neg_hi:[0,1]
	v_mov_b32_e32 v64, v81
	v_mov_b32_e32 v55, v84
	v_pk_add_f32 v[86:87], v[80:81], v[54:55] neg_lo:[0,1] neg_hi:[0,1]
	v_mov_b32_e32 v80, v67
	v_mov_b32_e32 v81, v84
	;; [unrolled: 1-line block ×3, first 2 shown]
	v_pk_add_f32 v[64:65], v[64:65], v[80:81] neg_lo:[0,1] neg_hi:[0,1]
	v_mov_b32_e32 v71, v66
	v_pk_add_f32 v[64:65], v[70:71], v[64:65] neg_lo:[0,1] neg_hi:[0,1]
	v_mov_b32_e32 v86, v82
	v_pk_add_f32 v[66:67], v[86:87], v[64:65]
	s_mov_b32 s5, 0x33800000
	v_mov_b32_e32 v70, v67
	v_pk_add_f32 v[70:71], v[66:67], v[70:71]
	v_cmp_lt_f32_e64 s[6:7], |v96|, s5
	v_pk_add_f32 v[68:69], v[68:69], v[70:71]
	v_mov_b32_e32 v65, v70
	v_mov_b32_e32 v67, v68
	v_pk_add_f32 v[80:81], v[66:67], v[82:83] neg_lo:[0,1] neg_hi:[0,1]
	s_or_b64 vcc, vcc, s[6:7]
	v_sub_f32_e32 v55, v66, v80
	v_pk_add_f32 v[64:65], v[64:65], v[80:81] neg_lo:[0,1] neg_hi:[0,1]
	v_sub_f32_e32 v55, v82, v55
	v_add_f32_e32 v55, v64, v55
	v_add_f32_e32 v55, v55, v65
	;; [unrolled: 1-line block ×3, first 2 shown]
	v_cndmask_b32_e32 v55, v55, v96, vcc
	v_add_f32_e32 v64, v54, v55
.LBB451_244:
	s_or_b64 exec, exec, s[2:3]
	v_bfe_u32 v54, v64, 16, 1
	s_movk_i32 s5, 0x7fff
	v_add3_u32 v54, v64, v54, s5
	v_lshrrev_b32_e32 v54, 16, v54
	v_mov_b32_e32 v55, 0x7fc0
	v_cmp_o_f32_e32 vcc, v64, v64
	s_nop 1
	v_cndmask_b32_e32 v54, v55, v54, vcc
	v_lshlrev_b32_e32 v65, 16, v54
	v_max_f32_e32 v64, v65, v65
	v_min_f32_e32 v66, v64, v112
	v_cmp_u_f32_e32 vcc, v65, v65
	v_max_f32_e32 v64, v64, v112
	s_nop 0
	v_cndmask_b32_e32 v66, v66, v65, vcc
	v_cndmask_b32_e32 v64, v64, v65, vcc
	v_cndmask_b32_e64 v66, v66, v98, s[30:31]
	v_cndmask_b32_e64 v64, v64, v98, s[30:31]
	v_cmp_neq_f32_e32 vcc, v66, v64
	v_cmp_class_f32_e64 s[2:3], v66, s4
	s_or_b64 s[6:7], vcc, s[2:3]
	s_and_saveexec_b64 s[2:3], s[6:7]
	s_cbranch_execz .LBB451_246
; %bb.245:
	v_sub_f32_e32 v65, v66, v64
	s_mov_b32 s4, 0x3fb8aa3b
	v_mul_f32_e32 v66, 0x3fb8aa3b, v65
	v_fma_f32 v67, v65, s4, -v66
	v_rndne_f32_e32 v68, v66
	v_fmamk_f32 v67, v65, 0x32a5705f, v67
	v_sub_f32_e32 v66, v66, v68
	v_add_f32_e32 v66, v66, v67
	v_exp_f32_e32 v66, v66
	v_cvt_i32_f32_e32 v67, v68
	s_mov_b32 s4, 0xc2ce8ed0
	v_cmp_ngt_f32_e32 vcc, s4, v65
	s_mov_b32 s4, 0x42b17218
	v_ldexp_f32 v66, v66, v67
	v_cndmask_b32_e32 v66, 0, v66, vcc
	v_mov_b32_e32 v67, 0x7f800000
	v_cmp_nlt_f32_e32 vcc, s4, v65
	s_mov_b32 s4, 0x3f2aaaab
	s_mov_b32 s6, 0x7f800000
	v_cndmask_b32_e32 v98, v67, v66, vcc
	v_add_f32_e32 v65, 1.0, v98
	v_add_f32_e32 v66, -1.0, v65
	v_sub_f32_e32 v67, v66, v65
	v_add_f32_e32 v67, 1.0, v67
	v_sub_f32_e32 v66, v98, v66
	v_add_f32_e32 v68, v66, v67
	v_frexp_mant_f32_e32 v69, v65
	v_cvt_f64_f32_e32 v[66:67], v65
	v_frexp_exp_i32_f64_e32 v66, v[66:67]
	v_cmp_gt_f32_e32 vcc, s4, v69
	s_mov_b32 s4, 0x3f317218
	s_nop 0
	v_subbrev_co_u32_e32 v82, vcc, 0, v66, vcc
	v_sub_u32_e32 v66, 0, v82
	v_ldexp_f32 v65, v65, v66
	v_ldexp_f32 v66, v68, v66
	v_add_f32_e32 v68, -1.0, v65
	v_add_f32_e32 v67, 1.0, v68
	v_sub_f32_e32 v67, v65, v67
	v_add_f32_e32 v69, v66, v67
	v_add_f32_e32 v67, 1.0, v65
	v_add_f32_e32 v70, -1.0, v67
	v_sub_f32_e32 v65, v65, v70
	v_add_f32_e32 v65, v66, v65
	v_add_f32_e32 v83, v67, v65
	v_rcp_f32_e32 v84, v83
	v_sub_f32_e32 v66, v67, v83
	v_add_f32_e32 v67, v68, v69
	v_add_f32_e32 v65, v65, v66
	v_mul_f32_e32 v86, v67, v84
	v_sub_f32_e32 v66, v68, v67
	v_mul_f32_e32 v68, v83, v86
	v_fma_f32 v70, v86, v83, -v68
	v_fmac_f32_e32 v70, v86, v65
	v_add_f32_e32 v85, v69, v66
	v_add_f32_e32 v66, v68, v70
	v_sub_f32_e32 v69, v67, v66
	v_pk_add_f32 v[80:81], v[66:67], v[68:69] neg_lo:[0,1] neg_hi:[0,1]
	v_mov_b32_e32 v71, v66
	v_pk_add_f32 v[66:67], v[80:81], v[70:71] neg_lo:[0,1] neg_hi:[0,1]
	v_cmp_eq_f32_e32 vcc, s6, v98
	v_add_f32_e32 v67, v85, v67
	v_add_f32_e32 v66, v66, v67
	v_add_f32_e32 v67, v69, v66
	v_mul_f32_e32 v85, v84, v67
	v_mul_f32_e32 v68, v83, v85
	v_fma_f32 v70, v85, v83, -v68
	v_fmac_f32_e32 v70, v85, v65
	v_sub_f32_e32 v65, v69, v67
	v_add_f32_e32 v65, v66, v65
	v_add_f32_e32 v66, v68, v70
	v_sub_f32_e32 v69, v67, v66
	v_pk_add_f32 v[80:81], v[66:67], v[68:69] neg_lo:[0,1] neg_hi:[0,1]
	v_mov_b32_e32 v71, v66
	v_pk_add_f32 v[66:67], v[80:81], v[70:71] neg_lo:[0,1] neg_hi:[0,1]
	v_cvt_f32_i32_e32 v68, v82
	v_add_f32_e32 v65, v65, v67
	v_add_f32_e32 v65, v66, v65
	;; [unrolled: 1-line block ×4, first 2 shown]
	v_sub_f32_e32 v67, v66, v86
	v_mul_f32_e32 v65, v84, v65
	v_sub_f32_e32 v67, v85, v67
	v_add_f32_e32 v65, v67, v65
	v_add_f32_e32 v69, v66, v65
	v_mul_f32_e32 v70, v69, v69
	v_mov_b32_e32 v67, 0x3ecc95a3
	v_fmac_f32_e32 v67, 0x3e9b6dac, v70
	v_sub_f32_e32 v66, v69, v66
	v_fmaak_f32 v67, v70, v67, 0x3f2aaada
	v_sub_f32_e32 v65, v65, v66
	v_ldexp_f32 v71, v69, 1
	v_mul_f32_e32 v69, v69, v70
	v_mov_b32_e32 v66, 0x3f317218
	v_pk_mul_f32 v[66:67], v[68:69], v[66:67]
	v_ldexp_f32 v65, v65, 1
	v_fma_f32 v69, v68, s4, -v66
	v_fmamk_f32 v70, v68, 0xb102e308, v69
	v_pk_add_f32 v[68:69], v[66:67], v[70:71]
	v_mov_b32_e32 v80, v66
	v_sub_f32_e32 v71, v69, v71
	v_sub_f32_e32 v71, v67, v71
	v_add_f32_e32 v81, v65, v71
	v_pk_add_f32 v[66:67], v[68:69], v[66:67] neg_lo:[0,1] neg_hi:[0,1]
	v_pk_add_f32 v[82:83], v[68:69], v[80:81]
	v_mov_b32_e32 v71, v68
	v_mov_b32_e32 v67, v83
	v_pk_add_f32 v[84:85], v[70:71], v[66:67] neg_lo:[0,1] neg_hi:[0,1]
	v_pk_add_f32 v[66:67], v[70:71], v[66:67]
	v_mov_b32_e32 v80, v81
	v_mov_b32_e32 v70, v67
	v_pk_add_f32 v[86:87], v[70:71], v[68:69] neg_lo:[0,1] neg_hi:[0,1]
	v_mov_b32_e32 v66, v83
	v_mov_b32_e32 v65, v86
	v_pk_add_f32 v[96:97], v[82:83], v[64:65] neg_lo:[0,1] neg_hi:[0,1]
	v_mov_b32_e32 v82, v69
	v_mov_b32_e32 v83, v86
	;; [unrolled: 1-line block ×3, first 2 shown]
	v_pk_add_f32 v[66:67], v[66:67], v[82:83] neg_lo:[0,1] neg_hi:[0,1]
	v_mov_b32_e32 v81, v68
	v_pk_add_f32 v[66:67], v[80:81], v[66:67] neg_lo:[0,1] neg_hi:[0,1]
	v_mov_b32_e32 v96, v84
	v_pk_add_f32 v[68:69], v[96:97], v[66:67]
	s_mov_b32 s4, 0x33800000
	v_mov_b32_e32 v80, v69
	v_pk_add_f32 v[80:81], v[68:69], v[80:81]
	v_cmp_lt_f32_e64 s[6:7], |v98|, s4
	v_pk_add_f32 v[70:71], v[70:71], v[80:81]
	v_mov_b32_e32 v67, v80
	v_mov_b32_e32 v69, v70
	v_pk_add_f32 v[82:83], v[68:69], v[84:85] neg_lo:[0,1] neg_hi:[0,1]
	s_or_b64 vcc, vcc, s[6:7]
	v_sub_f32_e32 v65, v68, v82
	v_pk_add_f32 v[66:67], v[66:67], v[82:83] neg_lo:[0,1] neg_hi:[0,1]
	v_sub_f32_e32 v65, v84, v65
	v_add_f32_e32 v65, v66, v65
	v_add_f32_e32 v65, v65, v67
	v_add_f32_e32 v65, v70, v65
	v_cndmask_b32_e32 v65, v65, v98, vcc
	v_add_f32_e32 v65, v64, v65
.LBB451_246:
	s_or_b64 exec, exec, s[2:3]
	v_bfe_u32 v64, v65, 16, 1
	v_add3_u32 v64, v65, v64, s5
	v_lshrrev_b32_e32 v64, 16, v64
	v_cmp_o_f32_e32 vcc, v65, v65
	s_movk_i32 s4, 0x1f8
	s_nop 0
	v_cndmask_b32_e32 v55, v55, v64, vcc
	v_lshlrev_b32_e32 v66, 16, v55
	v_max_f32_e32 v64, v66, v66
	v_min_f32_e32 v65, v64, v115
	v_cmp_u_f32_e32 vcc, v66, v66
	v_max_f32_e32 v64, v64, v115
	s_nop 0
	v_cndmask_b32_e32 v65, v65, v66, vcc
	v_cndmask_b32_e32 v64, v64, v66, vcc
	v_cndmask_b32_e64 v65, v65, v101, s[34:35]
	v_cndmask_b32_e64 v64, v64, v101, s[34:35]
	v_cmp_neq_f32_e32 vcc, v65, v64
	v_cmp_class_f32_e64 s[2:3], v65, s4
	s_or_b64 s[6:7], vcc, s[2:3]
	s_and_saveexec_b64 s[2:3], s[6:7]
	s_cbranch_execz .LBB451_248
; %bb.247:
	v_sub_f32_e32 v65, v65, v64
	s_mov_b32 s5, 0x3fb8aa3b
	v_mul_f32_e32 v66, 0x3fb8aa3b, v65
	v_fma_f32 v67, v65, s5, -v66
	v_rndne_f32_e32 v68, v66
	v_fmamk_f32 v67, v65, 0x32a5705f, v67
	v_sub_f32_e32 v66, v66, v68
	v_add_f32_e32 v66, v66, v67
	v_exp_f32_e32 v66, v66
	v_cvt_i32_f32_e32 v67, v68
	s_mov_b32 s5, 0xc2ce8ed0
	v_cmp_ngt_f32_e32 vcc, s5, v65
	s_mov_b32 s5, 0x42b17218
	v_ldexp_f32 v66, v66, v67
	v_cndmask_b32_e32 v66, 0, v66, vcc
	v_mov_b32_e32 v67, 0x7f800000
	v_cmp_nlt_f32_e32 vcc, s5, v65
	s_mov_b32 s5, 0x3f2aaaab
	s_mov_b32 s6, 0x7f800000
	v_cndmask_b32_e32 v98, v67, v66, vcc
	v_add_f32_e32 v65, 1.0, v98
	v_add_f32_e32 v66, -1.0, v65
	v_sub_f32_e32 v67, v66, v65
	v_add_f32_e32 v67, 1.0, v67
	v_sub_f32_e32 v66, v98, v66
	v_add_f32_e32 v68, v66, v67
	v_frexp_mant_f32_e32 v69, v65
	v_cvt_f64_f32_e32 v[66:67], v65
	v_frexp_exp_i32_f64_e32 v66, v[66:67]
	v_cmp_gt_f32_e32 vcc, s5, v69
	s_mov_b32 s5, 0x3f317218
	s_nop 0
	v_subbrev_co_u32_e32 v82, vcc, 0, v66, vcc
	v_sub_u32_e32 v66, 0, v82
	v_ldexp_f32 v65, v65, v66
	v_ldexp_f32 v66, v68, v66
	v_add_f32_e32 v68, -1.0, v65
	v_add_f32_e32 v67, 1.0, v68
	v_sub_f32_e32 v67, v65, v67
	v_add_f32_e32 v69, v66, v67
	v_add_f32_e32 v67, 1.0, v65
	v_add_f32_e32 v70, -1.0, v67
	v_sub_f32_e32 v65, v65, v70
	v_add_f32_e32 v65, v66, v65
	v_add_f32_e32 v83, v67, v65
	v_rcp_f32_e32 v84, v83
	v_sub_f32_e32 v66, v67, v83
	v_add_f32_e32 v67, v68, v69
	v_add_f32_e32 v65, v65, v66
	v_mul_f32_e32 v86, v67, v84
	v_sub_f32_e32 v66, v68, v67
	v_mul_f32_e32 v68, v83, v86
	v_fma_f32 v70, v86, v83, -v68
	v_fmac_f32_e32 v70, v86, v65
	v_add_f32_e32 v85, v69, v66
	v_add_f32_e32 v66, v68, v70
	v_sub_f32_e32 v69, v67, v66
	v_pk_add_f32 v[80:81], v[66:67], v[68:69] neg_lo:[0,1] neg_hi:[0,1]
	v_mov_b32_e32 v71, v66
	v_pk_add_f32 v[66:67], v[80:81], v[70:71] neg_lo:[0,1] neg_hi:[0,1]
	v_cmp_eq_f32_e32 vcc, s6, v98
	v_add_f32_e32 v67, v85, v67
	v_add_f32_e32 v66, v66, v67
	;; [unrolled: 1-line block ×3, first 2 shown]
	v_mul_f32_e32 v85, v84, v67
	v_mul_f32_e32 v68, v83, v85
	v_fma_f32 v70, v85, v83, -v68
	v_fmac_f32_e32 v70, v85, v65
	v_sub_f32_e32 v65, v69, v67
	v_add_f32_e32 v65, v66, v65
	v_add_f32_e32 v66, v68, v70
	v_sub_f32_e32 v69, v67, v66
	v_pk_add_f32 v[80:81], v[66:67], v[68:69] neg_lo:[0,1] neg_hi:[0,1]
	v_mov_b32_e32 v71, v66
	v_pk_add_f32 v[66:67], v[80:81], v[70:71] neg_lo:[0,1] neg_hi:[0,1]
	v_cvt_f32_i32_e32 v68, v82
	v_add_f32_e32 v65, v65, v67
	v_add_f32_e32 v65, v66, v65
	;; [unrolled: 1-line block ×4, first 2 shown]
	v_sub_f32_e32 v67, v66, v86
	v_mul_f32_e32 v65, v84, v65
	v_sub_f32_e32 v67, v85, v67
	v_add_f32_e32 v65, v67, v65
	v_add_f32_e32 v69, v66, v65
	v_mul_f32_e32 v70, v69, v69
	v_mov_b32_e32 v67, 0x3ecc95a3
	v_fmac_f32_e32 v67, 0x3e9b6dac, v70
	v_sub_f32_e32 v66, v69, v66
	v_fmaak_f32 v67, v70, v67, 0x3f2aaada
	v_sub_f32_e32 v65, v65, v66
	v_ldexp_f32 v71, v69, 1
	v_mul_f32_e32 v69, v69, v70
	v_mov_b32_e32 v66, 0x3f317218
	v_pk_mul_f32 v[66:67], v[68:69], v[66:67]
	v_ldexp_f32 v65, v65, 1
	v_fma_f32 v69, v68, s5, -v66
	v_fmamk_f32 v70, v68, 0xb102e308, v69
	v_pk_add_f32 v[68:69], v[66:67], v[70:71]
	v_mov_b32_e32 v80, v66
	v_sub_f32_e32 v71, v69, v71
	v_sub_f32_e32 v71, v67, v71
	v_add_f32_e32 v81, v65, v71
	v_pk_add_f32 v[66:67], v[68:69], v[66:67] neg_lo:[0,1] neg_hi:[0,1]
	v_pk_add_f32 v[82:83], v[68:69], v[80:81]
	v_mov_b32_e32 v71, v68
	v_mov_b32_e32 v67, v83
	v_pk_add_f32 v[84:85], v[70:71], v[66:67] neg_lo:[0,1] neg_hi:[0,1]
	v_pk_add_f32 v[66:67], v[70:71], v[66:67]
	v_mov_b32_e32 v80, v81
	v_mov_b32_e32 v70, v67
	v_pk_add_f32 v[86:87], v[70:71], v[68:69] neg_lo:[0,1] neg_hi:[0,1]
	v_mov_b32_e32 v66, v83
	v_mov_b32_e32 v65, v86
	v_pk_add_f32 v[96:97], v[82:83], v[64:65] neg_lo:[0,1] neg_hi:[0,1]
	v_mov_b32_e32 v82, v69
	v_mov_b32_e32 v83, v86
	;; [unrolled: 1-line block ×3, first 2 shown]
	v_pk_add_f32 v[66:67], v[66:67], v[82:83] neg_lo:[0,1] neg_hi:[0,1]
	v_mov_b32_e32 v81, v68
	v_pk_add_f32 v[66:67], v[80:81], v[66:67] neg_lo:[0,1] neg_hi:[0,1]
	v_mov_b32_e32 v96, v84
	v_pk_add_f32 v[68:69], v[96:97], v[66:67]
	s_mov_b32 s5, 0x33800000
	v_mov_b32_e32 v80, v69
	v_pk_add_f32 v[80:81], v[68:69], v[80:81]
	v_cmp_lt_f32_e64 s[6:7], |v98|, s5
	v_pk_add_f32 v[70:71], v[70:71], v[80:81]
	v_mov_b32_e32 v67, v80
	v_mov_b32_e32 v69, v70
	v_pk_add_f32 v[82:83], v[68:69], v[84:85] neg_lo:[0,1] neg_hi:[0,1]
	s_or_b64 vcc, vcc, s[6:7]
	v_sub_f32_e32 v65, v68, v82
	v_pk_add_f32 v[66:67], v[66:67], v[82:83] neg_lo:[0,1] neg_hi:[0,1]
	v_sub_f32_e32 v65, v84, v65
	v_add_f32_e32 v65, v66, v65
	v_add_f32_e32 v65, v65, v67
	;; [unrolled: 1-line block ×3, first 2 shown]
	v_cndmask_b32_e32 v65, v65, v98, vcc
	v_add_f32_e32 v66, v64, v65
.LBB451_248:
	s_or_b64 exec, exec, s[2:3]
	v_bfe_u32 v64, v66, 16, 1
	s_movk_i32 s5, 0x7fff
	v_add3_u32 v64, v66, v64, s5
	v_lshrrev_b32_e32 v64, 16, v64
	v_mov_b32_e32 v65, 0x7fc0
	v_cmp_o_f32_e32 vcc, v66, v66
	s_nop 1
	v_cndmask_b32_e32 v64, v65, v64, vcc
	v_lshlrev_b32_e32 v67, 16, v64
	v_max_f32_e32 v66, v67, v67
	v_min_f32_e32 v68, v66, v116
	v_cmp_u_f32_e32 vcc, v67, v67
	v_max_f32_e32 v66, v66, v116
	s_nop 0
	v_cndmask_b32_e32 v68, v68, v67, vcc
	v_cndmask_b32_e32 v66, v66, v67, vcc
	v_cndmask_b32_e64 v68, v68, v102, s[36:37]
	v_cndmask_b32_e64 v66, v66, v102, s[36:37]
	v_cmp_neq_f32_e32 vcc, v68, v66
	v_cmp_class_f32_e64 s[2:3], v68, s4
	s_or_b64 s[6:7], vcc, s[2:3]
	s_and_saveexec_b64 s[2:3], s[6:7]
	s_cbranch_execz .LBB451_250
; %bb.249:
	v_sub_f32_e32 v67, v68, v66
	s_mov_b32 s4, 0x3fb8aa3b
	v_mul_f32_e32 v68, 0x3fb8aa3b, v67
	v_fma_f32 v69, v67, s4, -v68
	v_rndne_f32_e32 v70, v68
	v_fmamk_f32 v69, v67, 0x32a5705f, v69
	v_sub_f32_e32 v68, v68, v70
	v_add_f32_e32 v68, v68, v69
	v_exp_f32_e32 v68, v68
	v_cvt_i32_f32_e32 v69, v70
	s_mov_b32 s4, 0xc2ce8ed0
	v_cmp_ngt_f32_e32 vcc, s4, v67
	s_mov_b32 s4, 0x42b17218
	v_ldexp_f32 v68, v68, v69
	v_cndmask_b32_e32 v68, 0, v68, vcc
	v_mov_b32_e32 v69, 0x7f800000
	v_cmp_nlt_f32_e32 vcc, s4, v67
	s_mov_b32 s4, 0x3f2aaaab
	s_mov_b32 s6, 0x7f800000
	v_cndmask_b32_e32 v100, v69, v68, vcc
	v_add_f32_e32 v67, 1.0, v100
	v_add_f32_e32 v68, -1.0, v67
	v_sub_f32_e32 v69, v68, v67
	v_add_f32_e32 v69, 1.0, v69
	v_sub_f32_e32 v68, v100, v68
	v_add_f32_e32 v70, v68, v69
	v_frexp_mant_f32_e32 v71, v67
	v_cvt_f64_f32_e32 v[68:69], v67
	v_frexp_exp_i32_f64_e32 v68, v[68:69]
	v_cmp_gt_f32_e32 vcc, s4, v71
	s_mov_b32 s4, 0x3f317218
	s_nop 0
	v_subbrev_co_u32_e32 v84, vcc, 0, v68, vcc
	v_sub_u32_e32 v68, 0, v84
	v_ldexp_f32 v67, v67, v68
	v_ldexp_f32 v68, v70, v68
	v_add_f32_e32 v70, -1.0, v67
	v_add_f32_e32 v69, 1.0, v70
	v_sub_f32_e32 v69, v67, v69
	v_add_f32_e32 v71, v68, v69
	v_add_f32_e32 v69, 1.0, v67
	v_add_f32_e32 v80, -1.0, v69
	v_sub_f32_e32 v67, v67, v80
	v_add_f32_e32 v67, v68, v67
	v_add_f32_e32 v85, v69, v67
	v_rcp_f32_e32 v86, v85
	v_sub_f32_e32 v68, v69, v85
	v_add_f32_e32 v69, v70, v71
	v_add_f32_e32 v67, v67, v68
	v_mul_f32_e32 v96, v69, v86
	v_sub_f32_e32 v68, v70, v69
	v_mul_f32_e32 v70, v85, v96
	v_fma_f32 v80, v96, v85, -v70
	v_fmac_f32_e32 v80, v96, v67
	v_add_f32_e32 v87, v71, v68
	v_add_f32_e32 v68, v70, v80
	v_sub_f32_e32 v71, v69, v68
	v_pk_add_f32 v[82:83], v[68:69], v[70:71] neg_lo:[0,1] neg_hi:[0,1]
	v_mov_b32_e32 v81, v68
	v_pk_add_f32 v[68:69], v[82:83], v[80:81] neg_lo:[0,1] neg_hi:[0,1]
	v_cmp_eq_f32_e32 vcc, s6, v100
	v_add_f32_e32 v69, v87, v69
	v_add_f32_e32 v68, v68, v69
	;; [unrolled: 1-line block ×3, first 2 shown]
	v_mul_f32_e32 v87, v86, v69
	v_mul_f32_e32 v70, v85, v87
	v_fma_f32 v80, v87, v85, -v70
	v_fmac_f32_e32 v80, v87, v67
	v_sub_f32_e32 v67, v71, v69
	v_add_f32_e32 v67, v68, v67
	v_add_f32_e32 v68, v70, v80
	v_sub_f32_e32 v71, v69, v68
	v_pk_add_f32 v[82:83], v[68:69], v[70:71] neg_lo:[0,1] neg_hi:[0,1]
	v_mov_b32_e32 v81, v68
	v_pk_add_f32 v[68:69], v[82:83], v[80:81] neg_lo:[0,1] neg_hi:[0,1]
	v_cvt_f32_i32_e32 v70, v84
	v_add_f32_e32 v67, v67, v69
	v_add_f32_e32 v67, v68, v67
	;; [unrolled: 1-line block ×4, first 2 shown]
	v_sub_f32_e32 v69, v68, v96
	v_mul_f32_e32 v67, v86, v67
	v_sub_f32_e32 v69, v87, v69
	v_add_f32_e32 v67, v69, v67
	v_add_f32_e32 v71, v68, v67
	v_mul_f32_e32 v80, v71, v71
	v_mov_b32_e32 v69, 0x3ecc95a3
	v_fmac_f32_e32 v69, 0x3e9b6dac, v80
	v_sub_f32_e32 v68, v71, v68
	v_fmaak_f32 v69, v80, v69, 0x3f2aaada
	v_sub_f32_e32 v67, v67, v68
	v_ldexp_f32 v81, v71, 1
	v_mul_f32_e32 v71, v71, v80
	v_mov_b32_e32 v68, 0x3f317218
	v_pk_mul_f32 v[68:69], v[70:71], v[68:69]
	v_ldexp_f32 v67, v67, 1
	v_fma_f32 v71, v70, s4, -v68
	v_fmamk_f32 v80, v70, 0xb102e308, v71
	v_pk_add_f32 v[70:71], v[68:69], v[80:81]
	v_mov_b32_e32 v82, v68
	v_sub_f32_e32 v81, v71, v81
	v_sub_f32_e32 v81, v69, v81
	v_add_f32_e32 v83, v67, v81
	v_pk_add_f32 v[68:69], v[70:71], v[68:69] neg_lo:[0,1] neg_hi:[0,1]
	v_pk_add_f32 v[84:85], v[70:71], v[82:83]
	v_mov_b32_e32 v81, v70
	v_mov_b32_e32 v69, v85
	v_pk_add_f32 v[86:87], v[80:81], v[68:69] neg_lo:[0,1] neg_hi:[0,1]
	v_pk_add_f32 v[68:69], v[80:81], v[68:69]
	v_mov_b32_e32 v82, v83
	v_mov_b32_e32 v80, v69
	v_pk_add_f32 v[96:97], v[80:81], v[70:71] neg_lo:[0,1] neg_hi:[0,1]
	v_mov_b32_e32 v68, v85
	v_mov_b32_e32 v67, v96
	v_pk_add_f32 v[98:99], v[84:85], v[66:67] neg_lo:[0,1] neg_hi:[0,1]
	v_mov_b32_e32 v84, v71
	v_mov_b32_e32 v85, v96
	;; [unrolled: 1-line block ×3, first 2 shown]
	v_pk_add_f32 v[68:69], v[68:69], v[84:85] neg_lo:[0,1] neg_hi:[0,1]
	v_mov_b32_e32 v83, v70
	v_pk_add_f32 v[68:69], v[82:83], v[68:69] neg_lo:[0,1] neg_hi:[0,1]
	v_mov_b32_e32 v98, v86
	v_pk_add_f32 v[70:71], v[98:99], v[68:69]
	s_mov_b32 s4, 0x33800000
	v_mov_b32_e32 v82, v71
	v_pk_add_f32 v[82:83], v[70:71], v[82:83]
	v_cmp_lt_f32_e64 s[6:7], |v100|, s4
	v_pk_add_f32 v[80:81], v[80:81], v[82:83]
	v_mov_b32_e32 v69, v82
	v_mov_b32_e32 v71, v80
	v_pk_add_f32 v[84:85], v[70:71], v[86:87] neg_lo:[0,1] neg_hi:[0,1]
	s_or_b64 vcc, vcc, s[6:7]
	v_sub_f32_e32 v67, v70, v84
	v_pk_add_f32 v[68:69], v[68:69], v[84:85] neg_lo:[0,1] neg_hi:[0,1]
	v_sub_f32_e32 v67, v86, v67
	v_add_f32_e32 v67, v68, v67
	v_add_f32_e32 v67, v67, v69
	;; [unrolled: 1-line block ×3, first 2 shown]
	v_cndmask_b32_e32 v67, v67, v100, vcc
	v_add_f32_e32 v67, v66, v67
.LBB451_250:
	s_or_b64 exec, exec, s[2:3]
	v_bfe_u32 v66, v67, 16, 1
	v_add3_u32 v66, v67, v66, s5
	v_lshrrev_b32_e32 v66, 16, v66
	v_cmp_o_f32_e32 vcc, v67, v67
	s_movk_i32 s4, 0x1f8
	s_nop 0
	v_cndmask_b32_e32 v65, v65, v66, vcc
	v_lshlrev_b32_e32 v68, 16, v65
	v_max_f32_e32 v66, v68, v68
	v_min_f32_e32 v67, v66, v119
	v_cmp_u_f32_e32 vcc, v68, v68
	v_max_f32_e32 v66, v66, v119
	s_nop 0
	v_cndmask_b32_e32 v67, v67, v68, vcc
	v_cndmask_b32_e32 v66, v66, v68, vcc
	v_cndmask_b32_e64 v67, v67, v113, s[38:39]
	v_cndmask_b32_e64 v66, v66, v113, s[38:39]
	v_cmp_neq_f32_e32 vcc, v67, v66
	v_cmp_class_f32_e64 s[2:3], v67, s4
	s_or_b64 s[6:7], vcc, s[2:3]
	s_and_saveexec_b64 s[2:3], s[6:7]
	s_cbranch_execz .LBB451_252
; %bb.251:
	v_sub_f32_e32 v67, v67, v66
	s_mov_b32 s5, 0x3fb8aa3b
	v_mul_f32_e32 v68, 0x3fb8aa3b, v67
	v_fma_f32 v69, v67, s5, -v68
	v_rndne_f32_e32 v70, v68
	v_fmamk_f32 v69, v67, 0x32a5705f, v69
	v_sub_f32_e32 v68, v68, v70
	v_add_f32_e32 v68, v68, v69
	v_exp_f32_e32 v68, v68
	v_cvt_i32_f32_e32 v69, v70
	s_mov_b32 s5, 0xc2ce8ed0
	v_cmp_ngt_f32_e32 vcc, s5, v67
	s_mov_b32 s5, 0x42b17218
	v_ldexp_f32 v68, v68, v69
	v_cndmask_b32_e32 v68, 0, v68, vcc
	v_mov_b32_e32 v69, 0x7f800000
	v_cmp_nlt_f32_e32 vcc, s5, v67
	s_mov_b32 s5, 0x3f2aaaab
	s_mov_b32 s6, 0x7f800000
	v_cndmask_b32_e32 v100, v69, v68, vcc
	v_add_f32_e32 v67, 1.0, v100
	v_add_f32_e32 v68, -1.0, v67
	v_sub_f32_e32 v69, v68, v67
	v_add_f32_e32 v69, 1.0, v69
	v_sub_f32_e32 v68, v100, v68
	v_add_f32_e32 v70, v68, v69
	v_frexp_mant_f32_e32 v71, v67
	v_cvt_f64_f32_e32 v[68:69], v67
	v_frexp_exp_i32_f64_e32 v68, v[68:69]
	v_cmp_gt_f32_e32 vcc, s5, v71
	s_mov_b32 s5, 0x3f317218
	s_nop 0
	v_subbrev_co_u32_e32 v84, vcc, 0, v68, vcc
	v_sub_u32_e32 v68, 0, v84
	v_ldexp_f32 v67, v67, v68
	v_ldexp_f32 v68, v70, v68
	v_add_f32_e32 v70, -1.0, v67
	v_add_f32_e32 v69, 1.0, v70
	v_sub_f32_e32 v69, v67, v69
	v_add_f32_e32 v71, v68, v69
	v_add_f32_e32 v69, 1.0, v67
	v_add_f32_e32 v80, -1.0, v69
	v_sub_f32_e32 v67, v67, v80
	v_add_f32_e32 v67, v68, v67
	v_add_f32_e32 v85, v69, v67
	v_rcp_f32_e32 v86, v85
	v_sub_f32_e32 v68, v69, v85
	v_add_f32_e32 v69, v70, v71
	v_add_f32_e32 v67, v67, v68
	v_mul_f32_e32 v96, v69, v86
	v_sub_f32_e32 v68, v70, v69
	v_mul_f32_e32 v70, v85, v96
	v_fma_f32 v80, v96, v85, -v70
	v_fmac_f32_e32 v80, v96, v67
	v_add_f32_e32 v87, v71, v68
	v_add_f32_e32 v68, v70, v80
	v_sub_f32_e32 v71, v69, v68
	v_pk_add_f32 v[82:83], v[68:69], v[70:71] neg_lo:[0,1] neg_hi:[0,1]
	v_mov_b32_e32 v81, v68
	v_pk_add_f32 v[68:69], v[82:83], v[80:81] neg_lo:[0,1] neg_hi:[0,1]
	v_cmp_eq_f32_e32 vcc, s6, v100
	v_add_f32_e32 v69, v87, v69
	v_add_f32_e32 v68, v68, v69
	;; [unrolled: 1-line block ×3, first 2 shown]
	v_mul_f32_e32 v87, v86, v69
	v_mul_f32_e32 v70, v85, v87
	v_fma_f32 v80, v87, v85, -v70
	v_fmac_f32_e32 v80, v87, v67
	v_sub_f32_e32 v67, v71, v69
	v_add_f32_e32 v67, v68, v67
	v_add_f32_e32 v68, v70, v80
	v_sub_f32_e32 v71, v69, v68
	v_pk_add_f32 v[82:83], v[68:69], v[70:71] neg_lo:[0,1] neg_hi:[0,1]
	v_mov_b32_e32 v81, v68
	v_pk_add_f32 v[68:69], v[82:83], v[80:81] neg_lo:[0,1] neg_hi:[0,1]
	v_cvt_f32_i32_e32 v70, v84
	v_add_f32_e32 v67, v67, v69
	v_add_f32_e32 v67, v68, v67
	;; [unrolled: 1-line block ×4, first 2 shown]
	v_sub_f32_e32 v69, v68, v96
	v_mul_f32_e32 v67, v86, v67
	v_sub_f32_e32 v69, v87, v69
	v_add_f32_e32 v67, v69, v67
	v_add_f32_e32 v71, v68, v67
	v_mul_f32_e32 v80, v71, v71
	v_mov_b32_e32 v69, 0x3ecc95a3
	v_fmac_f32_e32 v69, 0x3e9b6dac, v80
	v_sub_f32_e32 v68, v71, v68
	v_fmaak_f32 v69, v80, v69, 0x3f2aaada
	v_sub_f32_e32 v67, v67, v68
	v_ldexp_f32 v81, v71, 1
	v_mul_f32_e32 v71, v71, v80
	v_mov_b32_e32 v68, 0x3f317218
	v_pk_mul_f32 v[68:69], v[70:71], v[68:69]
	v_ldexp_f32 v67, v67, 1
	v_fma_f32 v71, v70, s5, -v68
	v_fmamk_f32 v80, v70, 0xb102e308, v71
	v_pk_add_f32 v[70:71], v[68:69], v[80:81]
	v_mov_b32_e32 v82, v68
	v_sub_f32_e32 v81, v71, v81
	v_sub_f32_e32 v81, v69, v81
	v_add_f32_e32 v83, v67, v81
	v_pk_add_f32 v[68:69], v[70:71], v[68:69] neg_lo:[0,1] neg_hi:[0,1]
	v_pk_add_f32 v[84:85], v[70:71], v[82:83]
	v_mov_b32_e32 v81, v70
	v_mov_b32_e32 v69, v85
	v_pk_add_f32 v[86:87], v[80:81], v[68:69] neg_lo:[0,1] neg_hi:[0,1]
	v_pk_add_f32 v[68:69], v[80:81], v[68:69]
	v_mov_b32_e32 v82, v83
	v_mov_b32_e32 v80, v69
	v_pk_add_f32 v[96:97], v[80:81], v[70:71] neg_lo:[0,1] neg_hi:[0,1]
	v_mov_b32_e32 v68, v85
	v_mov_b32_e32 v67, v96
	v_pk_add_f32 v[98:99], v[84:85], v[66:67] neg_lo:[0,1] neg_hi:[0,1]
	v_mov_b32_e32 v84, v71
	v_mov_b32_e32 v85, v96
	;; [unrolled: 1-line block ×3, first 2 shown]
	v_pk_add_f32 v[68:69], v[68:69], v[84:85] neg_lo:[0,1] neg_hi:[0,1]
	v_mov_b32_e32 v83, v70
	v_pk_add_f32 v[68:69], v[82:83], v[68:69] neg_lo:[0,1] neg_hi:[0,1]
	v_mov_b32_e32 v98, v86
	v_pk_add_f32 v[70:71], v[98:99], v[68:69]
	s_mov_b32 s5, 0x33800000
	v_mov_b32_e32 v82, v71
	v_pk_add_f32 v[82:83], v[70:71], v[82:83]
	v_cmp_lt_f32_e64 s[6:7], |v100|, s5
	v_pk_add_f32 v[80:81], v[80:81], v[82:83]
	v_mov_b32_e32 v69, v82
	v_mov_b32_e32 v71, v80
	v_pk_add_f32 v[84:85], v[70:71], v[86:87] neg_lo:[0,1] neg_hi:[0,1]
	s_or_b64 vcc, vcc, s[6:7]
	v_sub_f32_e32 v67, v70, v84
	v_pk_add_f32 v[68:69], v[68:69], v[84:85] neg_lo:[0,1] neg_hi:[0,1]
	v_sub_f32_e32 v67, v86, v67
	v_add_f32_e32 v67, v68, v67
	v_add_f32_e32 v67, v67, v69
	v_add_f32_e32 v67, v80, v67
	v_cndmask_b32_e32 v67, v67, v100, vcc
	v_add_f32_e32 v68, v66, v67
.LBB451_252:
	s_or_b64 exec, exec, s[2:3]
	v_bfe_u32 v66, v68, 16, 1
	s_movk_i32 s5, 0x7fff
	v_add3_u32 v66, v68, v66, s5
	v_lshrrev_b32_e32 v66, 16, v66
	v_mov_b32_e32 v67, 0x7fc0
	v_cmp_o_f32_e32 vcc, v68, v68
	s_nop 1
	v_cndmask_b32_e32 v66, v67, v66, vcc
	v_lshlrev_b32_e32 v69, 16, v66
	v_max_f32_e32 v68, v69, v69
	v_min_f32_e32 v70, v68, v128
	v_cmp_u_f32_e32 vcc, v69, v69
	v_max_f32_e32 v68, v68, v128
	s_nop 0
	v_cndmask_b32_e32 v70, v70, v69, vcc
	v_cndmask_b32_e32 v68, v68, v69, vcc
	v_cndmask_b32_e64 v70, v70, v114, s[40:41]
	v_cndmask_b32_e64 v68, v68, v114, s[40:41]
	v_cmp_neq_f32_e32 vcc, v70, v68
	v_cmp_class_f32_e64 s[2:3], v70, s4
	s_or_b64 s[6:7], vcc, s[2:3]
	s_and_saveexec_b64 s[2:3], s[6:7]
	s_cbranch_execz .LBB451_254
; %bb.253:
	v_sub_f32_e32 v69, v70, v68
	s_mov_b32 s4, 0x3fb8aa3b
	v_mul_f32_e32 v70, 0x3fb8aa3b, v69
	v_fma_f32 v71, v69, s4, -v70
	v_rndne_f32_e32 v80, v70
	v_fmamk_f32 v71, v69, 0x32a5705f, v71
	v_sub_f32_e32 v70, v70, v80
	v_add_f32_e32 v70, v70, v71
	v_exp_f32_e32 v70, v70
	v_cvt_i32_f32_e32 v71, v80
	s_mov_b32 s4, 0xc2ce8ed0
	v_cmp_ngt_f32_e32 vcc, s4, v69
	s_mov_b32 s4, 0x42b17218
	v_ldexp_f32 v70, v70, v71
	v_cndmask_b32_e32 v70, 0, v70, vcc
	v_mov_b32_e32 v71, 0x7f800000
	v_cmp_nlt_f32_e32 vcc, s4, v69
	s_mov_b32 s4, 0x3f2aaaab
	s_mov_b32 s6, 0x7f800000
	v_cndmask_b32_e32 v102, v71, v70, vcc
	v_add_f32_e32 v69, 1.0, v102
	v_add_f32_e32 v70, -1.0, v69
	v_sub_f32_e32 v71, v70, v69
	v_add_f32_e32 v71, 1.0, v71
	v_sub_f32_e32 v70, v102, v70
	v_add_f32_e32 v80, v70, v71
	v_frexp_mant_f32_e32 v81, v69
	v_cvt_f64_f32_e32 v[70:71], v69
	v_frexp_exp_i32_f64_e32 v70, v[70:71]
	v_cmp_gt_f32_e32 vcc, s4, v81
	s_mov_b32 s4, 0x3f317218
	s_nop 0
	v_subbrev_co_u32_e32 v86, vcc, 0, v70, vcc
	v_sub_u32_e32 v70, 0, v86
	v_ldexp_f32 v69, v69, v70
	v_ldexp_f32 v70, v80, v70
	v_add_f32_e32 v80, -1.0, v69
	v_add_f32_e32 v71, 1.0, v80
	v_sub_f32_e32 v71, v69, v71
	v_add_f32_e32 v81, v70, v71
	v_add_f32_e32 v71, 1.0, v69
	v_add_f32_e32 v82, -1.0, v71
	v_sub_f32_e32 v69, v69, v82
	v_add_f32_e32 v69, v70, v69
	v_add_f32_e32 v87, v71, v69
	v_rcp_f32_e32 v96, v87
	v_sub_f32_e32 v70, v71, v87
	v_add_f32_e32 v71, v80, v81
	v_add_f32_e32 v69, v69, v70
	v_mul_f32_e32 v98, v71, v96
	v_sub_f32_e32 v70, v80, v71
	v_mul_f32_e32 v80, v87, v98
	v_fma_f32 v82, v98, v87, -v80
	v_fmac_f32_e32 v82, v98, v69
	v_add_f32_e32 v97, v81, v70
	v_add_f32_e32 v70, v80, v82
	v_sub_f32_e32 v81, v71, v70
	v_pk_add_f32 v[84:85], v[70:71], v[80:81] neg_lo:[0,1] neg_hi:[0,1]
	v_mov_b32_e32 v83, v70
	v_pk_add_f32 v[70:71], v[84:85], v[82:83] neg_lo:[0,1] neg_hi:[0,1]
	v_cmp_eq_f32_e32 vcc, s6, v102
	v_add_f32_e32 v71, v97, v71
	v_add_f32_e32 v70, v70, v71
	;; [unrolled: 1-line block ×3, first 2 shown]
	v_mul_f32_e32 v97, v96, v71
	v_mul_f32_e32 v80, v87, v97
	v_fma_f32 v82, v97, v87, -v80
	v_fmac_f32_e32 v82, v97, v69
	v_sub_f32_e32 v69, v81, v71
	v_add_f32_e32 v69, v70, v69
	v_add_f32_e32 v70, v80, v82
	v_sub_f32_e32 v81, v71, v70
	v_pk_add_f32 v[84:85], v[70:71], v[80:81] neg_lo:[0,1] neg_hi:[0,1]
	v_mov_b32_e32 v83, v70
	v_pk_add_f32 v[70:71], v[84:85], v[82:83] neg_lo:[0,1] neg_hi:[0,1]
	v_cvt_f32_i32_e32 v80, v86
	v_add_f32_e32 v69, v69, v71
	v_add_f32_e32 v69, v70, v69
	;; [unrolled: 1-line block ×4, first 2 shown]
	v_sub_f32_e32 v71, v70, v98
	v_mul_f32_e32 v69, v96, v69
	v_sub_f32_e32 v71, v97, v71
	v_add_f32_e32 v69, v71, v69
	v_add_f32_e32 v81, v70, v69
	v_mul_f32_e32 v82, v81, v81
	v_mov_b32_e32 v71, 0x3ecc95a3
	v_fmac_f32_e32 v71, 0x3e9b6dac, v82
	v_sub_f32_e32 v70, v81, v70
	v_fmaak_f32 v71, v82, v71, 0x3f2aaada
	v_sub_f32_e32 v69, v69, v70
	v_ldexp_f32 v83, v81, 1
	v_mul_f32_e32 v81, v81, v82
	v_mov_b32_e32 v70, 0x3f317218
	v_pk_mul_f32 v[70:71], v[80:81], v[70:71]
	v_ldexp_f32 v69, v69, 1
	v_fma_f32 v81, v80, s4, -v70
	v_fmamk_f32 v82, v80, 0xb102e308, v81
	v_pk_add_f32 v[80:81], v[70:71], v[82:83]
	v_mov_b32_e32 v84, v70
	v_sub_f32_e32 v83, v81, v83
	v_sub_f32_e32 v83, v71, v83
	v_add_f32_e32 v85, v69, v83
	v_pk_add_f32 v[70:71], v[80:81], v[70:71] neg_lo:[0,1] neg_hi:[0,1]
	v_pk_add_f32 v[86:87], v[80:81], v[84:85]
	v_mov_b32_e32 v83, v80
	v_mov_b32_e32 v71, v87
	v_pk_add_f32 v[96:97], v[82:83], v[70:71] neg_lo:[0,1] neg_hi:[0,1]
	v_pk_add_f32 v[70:71], v[82:83], v[70:71]
	v_mov_b32_e32 v84, v85
	v_mov_b32_e32 v82, v71
	v_pk_add_f32 v[98:99], v[82:83], v[80:81] neg_lo:[0,1] neg_hi:[0,1]
	v_mov_b32_e32 v70, v87
	v_mov_b32_e32 v69, v98
	v_pk_add_f32 v[100:101], v[86:87], v[68:69] neg_lo:[0,1] neg_hi:[0,1]
	v_mov_b32_e32 v86, v81
	v_mov_b32_e32 v87, v98
	;; [unrolled: 1-line block ×3, first 2 shown]
	v_pk_add_f32 v[70:71], v[70:71], v[86:87] neg_lo:[0,1] neg_hi:[0,1]
	v_mov_b32_e32 v85, v80
	v_pk_add_f32 v[70:71], v[84:85], v[70:71] neg_lo:[0,1] neg_hi:[0,1]
	v_mov_b32_e32 v100, v96
	v_pk_add_f32 v[80:81], v[100:101], v[70:71]
	s_mov_b32 s4, 0x33800000
	v_mov_b32_e32 v84, v81
	v_pk_add_f32 v[84:85], v[80:81], v[84:85]
	v_cmp_lt_f32_e64 s[6:7], |v102|, s4
	v_pk_add_f32 v[82:83], v[82:83], v[84:85]
	v_mov_b32_e32 v71, v84
	v_mov_b32_e32 v81, v82
	v_pk_add_f32 v[86:87], v[80:81], v[96:97] neg_lo:[0,1] neg_hi:[0,1]
	s_or_b64 vcc, vcc, s[6:7]
	v_sub_f32_e32 v69, v80, v86
	v_pk_add_f32 v[70:71], v[70:71], v[86:87] neg_lo:[0,1] neg_hi:[0,1]
	v_sub_f32_e32 v69, v96, v69
	v_add_f32_e32 v69, v70, v69
	v_add_f32_e32 v69, v69, v71
	;; [unrolled: 1-line block ×3, first 2 shown]
	v_cndmask_b32_e32 v69, v69, v102, vcc
	v_add_f32_e32 v69, v68, v69
.LBB451_254:
	s_or_b64 exec, exec, s[2:3]
	v_bfe_u32 v68, v69, 16, 1
	v_add3_u32 v68, v69, v68, s5
	v_lshrrev_b32_e32 v68, 16, v68
	v_cmp_o_f32_e32 vcc, v69, v69
	s_movk_i32 s4, 0x1f8
	s_nop 0
	v_cndmask_b32_e32 v67, v67, v68, vcc
	v_lshlrev_b32_e32 v70, 16, v67
	v_max_f32_e32 v68, v70, v70
	v_min_f32_e32 v69, v68, v131
	v_cmp_u_f32_e32 vcc, v70, v70
	v_max_f32_e32 v68, v68, v131
	s_nop 0
	v_cndmask_b32_e32 v69, v69, v70, vcc
	v_cndmask_b32_e32 v68, v68, v70, vcc
	v_cndmask_b32_e64 v69, v69, v117, s[42:43]
	v_cndmask_b32_e64 v68, v68, v117, s[42:43]
	v_cmp_neq_f32_e32 vcc, v69, v68
	v_cmp_class_f32_e64 s[2:3], v69, s4
	s_or_b64 s[6:7], vcc, s[2:3]
	s_and_saveexec_b64 s[2:3], s[6:7]
	s_cbranch_execz .LBB451_256
; %bb.255:
	v_sub_f32_e32 v69, v69, v68
	s_mov_b32 s5, 0x3fb8aa3b
	v_mul_f32_e32 v70, 0x3fb8aa3b, v69
	v_fma_f32 v71, v69, s5, -v70
	v_rndne_f32_e32 v80, v70
	v_fmamk_f32 v71, v69, 0x32a5705f, v71
	v_sub_f32_e32 v70, v70, v80
	v_add_f32_e32 v70, v70, v71
	v_exp_f32_e32 v70, v70
	v_cvt_i32_f32_e32 v71, v80
	s_mov_b32 s5, 0xc2ce8ed0
	v_cmp_ngt_f32_e32 vcc, s5, v69
	s_mov_b32 s5, 0x42b17218
	v_ldexp_f32 v70, v70, v71
	v_cndmask_b32_e32 v70, 0, v70, vcc
	v_mov_b32_e32 v71, 0x7f800000
	v_cmp_nlt_f32_e32 vcc, s5, v69
	s_mov_b32 s5, 0x3f2aaaab
	s_mov_b32 s6, 0x7f800000
	v_cndmask_b32_e32 v102, v71, v70, vcc
	v_add_f32_e32 v69, 1.0, v102
	v_add_f32_e32 v70, -1.0, v69
	v_sub_f32_e32 v71, v70, v69
	v_add_f32_e32 v71, 1.0, v71
	v_sub_f32_e32 v70, v102, v70
	v_add_f32_e32 v80, v70, v71
	v_frexp_mant_f32_e32 v81, v69
	v_cvt_f64_f32_e32 v[70:71], v69
	v_frexp_exp_i32_f64_e32 v70, v[70:71]
	v_cmp_gt_f32_e32 vcc, s5, v81
	s_mov_b32 s5, 0x3f317218
	s_nop 0
	v_subbrev_co_u32_e32 v86, vcc, 0, v70, vcc
	v_sub_u32_e32 v70, 0, v86
	v_ldexp_f32 v69, v69, v70
	v_ldexp_f32 v70, v80, v70
	v_add_f32_e32 v80, -1.0, v69
	v_add_f32_e32 v71, 1.0, v80
	v_sub_f32_e32 v71, v69, v71
	v_add_f32_e32 v81, v70, v71
	v_add_f32_e32 v71, 1.0, v69
	v_add_f32_e32 v82, -1.0, v71
	v_sub_f32_e32 v69, v69, v82
	v_add_f32_e32 v69, v70, v69
	v_add_f32_e32 v87, v71, v69
	v_rcp_f32_e32 v96, v87
	v_sub_f32_e32 v70, v71, v87
	v_add_f32_e32 v71, v80, v81
	v_add_f32_e32 v69, v69, v70
	v_mul_f32_e32 v98, v71, v96
	v_sub_f32_e32 v70, v80, v71
	v_mul_f32_e32 v80, v87, v98
	v_fma_f32 v82, v98, v87, -v80
	v_fmac_f32_e32 v82, v98, v69
	v_add_f32_e32 v97, v81, v70
	v_add_f32_e32 v70, v80, v82
	v_sub_f32_e32 v81, v71, v70
	v_pk_add_f32 v[84:85], v[70:71], v[80:81] neg_lo:[0,1] neg_hi:[0,1]
	v_mov_b32_e32 v83, v70
	v_pk_add_f32 v[70:71], v[84:85], v[82:83] neg_lo:[0,1] neg_hi:[0,1]
	v_cmp_eq_f32_e32 vcc, s6, v102
	v_add_f32_e32 v71, v97, v71
	v_add_f32_e32 v70, v70, v71
	;; [unrolled: 1-line block ×3, first 2 shown]
	v_mul_f32_e32 v97, v96, v71
	v_mul_f32_e32 v80, v87, v97
	v_fma_f32 v82, v97, v87, -v80
	v_fmac_f32_e32 v82, v97, v69
	v_sub_f32_e32 v69, v81, v71
	v_add_f32_e32 v69, v70, v69
	v_add_f32_e32 v70, v80, v82
	v_sub_f32_e32 v81, v71, v70
	v_pk_add_f32 v[84:85], v[70:71], v[80:81] neg_lo:[0,1] neg_hi:[0,1]
	v_mov_b32_e32 v83, v70
	v_pk_add_f32 v[70:71], v[84:85], v[82:83] neg_lo:[0,1] neg_hi:[0,1]
	v_cvt_f32_i32_e32 v80, v86
	v_add_f32_e32 v69, v69, v71
	v_add_f32_e32 v69, v70, v69
	v_add_f32_e32 v70, v98, v97
	v_add_f32_e32 v69, v81, v69
	v_sub_f32_e32 v71, v70, v98
	v_mul_f32_e32 v69, v96, v69
	v_sub_f32_e32 v71, v97, v71
	v_add_f32_e32 v69, v71, v69
	v_add_f32_e32 v81, v70, v69
	v_mul_f32_e32 v82, v81, v81
	v_mov_b32_e32 v71, 0x3ecc95a3
	v_fmac_f32_e32 v71, 0x3e9b6dac, v82
	v_sub_f32_e32 v70, v81, v70
	v_fmaak_f32 v71, v82, v71, 0x3f2aaada
	v_sub_f32_e32 v69, v69, v70
	v_ldexp_f32 v83, v81, 1
	v_mul_f32_e32 v81, v81, v82
	v_mov_b32_e32 v70, 0x3f317218
	v_pk_mul_f32 v[70:71], v[80:81], v[70:71]
	v_ldexp_f32 v69, v69, 1
	v_fma_f32 v81, v80, s5, -v70
	v_fmamk_f32 v82, v80, 0xb102e308, v81
	v_pk_add_f32 v[80:81], v[70:71], v[82:83]
	v_mov_b32_e32 v84, v70
	v_sub_f32_e32 v83, v81, v83
	v_sub_f32_e32 v83, v71, v83
	v_add_f32_e32 v85, v69, v83
	v_pk_add_f32 v[70:71], v[80:81], v[70:71] neg_lo:[0,1] neg_hi:[0,1]
	v_pk_add_f32 v[86:87], v[80:81], v[84:85]
	v_mov_b32_e32 v83, v80
	v_mov_b32_e32 v71, v87
	v_pk_add_f32 v[96:97], v[82:83], v[70:71] neg_lo:[0,1] neg_hi:[0,1]
	v_pk_add_f32 v[70:71], v[82:83], v[70:71]
	v_mov_b32_e32 v84, v85
	v_mov_b32_e32 v82, v71
	v_pk_add_f32 v[98:99], v[82:83], v[80:81] neg_lo:[0,1] neg_hi:[0,1]
	v_mov_b32_e32 v70, v87
	v_mov_b32_e32 v69, v98
	v_pk_add_f32 v[100:101], v[86:87], v[68:69] neg_lo:[0,1] neg_hi:[0,1]
	v_mov_b32_e32 v86, v81
	v_mov_b32_e32 v87, v98
	;; [unrolled: 1-line block ×3, first 2 shown]
	v_pk_add_f32 v[70:71], v[70:71], v[86:87] neg_lo:[0,1] neg_hi:[0,1]
	v_mov_b32_e32 v85, v80
	v_pk_add_f32 v[70:71], v[84:85], v[70:71] neg_lo:[0,1] neg_hi:[0,1]
	v_mov_b32_e32 v100, v96
	v_pk_add_f32 v[80:81], v[100:101], v[70:71]
	s_mov_b32 s5, 0x33800000
	v_mov_b32_e32 v84, v81
	v_pk_add_f32 v[84:85], v[80:81], v[84:85]
	v_cmp_lt_f32_e64 s[6:7], |v102|, s5
	v_pk_add_f32 v[82:83], v[82:83], v[84:85]
	v_mov_b32_e32 v71, v84
	v_mov_b32_e32 v81, v82
	v_pk_add_f32 v[86:87], v[80:81], v[96:97] neg_lo:[0,1] neg_hi:[0,1]
	s_or_b64 vcc, vcc, s[6:7]
	v_sub_f32_e32 v69, v80, v86
	v_pk_add_f32 v[70:71], v[70:71], v[86:87] neg_lo:[0,1] neg_hi:[0,1]
	v_sub_f32_e32 v69, v96, v69
	v_add_f32_e32 v69, v70, v69
	v_add_f32_e32 v69, v69, v71
	;; [unrolled: 1-line block ×3, first 2 shown]
	v_cndmask_b32_e32 v69, v69, v102, vcc
	v_add_f32_e32 v70, v68, v69
.LBB451_256:
	s_or_b64 exec, exec, s[2:3]
	v_bfe_u32 v68, v70, 16, 1
	s_movk_i32 s5, 0x7fff
	v_add3_u32 v68, v70, v68, s5
	v_lshrrev_b32_e32 v68, 16, v68
	v_mov_b32_e32 v69, 0x7fc0
	v_cmp_o_f32_e32 vcc, v70, v70
	s_nop 1
	v_cndmask_b32_e32 v68, v69, v68, vcc
	v_lshlrev_b32_e32 v71, 16, v68
	v_max_f32_e32 v70, v71, v71
	v_min_f32_e32 v80, v70, v132
	v_cmp_u_f32_e32 vcc, v71, v71
	v_max_f32_e32 v70, v70, v132
	s_nop 0
	v_cndmask_b32_e32 v80, v80, v71, vcc
	v_cndmask_b32_e32 v70, v70, v71, vcc
	v_cndmask_b32_e64 v80, v80, v118, s[44:45]
	v_cndmask_b32_e64 v70, v70, v118, s[44:45]
	v_cmp_neq_f32_e32 vcc, v80, v70
	v_cmp_class_f32_e64 s[2:3], v80, s4
	s_or_b64 s[6:7], vcc, s[2:3]
	s_and_saveexec_b64 s[2:3], s[6:7]
	s_cbranch_execz .LBB451_258
; %bb.257:
	v_sub_f32_e32 v71, v80, v70
	s_mov_b32 s4, 0x3fb8aa3b
	v_mul_f32_e32 v80, 0x3fb8aa3b, v71
	v_fma_f32 v81, v71, s4, -v80
	v_rndne_f32_e32 v82, v80
	v_fmamk_f32 v81, v71, 0x32a5705f, v81
	v_sub_f32_e32 v80, v80, v82
	v_add_f32_e32 v80, v80, v81
	v_exp_f32_e32 v80, v80
	v_cvt_i32_f32_e32 v81, v82
	s_mov_b32 s4, 0xc2ce8ed0
	v_cmp_ngt_f32_e32 vcc, s4, v71
	s_mov_b32 s4, 0x42b17218
	v_ldexp_f32 v80, v80, v81
	v_cndmask_b32_e32 v80, 0, v80, vcc
	v_mov_b32_e32 v81, 0x7f800000
	v_cmp_nlt_f32_e32 vcc, s4, v71
	s_mov_b32 s4, 0x3f2aaaab
	s_mov_b32 s6, 0x7f800000
	v_cndmask_b32_e32 v112, v81, v80, vcc
	v_add_f32_e32 v71, 1.0, v112
	v_add_f32_e32 v80, -1.0, v71
	v_sub_f32_e32 v81, v80, v71
	v_add_f32_e32 v81, 1.0, v81
	v_sub_f32_e32 v80, v112, v80
	v_add_f32_e32 v82, v80, v81
	v_frexp_mant_f32_e32 v83, v71
	v_cvt_f64_f32_e32 v[80:81], v71
	v_frexp_exp_i32_f64_e32 v80, v[80:81]
	v_cmp_gt_f32_e32 vcc, s4, v83
	s_mov_b32 s4, 0x3f317218
	s_nop 0
	v_subbrev_co_u32_e32 v96, vcc, 0, v80, vcc
	v_sub_u32_e32 v80, 0, v96
	v_ldexp_f32 v71, v71, v80
	v_ldexp_f32 v80, v82, v80
	v_add_f32_e32 v82, -1.0, v71
	v_add_f32_e32 v81, 1.0, v82
	v_sub_f32_e32 v81, v71, v81
	v_add_f32_e32 v83, v80, v81
	v_add_f32_e32 v81, 1.0, v71
	v_add_f32_e32 v84, -1.0, v81
	v_sub_f32_e32 v71, v71, v84
	v_add_f32_e32 v71, v80, v71
	v_add_f32_e32 v97, v81, v71
	v_rcp_f32_e32 v98, v97
	v_sub_f32_e32 v80, v81, v97
	v_add_f32_e32 v81, v82, v83
	v_add_f32_e32 v71, v71, v80
	v_mul_f32_e32 v100, v81, v98
	v_sub_f32_e32 v80, v82, v81
	v_mul_f32_e32 v82, v97, v100
	v_fma_f32 v84, v100, v97, -v82
	v_fmac_f32_e32 v84, v100, v71
	v_add_f32_e32 v99, v83, v80
	v_add_f32_e32 v80, v82, v84
	v_sub_f32_e32 v83, v81, v80
	v_pk_add_f32 v[86:87], v[80:81], v[82:83] neg_lo:[0,1] neg_hi:[0,1]
	v_mov_b32_e32 v85, v80
	v_pk_add_f32 v[80:81], v[86:87], v[84:85] neg_lo:[0,1] neg_hi:[0,1]
	v_cmp_eq_f32_e32 vcc, s6, v112
	v_add_f32_e32 v81, v99, v81
	v_add_f32_e32 v80, v80, v81
	;; [unrolled: 1-line block ×3, first 2 shown]
	v_mul_f32_e32 v99, v98, v81
	v_mul_f32_e32 v82, v97, v99
	v_fma_f32 v84, v99, v97, -v82
	v_fmac_f32_e32 v84, v99, v71
	v_sub_f32_e32 v71, v83, v81
	v_add_f32_e32 v71, v80, v71
	v_add_f32_e32 v80, v82, v84
	v_sub_f32_e32 v83, v81, v80
	v_pk_add_f32 v[86:87], v[80:81], v[82:83] neg_lo:[0,1] neg_hi:[0,1]
	v_mov_b32_e32 v85, v80
	v_pk_add_f32 v[80:81], v[86:87], v[84:85] neg_lo:[0,1] neg_hi:[0,1]
	v_cvt_f32_i32_e32 v82, v96
	v_add_f32_e32 v71, v71, v81
	v_add_f32_e32 v71, v80, v71
	;; [unrolled: 1-line block ×4, first 2 shown]
	v_sub_f32_e32 v81, v80, v100
	v_mul_f32_e32 v71, v98, v71
	v_sub_f32_e32 v81, v99, v81
	v_add_f32_e32 v71, v81, v71
	v_add_f32_e32 v83, v80, v71
	v_mul_f32_e32 v84, v83, v83
	v_mov_b32_e32 v81, 0x3ecc95a3
	v_fmac_f32_e32 v81, 0x3e9b6dac, v84
	v_sub_f32_e32 v80, v83, v80
	v_fmaak_f32 v81, v84, v81, 0x3f2aaada
	v_sub_f32_e32 v71, v71, v80
	v_ldexp_f32 v85, v83, 1
	v_mul_f32_e32 v83, v83, v84
	v_mov_b32_e32 v80, 0x3f317218
	v_pk_mul_f32 v[80:81], v[82:83], v[80:81]
	v_ldexp_f32 v71, v71, 1
	v_fma_f32 v83, v82, s4, -v80
	v_fmamk_f32 v84, v82, 0xb102e308, v83
	v_pk_add_f32 v[82:83], v[80:81], v[84:85]
	v_mov_b32_e32 v86, v80
	v_sub_f32_e32 v85, v83, v85
	v_sub_f32_e32 v85, v81, v85
	v_add_f32_e32 v87, v71, v85
	v_pk_add_f32 v[80:81], v[82:83], v[80:81] neg_lo:[0,1] neg_hi:[0,1]
	v_pk_add_f32 v[96:97], v[82:83], v[86:87]
	v_mov_b32_e32 v85, v82
	v_mov_b32_e32 v81, v97
	v_pk_add_f32 v[98:99], v[84:85], v[80:81] neg_lo:[0,1] neg_hi:[0,1]
	v_pk_add_f32 v[80:81], v[84:85], v[80:81]
	v_mov_b32_e32 v86, v87
	v_mov_b32_e32 v84, v81
	v_pk_add_f32 v[100:101], v[84:85], v[82:83] neg_lo:[0,1] neg_hi:[0,1]
	v_mov_b32_e32 v80, v97
	v_mov_b32_e32 v71, v100
	v_pk_add_f32 v[102:103], v[96:97], v[70:71] neg_lo:[0,1] neg_hi:[0,1]
	v_mov_b32_e32 v96, v83
	v_mov_b32_e32 v97, v100
	;; [unrolled: 1-line block ×3, first 2 shown]
	v_pk_add_f32 v[80:81], v[80:81], v[96:97] neg_lo:[0,1] neg_hi:[0,1]
	v_mov_b32_e32 v87, v82
	v_pk_add_f32 v[80:81], v[86:87], v[80:81] neg_lo:[0,1] neg_hi:[0,1]
	v_mov_b32_e32 v102, v98
	v_pk_add_f32 v[82:83], v[102:103], v[80:81]
	s_mov_b32 s4, 0x33800000
	v_mov_b32_e32 v86, v83
	v_pk_add_f32 v[86:87], v[82:83], v[86:87]
	v_cmp_lt_f32_e64 s[6:7], |v112|, s4
	v_pk_add_f32 v[84:85], v[84:85], v[86:87]
	v_mov_b32_e32 v81, v86
	v_mov_b32_e32 v83, v84
	v_pk_add_f32 v[96:97], v[82:83], v[98:99] neg_lo:[0,1] neg_hi:[0,1]
	s_or_b64 vcc, vcc, s[6:7]
	v_sub_f32_e32 v71, v82, v96
	v_pk_add_f32 v[80:81], v[80:81], v[96:97] neg_lo:[0,1] neg_hi:[0,1]
	v_sub_f32_e32 v71, v98, v71
	v_add_f32_e32 v71, v80, v71
	v_add_f32_e32 v71, v71, v81
	;; [unrolled: 1-line block ×3, first 2 shown]
	v_cndmask_b32_e32 v71, v71, v112, vcc
	v_add_f32_e32 v71, v70, v71
.LBB451_258:
	s_or_b64 exec, exec, s[2:3]
	v_bfe_u32 v70, v71, 16, 1
	v_add3_u32 v70, v71, v70, s5
	v_lshrrev_b32_e32 v70, 16, v70
	v_cmp_o_f32_e32 vcc, v71, v71
	s_movk_i32 s4, 0x1f8
	s_nop 0
	v_cndmask_b32_e32 v69, v69, v70, vcc
	v_lshlrev_b32_e32 v80, 16, v69
	v_max_f32_e32 v70, v80, v80
	v_min_f32_e32 v71, v70, v133
	v_cmp_u_f32_e32 vcc, v80, v80
	v_max_f32_e32 v70, v70, v133
	s_nop 0
	v_cndmask_b32_e32 v71, v71, v80, vcc
	v_cndmask_b32_e32 v70, v70, v80, vcc
	v_cndmask_b32_e64 v71, v71, v129, s[46:47]
	v_cndmask_b32_e64 v70, v70, v129, s[46:47]
	v_cmp_neq_f32_e32 vcc, v71, v70
	v_cmp_class_f32_e64 s[2:3], v71, s4
	s_or_b64 s[6:7], vcc, s[2:3]
	s_and_saveexec_b64 s[2:3], s[6:7]
	s_cbranch_execz .LBB451_260
; %bb.259:
	v_sub_f32_e32 v71, v71, v70
	s_mov_b32 s5, 0x3fb8aa3b
	v_mul_f32_e32 v80, 0x3fb8aa3b, v71
	v_fma_f32 v81, v71, s5, -v80
	v_rndne_f32_e32 v82, v80
	v_fmamk_f32 v81, v71, 0x32a5705f, v81
	v_sub_f32_e32 v80, v80, v82
	v_add_f32_e32 v80, v80, v81
	v_exp_f32_e32 v80, v80
	v_cvt_i32_f32_e32 v81, v82
	s_mov_b32 s5, 0xc2ce8ed0
	v_cmp_ngt_f32_e32 vcc, s5, v71
	s_mov_b32 s5, 0x42b17218
	v_ldexp_f32 v80, v80, v81
	v_cndmask_b32_e32 v80, 0, v80, vcc
	v_mov_b32_e32 v81, 0x7f800000
	v_cmp_nlt_f32_e32 vcc, s5, v71
	s_mov_b32 s5, 0x3f2aaaab
	s_mov_b32 s6, 0x7f800000
	v_cndmask_b32_e32 v112, v81, v80, vcc
	v_add_f32_e32 v71, 1.0, v112
	v_add_f32_e32 v80, -1.0, v71
	v_sub_f32_e32 v81, v80, v71
	v_add_f32_e32 v81, 1.0, v81
	v_sub_f32_e32 v80, v112, v80
	v_add_f32_e32 v82, v80, v81
	v_frexp_mant_f32_e32 v83, v71
	v_cvt_f64_f32_e32 v[80:81], v71
	v_frexp_exp_i32_f64_e32 v80, v[80:81]
	v_cmp_gt_f32_e32 vcc, s5, v83
	s_mov_b32 s5, 0x3f317218
	s_nop 0
	v_subbrev_co_u32_e32 v96, vcc, 0, v80, vcc
	v_sub_u32_e32 v80, 0, v96
	v_ldexp_f32 v71, v71, v80
	v_ldexp_f32 v80, v82, v80
	v_add_f32_e32 v82, -1.0, v71
	v_add_f32_e32 v81, 1.0, v82
	v_sub_f32_e32 v81, v71, v81
	v_add_f32_e32 v83, v80, v81
	v_add_f32_e32 v81, 1.0, v71
	v_add_f32_e32 v84, -1.0, v81
	v_sub_f32_e32 v71, v71, v84
	v_add_f32_e32 v71, v80, v71
	v_add_f32_e32 v97, v81, v71
	v_rcp_f32_e32 v98, v97
	v_sub_f32_e32 v80, v81, v97
	v_add_f32_e32 v81, v82, v83
	v_add_f32_e32 v71, v71, v80
	v_mul_f32_e32 v100, v81, v98
	v_sub_f32_e32 v80, v82, v81
	v_mul_f32_e32 v82, v97, v100
	v_fma_f32 v84, v100, v97, -v82
	v_fmac_f32_e32 v84, v100, v71
	v_add_f32_e32 v99, v83, v80
	v_add_f32_e32 v80, v82, v84
	v_sub_f32_e32 v83, v81, v80
	v_pk_add_f32 v[86:87], v[80:81], v[82:83] neg_lo:[0,1] neg_hi:[0,1]
	v_mov_b32_e32 v85, v80
	v_pk_add_f32 v[80:81], v[86:87], v[84:85] neg_lo:[0,1] neg_hi:[0,1]
	v_cmp_eq_f32_e32 vcc, s6, v112
	v_add_f32_e32 v81, v99, v81
	v_add_f32_e32 v80, v80, v81
	;; [unrolled: 1-line block ×3, first 2 shown]
	v_mul_f32_e32 v99, v98, v81
	v_mul_f32_e32 v82, v97, v99
	v_fma_f32 v84, v99, v97, -v82
	v_fmac_f32_e32 v84, v99, v71
	v_sub_f32_e32 v71, v83, v81
	v_add_f32_e32 v71, v80, v71
	v_add_f32_e32 v80, v82, v84
	v_sub_f32_e32 v83, v81, v80
	v_pk_add_f32 v[86:87], v[80:81], v[82:83] neg_lo:[0,1] neg_hi:[0,1]
	v_mov_b32_e32 v85, v80
	v_pk_add_f32 v[80:81], v[86:87], v[84:85] neg_lo:[0,1] neg_hi:[0,1]
	v_cvt_f32_i32_e32 v82, v96
	v_add_f32_e32 v71, v71, v81
	v_add_f32_e32 v71, v80, v71
	;; [unrolled: 1-line block ×4, first 2 shown]
	v_sub_f32_e32 v81, v80, v100
	v_mul_f32_e32 v71, v98, v71
	v_sub_f32_e32 v81, v99, v81
	v_add_f32_e32 v71, v81, v71
	v_add_f32_e32 v83, v80, v71
	v_mul_f32_e32 v84, v83, v83
	v_mov_b32_e32 v81, 0x3ecc95a3
	v_fmac_f32_e32 v81, 0x3e9b6dac, v84
	v_sub_f32_e32 v80, v83, v80
	v_fmaak_f32 v81, v84, v81, 0x3f2aaada
	v_sub_f32_e32 v71, v71, v80
	v_ldexp_f32 v85, v83, 1
	v_mul_f32_e32 v83, v83, v84
	v_mov_b32_e32 v80, 0x3f317218
	v_pk_mul_f32 v[80:81], v[82:83], v[80:81]
	v_ldexp_f32 v71, v71, 1
	v_fma_f32 v83, v82, s5, -v80
	v_fmamk_f32 v84, v82, 0xb102e308, v83
	v_pk_add_f32 v[82:83], v[80:81], v[84:85]
	v_mov_b32_e32 v86, v80
	v_sub_f32_e32 v85, v83, v85
	v_sub_f32_e32 v85, v81, v85
	v_add_f32_e32 v87, v71, v85
	v_pk_add_f32 v[80:81], v[82:83], v[80:81] neg_lo:[0,1] neg_hi:[0,1]
	v_pk_add_f32 v[96:97], v[82:83], v[86:87]
	v_mov_b32_e32 v85, v82
	v_mov_b32_e32 v81, v97
	v_pk_add_f32 v[98:99], v[84:85], v[80:81] neg_lo:[0,1] neg_hi:[0,1]
	v_pk_add_f32 v[80:81], v[84:85], v[80:81]
	v_mov_b32_e32 v86, v87
	v_mov_b32_e32 v84, v81
	v_pk_add_f32 v[100:101], v[84:85], v[82:83] neg_lo:[0,1] neg_hi:[0,1]
	v_mov_b32_e32 v80, v97
	v_mov_b32_e32 v71, v100
	v_pk_add_f32 v[102:103], v[96:97], v[70:71] neg_lo:[0,1] neg_hi:[0,1]
	v_mov_b32_e32 v96, v83
	v_mov_b32_e32 v97, v100
	;; [unrolled: 1-line block ×3, first 2 shown]
	v_pk_add_f32 v[80:81], v[80:81], v[96:97] neg_lo:[0,1] neg_hi:[0,1]
	v_mov_b32_e32 v87, v82
	v_pk_add_f32 v[80:81], v[86:87], v[80:81] neg_lo:[0,1] neg_hi:[0,1]
	v_mov_b32_e32 v102, v98
	v_pk_add_f32 v[82:83], v[102:103], v[80:81]
	s_mov_b32 s5, 0x33800000
	v_mov_b32_e32 v86, v83
	v_pk_add_f32 v[86:87], v[82:83], v[86:87]
	v_cmp_lt_f32_e64 s[6:7], |v112|, s5
	v_pk_add_f32 v[84:85], v[84:85], v[86:87]
	v_mov_b32_e32 v81, v86
	v_mov_b32_e32 v83, v84
	v_pk_add_f32 v[96:97], v[82:83], v[98:99] neg_lo:[0,1] neg_hi:[0,1]
	s_or_b64 vcc, vcc, s[6:7]
	v_sub_f32_e32 v71, v82, v96
	v_pk_add_f32 v[80:81], v[80:81], v[96:97] neg_lo:[0,1] neg_hi:[0,1]
	v_sub_f32_e32 v71, v98, v71
	v_add_f32_e32 v71, v80, v71
	v_add_f32_e32 v71, v71, v81
	;; [unrolled: 1-line block ×3, first 2 shown]
	v_cndmask_b32_e32 v71, v71, v112, vcc
	v_add_f32_e32 v80, v70, v71
.LBB451_260:
	s_or_b64 exec, exec, s[2:3]
	v_bfe_u32 v70, v80, 16, 1
	s_movk_i32 s5, 0x7fff
	v_add3_u32 v70, v80, v70, s5
	v_lshrrev_b32_e32 v70, 16, v70
	v_mov_b32_e32 v71, 0x7fc0
	v_cmp_o_f32_e32 vcc, v80, v80
	s_nop 1
	v_cndmask_b32_e32 v70, v71, v70, vcc
	v_lshlrev_b32_e32 v81, 16, v70
	v_max_f32_e32 v80, v81, v81
	v_min_f32_e32 v82, v80, v134
	v_cmp_u_f32_e32 vcc, v81, v81
	v_max_f32_e32 v80, v80, v134
	s_nop 0
	v_cndmask_b32_e32 v82, v82, v81, vcc
	v_cndmask_b32_e32 v80, v80, v81, vcc
	v_cndmask_b32_e64 v82, v82, v130, s[48:49]
	v_cndmask_b32_e64 v80, v80, v130, s[48:49]
	v_cmp_neq_f32_e32 vcc, v82, v80
	v_cmp_class_f32_e64 s[2:3], v82, s4
	s_or_b64 s[6:7], vcc, s[2:3]
	s_and_saveexec_b64 s[2:3], s[6:7]
	s_cbranch_execz .LBB451_262
; %bb.261:
	v_sub_f32_e32 v81, v82, v80
	s_mov_b32 s4, 0x3fb8aa3b
	v_mul_f32_e32 v82, 0x3fb8aa3b, v81
	v_fma_f32 v83, v81, s4, -v82
	v_rndne_f32_e32 v84, v82
	v_fmamk_f32 v83, v81, 0x32a5705f, v83
	v_sub_f32_e32 v82, v82, v84
	v_add_f32_e32 v82, v82, v83
	v_exp_f32_e32 v82, v82
	v_cvt_i32_f32_e32 v83, v84
	s_mov_b32 s4, 0xc2ce8ed0
	v_cmp_ngt_f32_e32 vcc, s4, v81
	s_mov_b32 s4, 0x42b17218
	v_ldexp_f32 v82, v82, v83
	v_cndmask_b32_e32 v82, 0, v82, vcc
	v_mov_b32_e32 v83, 0x7f800000
	v_cmp_nlt_f32_e32 vcc, s4, v81
	s_mov_b32 s4, 0x3f2aaaab
	s_mov_b32 s6, 0x7f800000
	v_cndmask_b32_e32 v114, v83, v82, vcc
	v_add_f32_e32 v81, 1.0, v114
	v_add_f32_e32 v82, -1.0, v81
	v_sub_f32_e32 v83, v82, v81
	v_add_f32_e32 v83, 1.0, v83
	v_sub_f32_e32 v82, v114, v82
	v_add_f32_e32 v84, v82, v83
	v_frexp_mant_f32_e32 v85, v81
	v_cvt_f64_f32_e32 v[82:83], v81
	v_frexp_exp_i32_f64_e32 v82, v[82:83]
	v_cmp_gt_f32_e32 vcc, s4, v85
	s_mov_b32 s4, 0x3f317218
	s_nop 0
	v_subbrev_co_u32_e32 v98, vcc, 0, v82, vcc
	v_sub_u32_e32 v82, 0, v98
	v_ldexp_f32 v81, v81, v82
	v_ldexp_f32 v82, v84, v82
	v_add_f32_e32 v84, -1.0, v81
	v_add_f32_e32 v83, 1.0, v84
	v_sub_f32_e32 v83, v81, v83
	v_add_f32_e32 v85, v82, v83
	v_add_f32_e32 v83, 1.0, v81
	v_add_f32_e32 v86, -1.0, v83
	v_sub_f32_e32 v81, v81, v86
	v_add_f32_e32 v81, v82, v81
	v_add_f32_e32 v99, v83, v81
	v_rcp_f32_e32 v100, v99
	v_sub_f32_e32 v82, v83, v99
	v_add_f32_e32 v83, v84, v85
	v_add_f32_e32 v81, v81, v82
	v_mul_f32_e32 v102, v83, v100
	v_sub_f32_e32 v82, v84, v83
	v_mul_f32_e32 v84, v99, v102
	v_fma_f32 v86, v102, v99, -v84
	v_fmac_f32_e32 v86, v102, v81
	v_add_f32_e32 v101, v85, v82
	v_add_f32_e32 v82, v84, v86
	v_sub_f32_e32 v85, v83, v82
	v_pk_add_f32 v[96:97], v[82:83], v[84:85] neg_lo:[0,1] neg_hi:[0,1]
	v_mov_b32_e32 v87, v82
	v_pk_add_f32 v[82:83], v[96:97], v[86:87] neg_lo:[0,1] neg_hi:[0,1]
	v_cmp_eq_f32_e32 vcc, s6, v114
	v_add_f32_e32 v83, v101, v83
	v_add_f32_e32 v82, v82, v83
	;; [unrolled: 1-line block ×3, first 2 shown]
	v_mul_f32_e32 v101, v100, v83
	v_mul_f32_e32 v84, v99, v101
	v_fma_f32 v86, v101, v99, -v84
	v_fmac_f32_e32 v86, v101, v81
	v_sub_f32_e32 v81, v85, v83
	v_add_f32_e32 v81, v82, v81
	v_add_f32_e32 v82, v84, v86
	v_sub_f32_e32 v85, v83, v82
	v_pk_add_f32 v[96:97], v[82:83], v[84:85] neg_lo:[0,1] neg_hi:[0,1]
	v_mov_b32_e32 v87, v82
	v_pk_add_f32 v[82:83], v[96:97], v[86:87] neg_lo:[0,1] neg_hi:[0,1]
	v_cvt_f32_i32_e32 v84, v98
	v_add_f32_e32 v81, v81, v83
	v_add_f32_e32 v81, v82, v81
	;; [unrolled: 1-line block ×4, first 2 shown]
	v_sub_f32_e32 v83, v82, v102
	v_mul_f32_e32 v81, v100, v81
	v_sub_f32_e32 v83, v101, v83
	v_add_f32_e32 v81, v83, v81
	v_add_f32_e32 v85, v82, v81
	v_mul_f32_e32 v86, v85, v85
	v_mov_b32_e32 v83, 0x3ecc95a3
	v_fmac_f32_e32 v83, 0x3e9b6dac, v86
	v_sub_f32_e32 v82, v85, v82
	v_fmaak_f32 v83, v86, v83, 0x3f2aaada
	v_sub_f32_e32 v81, v81, v82
	v_ldexp_f32 v87, v85, 1
	v_mul_f32_e32 v85, v85, v86
	v_mov_b32_e32 v82, 0x3f317218
	v_pk_mul_f32 v[82:83], v[84:85], v[82:83]
	v_ldexp_f32 v81, v81, 1
	v_fma_f32 v85, v84, s4, -v82
	v_fmamk_f32 v86, v84, 0xb102e308, v85
	v_pk_add_f32 v[84:85], v[82:83], v[86:87]
	v_mov_b32_e32 v96, v82
	v_sub_f32_e32 v87, v85, v87
	v_sub_f32_e32 v87, v83, v87
	v_add_f32_e32 v97, v81, v87
	v_pk_add_f32 v[82:83], v[84:85], v[82:83] neg_lo:[0,1] neg_hi:[0,1]
	v_pk_add_f32 v[98:99], v[84:85], v[96:97]
	v_mov_b32_e32 v87, v84
	v_mov_b32_e32 v83, v99
	v_pk_add_f32 v[100:101], v[86:87], v[82:83] neg_lo:[0,1] neg_hi:[0,1]
	v_pk_add_f32 v[82:83], v[86:87], v[82:83]
	v_mov_b32_e32 v96, v97
	v_mov_b32_e32 v86, v83
	v_pk_add_f32 v[102:103], v[86:87], v[84:85] neg_lo:[0,1] neg_hi:[0,1]
	v_mov_b32_e32 v82, v99
	v_mov_b32_e32 v81, v102
	v_pk_add_f32 v[112:113], v[98:99], v[80:81] neg_lo:[0,1] neg_hi:[0,1]
	v_mov_b32_e32 v98, v85
	v_mov_b32_e32 v99, v102
	;; [unrolled: 1-line block ×3, first 2 shown]
	v_pk_add_f32 v[82:83], v[82:83], v[98:99] neg_lo:[0,1] neg_hi:[0,1]
	v_mov_b32_e32 v97, v84
	v_pk_add_f32 v[82:83], v[96:97], v[82:83] neg_lo:[0,1] neg_hi:[0,1]
	v_mov_b32_e32 v112, v100
	v_pk_add_f32 v[84:85], v[112:113], v[82:83]
	s_mov_b32 s4, 0x33800000
	v_mov_b32_e32 v96, v85
	v_pk_add_f32 v[96:97], v[84:85], v[96:97]
	v_cmp_lt_f32_e64 s[6:7], |v114|, s4
	v_pk_add_f32 v[86:87], v[86:87], v[96:97]
	v_mov_b32_e32 v83, v96
	v_mov_b32_e32 v85, v86
	v_pk_add_f32 v[98:99], v[84:85], v[100:101] neg_lo:[0,1] neg_hi:[0,1]
	s_or_b64 vcc, vcc, s[6:7]
	v_sub_f32_e32 v81, v84, v98
	v_pk_add_f32 v[82:83], v[82:83], v[98:99] neg_lo:[0,1] neg_hi:[0,1]
	v_sub_f32_e32 v81, v100, v81
	v_add_f32_e32 v81, v82, v81
	v_add_f32_e32 v81, v81, v83
	;; [unrolled: 1-line block ×3, first 2 shown]
	v_cndmask_b32_e32 v81, v81, v114, vcc
	v_add_f32_e32 v81, v80, v81
.LBB451_262:
	s_or_b64 exec, exec, s[2:3]
	v_bfe_u32 v80, v81, 16, 1
	v_add3_u32 v80, v81, v80, s5
	v_lshrrev_b32_e32 v80, 16, v80
	v_cmp_o_f32_e32 vcc, v81, v81
	s_nop 1
	v_cndmask_b32_e32 v71, v71, v80, vcc
	s_branch .LBB451_407
.LBB451_263:
                                        ; implicit-def: $vgpr11
                                        ; implicit-def: $vgpr32
                                        ; implicit-def: $vgpr33
                                        ; implicit-def: $vgpr34
                                        ; implicit-def: $vgpr35
                                        ; implicit-def: $vgpr36
                                        ; implicit-def: $vgpr37
                                        ; implicit-def: $vgpr39
                                        ; implicit-def: $vgpr38
                                        ; implicit-def: $vgpr50
                                        ; implicit-def: $vgpr49
                                        ; implicit-def: $vgpr51
                                        ; implicit-def: $vgpr52
                                        ; implicit-def: $vgpr53
                                        ; implicit-def: $vgpr54
                                        ; implicit-def: $vgpr55
                                        ; implicit-def: $vgpr64
                                        ; implicit-def: $vgpr65
                                        ; implicit-def: $vgpr66
                                        ; implicit-def: $vgpr67
                                        ; implicit-def: $vgpr68
                                        ; implicit-def: $vgpr69
                                        ; implicit-def: $vgpr70
                                        ; implicit-def: $vgpr71
	s_cbranch_execz .LBB451_407
; %bb.264:
	v_cmp_ne_u64_e64 s[2:3], 0, v[6:7]
	v_cmp_eq_u32_e64 s[4:5], 0, v0
	v_cmp_ne_u32_e32 vcc, 0, v0
	s_and_b64 s[2:3], s[4:5], s[2:3]
	v_mov_b32_e32 v11, v24
	s_and_saveexec_b64 s[4:5], s[2:3]
	s_cbranch_execz .LBB451_268
; %bb.265:
	flat_load_ushort v2, v[2:3]
	v_lshlrev_b32_e32 v7, 16, v24
	v_max_f32_e32 v6, v7, v7
	s_movk_i32 s6, 0x1f8
	s_waitcnt vmcnt(0) lgkmcnt(0)
	v_lshlrev_b32_e32 v3, 16, v2
	v_max_f32_e32 v2, v3, v3
	v_min_f32_e32 v11, v2, v6
	v_max_f32_e32 v2, v2, v6
	v_cmp_u_f32_e64 s[2:3], v3, v3
	s_nop 1
	v_cndmask_b32_e64 v6, v11, v3, s[2:3]
	v_cndmask_b32_e64 v2, v2, v3, s[2:3]
	v_cmp_u_f32_e64 s[2:3], v7, v7
	s_nop 1
	v_cndmask_b32_e64 v6, v6, v7, s[2:3]
	v_cndmask_b32_e64 v2, v2, v7, s[2:3]
	v_cmp_neq_f32_e64 s[2:3], v6, v2
	v_cmp_class_f32_e64 s[6:7], v6, s6
	s_or_b64 s[2:3], s[2:3], s[6:7]
	s_and_saveexec_b64 s[6:7], s[2:3]
	s_cbranch_execz .LBB451_267
; %bb.266:
	v_sub_f32_e32 v3, v6, v2
	s_mov_b32 s2, 0x3fb8aa3b
	v_mul_f32_e32 v6, 0x3fb8aa3b, v3
	v_fma_f32 v7, v3, s2, -v6
	v_rndne_f32_e32 v11, v6
	v_fmamk_f32 v7, v3, 0x32a5705f, v7
	v_sub_f32_e32 v6, v6, v11
	v_add_f32_e32 v6, v6, v7
	v_exp_f32_e32 v6, v6
	v_cvt_i32_f32_e32 v7, v11
	s_mov_b32 s2, 0xc2ce8ed0
	v_cmp_ngt_f32_e64 s[2:3], s2, v3
	s_mov_b32 s8, 0x7f800000
	v_ldexp_f32 v6, v6, v7
	v_cndmask_b32_e64 v6, 0, v6, s[2:3]
	s_mov_b32 s2, 0x42b17218
	v_mov_b32_e32 v7, 0x7f800000
	v_cmp_nlt_f32_e64 s[2:3], s2, v3
	s_nop 1
	v_cndmask_b32_e64 v11, v7, v6, s[2:3]
	v_add_f32_e32 v3, 1.0, v11
	v_add_f32_e32 v6, -1.0, v3
	v_sub_f32_e32 v7, v6, v3
	v_add_f32_e32 v7, 1.0, v7
	v_sub_f32_e32 v6, v11, v6
	v_add_f32_e32 v32, v6, v7
	v_frexp_mant_f32_e32 v33, v3
	s_mov_b32 s2, 0x3f2aaaab
	v_cvt_f64_f32_e32 v[6:7], v3
	v_frexp_exp_i32_f64_e32 v6, v[6:7]
	v_cmp_gt_f32_e64 s[2:3], s2, v33
	s_nop 1
	v_subbrev_co_u32_e64 v38, s[2:3], 0, v6, s[2:3]
	v_sub_u32_e32 v6, 0, v38
	v_ldexp_f32 v3, v3, v6
	v_ldexp_f32 v6, v32, v6
	v_add_f32_e32 v32, -1.0, v3
	v_add_f32_e32 v7, 1.0, v32
	v_sub_f32_e32 v7, v3, v7
	v_add_f32_e32 v33, v6, v7
	v_add_f32_e32 v7, 1.0, v3
	v_add_f32_e32 v34, -1.0, v7
	v_sub_f32_e32 v3, v3, v34
	v_add_f32_e32 v3, v6, v3
	v_add_f32_e32 v39, v7, v3
	v_rcp_f32_e32 v49, v39
	v_sub_f32_e32 v6, v7, v39
	v_add_f32_e32 v7, v32, v33
	v_add_f32_e32 v3, v3, v6
	v_mul_f32_e32 v51, v7, v49
	v_sub_f32_e32 v6, v32, v7
	v_mul_f32_e32 v32, v39, v51
	v_fma_f32 v34, v51, v39, -v32
	v_fmac_f32_e32 v34, v51, v3
	v_add_f32_e32 v50, v33, v6
	v_add_f32_e32 v6, v32, v34
	v_sub_f32_e32 v33, v7, v6
	v_pk_add_f32 v[36:37], v[6:7], v[32:33] neg_lo:[0,1] neg_hi:[0,1]
	v_mov_b32_e32 v35, v6
	v_pk_add_f32 v[6:7], v[36:37], v[34:35] neg_lo:[0,1] neg_hi:[0,1]
	s_mov_b32 s2, 0x3f317218
	v_add_f32_e32 v7, v50, v7
	v_add_f32_e32 v6, v6, v7
	v_add_f32_e32 v7, v33, v6
	v_mul_f32_e32 v50, v49, v7
	v_mul_f32_e32 v32, v39, v50
	v_fma_f32 v34, v50, v39, -v32
	v_fmac_f32_e32 v34, v50, v3
	v_sub_f32_e32 v3, v33, v7
	v_add_f32_e32 v3, v6, v3
	v_add_f32_e32 v6, v32, v34
	v_sub_f32_e32 v33, v7, v6
	v_pk_add_f32 v[36:37], v[6:7], v[32:33] neg_lo:[0,1] neg_hi:[0,1]
	v_mov_b32_e32 v35, v6
	v_pk_add_f32 v[6:7], v[36:37], v[34:35] neg_lo:[0,1] neg_hi:[0,1]
	v_cvt_f32_i32_e32 v32, v38
	v_add_f32_e32 v3, v3, v7
	v_add_f32_e32 v3, v6, v3
	;; [unrolled: 1-line block ×4, first 2 shown]
	v_sub_f32_e32 v7, v6, v51
	v_mul_f32_e32 v3, v49, v3
	v_sub_f32_e32 v7, v50, v7
	v_add_f32_e32 v3, v7, v3
	v_add_f32_e32 v33, v6, v3
	v_mul_f32_e32 v34, v33, v33
	v_mov_b32_e32 v7, 0x3ecc95a3
	v_fmac_f32_e32 v7, 0x3e9b6dac, v34
	v_sub_f32_e32 v6, v33, v6
	v_fmaak_f32 v7, v34, v7, 0x3f2aaada
	v_sub_f32_e32 v3, v3, v6
	v_ldexp_f32 v35, v33, 1
	v_mul_f32_e32 v33, v33, v34
	v_mov_b32_e32 v6, 0x3f317218
	v_pk_mul_f32 v[6:7], v[32:33], v[6:7]
	v_ldexp_f32 v3, v3, 1
	v_fma_f32 v33, v32, s2, -v6
	v_fmamk_f32 v34, v32, 0xb102e308, v33
	v_pk_add_f32 v[32:33], v[6:7], v[34:35]
	v_mov_b32_e32 v36, v6
	v_sub_f32_e32 v35, v33, v35
	v_sub_f32_e32 v35, v7, v35
	v_add_f32_e32 v37, v3, v35
	v_pk_add_f32 v[6:7], v[32:33], v[6:7] neg_lo:[0,1] neg_hi:[0,1]
	v_pk_add_f32 v[38:39], v[32:33], v[36:37]
	v_mov_b32_e32 v35, v32
	v_mov_b32_e32 v7, v39
	v_pk_add_f32 v[50:51], v[34:35], v[6:7] neg_lo:[0,1] neg_hi:[0,1]
	v_pk_add_f32 v[6:7], v[34:35], v[6:7]
	v_mov_b32_e32 v36, v37
	v_mov_b32_e32 v34, v7
	v_pk_add_f32 v[52:53], v[34:35], v[32:33] neg_lo:[0,1] neg_hi:[0,1]
	v_mov_b32_e32 v6, v39
	v_mov_b32_e32 v3, v52
	v_pk_add_f32 v[54:55], v[38:39], v[2:3] neg_lo:[0,1] neg_hi:[0,1]
	v_mov_b32_e32 v38, v33
	v_mov_b32_e32 v39, v52
	;; [unrolled: 1-line block ×3, first 2 shown]
	v_pk_add_f32 v[6:7], v[6:7], v[38:39] neg_lo:[0,1] neg_hi:[0,1]
	v_mov_b32_e32 v37, v32
	v_pk_add_f32 v[6:7], v[36:37], v[6:7] neg_lo:[0,1] neg_hi:[0,1]
	v_mov_b32_e32 v54, v50
	v_pk_add_f32 v[32:33], v[54:55], v[6:7]
	v_cmp_eq_f32_e64 s[2:3], s8, v11
	v_mov_b32_e32 v36, v33
	v_pk_add_f32 v[36:37], v[32:33], v[36:37]
	s_mov_b32 s8, 0x33800000
	v_pk_add_f32 v[34:35], v[34:35], v[36:37]
	v_mov_b32_e32 v7, v36
	v_mov_b32_e32 v33, v34
	v_pk_add_f32 v[38:39], v[32:33], v[50:51] neg_lo:[0,1] neg_hi:[0,1]
	v_cmp_lt_f32_e64 s[8:9], |v11|, s8
	v_sub_f32_e32 v3, v32, v38
	v_pk_add_f32 v[6:7], v[6:7], v[38:39] neg_lo:[0,1] neg_hi:[0,1]
	v_sub_f32_e32 v3, v50, v3
	v_add_f32_e32 v3, v6, v3
	v_add_f32_e32 v3, v3, v7
	;; [unrolled: 1-line block ×3, first 2 shown]
	s_or_b64 s[2:3], s[2:3], s[8:9]
	v_cndmask_b32_e64 v3, v3, v11, s[2:3]
	v_add_f32_e32 v3, v2, v3
.LBB451_267:
	s_or_b64 exec, exec, s[6:7]
	v_bfe_u32 v2, v3, 16, 1
	s_movk_i32 s2, 0x7fff
	v_add3_u32 v2, v3, v2, s2
	v_lshrrev_b32_e32 v2, 16, v2
	v_mov_b32_e32 v6, 0x7fc0
	v_cmp_o_f32_e64 s[2:3], v3, v3
	s_nop 1
	v_cndmask_b32_e64 v11, v6, v2, s[2:3]
.LBB451_268:
	s_or_b64 exec, exec, s[4:5]
	v_mov_b32_e32 v3, 16
	v_lshlrev_b32_e32 v33, 16, v11
	v_lshlrev_b32_sdwa v2, v3, v24 dst_sel:DWORD dst_unused:UNUSED_PAD src0_sel:DWORD src1_sel:WORD_1
	v_max_f32_e32 v32, v2, v2
	v_max_f32_e32 v97, v33, v33
	v_min_f32_e32 v96, v97, v32
	v_cmp_u_f32_e64 s[50:51], v33, v33
	v_cmp_u_f32_e64 s[2:3], v2, v2
	v_max_f32_e32 v98, v97, v32
	v_cndmask_b32_e64 v6, v96, v33, s[50:51]
	v_cndmask_b32_e64 v24, v6, v2, s[2:3]
	;; [unrolled: 1-line block ×4, first 2 shown]
	s_movk_i32 s8, 0x1f8
	v_cmp_neq_f32_e64 s[4:5], v24, v6
	v_cmp_class_f32_e64 s[6:7], v24, s8
	s_or_b64 s[4:5], s[4:5], s[6:7]
	v_mov_b32_e32 v7, v33
	s_and_saveexec_b64 s[6:7], s[4:5]
	s_cbranch_execz .LBB451_270
; %bb.269:
	v_sub_f32_e32 v7, v24, v6
	s_mov_b32 s4, 0x3fb8aa3b
	v_mul_f32_e32 v24, 0x3fb8aa3b, v7
	v_fma_f32 v34, v7, s4, -v24
	v_rndne_f32_e32 v35, v24
	v_fmamk_f32 v34, v7, 0x32a5705f, v34
	v_sub_f32_e32 v24, v24, v35
	v_add_f32_e32 v24, v24, v34
	v_exp_f32_e32 v24, v24
	v_cvt_i32_f32_e32 v34, v35
	s_mov_b32 s4, 0xc2ce8ed0
	v_cmp_ngt_f32_e64 s[4:5], s4, v7
	s_mov_b32 s9, 0x7f800000
	v_ldexp_f32 v24, v24, v34
	v_cndmask_b32_e64 v24, 0, v24, s[4:5]
	s_mov_b32 s4, 0x42b17218
	v_mov_b32_e32 v34, 0x7f800000
	v_cmp_nlt_f32_e64 s[4:5], s4, v7
	s_nop 1
	v_cndmask_b32_e64 v49, v34, v24, s[4:5]
	v_add_f32_e32 v7, 1.0, v49
	v_add_f32_e32 v24, -1.0, v7
	v_sub_f32_e32 v34, v24, v7
	v_add_f32_e32 v34, 1.0, v34
	v_sub_f32_e32 v24, v49, v24
	v_add_f32_e32 v24, v24, v34
	v_frexp_mant_f32_e32 v36, v7
	s_mov_b32 s4, 0x3f2aaaab
	v_cvt_f64_f32_e32 v[34:35], v7
	v_frexp_exp_i32_f64_e32 v34, v[34:35]
	v_cmp_gt_f32_e64 s[4:5], s4, v36
	s_nop 1
	v_subbrev_co_u32_e64 v52, s[4:5], 0, v34, s[4:5]
	v_sub_u32_e32 v34, 0, v52
	v_ldexp_f32 v7, v7, v34
	v_ldexp_f32 v24, v24, v34
	v_add_f32_e32 v34, -1.0, v7
	v_add_f32_e32 v35, 1.0, v34
	v_sub_f32_e32 v35, v7, v35
	v_add_f32_e32 v36, v24, v35
	v_add_f32_e32 v35, 1.0, v7
	v_add_f32_e32 v37, -1.0, v35
	v_sub_f32_e32 v7, v7, v37
	v_add_f32_e32 v7, v24, v7
	v_add_f32_e32 v24, v35, v7
	v_rcp_f32_e32 v53, v24
	v_sub_f32_e32 v35, v35, v24
	v_add_f32_e32 v7, v7, v35
	v_add_f32_e32 v35, v34, v36
	v_sub_f32_e32 v34, v34, v35
	v_mul_f32_e32 v55, v35, v53
	v_add_f32_e32 v54, v36, v34
	v_mul_f32_e32 v36, v24, v55
	v_fma_f32 v38, v55, v24, -v36
	v_fmac_f32_e32 v38, v55, v7
	v_add_f32_e32 v34, v36, v38
	v_sub_f32_e32 v37, v35, v34
	v_pk_add_f32 v[50:51], v[34:35], v[36:37] neg_lo:[0,1] neg_hi:[0,1]
	v_mov_b32_e32 v39, v34
	v_pk_add_f32 v[34:35], v[50:51], v[38:39] neg_lo:[0,1] neg_hi:[0,1]
	s_mov_b32 s4, 0x3f317218
	v_add_f32_e32 v35, v54, v35
	v_add_f32_e32 v34, v34, v35
	;; [unrolled: 1-line block ×3, first 2 shown]
	v_mul_f32_e32 v54, v53, v35
	v_mul_f32_e32 v36, v24, v54
	v_fma_f32 v38, v54, v24, -v36
	v_fmac_f32_e32 v38, v54, v7
	v_sub_f32_e32 v7, v37, v35
	v_add_f32_e32 v7, v34, v7
	v_add_f32_e32 v34, v36, v38
	v_sub_f32_e32 v37, v35, v34
	v_pk_add_f32 v[50:51], v[34:35], v[36:37] neg_lo:[0,1] neg_hi:[0,1]
	v_mov_b32_e32 v39, v34
	v_pk_add_f32 v[34:35], v[50:51], v[38:39] neg_lo:[0,1] neg_hi:[0,1]
	v_add_f32_e32 v24, v55, v54
	v_add_f32_e32 v7, v7, v35
	;; [unrolled: 1-line block ×4, first 2 shown]
	v_sub_f32_e32 v34, v24, v55
	v_mul_f32_e32 v7, v53, v7
	v_sub_f32_e32 v34, v54, v34
	v_add_f32_e32 v7, v34, v7
	v_add_f32_e32 v34, v24, v7
	v_cvt_f32_i32_e32 v36, v52
	v_mul_f32_e32 v37, v34, v34
	v_mov_b32_e32 v35, 0x3ecc95a3
	v_fmac_f32_e32 v35, 0x3e9b6dac, v37
	v_fmaak_f32 v35, v37, v35, 0x3f2aaada
	v_sub_f32_e32 v24, v34, v24
	v_ldexp_f32 v39, v34, 1
	v_mul_f32_e32 v37, v34, v37
	v_mov_b32_e32 v34, 0x3f317218
	v_pk_mul_f32 v[34:35], v[36:37], v[34:35]
	v_sub_f32_e32 v7, v7, v24
	v_fma_f32 v24, v36, s4, -v34
	v_fmamk_f32 v38, v36, 0xb102e308, v24
	v_pk_add_f32 v[36:37], v[34:35], v[38:39]
	v_ldexp_f32 v7, v7, 1
	v_sub_f32_e32 v24, v37, v39
	v_sub_f32_e32 v24, v35, v24
	v_add_f32_e32 v51, v7, v24
	v_mov_b32_e32 v50, v34
	v_pk_add_f32 v[34:35], v[36:37], v[34:35] neg_lo:[0,1] neg_hi:[0,1]
	v_pk_add_f32 v[52:53], v[36:37], v[50:51]
	v_mov_b32_e32 v39, v36
	v_mov_b32_e32 v35, v53
	v_pk_add_f32 v[54:55], v[38:39], v[34:35] neg_lo:[0,1] neg_hi:[0,1]
	v_pk_add_f32 v[34:35], v[38:39], v[34:35]
	v_cmp_eq_f32_e64 s[4:5], s9, v49
	v_mov_b32_e32 v24, v35
	v_pk_add_f32 v[38:39], v[24:25], v[36:37] neg_lo:[0,1] neg_hi:[0,1]
	v_mov_b32_e32 v34, v53
	v_mov_b32_e32 v7, v38
	v_pk_add_f32 v[64:65], v[52:53], v[6:7] neg_lo:[0,1] neg_hi:[0,1]
	v_mov_b32_e32 v52, v37
	v_mov_b32_e32 v53, v38
	;; [unrolled: 1-line block ×3, first 2 shown]
	v_pk_add_f32 v[34:35], v[34:35], v[52:53] neg_lo:[0,1] neg_hi:[0,1]
	v_mov_b32_e32 v38, v51
	v_mov_b32_e32 v39, v36
	v_pk_add_f32 v[34:35], v[38:39], v[34:35] neg_lo:[0,1] neg_hi:[0,1]
	v_mov_b32_e32 v64, v54
	v_pk_add_f32 v[36:37], v[64:65], v[34:35]
	s_mov_b32 s9, 0x33800000
	v_mov_b32_e32 v38, v37
	v_pk_add_f32 v[38:39], v[36:37], v[38:39]
	v_cmp_lt_f32_e64 s[10:11], |v49|, s9
	v_pk_add_f32 v[50:51], v[24:25], v[38:39]
	v_mov_b32_e32 v35, v38
	v_mov_b32_e32 v37, v50
	v_pk_add_f32 v[52:53], v[36:37], v[54:55] neg_lo:[0,1] neg_hi:[0,1]
	s_or_b64 s[4:5], s[4:5], s[10:11]
	v_sub_f32_e32 v7, v36, v52
	v_pk_add_f32 v[34:35], v[34:35], v[52:53] neg_lo:[0,1] neg_hi:[0,1]
	v_sub_f32_e32 v7, v54, v7
	v_add_f32_e32 v7, v34, v7
	v_add_f32_e32 v7, v7, v35
	v_add_f32_e32 v7, v50, v7
	v_cndmask_b32_e64 v7, v7, v49, s[4:5]
	v_add_f32_e32 v7, v6, v7
.LBB451_270:
	s_or_b64 exec, exec, s[6:7]
	v_bfe_u32 v6, v7, 16, 1
	s_movk_i32 s10, 0x7fff
	v_add3_u32 v6, v7, v6, s10
	v_and_b32_e32 v24, 0xffff0000, v6
	v_mov_b32_e32 v6, 0x7fc00000
	v_cmp_o_f32_e64 s[4:5], v7, v7
	v_lshlrev_b32_sdwa v3, v3, v25 dst_sel:DWORD dst_unused:UNUSED_PAD src0_sel:DWORD src1_sel:WORD_0
	s_nop 0
	v_cndmask_b32_e64 v34, v6, v24, s[4:5]
	v_max_f32_e32 v7, v34, v34
	v_max_f32_e32 v24, v3, v3
	v_min_f32_e32 v35, v7, v24
	v_cmp_u_f32_e64 s[6:7], v34, v34
	v_max_f32_e32 v7, v7, v24
	v_cmp_u_f32_e64 s[4:5], v3, v3
	v_cndmask_b32_e64 v35, v35, v34, s[6:7]
	v_cndmask_b32_e64 v7, v7, v34, s[6:7]
	;; [unrolled: 1-line block ×4, first 2 shown]
	v_cmp_neq_f32_e64 s[6:7], v35, v7
	v_cmp_class_f32_e64 s[8:9], v35, s8
	s_or_b64 s[6:7], s[6:7], s[8:9]
	s_and_saveexec_b64 s[8:9], s[6:7]
	s_cbranch_execz .LBB451_272
; %bb.271:
	v_sub_f32_e32 v34, v35, v7
	s_mov_b32 s6, 0x3fb8aa3b
	v_mul_f32_e32 v35, 0x3fb8aa3b, v34
	v_fma_f32 v36, v34, s6, -v35
	v_rndne_f32_e32 v37, v35
	v_fmamk_f32 v36, v34, 0x32a5705f, v36
	v_sub_f32_e32 v35, v35, v37
	v_add_f32_e32 v35, v35, v36
	v_exp_f32_e32 v35, v35
	v_cvt_i32_f32_e32 v36, v37
	s_mov_b32 s6, 0xc2ce8ed0
	v_cmp_ngt_f32_e64 s[6:7], s6, v34
	s_mov_b32 s11, 0x7f800000
	v_ldexp_f32 v35, v35, v36
	v_cndmask_b32_e64 v35, 0, v35, s[6:7]
	s_mov_b32 s6, 0x42b17218
	v_mov_b32_e32 v36, 0x7f800000
	v_cmp_nlt_f32_e64 s[6:7], s6, v34
	s_nop 1
	v_cndmask_b32_e64 v49, v36, v35, s[6:7]
	v_add_f32_e32 v36, 1.0, v49
	v_add_f32_e32 v34, -1.0, v36
	v_sub_f32_e32 v35, v34, v36
	v_add_f32_e32 v35, 1.0, v35
	v_sub_f32_e32 v34, v49, v34
	v_add_f32_e32 v37, v34, v35
	v_frexp_mant_f32_e32 v38, v36
	s_mov_b32 s6, 0x3f2aaaab
	v_cvt_f64_f32_e32 v[34:35], v36
	v_frexp_exp_i32_f64_e32 v34, v[34:35]
	v_cmp_gt_f32_e64 s[6:7], s6, v38
	s_nop 1
	v_subbrev_co_u32_e64 v52, s[6:7], 0, v34, s[6:7]
	v_sub_u32_e32 v34, 0, v52
	v_ldexp_f32 v35, v36, v34
	v_add_f32_e32 v36, -1.0, v35
	v_add_f32_e32 v38, 1.0, v35
	v_ldexp_f32 v34, v37, v34
	v_add_f32_e32 v37, 1.0, v36
	v_add_f32_e32 v39, -1.0, v38
	v_sub_f32_e32 v37, v35, v37
	v_sub_f32_e32 v35, v35, v39
	v_add_f32_e32 v37, v34, v37
	v_add_f32_e32 v34, v34, v35
	;; [unrolled: 1-line block ×3, first 2 shown]
	v_rcp_f32_e32 v55, v53
	v_sub_f32_e32 v35, v38, v53
	v_add_f32_e32 v54, v34, v35
	v_add_f32_e32 v35, v36, v37
	v_mul_f32_e32 v65, v35, v55
	v_sub_f32_e32 v34, v36, v35
	v_mul_f32_e32 v36, v53, v65
	v_fma_f32 v38, v65, v53, -v36
	v_fmac_f32_e32 v38, v65, v54
	v_add_f32_e32 v64, v37, v34
	v_add_f32_e32 v34, v36, v38
	v_sub_f32_e32 v37, v35, v34
	v_pk_add_f32 v[50:51], v[34:35], v[36:37] neg_lo:[0,1] neg_hi:[0,1]
	v_mov_b32_e32 v39, v34
	v_pk_add_f32 v[34:35], v[50:51], v[38:39] neg_lo:[0,1] neg_hi:[0,1]
	s_mov_b32 s6, 0x3f317218
	v_add_f32_e32 v35, v64, v35
	v_add_f32_e32 v34, v34, v35
	;; [unrolled: 1-line block ×3, first 2 shown]
	v_mul_f32_e32 v64, v55, v35
	v_mul_f32_e32 v36, v53, v64
	v_fma_f32 v38, v64, v53, -v36
	v_fmac_f32_e32 v38, v64, v54
	v_sub_f32_e32 v37, v37, v35
	v_add_f32_e32 v53, v34, v37
	v_add_f32_e32 v34, v36, v38
	v_sub_f32_e32 v37, v35, v34
	v_pk_add_f32 v[50:51], v[34:35], v[36:37] neg_lo:[0,1] neg_hi:[0,1]
	v_mov_b32_e32 v39, v34
	v_pk_add_f32 v[34:35], v[50:51], v[38:39] neg_lo:[0,1] neg_hi:[0,1]
	v_cvt_f32_i32_e32 v36, v52
	v_add_f32_e32 v35, v53, v35
	v_add_f32_e32 v34, v34, v35
	;; [unrolled: 1-line block ×4, first 2 shown]
	v_sub_f32_e32 v35, v37, v65
	v_mul_f32_e32 v34, v55, v34
	v_sub_f32_e32 v35, v64, v35
	v_add_f32_e32 v34, v35, v34
	v_add_f32_e32 v38, v37, v34
	v_mul_f32_e32 v50, v38, v38
	v_mov_b32_e32 v35, 0x3ecc95a3
	v_sub_f32_e32 v37, v38, v37
	v_fmac_f32_e32 v35, 0x3e9b6dac, v50
	v_sub_f32_e32 v34, v34, v37
	v_fmaak_f32 v35, v50, v35, 0x3f2aaada
	v_ldexp_f32 v51, v34, 1
	v_mul_f32_e32 v37, v38, v50
	v_mov_b32_e32 v34, 0x3f317218
	v_pk_mul_f32 v[34:35], v[36:37], v[34:35]
	v_ldexp_f32 v39, v38, 1
	v_fma_f32 v37, v36, s6, -v34
	v_fmamk_f32 v38, v36, 0xb102e308, v37
	v_pk_add_f32 v[36:37], v[34:35], v[38:39]
	v_mov_b32_e32 v50, v34
	v_sub_f32_e32 v39, v37, v39
	v_sub_f32_e32 v39, v35, v39
	v_add_f32_e32 v51, v51, v39
	v_pk_add_f32 v[34:35], v[36:37], v[34:35] neg_lo:[0,1] neg_hi:[0,1]
	v_pk_add_f32 v[52:53], v[36:37], v[50:51]
	v_mov_b32_e32 v39, v36
	v_mov_b32_e32 v35, v53
	v_pk_add_f32 v[54:55], v[38:39], v[34:35] neg_lo:[0,1] neg_hi:[0,1]
	v_pk_add_f32 v[34:35], v[38:39], v[34:35]
	v_mov_b32_e32 v50, v51
	v_mov_b32_e32 v38, v35
	v_pk_add_f32 v[64:65], v[38:39], v[36:37] neg_lo:[0,1] neg_hi:[0,1]
	v_mov_b32_e32 v34, v53
	v_mov_b32_e32 v39, v64
	v_pk_add_f32 v[66:67], v[52:53], v[38:39] neg_lo:[0,1] neg_hi:[0,1]
	v_mov_b32_e32 v52, v37
	v_mov_b32_e32 v53, v64
	;; [unrolled: 1-line block ×3, first 2 shown]
	v_pk_add_f32 v[34:35], v[34:35], v[52:53] neg_lo:[0,1] neg_hi:[0,1]
	v_mov_b32_e32 v51, v36
	v_pk_add_f32 v[34:35], v[50:51], v[34:35] neg_lo:[0,1] neg_hi:[0,1]
	v_mov_b32_e32 v66, v54
	v_pk_add_f32 v[36:37], v[66:67], v[34:35]
	v_cmp_eq_f32_e64 s[6:7], s11, v49
	v_mov_b32_e32 v50, v37
	v_pk_add_f32 v[50:51], v[36:37], v[50:51]
	s_mov_b32 s11, 0x33800000
	v_pk_add_f32 v[38:39], v[38:39], v[50:51]
	v_mov_b32_e32 v35, v50
	v_mov_b32_e32 v37, v38
	v_pk_add_f32 v[52:53], v[36:37], v[54:55] neg_lo:[0,1] neg_hi:[0,1]
	v_cmp_lt_f32_e64 s[12:13], |v49|, s11
	v_sub_f32_e32 v36, v36, v52
	v_pk_add_f32 v[34:35], v[34:35], v[52:53] neg_lo:[0,1] neg_hi:[0,1]
	v_sub_f32_e32 v36, v54, v36
	v_add_f32_e32 v34, v34, v36
	v_add_f32_e32 v34, v34, v35
	v_add_f32_e32 v34, v38, v34
	s_or_b64 s[6:7], s[6:7], s[12:13]
	v_cndmask_b32_e64 v34, v34, v49, s[6:7]
	v_add_f32_e32 v34, v7, v34
.LBB451_272:
	s_or_b64 exec, exec, s[8:9]
	v_bfe_u32 v7, v34, 16, 1
	v_add3_u32 v7, v34, v7, s10
	v_and_b32_e32 v7, 0xffff0000, v7
	v_cmp_o_f32_e64 s[6:7], v34, v34
	s_movk_i32 s12, 0x1f8
	s_nop 0
	v_cndmask_b32_e64 v35, v6, v7, s[6:7]
	v_mov_b32_e32 v7, 16
	v_lshlrev_b32_sdwa v6, v7, v25 dst_sel:DWORD dst_unused:UNUSED_PAD src0_sel:DWORD src1_sel:WORD_1
	v_max_f32_e32 v25, v35, v35
	v_max_f32_e32 v34, v6, v6
	v_min_f32_e32 v36, v25, v34
	v_cmp_u_f32_e64 s[8:9], v35, v35
	v_max_f32_e32 v25, v25, v34
	v_cmp_u_f32_e64 s[6:7], v6, v6
	v_cndmask_b32_e64 v36, v36, v35, s[8:9]
	v_cndmask_b32_e64 v25, v25, v35, s[8:9]
	;; [unrolled: 1-line block ×4, first 2 shown]
	v_cmp_neq_f32_e64 s[8:9], v36, v25
	v_cmp_class_f32_e64 s[10:11], v36, s12
	s_or_b64 s[8:9], s[8:9], s[10:11]
	s_and_saveexec_b64 s[10:11], s[8:9]
	s_cbranch_execz .LBB451_274
; %bb.273:
	v_sub_f32_e32 v35, v36, v25
	s_mov_b32 s8, 0x3fb8aa3b
	v_mul_f32_e32 v36, 0x3fb8aa3b, v35
	v_fma_f32 v37, v35, s8, -v36
	v_rndne_f32_e32 v38, v36
	v_fmamk_f32 v37, v35, 0x32a5705f, v37
	v_sub_f32_e32 v36, v36, v38
	v_add_f32_e32 v36, v36, v37
	v_exp_f32_e32 v36, v36
	v_cvt_i32_f32_e32 v37, v38
	s_mov_b32 s8, 0xc2ce8ed0
	v_cmp_ngt_f32_e64 s[8:9], s8, v35
	s_mov_b32 s13, 0x7f800000
	v_ldexp_f32 v36, v36, v37
	v_cndmask_b32_e64 v36, 0, v36, s[8:9]
	s_mov_b32 s8, 0x42b17218
	v_mov_b32_e32 v37, 0x7f800000
	v_cmp_nlt_f32_e64 s[8:9], s8, v35
	s_nop 1
	v_cndmask_b32_e64 v49, v37, v36, s[8:9]
	v_add_f32_e32 v35, 1.0, v49
	v_add_f32_e32 v36, -1.0, v35
	v_sub_f32_e32 v37, v36, v35
	v_add_f32_e32 v37, 1.0, v37
	v_sub_f32_e32 v36, v49, v36
	v_add_f32_e32 v38, v36, v37
	v_frexp_mant_f32_e32 v39, v35
	s_mov_b32 s8, 0x3f2aaaab
	v_cvt_f64_f32_e32 v[36:37], v35
	v_frexp_exp_i32_f64_e32 v36, v[36:37]
	v_cmp_gt_f32_e64 s[8:9], s8, v39
	s_nop 1
	v_subbrev_co_u32_e64 v54, s[8:9], 0, v36, s[8:9]
	v_sub_u32_e32 v36, 0, v54
	v_ldexp_f32 v35, v35, v36
	v_ldexp_f32 v36, v38, v36
	v_add_f32_e32 v38, -1.0, v35
	v_add_f32_e32 v37, 1.0, v38
	v_sub_f32_e32 v37, v35, v37
	v_add_f32_e32 v39, v36, v37
	v_add_f32_e32 v37, 1.0, v35
	v_add_f32_e32 v50, -1.0, v37
	v_sub_f32_e32 v35, v35, v50
	v_add_f32_e32 v35, v36, v35
	v_add_f32_e32 v55, v37, v35
	v_rcp_f32_e32 v64, v55
	v_sub_f32_e32 v36, v37, v55
	v_add_f32_e32 v37, v38, v39
	v_add_f32_e32 v35, v35, v36
	v_mul_f32_e32 v66, v37, v64
	v_sub_f32_e32 v36, v38, v37
	v_mul_f32_e32 v38, v55, v66
	v_fma_f32 v50, v66, v55, -v38
	v_fmac_f32_e32 v50, v66, v35
	v_add_f32_e32 v65, v39, v36
	v_add_f32_e32 v36, v38, v50
	v_sub_f32_e32 v39, v37, v36
	v_pk_add_f32 v[52:53], v[36:37], v[38:39] neg_lo:[0,1] neg_hi:[0,1]
	v_mov_b32_e32 v51, v36
	v_pk_add_f32 v[36:37], v[52:53], v[50:51] neg_lo:[0,1] neg_hi:[0,1]
	s_mov_b32 s8, 0x3f317218
	v_add_f32_e32 v37, v65, v37
	v_add_f32_e32 v36, v36, v37
	;; [unrolled: 1-line block ×3, first 2 shown]
	v_mul_f32_e32 v65, v64, v37
	v_mul_f32_e32 v38, v55, v65
	v_fma_f32 v50, v65, v55, -v38
	v_fmac_f32_e32 v50, v65, v35
	v_sub_f32_e32 v35, v39, v37
	v_add_f32_e32 v35, v36, v35
	v_add_f32_e32 v36, v38, v50
	v_sub_f32_e32 v39, v37, v36
	v_pk_add_f32 v[52:53], v[36:37], v[38:39] neg_lo:[0,1] neg_hi:[0,1]
	v_mov_b32_e32 v51, v36
	v_pk_add_f32 v[36:37], v[52:53], v[50:51] neg_lo:[0,1] neg_hi:[0,1]
	v_cvt_f32_i32_e32 v38, v54
	v_add_f32_e32 v35, v35, v37
	v_add_f32_e32 v35, v36, v35
	;; [unrolled: 1-line block ×4, first 2 shown]
	v_sub_f32_e32 v37, v36, v66
	v_mul_f32_e32 v35, v64, v35
	v_sub_f32_e32 v37, v65, v37
	v_add_f32_e32 v35, v37, v35
	v_add_f32_e32 v39, v36, v35
	v_mul_f32_e32 v50, v39, v39
	v_mov_b32_e32 v37, 0x3ecc95a3
	v_fmac_f32_e32 v37, 0x3e9b6dac, v50
	v_sub_f32_e32 v36, v39, v36
	v_fmaak_f32 v37, v50, v37, 0x3f2aaada
	v_sub_f32_e32 v35, v35, v36
	v_ldexp_f32 v51, v39, 1
	v_mul_f32_e32 v39, v39, v50
	v_mov_b32_e32 v36, 0x3f317218
	v_pk_mul_f32 v[36:37], v[38:39], v[36:37]
	v_ldexp_f32 v35, v35, 1
	v_fma_f32 v39, v38, s8, -v36
	v_fmamk_f32 v50, v38, 0xb102e308, v39
	v_pk_add_f32 v[38:39], v[36:37], v[50:51]
	v_mov_b32_e32 v52, v36
	v_sub_f32_e32 v51, v39, v51
	v_sub_f32_e32 v51, v37, v51
	v_add_f32_e32 v53, v35, v51
	v_pk_add_f32 v[36:37], v[38:39], v[36:37] neg_lo:[0,1] neg_hi:[0,1]
	v_pk_add_f32 v[54:55], v[38:39], v[52:53]
	v_mov_b32_e32 v51, v38
	v_mov_b32_e32 v37, v55
	v_pk_add_f32 v[64:65], v[50:51], v[36:37] neg_lo:[0,1] neg_hi:[0,1]
	v_pk_add_f32 v[36:37], v[50:51], v[36:37]
	v_mov_b32_e32 v52, v53
	v_mov_b32_e32 v50, v37
	v_pk_add_f32 v[66:67], v[50:51], v[38:39] neg_lo:[0,1] neg_hi:[0,1]
	v_mov_b32_e32 v36, v55
	v_mov_b32_e32 v35, v66
	v_pk_add_f32 v[68:69], v[54:55], v[34:35] neg_lo:[0,1] neg_hi:[0,1]
	v_mov_b32_e32 v54, v39
	v_mov_b32_e32 v55, v66
	;; [unrolled: 1-line block ×3, first 2 shown]
	v_pk_add_f32 v[36:37], v[36:37], v[54:55] neg_lo:[0,1] neg_hi:[0,1]
	v_mov_b32_e32 v53, v38
	v_pk_add_f32 v[36:37], v[52:53], v[36:37] neg_lo:[0,1] neg_hi:[0,1]
	v_mov_b32_e32 v68, v64
	v_pk_add_f32 v[38:39], v[68:69], v[36:37]
	v_cmp_eq_f32_e64 s[8:9], s13, v49
	v_mov_b32_e32 v52, v39
	v_pk_add_f32 v[52:53], v[38:39], v[52:53]
	s_mov_b32 s13, 0x33800000
	v_pk_add_f32 v[50:51], v[50:51], v[52:53]
	v_mov_b32_e32 v37, v52
	v_mov_b32_e32 v39, v50
	v_pk_add_f32 v[54:55], v[38:39], v[64:65] neg_lo:[0,1] neg_hi:[0,1]
	v_cmp_lt_f32_e64 s[14:15], |v49|, s13
	v_sub_f32_e32 v35, v38, v54
	v_pk_add_f32 v[36:37], v[36:37], v[54:55] neg_lo:[0,1] neg_hi:[0,1]
	v_sub_f32_e32 v35, v64, v35
	v_add_f32_e32 v35, v36, v35
	v_add_f32_e32 v35, v35, v37
	;; [unrolled: 1-line block ×3, first 2 shown]
	s_or_b64 s[8:9], s[8:9], s[14:15]
	v_cndmask_b32_e64 v35, v35, v49, s[8:9]
	v_add_f32_e32 v35, v25, v35
.LBB451_274:
	s_or_b64 exec, exec, s[10:11]
	v_bfe_u32 v25, v35, 16, 1
	s_movk_i32 s14, 0x7fff
	v_add3_u32 v25, v35, v25, s14
	v_and_b32_e32 v36, 0xffff0000, v25
	v_mov_b32_e32 v25, 0x7fc00000
	v_cmp_o_f32_e64 s[8:9], v35, v35
	v_lshlrev_b32_sdwa v7, v7, v26 dst_sel:DWORD dst_unused:UNUSED_PAD src0_sel:DWORD src1_sel:WORD_0
	v_max_f32_e32 v35, v7, v7
	v_cndmask_b32_e64 v37, v25, v36, s[8:9]
	v_max_f32_e32 v36, v37, v37
	v_min_f32_e32 v38, v36, v35
	v_cmp_u_f32_e64 s[10:11], v37, v37
	v_max_f32_e32 v36, v36, v35
	v_cmp_u_f32_e64 s[8:9], v7, v7
	v_cndmask_b32_e64 v38, v38, v37, s[10:11]
	v_cndmask_b32_e64 v36, v36, v37, s[10:11]
	;; [unrolled: 1-line block ×4, first 2 shown]
	v_cmp_neq_f32_e64 s[10:11], v38, v36
	v_cmp_class_f32_e64 s[12:13], v38, s12
	s_or_b64 s[10:11], s[10:11], s[12:13]
	s_and_saveexec_b64 s[12:13], s[10:11]
	s_cbranch_execz .LBB451_276
; %bb.275:
	v_sub_f32_e32 v37, v38, v36
	s_mov_b32 s10, 0x3fb8aa3b
	v_mul_f32_e32 v38, 0x3fb8aa3b, v37
	v_fma_f32 v39, v37, s10, -v38
	v_rndne_f32_e32 v49, v38
	v_fmamk_f32 v39, v37, 0x32a5705f, v39
	v_sub_f32_e32 v38, v38, v49
	v_add_f32_e32 v38, v38, v39
	v_exp_f32_e32 v38, v38
	v_cvt_i32_f32_e32 v39, v49
	s_mov_b32 s10, 0xc2ce8ed0
	v_cmp_ngt_f32_e64 s[10:11], s10, v37
	s_mov_b32 s15, 0x7f800000
	v_ldexp_f32 v38, v38, v39
	v_cndmask_b32_e64 v38, 0, v38, s[10:11]
	s_mov_b32 s10, 0x42b17218
	v_mov_b32_e32 v39, 0x7f800000
	v_cmp_nlt_f32_e64 s[10:11], s10, v37
	s_nop 1
	v_cndmask_b32_e64 v49, v39, v38, s[10:11]
	v_add_f32_e32 v37, 1.0, v49
	v_add_f32_e32 v38, -1.0, v37
	v_sub_f32_e32 v39, v38, v37
	v_add_f32_e32 v39, 1.0, v39
	v_sub_f32_e32 v38, v49, v38
	v_add_f32_e32 v50, v38, v39
	v_frexp_mant_f32_e32 v51, v37
	s_mov_b32 s10, 0x3f2aaaab
	v_cvt_f64_f32_e32 v[38:39], v37
	v_frexp_exp_i32_f64_e32 v38, v[38:39]
	v_cmp_gt_f32_e64 s[10:11], s10, v51
	s_nop 1
	v_subbrev_co_u32_e64 v64, s[10:11], 0, v38, s[10:11]
	v_sub_u32_e32 v38, 0, v64
	v_ldexp_f32 v37, v37, v38
	v_ldexp_f32 v38, v50, v38
	v_add_f32_e32 v50, -1.0, v37
	v_add_f32_e32 v39, 1.0, v50
	v_sub_f32_e32 v39, v37, v39
	v_add_f32_e32 v51, v38, v39
	v_add_f32_e32 v39, 1.0, v37
	v_add_f32_e32 v52, -1.0, v39
	v_sub_f32_e32 v37, v37, v52
	v_add_f32_e32 v37, v38, v37
	v_add_f32_e32 v65, v39, v37
	v_rcp_f32_e32 v66, v65
	v_sub_f32_e32 v38, v39, v65
	v_add_f32_e32 v39, v50, v51
	v_add_f32_e32 v37, v37, v38
	v_mul_f32_e32 v68, v39, v66
	v_sub_f32_e32 v38, v50, v39
	v_mul_f32_e32 v50, v65, v68
	v_fma_f32 v52, v68, v65, -v50
	v_fmac_f32_e32 v52, v68, v37
	v_add_f32_e32 v67, v51, v38
	v_add_f32_e32 v38, v50, v52
	v_sub_f32_e32 v51, v39, v38
	v_pk_add_f32 v[54:55], v[38:39], v[50:51] neg_lo:[0,1] neg_hi:[0,1]
	v_mov_b32_e32 v53, v38
	v_pk_add_f32 v[38:39], v[54:55], v[52:53] neg_lo:[0,1] neg_hi:[0,1]
	s_mov_b32 s10, 0x3f317218
	v_add_f32_e32 v39, v67, v39
	v_add_f32_e32 v38, v38, v39
	;; [unrolled: 1-line block ×3, first 2 shown]
	v_mul_f32_e32 v67, v66, v39
	v_mul_f32_e32 v50, v65, v67
	v_fma_f32 v52, v67, v65, -v50
	v_fmac_f32_e32 v52, v67, v37
	v_sub_f32_e32 v37, v51, v39
	v_add_f32_e32 v37, v38, v37
	v_add_f32_e32 v38, v50, v52
	v_sub_f32_e32 v51, v39, v38
	v_pk_add_f32 v[54:55], v[38:39], v[50:51] neg_lo:[0,1] neg_hi:[0,1]
	v_mov_b32_e32 v53, v38
	v_pk_add_f32 v[38:39], v[54:55], v[52:53] neg_lo:[0,1] neg_hi:[0,1]
	v_cvt_f32_i32_e32 v50, v64
	v_add_f32_e32 v37, v37, v39
	v_add_f32_e32 v37, v38, v37
	;; [unrolled: 1-line block ×4, first 2 shown]
	v_sub_f32_e32 v39, v38, v68
	v_mul_f32_e32 v37, v66, v37
	v_sub_f32_e32 v39, v67, v39
	v_add_f32_e32 v37, v39, v37
	v_add_f32_e32 v51, v38, v37
	v_mul_f32_e32 v52, v51, v51
	v_mov_b32_e32 v39, 0x3ecc95a3
	v_fmac_f32_e32 v39, 0x3e9b6dac, v52
	v_sub_f32_e32 v38, v51, v38
	v_fmaak_f32 v39, v52, v39, 0x3f2aaada
	v_sub_f32_e32 v37, v37, v38
	v_ldexp_f32 v53, v51, 1
	v_mul_f32_e32 v51, v51, v52
	v_mov_b32_e32 v38, 0x3f317218
	v_pk_mul_f32 v[38:39], v[50:51], v[38:39]
	v_ldexp_f32 v37, v37, 1
	v_fma_f32 v51, v50, s10, -v38
	v_fmamk_f32 v52, v50, 0xb102e308, v51
	v_pk_add_f32 v[50:51], v[38:39], v[52:53]
	v_mov_b32_e32 v54, v38
	v_sub_f32_e32 v53, v51, v53
	v_sub_f32_e32 v53, v39, v53
	v_add_f32_e32 v55, v37, v53
	v_pk_add_f32 v[38:39], v[50:51], v[38:39] neg_lo:[0,1] neg_hi:[0,1]
	v_pk_add_f32 v[64:65], v[50:51], v[54:55]
	v_mov_b32_e32 v53, v50
	v_mov_b32_e32 v39, v65
	v_pk_add_f32 v[66:67], v[52:53], v[38:39] neg_lo:[0,1] neg_hi:[0,1]
	v_pk_add_f32 v[38:39], v[52:53], v[38:39]
	v_mov_b32_e32 v54, v55
	v_mov_b32_e32 v52, v39
	v_pk_add_f32 v[68:69], v[52:53], v[50:51] neg_lo:[0,1] neg_hi:[0,1]
	v_mov_b32_e32 v38, v65
	v_mov_b32_e32 v37, v68
	v_pk_add_f32 v[70:71], v[64:65], v[36:37] neg_lo:[0,1] neg_hi:[0,1]
	v_mov_b32_e32 v64, v51
	v_mov_b32_e32 v65, v68
	;; [unrolled: 1-line block ×3, first 2 shown]
	v_pk_add_f32 v[38:39], v[38:39], v[64:65] neg_lo:[0,1] neg_hi:[0,1]
	v_mov_b32_e32 v55, v50
	v_pk_add_f32 v[38:39], v[54:55], v[38:39] neg_lo:[0,1] neg_hi:[0,1]
	v_mov_b32_e32 v70, v66
	v_pk_add_f32 v[50:51], v[70:71], v[38:39]
	v_cmp_eq_f32_e64 s[10:11], s15, v49
	v_mov_b32_e32 v54, v51
	v_pk_add_f32 v[54:55], v[50:51], v[54:55]
	s_mov_b32 s15, 0x33800000
	v_pk_add_f32 v[52:53], v[52:53], v[54:55]
	v_mov_b32_e32 v39, v54
	v_mov_b32_e32 v51, v52
	v_pk_add_f32 v[64:65], v[50:51], v[66:67] neg_lo:[0,1] neg_hi:[0,1]
	v_cmp_lt_f32_e64 s[16:17], |v49|, s15
	v_sub_f32_e32 v37, v50, v64
	v_pk_add_f32 v[38:39], v[38:39], v[64:65] neg_lo:[0,1] neg_hi:[0,1]
	v_sub_f32_e32 v37, v66, v37
	v_add_f32_e32 v37, v38, v37
	v_add_f32_e32 v37, v37, v39
	;; [unrolled: 1-line block ×3, first 2 shown]
	s_or_b64 s[10:11], s[10:11], s[16:17]
	v_cndmask_b32_e64 v37, v37, v49, s[10:11]
	v_add_f32_e32 v37, v36, v37
.LBB451_276:
	s_or_b64 exec, exec, s[12:13]
	v_bfe_u32 v36, v37, 16, 1
	v_add3_u32 v36, v37, v36, s14
	v_and_b32_e32 v36, 0xffff0000, v36
	v_cmp_o_f32_e64 s[10:11], v37, v37
	v_mov_b32_e32 v37, 16
	s_movk_i32 s16, 0x1f8
	v_cndmask_b32_e64 v39, v25, v36, s[10:11]
	v_lshlrev_b32_sdwa v25, v37, v26 dst_sel:DWORD dst_unused:UNUSED_PAD src0_sel:DWORD src1_sel:WORD_1
	v_max_f32_e32 v26, v39, v39
	v_max_f32_e32 v36, v25, v25
	v_min_f32_e32 v38, v26, v36
	v_cmp_u_f32_e64 s[12:13], v39, v39
	v_max_f32_e32 v26, v26, v36
	v_cmp_u_f32_e64 s[10:11], v25, v25
	v_cndmask_b32_e64 v38, v38, v39, s[12:13]
	v_cndmask_b32_e64 v26, v26, v39, s[12:13]
	;; [unrolled: 1-line block ×4, first 2 shown]
	v_cmp_neq_f32_e64 s[12:13], v38, v26
	v_cmp_class_f32_e64 s[14:15], v38, s16
	s_or_b64 s[12:13], s[12:13], s[14:15]
	s_and_saveexec_b64 s[14:15], s[12:13]
	s_cbranch_execz .LBB451_278
; %bb.277:
	v_sub_f32_e32 v38, v38, v26
	s_mov_b32 s12, 0x3fb8aa3b
	v_mul_f32_e32 v39, 0x3fb8aa3b, v38
	v_fma_f32 v49, v38, s12, -v39
	v_rndne_f32_e32 v50, v39
	v_fmamk_f32 v49, v38, 0x32a5705f, v49
	v_sub_f32_e32 v39, v39, v50
	v_add_f32_e32 v39, v39, v49
	v_exp_f32_e32 v39, v39
	v_cvt_i32_f32_e32 v49, v50
	s_mov_b32 s12, 0xc2ce8ed0
	v_cmp_ngt_f32_e64 s[12:13], s12, v38
	s_mov_b32 s17, 0x7f800000
	v_ldexp_f32 v39, v39, v49
	v_cndmask_b32_e64 v39, 0, v39, s[12:13]
	s_mov_b32 s12, 0x42b17218
	v_mov_b32_e32 v49, 0x7f800000
	v_cmp_nlt_f32_e64 s[12:13], s12, v38
	s_nop 1
	v_cndmask_b32_e64 v80, v49, v39, s[12:13]
	v_add_f32_e32 v49, 1.0, v80
	v_add_f32_e32 v38, -1.0, v49
	v_sub_f32_e32 v39, v38, v49
	v_add_f32_e32 v39, 1.0, v39
	v_sub_f32_e32 v38, v80, v38
	v_add_f32_e32 v50, v38, v39
	v_frexp_mant_f32_e32 v51, v49
	s_mov_b32 s12, 0x3f2aaaab
	v_cvt_f64_f32_e32 v[38:39], v49
	v_frexp_exp_i32_f64_e32 v38, v[38:39]
	v_cmp_gt_f32_e64 s[12:13], s12, v51
	s_nop 1
	v_subbrev_co_u32_e64 v64, s[12:13], 0, v38, s[12:13]
	v_sub_u32_e32 v38, 0, v64
	v_ldexp_f32 v39, v49, v38
	v_add_f32_e32 v49, -1.0, v39
	v_add_f32_e32 v51, 1.0, v39
	v_ldexp_f32 v38, v50, v38
	v_add_f32_e32 v50, 1.0, v49
	v_add_f32_e32 v52, -1.0, v51
	v_sub_f32_e32 v50, v39, v50
	v_sub_f32_e32 v39, v39, v52
	v_add_f32_e32 v50, v38, v50
	v_add_f32_e32 v38, v38, v39
	;; [unrolled: 1-line block ×3, first 2 shown]
	v_rcp_f32_e32 v67, v65
	v_sub_f32_e32 v39, v51, v65
	v_add_f32_e32 v66, v38, v39
	v_add_f32_e32 v39, v49, v50
	v_sub_f32_e32 v38, v49, v39
	v_mul_f32_e32 v68, v39, v67
	v_add_f32_e32 v49, v50, v38
	v_mul_f32_e32 v50, v65, v68
	v_fma_f32 v52, v68, v65, -v50
	v_fmac_f32_e32 v52, v68, v66
	v_add_f32_e32 v38, v50, v52
	v_sub_f32_e32 v51, v39, v38
	v_pk_add_f32 v[54:55], v[38:39], v[50:51] neg_lo:[0,1] neg_hi:[0,1]
	v_mov_b32_e32 v53, v38
	v_pk_add_f32 v[38:39], v[54:55], v[52:53] neg_lo:[0,1] neg_hi:[0,1]
	s_mov_b32 s12, 0x3f317218
	v_add_f32_e32 v39, v49, v39
	v_add_f32_e32 v38, v38, v39
	;; [unrolled: 1-line block ×3, first 2 shown]
	v_mul_f32_e32 v49, v67, v39
	v_mul_f32_e32 v50, v65, v49
	v_fma_f32 v52, v49, v65, -v50
	v_fmac_f32_e32 v52, v49, v66
	v_sub_f32_e32 v51, v51, v39
	v_add_f32_e32 v65, v38, v51
	v_add_f32_e32 v38, v50, v52
	v_sub_f32_e32 v51, v39, v38
	v_pk_add_f32 v[54:55], v[38:39], v[50:51] neg_lo:[0,1] neg_hi:[0,1]
	v_mov_b32_e32 v53, v38
	v_pk_add_f32 v[38:39], v[54:55], v[52:53] neg_lo:[0,1] neg_hi:[0,1]
	v_cvt_f32_i32_e32 v50, v64
	v_add_f32_e32 v39, v65, v39
	v_add_f32_e32 v38, v38, v39
	;; [unrolled: 1-line block ×4, first 2 shown]
	v_sub_f32_e32 v39, v51, v68
	v_mul_f32_e32 v38, v67, v38
	v_sub_f32_e32 v39, v49, v39
	v_add_f32_e32 v38, v39, v38
	v_add_f32_e32 v49, v51, v38
	v_mul_f32_e32 v52, v49, v49
	v_mov_b32_e32 v39, 0x3ecc95a3
	v_sub_f32_e32 v51, v49, v51
	v_fmac_f32_e32 v39, 0x3e9b6dac, v52
	v_sub_f32_e32 v38, v38, v51
	v_fmaak_f32 v39, v52, v39, 0x3f2aaada
	v_ldexp_f32 v54, v38, 1
	v_mul_f32_e32 v51, v49, v52
	v_mov_b32_e32 v38, 0x3f317218
	v_pk_mul_f32 v[38:39], v[50:51], v[38:39]
	v_ldexp_f32 v53, v49, 1
	v_fma_f32 v49, v50, s12, -v38
	v_fmamk_f32 v52, v50, 0xb102e308, v49
	v_pk_add_f32 v[50:51], v[38:39], v[52:53]
	v_cmp_eq_f32_e64 s[12:13], s17, v80
	v_sub_f32_e32 v49, v51, v53
	v_sub_f32_e32 v49, v39, v49
	v_add_f32_e32 v55, v54, v49
	v_mov_b32_e32 v54, v38
	v_pk_add_f32 v[38:39], v[50:51], v[38:39] neg_lo:[0,1] neg_hi:[0,1]
	v_pk_add_f32 v[64:65], v[50:51], v[54:55]
	v_mov_b32_e32 v53, v50
	v_mov_b32_e32 v39, v65
	v_pk_add_f32 v[66:67], v[52:53], v[38:39] neg_lo:[0,1] neg_hi:[0,1]
	v_pk_add_f32 v[38:39], v[52:53], v[38:39]
	v_mov_b32_e32 v54, v55
	v_mov_b32_e32 v52, v39
	v_pk_add_f32 v[68:69], v[52:53], v[50:51] neg_lo:[0,1] neg_hi:[0,1]
	v_mov_b32_e32 v38, v65
	v_mov_b32_e32 v49, v68
	v_pk_add_f32 v[70:71], v[64:65], v[48:49] neg_lo:[0,1] neg_hi:[0,1]
	v_mov_b32_e32 v64, v51
	v_mov_b32_e32 v65, v68
	;; [unrolled: 1-line block ×3, first 2 shown]
	v_pk_add_f32 v[38:39], v[38:39], v[64:65] neg_lo:[0,1] neg_hi:[0,1]
	v_mov_b32_e32 v55, v50
	v_pk_add_f32 v[38:39], v[54:55], v[38:39] neg_lo:[0,1] neg_hi:[0,1]
	v_mov_b32_e32 v70, v66
	v_pk_add_f32 v[50:51], v[70:71], v[38:39]
	s_mov_b32 s17, 0x33800000
	v_mov_b32_e32 v54, v51
	v_pk_add_f32 v[54:55], v[50:51], v[54:55]
	v_cmp_lt_f32_e64 s[18:19], |v80|, s17
	v_pk_add_f32 v[52:53], v[52:53], v[54:55]
	v_mov_b32_e32 v39, v54
	v_mov_b32_e32 v51, v52
	v_pk_add_f32 v[64:65], v[50:51], v[66:67] neg_lo:[0,1] neg_hi:[0,1]
	s_or_b64 s[12:13], s[12:13], s[18:19]
	v_sub_f32_e32 v49, v50, v64
	v_pk_add_f32 v[38:39], v[38:39], v[64:65] neg_lo:[0,1] neg_hi:[0,1]
	v_sub_f32_e32 v49, v66, v49
	v_add_f32_e32 v38, v38, v49
	v_add_f32_e32 v38, v38, v39
	v_add_f32_e32 v38, v52, v38
	v_cndmask_b32_e64 v38, v38, v80, s[12:13]
	v_add_f32_e32 v39, v26, v38
.LBB451_278:
	s_or_b64 exec, exec, s[14:15]
	v_bfe_u32 v26, v39, 16, 1
	s_movk_i32 s18, 0x7fff
	v_add3_u32 v26, v39, v26, s18
	v_and_b32_e32 v26, 0xffff0000, v26
	v_mov_b32_e32 v38, 0x7fc00000
	v_cmp_o_f32_e64 s[12:13], v39, v39
	s_nop 1
	v_cndmask_b32_e64 v49, v38, v26, s[12:13]
	v_lshlrev_b32_sdwa v26, v37, v27 dst_sel:DWORD dst_unused:UNUSED_PAD src0_sel:DWORD src1_sel:WORD_0
	v_max_f32_e32 v39, v49, v49
	v_max_f32_e32 v37, v26, v26
	v_min_f32_e32 v50, v39, v37
	v_cmp_u_f32_e64 s[14:15], v49, v49
	v_max_f32_e32 v39, v39, v37
	v_cmp_u_f32_e64 s[12:13], v26, v26
	v_cndmask_b32_e64 v50, v50, v49, s[14:15]
	v_cndmask_b32_e64 v39, v39, v49, s[14:15]
	;; [unrolled: 1-line block ×4, first 2 shown]
	v_cmp_neq_f32_e64 s[14:15], v50, v39
	v_cmp_class_f32_e64 s[16:17], v50, s16
	s_or_b64 s[14:15], s[14:15], s[16:17]
	s_and_saveexec_b64 s[16:17], s[14:15]
	s_cbranch_execz .LBB451_280
; %bb.279:
	v_sub_f32_e32 v49, v50, v39
	s_mov_b32 s14, 0x3fb8aa3b
	v_mul_f32_e32 v50, 0x3fb8aa3b, v49
	v_fma_f32 v51, v49, s14, -v50
	v_rndne_f32_e32 v52, v50
	v_fmamk_f32 v51, v49, 0x32a5705f, v51
	v_sub_f32_e32 v50, v50, v52
	v_add_f32_e32 v50, v50, v51
	v_exp_f32_e32 v50, v50
	v_cvt_i32_f32_e32 v51, v52
	s_mov_b32 s14, 0xc2ce8ed0
	v_cmp_ngt_f32_e64 s[14:15], s14, v49
	s_mov_b32 s19, 0x7f800000
	v_ldexp_f32 v50, v50, v51
	v_cndmask_b32_e64 v50, 0, v50, s[14:15]
	s_mov_b32 s14, 0x42b17218
	v_mov_b32_e32 v51, 0x7f800000
	v_cmp_nlt_f32_e64 s[14:15], s14, v49
	s_nop 1
	v_cndmask_b32_e64 v82, v51, v50, s[14:15]
	v_add_f32_e32 v49, 1.0, v82
	v_add_f32_e32 v50, -1.0, v49
	v_sub_f32_e32 v51, v50, v49
	v_add_f32_e32 v51, 1.0, v51
	v_sub_f32_e32 v50, v82, v50
	v_add_f32_e32 v52, v50, v51
	v_frexp_mant_f32_e32 v53, v49
	s_mov_b32 s14, 0x3f2aaaab
	v_cvt_f64_f32_e32 v[50:51], v49
	v_frexp_exp_i32_f64_e32 v50, v[50:51]
	v_cmp_gt_f32_e64 s[14:15], s14, v53
	s_nop 1
	v_subbrev_co_u32_e64 v66, s[14:15], 0, v50, s[14:15]
	v_sub_u32_e32 v50, 0, v66
	v_ldexp_f32 v49, v49, v50
	v_ldexp_f32 v50, v52, v50
	v_add_f32_e32 v52, -1.0, v49
	v_add_f32_e32 v51, 1.0, v52
	v_sub_f32_e32 v51, v49, v51
	v_add_f32_e32 v53, v50, v51
	v_add_f32_e32 v51, 1.0, v49
	v_add_f32_e32 v54, -1.0, v51
	v_sub_f32_e32 v49, v49, v54
	v_add_f32_e32 v49, v50, v49
	v_add_f32_e32 v67, v51, v49
	v_rcp_f32_e32 v68, v67
	v_sub_f32_e32 v50, v51, v67
	v_add_f32_e32 v51, v52, v53
	v_add_f32_e32 v49, v49, v50
	v_mul_f32_e32 v70, v51, v68
	v_sub_f32_e32 v50, v52, v51
	v_mul_f32_e32 v52, v67, v70
	v_fma_f32 v54, v70, v67, -v52
	v_fmac_f32_e32 v54, v70, v49
	v_add_f32_e32 v69, v53, v50
	v_add_f32_e32 v50, v52, v54
	v_sub_f32_e32 v53, v51, v50
	v_pk_add_f32 v[64:65], v[50:51], v[52:53] neg_lo:[0,1] neg_hi:[0,1]
	v_mov_b32_e32 v55, v50
	v_pk_add_f32 v[50:51], v[64:65], v[54:55] neg_lo:[0,1] neg_hi:[0,1]
	s_mov_b32 s14, 0x3f317218
	v_add_f32_e32 v51, v69, v51
	v_add_f32_e32 v50, v50, v51
	;; [unrolled: 1-line block ×3, first 2 shown]
	v_mul_f32_e32 v69, v68, v51
	v_mul_f32_e32 v52, v67, v69
	v_fma_f32 v54, v69, v67, -v52
	v_fmac_f32_e32 v54, v69, v49
	v_sub_f32_e32 v49, v53, v51
	v_add_f32_e32 v49, v50, v49
	v_add_f32_e32 v50, v52, v54
	v_sub_f32_e32 v53, v51, v50
	v_pk_add_f32 v[64:65], v[50:51], v[52:53] neg_lo:[0,1] neg_hi:[0,1]
	v_mov_b32_e32 v55, v50
	v_pk_add_f32 v[50:51], v[64:65], v[54:55] neg_lo:[0,1] neg_hi:[0,1]
	v_cvt_f32_i32_e32 v52, v66
	v_add_f32_e32 v49, v49, v51
	v_add_f32_e32 v49, v50, v49
	;; [unrolled: 1-line block ×4, first 2 shown]
	v_sub_f32_e32 v51, v50, v70
	v_mul_f32_e32 v49, v68, v49
	v_sub_f32_e32 v51, v69, v51
	v_add_f32_e32 v49, v51, v49
	v_add_f32_e32 v53, v50, v49
	v_mul_f32_e32 v54, v53, v53
	v_mov_b32_e32 v51, 0x3ecc95a3
	v_fmac_f32_e32 v51, 0x3e9b6dac, v54
	v_sub_f32_e32 v50, v53, v50
	v_fmaak_f32 v51, v54, v51, 0x3f2aaada
	v_sub_f32_e32 v49, v49, v50
	v_ldexp_f32 v55, v53, 1
	v_mul_f32_e32 v53, v53, v54
	v_mov_b32_e32 v50, 0x3f317218
	v_pk_mul_f32 v[50:51], v[52:53], v[50:51]
	v_ldexp_f32 v49, v49, 1
	v_fma_f32 v53, v52, s14, -v50
	v_fmamk_f32 v54, v52, 0xb102e308, v53
	v_pk_add_f32 v[52:53], v[50:51], v[54:55]
	v_mov_b32_e32 v64, v50
	v_sub_f32_e32 v55, v53, v55
	v_sub_f32_e32 v55, v51, v55
	v_add_f32_e32 v65, v49, v55
	v_pk_add_f32 v[50:51], v[52:53], v[50:51] neg_lo:[0,1] neg_hi:[0,1]
	v_pk_add_f32 v[66:67], v[52:53], v[64:65]
	v_mov_b32_e32 v55, v52
	v_mov_b32_e32 v51, v67
	v_pk_add_f32 v[68:69], v[54:55], v[50:51] neg_lo:[0,1] neg_hi:[0,1]
	v_pk_add_f32 v[50:51], v[54:55], v[50:51]
	v_mov_b32_e32 v64, v65
	v_mov_b32_e32 v54, v51
	v_pk_add_f32 v[70:71], v[54:55], v[52:53] neg_lo:[0,1] neg_hi:[0,1]
	v_mov_b32_e32 v50, v67
	v_mov_b32_e32 v49, v70
	v_pk_add_f32 v[80:81], v[66:67], v[48:49] neg_lo:[0,1] neg_hi:[0,1]
	v_mov_b32_e32 v66, v53
	v_mov_b32_e32 v67, v70
	;; [unrolled: 1-line block ×3, first 2 shown]
	v_pk_add_f32 v[50:51], v[50:51], v[66:67] neg_lo:[0,1] neg_hi:[0,1]
	v_mov_b32_e32 v65, v52
	v_pk_add_f32 v[50:51], v[64:65], v[50:51] neg_lo:[0,1] neg_hi:[0,1]
	v_mov_b32_e32 v80, v68
	v_pk_add_f32 v[52:53], v[80:81], v[50:51]
	v_cmp_eq_f32_e64 s[14:15], s19, v82
	v_mov_b32_e32 v64, v53
	v_pk_add_f32 v[64:65], v[52:53], v[64:65]
	s_mov_b32 s19, 0x33800000
	v_pk_add_f32 v[54:55], v[54:55], v[64:65]
	v_mov_b32_e32 v51, v64
	v_mov_b32_e32 v53, v54
	v_pk_add_f32 v[66:67], v[52:53], v[68:69] neg_lo:[0,1] neg_hi:[0,1]
	v_cmp_lt_f32_e64 s[20:21], |v82|, s19
	v_sub_f32_e32 v49, v52, v66
	v_pk_add_f32 v[50:51], v[50:51], v[66:67] neg_lo:[0,1] neg_hi:[0,1]
	v_sub_f32_e32 v49, v68, v49
	v_add_f32_e32 v49, v50, v49
	v_add_f32_e32 v49, v49, v51
	;; [unrolled: 1-line block ×3, first 2 shown]
	s_or_b64 s[14:15], s[14:15], s[20:21]
	v_cndmask_b32_e64 v49, v49, v82, s[14:15]
	v_add_f32_e32 v49, v39, v49
.LBB451_280:
	s_or_b64 exec, exec, s[16:17]
	v_bfe_u32 v39, v49, 16, 1
	v_add3_u32 v39, v49, v39, s18
	v_and_b32_e32 v39, 0xffff0000, v39
	v_cmp_o_f32_e64 s[14:15], v49, v49
	s_movk_i32 s20, 0x1f8
	s_nop 0
	v_cndmask_b32_e64 v50, v38, v39, s[14:15]
	v_mov_b32_e32 v38, 16
	v_lshlrev_b32_sdwa v27, v38, v27 dst_sel:DWORD dst_unused:UNUSED_PAD src0_sel:DWORD src1_sel:WORD_1
	v_max_f32_e32 v49, v50, v50
	v_max_f32_e32 v39, v27, v27
	v_min_f32_e32 v51, v49, v39
	v_cmp_u_f32_e64 s[16:17], v50, v50
	v_max_f32_e32 v49, v49, v39
	v_cmp_u_f32_e64 s[14:15], v27, v27
	v_cndmask_b32_e64 v51, v51, v50, s[16:17]
	v_cndmask_b32_e64 v49, v49, v50, s[16:17]
	;; [unrolled: 1-line block ×4, first 2 shown]
	v_cmp_neq_f32_e64 s[16:17], v51, v49
	v_cmp_class_f32_e64 s[18:19], v51, s20
	s_or_b64 s[16:17], s[16:17], s[18:19]
	s_and_saveexec_b64 s[18:19], s[16:17]
	s_cbranch_execz .LBB451_282
; %bb.281:
	v_sub_f32_e32 v50, v51, v49
	s_mov_b32 s16, 0x3fb8aa3b
	v_mul_f32_e32 v51, 0x3fb8aa3b, v50
	v_fma_f32 v52, v50, s16, -v51
	v_rndne_f32_e32 v53, v51
	v_fmamk_f32 v52, v50, 0x32a5705f, v52
	v_sub_f32_e32 v51, v51, v53
	v_add_f32_e32 v51, v51, v52
	v_exp_f32_e32 v51, v51
	v_cvt_i32_f32_e32 v52, v53
	s_mov_b32 s16, 0xc2ce8ed0
	v_cmp_ngt_f32_e64 s[16:17], s16, v50
	s_mov_b32 s21, 0x7f800000
	v_ldexp_f32 v51, v51, v52
	v_cndmask_b32_e64 v51, 0, v51, s[16:17]
	s_mov_b32 s16, 0x42b17218
	v_mov_b32_e32 v52, 0x7f800000
	v_cmp_nlt_f32_e64 s[16:17], s16, v50
	s_nop 1
	v_cndmask_b32_e64 v82, v52, v51, s[16:17]
	v_add_f32_e32 v52, 1.0, v82
	v_add_f32_e32 v50, -1.0, v52
	v_sub_f32_e32 v51, v50, v52
	v_add_f32_e32 v51, 1.0, v51
	v_sub_f32_e32 v50, v82, v50
	v_add_f32_e32 v53, v50, v51
	v_frexp_mant_f32_e32 v54, v52
	s_mov_b32 s16, 0x3f2aaaab
	v_cvt_f64_f32_e32 v[50:51], v52
	v_frexp_exp_i32_f64_e32 v50, v[50:51]
	v_cmp_gt_f32_e64 s[16:17], s16, v54
	s_nop 1
	v_subbrev_co_u32_e64 v66, s[16:17], 0, v50, s[16:17]
	v_sub_u32_e32 v50, 0, v66
	v_ldexp_f32 v51, v52, v50
	v_add_f32_e32 v52, -1.0, v51
	v_add_f32_e32 v54, 1.0, v51
	v_ldexp_f32 v50, v53, v50
	v_add_f32_e32 v53, 1.0, v52
	v_add_f32_e32 v55, -1.0, v54
	v_sub_f32_e32 v53, v51, v53
	v_sub_f32_e32 v51, v51, v55
	v_add_f32_e32 v53, v50, v53
	v_add_f32_e32 v50, v50, v51
	;; [unrolled: 1-line block ×3, first 2 shown]
	v_rcp_f32_e32 v69, v67
	v_sub_f32_e32 v51, v54, v67
	v_add_f32_e32 v68, v50, v51
	v_add_f32_e32 v51, v52, v53
	v_mul_f32_e32 v71, v51, v69
	v_sub_f32_e32 v50, v52, v51
	v_mul_f32_e32 v52, v67, v71
	v_fma_f32 v54, v71, v67, -v52
	v_fmac_f32_e32 v54, v71, v68
	v_add_f32_e32 v70, v53, v50
	v_add_f32_e32 v50, v52, v54
	v_sub_f32_e32 v53, v51, v50
	v_pk_add_f32 v[64:65], v[50:51], v[52:53] neg_lo:[0,1] neg_hi:[0,1]
	v_mov_b32_e32 v55, v50
	v_pk_add_f32 v[50:51], v[64:65], v[54:55] neg_lo:[0,1] neg_hi:[0,1]
	s_mov_b32 s16, 0x3f317218
	v_add_f32_e32 v51, v70, v51
	v_add_f32_e32 v50, v50, v51
	;; [unrolled: 1-line block ×3, first 2 shown]
	v_mul_f32_e32 v70, v69, v51
	v_mul_f32_e32 v52, v67, v70
	v_fma_f32 v54, v70, v67, -v52
	v_fmac_f32_e32 v54, v70, v68
	v_sub_f32_e32 v53, v53, v51
	v_add_f32_e32 v67, v50, v53
	v_add_f32_e32 v50, v52, v54
	v_sub_f32_e32 v53, v51, v50
	v_pk_add_f32 v[64:65], v[50:51], v[52:53] neg_lo:[0,1] neg_hi:[0,1]
	v_mov_b32_e32 v55, v50
	v_pk_add_f32 v[50:51], v[64:65], v[54:55] neg_lo:[0,1] neg_hi:[0,1]
	v_cvt_f32_i32_e32 v52, v66
	v_add_f32_e32 v51, v67, v51
	v_add_f32_e32 v50, v50, v51
	v_add_f32_e32 v50, v53, v50
	v_add_f32_e32 v53, v71, v70
	v_sub_f32_e32 v51, v53, v71
	v_mul_f32_e32 v50, v69, v50
	v_sub_f32_e32 v51, v70, v51
	v_add_f32_e32 v50, v51, v50
	v_add_f32_e32 v54, v53, v50
	v_mul_f32_e32 v64, v54, v54
	v_mov_b32_e32 v51, 0x3ecc95a3
	v_sub_f32_e32 v53, v54, v53
	v_fmac_f32_e32 v51, 0x3e9b6dac, v64
	v_sub_f32_e32 v50, v50, v53
	v_fmaak_f32 v51, v64, v51, 0x3f2aaada
	v_ldexp_f32 v65, v50, 1
	v_mul_f32_e32 v53, v54, v64
	v_mov_b32_e32 v50, 0x3f317218
	v_pk_mul_f32 v[50:51], v[52:53], v[50:51]
	v_ldexp_f32 v55, v54, 1
	v_fma_f32 v53, v52, s16, -v50
	v_fmamk_f32 v54, v52, 0xb102e308, v53
	v_pk_add_f32 v[52:53], v[50:51], v[54:55]
	v_mov_b32_e32 v64, v50
	v_sub_f32_e32 v55, v53, v55
	v_sub_f32_e32 v55, v51, v55
	v_add_f32_e32 v65, v65, v55
	v_pk_add_f32 v[50:51], v[52:53], v[50:51] neg_lo:[0,1] neg_hi:[0,1]
	v_pk_add_f32 v[66:67], v[52:53], v[64:65]
	v_mov_b32_e32 v55, v52
	v_mov_b32_e32 v51, v67
	v_pk_add_f32 v[68:69], v[54:55], v[50:51] neg_lo:[0,1] neg_hi:[0,1]
	v_pk_add_f32 v[50:51], v[54:55], v[50:51]
	v_mov_b32_e32 v64, v65
	v_mov_b32_e32 v54, v51
	v_pk_add_f32 v[70:71], v[54:55], v[52:53] neg_lo:[0,1] neg_hi:[0,1]
	v_mov_b32_e32 v50, v67
	v_mov_b32_e32 v55, v70
	v_pk_add_f32 v[80:81], v[66:67], v[54:55] neg_lo:[0,1] neg_hi:[0,1]
	v_mov_b32_e32 v66, v53
	v_mov_b32_e32 v67, v70
	;; [unrolled: 1-line block ×3, first 2 shown]
	v_pk_add_f32 v[50:51], v[50:51], v[66:67] neg_lo:[0,1] neg_hi:[0,1]
	v_mov_b32_e32 v65, v52
	v_pk_add_f32 v[50:51], v[64:65], v[50:51] neg_lo:[0,1] neg_hi:[0,1]
	v_mov_b32_e32 v80, v68
	v_pk_add_f32 v[52:53], v[80:81], v[50:51]
	v_cmp_eq_f32_e64 s[16:17], s21, v82
	v_mov_b32_e32 v64, v53
	v_pk_add_f32 v[64:65], v[52:53], v[64:65]
	s_mov_b32 s21, 0x33800000
	v_pk_add_f32 v[54:55], v[54:55], v[64:65]
	v_mov_b32_e32 v51, v64
	v_mov_b32_e32 v53, v54
	v_pk_add_f32 v[66:67], v[52:53], v[68:69] neg_lo:[0,1] neg_hi:[0,1]
	v_cmp_lt_f32_e64 s[22:23], |v82|, s21
	v_sub_f32_e32 v52, v52, v66
	v_pk_add_f32 v[50:51], v[50:51], v[66:67] neg_lo:[0,1] neg_hi:[0,1]
	v_sub_f32_e32 v52, v68, v52
	v_add_f32_e32 v50, v50, v52
	v_add_f32_e32 v50, v50, v51
	;; [unrolled: 1-line block ×3, first 2 shown]
	s_or_b64 s[16:17], s[16:17], s[22:23]
	v_cndmask_b32_e64 v50, v50, v82, s[16:17]
	v_add_f32_e32 v50, v49, v50
.LBB451_282:
	s_or_b64 exec, exec, s[18:19]
	v_bfe_u32 v49, v50, 16, 1
	s_movk_i32 s22, 0x7fff
	v_add3_u32 v49, v50, v49, s22
	v_and_b32_e32 v51, 0xffff0000, v49
	v_mov_b32_e32 v49, 0x7fc00000
	v_cmp_o_f32_e64 s[16:17], v50, v50
	v_lshlrev_b32_sdwa v38, v38, v20 dst_sel:DWORD dst_unused:UNUSED_PAD src0_sel:DWORD src1_sel:WORD_0
	v_max_f32_e32 v50, v38, v38
	v_cndmask_b32_e64 v52, v49, v51, s[16:17]
	v_max_f32_e32 v51, v52, v52
	v_min_f32_e32 v53, v51, v50
	v_cmp_u_f32_e64 s[18:19], v52, v52
	v_max_f32_e32 v51, v51, v50
	v_cmp_u_f32_e64 s[16:17], v38, v38
	v_cndmask_b32_e64 v53, v53, v52, s[18:19]
	v_cndmask_b32_e64 v51, v51, v52, s[18:19]
	v_cndmask_b32_e64 v53, v53, v38, s[16:17]
	v_cndmask_b32_e64 v51, v51, v38, s[16:17]
	v_cmp_neq_f32_e64 s[18:19], v53, v51
	v_cmp_class_f32_e64 s[20:21], v53, s20
	s_or_b64 s[18:19], s[18:19], s[20:21]
	s_and_saveexec_b64 s[20:21], s[18:19]
	s_cbranch_execz .LBB451_284
; %bb.283:
	v_sub_f32_e32 v52, v53, v51
	s_mov_b32 s18, 0x3fb8aa3b
	v_mul_f32_e32 v53, 0x3fb8aa3b, v52
	v_fma_f32 v54, v52, s18, -v53
	v_rndne_f32_e32 v55, v53
	v_fmamk_f32 v54, v52, 0x32a5705f, v54
	v_sub_f32_e32 v53, v53, v55
	v_add_f32_e32 v53, v53, v54
	v_exp_f32_e32 v53, v53
	v_cvt_i32_f32_e32 v54, v55
	s_mov_b32 s18, 0xc2ce8ed0
	v_cmp_ngt_f32_e64 s[18:19], s18, v52
	s_mov_b32 s23, 0x7f800000
	v_ldexp_f32 v53, v53, v54
	v_cndmask_b32_e64 v53, 0, v53, s[18:19]
	s_mov_b32 s18, 0x42b17218
	v_mov_b32_e32 v54, 0x7f800000
	v_cmp_nlt_f32_e64 s[18:19], s18, v52
	s_nop 1
	v_cndmask_b32_e64 v84, v54, v53, s[18:19]
	v_add_f32_e32 v54, 1.0, v84
	v_add_f32_e32 v52, -1.0, v54
	v_sub_f32_e32 v53, v52, v54
	v_add_f32_e32 v53, 1.0, v53
	v_sub_f32_e32 v52, v84, v52
	v_add_f32_e32 v55, v52, v53
	v_frexp_mant_f32_e32 v64, v54
	s_mov_b32 s18, 0x3f2aaaab
	v_cvt_f64_f32_e32 v[52:53], v54
	v_frexp_exp_i32_f64_e32 v52, v[52:53]
	v_cmp_gt_f32_e64 s[18:19], s18, v64
	s_nop 1
	v_subbrev_co_u32_e64 v68, s[18:19], 0, v52, s[18:19]
	v_sub_u32_e32 v52, 0, v68
	v_ldexp_f32 v53, v54, v52
	v_add_f32_e32 v54, -1.0, v53
	v_add_f32_e32 v64, 1.0, v53
	v_ldexp_f32 v52, v55, v52
	v_add_f32_e32 v55, 1.0, v54
	v_add_f32_e32 v65, -1.0, v64
	v_sub_f32_e32 v55, v53, v55
	v_sub_f32_e32 v53, v53, v65
	v_add_f32_e32 v55, v52, v55
	v_add_f32_e32 v52, v52, v53
	;; [unrolled: 1-line block ×3, first 2 shown]
	v_rcp_f32_e32 v71, v69
	v_sub_f32_e32 v53, v64, v69
	v_add_f32_e32 v70, v52, v53
	v_add_f32_e32 v53, v54, v55
	v_mul_f32_e32 v81, v53, v71
	v_sub_f32_e32 v52, v54, v53
	v_mul_f32_e32 v54, v69, v81
	v_fma_f32 v64, v81, v69, -v54
	v_fmac_f32_e32 v64, v81, v70
	v_add_f32_e32 v80, v55, v52
	v_add_f32_e32 v52, v54, v64
	v_sub_f32_e32 v55, v53, v52
	v_pk_add_f32 v[66:67], v[52:53], v[54:55] neg_lo:[0,1] neg_hi:[0,1]
	v_mov_b32_e32 v65, v52
	v_pk_add_f32 v[52:53], v[66:67], v[64:65] neg_lo:[0,1] neg_hi:[0,1]
	s_mov_b32 s18, 0x3f317218
	v_add_f32_e32 v53, v80, v53
	v_add_f32_e32 v52, v52, v53
	;; [unrolled: 1-line block ×3, first 2 shown]
	v_mul_f32_e32 v80, v71, v53
	v_mul_f32_e32 v54, v69, v80
	v_fma_f32 v64, v80, v69, -v54
	v_fmac_f32_e32 v64, v80, v70
	v_sub_f32_e32 v55, v55, v53
	v_add_f32_e32 v69, v52, v55
	v_add_f32_e32 v52, v54, v64
	v_sub_f32_e32 v55, v53, v52
	v_pk_add_f32 v[66:67], v[52:53], v[54:55] neg_lo:[0,1] neg_hi:[0,1]
	v_mov_b32_e32 v65, v52
	v_pk_add_f32 v[52:53], v[66:67], v[64:65] neg_lo:[0,1] neg_hi:[0,1]
	v_cvt_f32_i32_e32 v54, v68
	v_add_f32_e32 v53, v69, v53
	v_add_f32_e32 v52, v52, v53
	v_add_f32_e32 v52, v55, v52
	v_add_f32_e32 v55, v81, v80
	v_sub_f32_e32 v53, v55, v81
	v_mul_f32_e32 v52, v71, v52
	v_sub_f32_e32 v53, v80, v53
	v_add_f32_e32 v52, v53, v52
	v_add_f32_e32 v64, v55, v52
	v_mul_f32_e32 v66, v64, v64
	v_mov_b32_e32 v53, 0x3ecc95a3
	v_sub_f32_e32 v55, v64, v55
	v_fmac_f32_e32 v53, 0x3e9b6dac, v66
	v_sub_f32_e32 v52, v52, v55
	v_fmaak_f32 v53, v66, v53, 0x3f2aaada
	v_ldexp_f32 v67, v52, 1
	v_mul_f32_e32 v55, v64, v66
	v_mov_b32_e32 v52, 0x3f317218
	v_pk_mul_f32 v[52:53], v[54:55], v[52:53]
	v_ldexp_f32 v65, v64, 1
	v_fma_f32 v55, v54, s18, -v52
	v_fmamk_f32 v64, v54, 0xb102e308, v55
	v_pk_add_f32 v[54:55], v[52:53], v[64:65]
	v_mov_b32_e32 v66, v52
	v_sub_f32_e32 v65, v55, v65
	v_sub_f32_e32 v65, v53, v65
	v_add_f32_e32 v67, v67, v65
	v_pk_add_f32 v[52:53], v[54:55], v[52:53] neg_lo:[0,1] neg_hi:[0,1]
	v_pk_add_f32 v[68:69], v[54:55], v[66:67]
	v_mov_b32_e32 v65, v54
	v_mov_b32_e32 v53, v69
	v_pk_add_f32 v[70:71], v[64:65], v[52:53] neg_lo:[0,1] neg_hi:[0,1]
	v_pk_add_f32 v[52:53], v[64:65], v[52:53]
	v_mov_b32_e32 v66, v67
	v_mov_b32_e32 v64, v53
	v_pk_add_f32 v[80:81], v[64:65], v[54:55] neg_lo:[0,1] neg_hi:[0,1]
	v_mov_b32_e32 v52, v69
	v_mov_b32_e32 v65, v80
	v_pk_add_f32 v[82:83], v[68:69], v[64:65] neg_lo:[0,1] neg_hi:[0,1]
	v_mov_b32_e32 v68, v55
	v_mov_b32_e32 v69, v80
	;; [unrolled: 1-line block ×3, first 2 shown]
	v_pk_add_f32 v[52:53], v[52:53], v[68:69] neg_lo:[0,1] neg_hi:[0,1]
	v_mov_b32_e32 v67, v54
	v_pk_add_f32 v[52:53], v[66:67], v[52:53] neg_lo:[0,1] neg_hi:[0,1]
	v_mov_b32_e32 v82, v70
	v_pk_add_f32 v[54:55], v[82:83], v[52:53]
	v_cmp_eq_f32_e64 s[18:19], s23, v84
	v_mov_b32_e32 v66, v55
	v_pk_add_f32 v[66:67], v[54:55], v[66:67]
	s_mov_b32 s23, 0x33800000
	v_pk_add_f32 v[64:65], v[64:65], v[66:67]
	v_mov_b32_e32 v53, v66
	v_mov_b32_e32 v55, v64
	v_pk_add_f32 v[68:69], v[54:55], v[70:71] neg_lo:[0,1] neg_hi:[0,1]
	v_cmp_lt_f32_e64 s[24:25], |v84|, s23
	v_sub_f32_e32 v54, v54, v68
	v_pk_add_f32 v[52:53], v[52:53], v[68:69] neg_lo:[0,1] neg_hi:[0,1]
	v_sub_f32_e32 v54, v70, v54
	v_add_f32_e32 v52, v52, v54
	v_add_f32_e32 v52, v52, v53
	v_add_f32_e32 v52, v64, v52
	s_or_b64 s[18:19], s[18:19], s[24:25]
	v_cndmask_b32_e64 v52, v52, v84, s[18:19]
	v_add_f32_e32 v52, v51, v52
.LBB451_284:
	s_or_b64 exec, exec, s[20:21]
	v_bfe_u32 v51, v52, 16, 1
	v_add3_u32 v51, v52, v51, s22
	v_and_b32_e32 v51, 0xffff0000, v51
	v_cmp_o_f32_e64 s[18:19], v52, v52
	s_movk_i32 s24, 0x1f8
	s_nop 0
	v_cndmask_b32_e64 v53, v49, v51, s[18:19]
	v_mov_b32_e32 v49, 16
	v_lshlrev_b32_sdwa v20, v49, v20 dst_sel:DWORD dst_unused:UNUSED_PAD src0_sel:DWORD src1_sel:WORD_1
	v_max_f32_e32 v52, v53, v53
	v_max_f32_e32 v51, v20, v20
	v_min_f32_e32 v54, v52, v51
	v_cmp_u_f32_e64 s[20:21], v53, v53
	v_max_f32_e32 v52, v52, v51
	v_cmp_u_f32_e64 s[18:19], v20, v20
	v_cndmask_b32_e64 v54, v54, v53, s[20:21]
	v_cndmask_b32_e64 v52, v52, v53, s[20:21]
	;; [unrolled: 1-line block ×4, first 2 shown]
	v_cmp_neq_f32_e64 s[20:21], v54, v52
	v_cmp_class_f32_e64 s[22:23], v54, s24
	s_or_b64 s[20:21], s[20:21], s[22:23]
	s_and_saveexec_b64 s[22:23], s[20:21]
	s_cbranch_execz .LBB451_286
; %bb.285:
	v_sub_f32_e32 v53, v54, v52
	s_mov_b32 s20, 0x3fb8aa3b
	v_mul_f32_e32 v54, 0x3fb8aa3b, v53
	v_fma_f32 v55, v53, s20, -v54
	v_rndne_f32_e32 v64, v54
	v_fmamk_f32 v55, v53, 0x32a5705f, v55
	v_sub_f32_e32 v54, v54, v64
	v_add_f32_e32 v54, v54, v55
	v_exp_f32_e32 v54, v54
	v_cvt_i32_f32_e32 v55, v64
	s_mov_b32 s20, 0xc2ce8ed0
	v_cmp_ngt_f32_e64 s[20:21], s20, v53
	s_mov_b32 s25, 0x7f800000
	v_ldexp_f32 v54, v54, v55
	v_cndmask_b32_e64 v54, 0, v54, s[20:21]
	s_mov_b32 s20, 0x42b17218
	v_mov_b32_e32 v55, 0x7f800000
	v_cmp_nlt_f32_e64 s[20:21], s20, v53
	s_nop 1
	v_cndmask_b32_e64 v86, v55, v54, s[20:21]
	v_add_f32_e32 v53, 1.0, v86
	v_add_f32_e32 v54, -1.0, v53
	v_sub_f32_e32 v55, v54, v53
	v_add_f32_e32 v55, 1.0, v55
	v_sub_f32_e32 v54, v86, v54
	v_add_f32_e32 v64, v54, v55
	v_frexp_mant_f32_e32 v65, v53
	s_mov_b32 s20, 0x3f2aaaab
	v_cvt_f64_f32_e32 v[54:55], v53
	v_frexp_exp_i32_f64_e32 v54, v[54:55]
	v_cmp_gt_f32_e64 s[20:21], s20, v65
	s_nop 1
	v_subbrev_co_u32_e64 v70, s[20:21], 0, v54, s[20:21]
	v_sub_u32_e32 v54, 0, v70
	v_ldexp_f32 v53, v53, v54
	v_ldexp_f32 v54, v64, v54
	v_add_f32_e32 v64, -1.0, v53
	v_add_f32_e32 v55, 1.0, v64
	v_sub_f32_e32 v55, v53, v55
	v_add_f32_e32 v65, v54, v55
	v_add_f32_e32 v55, 1.0, v53
	v_add_f32_e32 v66, -1.0, v55
	v_sub_f32_e32 v53, v53, v66
	v_add_f32_e32 v53, v54, v53
	v_add_f32_e32 v71, v55, v53
	v_rcp_f32_e32 v80, v71
	v_sub_f32_e32 v54, v55, v71
	v_add_f32_e32 v55, v64, v65
	v_add_f32_e32 v53, v53, v54
	v_mul_f32_e32 v82, v55, v80
	v_sub_f32_e32 v54, v64, v55
	v_mul_f32_e32 v64, v71, v82
	v_fma_f32 v66, v82, v71, -v64
	v_fmac_f32_e32 v66, v82, v53
	v_add_f32_e32 v81, v65, v54
	v_add_f32_e32 v54, v64, v66
	v_sub_f32_e32 v65, v55, v54
	v_pk_add_f32 v[68:69], v[54:55], v[64:65] neg_lo:[0,1] neg_hi:[0,1]
	v_mov_b32_e32 v67, v54
	v_pk_add_f32 v[54:55], v[68:69], v[66:67] neg_lo:[0,1] neg_hi:[0,1]
	s_mov_b32 s20, 0x3f317218
	v_add_f32_e32 v55, v81, v55
	v_add_f32_e32 v54, v54, v55
	;; [unrolled: 1-line block ×3, first 2 shown]
	v_mul_f32_e32 v81, v80, v55
	v_mul_f32_e32 v64, v71, v81
	v_fma_f32 v66, v81, v71, -v64
	v_fmac_f32_e32 v66, v81, v53
	v_sub_f32_e32 v53, v65, v55
	v_add_f32_e32 v53, v54, v53
	v_add_f32_e32 v54, v64, v66
	v_sub_f32_e32 v65, v55, v54
	v_pk_add_f32 v[68:69], v[54:55], v[64:65] neg_lo:[0,1] neg_hi:[0,1]
	v_mov_b32_e32 v67, v54
	v_pk_add_f32 v[54:55], v[68:69], v[66:67] neg_lo:[0,1] neg_hi:[0,1]
	v_cvt_f32_i32_e32 v64, v70
	v_add_f32_e32 v53, v53, v55
	v_add_f32_e32 v53, v54, v53
	;; [unrolled: 1-line block ×4, first 2 shown]
	v_sub_f32_e32 v55, v54, v82
	v_mul_f32_e32 v53, v80, v53
	v_sub_f32_e32 v55, v81, v55
	v_add_f32_e32 v53, v55, v53
	v_add_f32_e32 v65, v54, v53
	v_mul_f32_e32 v66, v65, v65
	v_mov_b32_e32 v55, 0x3ecc95a3
	v_fmac_f32_e32 v55, 0x3e9b6dac, v66
	v_sub_f32_e32 v54, v65, v54
	v_fmaak_f32 v55, v66, v55, 0x3f2aaada
	v_sub_f32_e32 v53, v53, v54
	v_ldexp_f32 v67, v65, 1
	v_mul_f32_e32 v65, v65, v66
	v_mov_b32_e32 v54, 0x3f317218
	v_pk_mul_f32 v[54:55], v[64:65], v[54:55]
	v_ldexp_f32 v53, v53, 1
	v_fma_f32 v65, v64, s20, -v54
	v_fmamk_f32 v66, v64, 0xb102e308, v65
	v_pk_add_f32 v[64:65], v[54:55], v[66:67]
	v_mov_b32_e32 v68, v54
	v_sub_f32_e32 v67, v65, v67
	v_sub_f32_e32 v67, v55, v67
	v_add_f32_e32 v69, v53, v67
	v_pk_add_f32 v[54:55], v[64:65], v[54:55] neg_lo:[0,1] neg_hi:[0,1]
	v_pk_add_f32 v[70:71], v[64:65], v[68:69]
	v_mov_b32_e32 v67, v64
	v_mov_b32_e32 v55, v71
	v_pk_add_f32 v[80:81], v[66:67], v[54:55] neg_lo:[0,1] neg_hi:[0,1]
	v_pk_add_f32 v[54:55], v[66:67], v[54:55]
	v_mov_b32_e32 v68, v69
	v_mov_b32_e32 v66, v55
	v_pk_add_f32 v[82:83], v[66:67], v[64:65] neg_lo:[0,1] neg_hi:[0,1]
	v_mov_b32_e32 v54, v71
	v_mov_b32_e32 v53, v82
	v_pk_add_f32 v[84:85], v[70:71], v[52:53] neg_lo:[0,1] neg_hi:[0,1]
	v_mov_b32_e32 v70, v65
	v_mov_b32_e32 v71, v82
	v_mov_b32_e32 v81, v55
	v_pk_add_f32 v[54:55], v[54:55], v[70:71] neg_lo:[0,1] neg_hi:[0,1]
	v_mov_b32_e32 v69, v64
	v_pk_add_f32 v[54:55], v[68:69], v[54:55] neg_lo:[0,1] neg_hi:[0,1]
	v_mov_b32_e32 v84, v80
	v_pk_add_f32 v[64:65], v[84:85], v[54:55]
	v_cmp_eq_f32_e64 s[20:21], s25, v86
	v_mov_b32_e32 v68, v65
	v_pk_add_f32 v[68:69], v[64:65], v[68:69]
	s_mov_b32 s25, 0x33800000
	v_pk_add_f32 v[66:67], v[66:67], v[68:69]
	v_mov_b32_e32 v55, v68
	v_mov_b32_e32 v65, v66
	v_pk_add_f32 v[70:71], v[64:65], v[80:81] neg_lo:[0,1] neg_hi:[0,1]
	v_cmp_lt_f32_e64 s[26:27], |v86|, s25
	v_sub_f32_e32 v53, v64, v70
	v_pk_add_f32 v[54:55], v[54:55], v[70:71] neg_lo:[0,1] neg_hi:[0,1]
	v_sub_f32_e32 v53, v80, v53
	v_add_f32_e32 v53, v54, v53
	v_add_f32_e32 v53, v53, v55
	;; [unrolled: 1-line block ×3, first 2 shown]
	s_or_b64 s[20:21], s[20:21], s[26:27]
	v_cndmask_b32_e64 v53, v53, v86, s[20:21]
	v_add_f32_e32 v53, v52, v53
.LBB451_286:
	s_or_b64 exec, exec, s[22:23]
	v_bfe_u32 v52, v53, 16, 1
	s_movk_i32 s26, 0x7fff
	v_add3_u32 v52, v53, v52, s26
	v_and_b32_e32 v54, 0xffff0000, v52
	v_mov_b32_e32 v52, 0x7fc00000
	v_cmp_o_f32_e64 s[20:21], v53, v53
	v_lshlrev_b32_sdwa v49, v49, v21 dst_sel:DWORD dst_unused:UNUSED_PAD src0_sel:DWORD src1_sel:WORD_0
	v_max_f32_e32 v53, v49, v49
	v_cndmask_b32_e64 v55, v52, v54, s[20:21]
	v_max_f32_e32 v54, v55, v55
	v_min_f32_e32 v64, v54, v53
	v_cmp_u_f32_e64 s[22:23], v55, v55
	v_max_f32_e32 v54, v54, v53
	v_cmp_u_f32_e64 s[20:21], v49, v49
	v_cndmask_b32_e64 v64, v64, v55, s[22:23]
	v_cndmask_b32_e64 v54, v54, v55, s[22:23]
	;; [unrolled: 1-line block ×4, first 2 shown]
	v_cmp_neq_f32_e64 s[22:23], v64, v54
	v_cmp_class_f32_e64 s[24:25], v64, s24
	s_or_b64 s[22:23], s[22:23], s[24:25]
	s_and_saveexec_b64 s[24:25], s[22:23]
	s_cbranch_execz .LBB451_288
; %bb.287:
	v_sub_f32_e32 v55, v64, v54
	s_mov_b32 s22, 0x3fb8aa3b
	v_mul_f32_e32 v64, 0x3fb8aa3b, v55
	v_fma_f32 v65, v55, s22, -v64
	v_rndne_f32_e32 v66, v64
	v_fmamk_f32 v65, v55, 0x32a5705f, v65
	v_sub_f32_e32 v64, v64, v66
	v_add_f32_e32 v64, v64, v65
	v_exp_f32_e32 v64, v64
	v_cvt_i32_f32_e32 v65, v66
	s_mov_b32 s22, 0xc2ce8ed0
	v_cmp_ngt_f32_e64 s[22:23], s22, v55
	s_mov_b32 s27, 0x7f800000
	v_ldexp_f32 v64, v64, v65
	v_cndmask_b32_e64 v64, 0, v64, s[22:23]
	s_mov_b32 s22, 0x42b17218
	v_mov_b32_e32 v65, 0x7f800000
	v_cmp_nlt_f32_e64 s[22:23], s22, v55
	s_nop 1
	v_cndmask_b32_e64 v99, v65, v64, s[22:23]
	v_add_f32_e32 v55, 1.0, v99
	v_add_f32_e32 v64, -1.0, v55
	v_sub_f32_e32 v65, v64, v55
	v_add_f32_e32 v65, 1.0, v65
	v_sub_f32_e32 v64, v99, v64
	v_add_f32_e32 v66, v64, v65
	v_frexp_mant_f32_e32 v67, v55
	s_mov_b32 s22, 0x3f2aaaab
	v_cvt_f64_f32_e32 v[64:65], v55
	v_frexp_exp_i32_f64_e32 v64, v[64:65]
	v_cmp_gt_f32_e64 s[22:23], s22, v67
	s_nop 1
	v_subbrev_co_u32_e64 v80, s[22:23], 0, v64, s[22:23]
	v_sub_u32_e32 v64, 0, v80
	v_ldexp_f32 v55, v55, v64
	v_ldexp_f32 v64, v66, v64
	v_add_f32_e32 v66, -1.0, v55
	v_add_f32_e32 v65, 1.0, v66
	v_sub_f32_e32 v65, v55, v65
	v_add_f32_e32 v67, v64, v65
	v_add_f32_e32 v65, 1.0, v55
	v_add_f32_e32 v68, -1.0, v65
	v_sub_f32_e32 v55, v55, v68
	v_add_f32_e32 v55, v64, v55
	v_add_f32_e32 v81, v65, v55
	v_rcp_f32_e32 v82, v81
	v_sub_f32_e32 v64, v65, v81
	v_add_f32_e32 v65, v66, v67
	v_add_f32_e32 v55, v55, v64
	v_mul_f32_e32 v84, v65, v82
	v_sub_f32_e32 v64, v66, v65
	v_mul_f32_e32 v66, v81, v84
	v_fma_f32 v68, v84, v81, -v66
	v_fmac_f32_e32 v68, v84, v55
	v_add_f32_e32 v83, v67, v64
	v_add_f32_e32 v64, v66, v68
	v_sub_f32_e32 v67, v65, v64
	v_pk_add_f32 v[70:71], v[64:65], v[66:67] neg_lo:[0,1] neg_hi:[0,1]
	v_mov_b32_e32 v69, v64
	v_pk_add_f32 v[64:65], v[70:71], v[68:69] neg_lo:[0,1] neg_hi:[0,1]
	s_mov_b32 s22, 0x3f317218
	v_add_f32_e32 v65, v83, v65
	v_add_f32_e32 v64, v64, v65
	;; [unrolled: 1-line block ×3, first 2 shown]
	v_mul_f32_e32 v83, v82, v65
	v_mul_f32_e32 v66, v81, v83
	v_fma_f32 v68, v83, v81, -v66
	v_fmac_f32_e32 v68, v83, v55
	v_sub_f32_e32 v55, v67, v65
	v_add_f32_e32 v55, v64, v55
	v_add_f32_e32 v64, v66, v68
	v_sub_f32_e32 v67, v65, v64
	v_pk_add_f32 v[70:71], v[64:65], v[66:67] neg_lo:[0,1] neg_hi:[0,1]
	v_mov_b32_e32 v69, v64
	v_pk_add_f32 v[64:65], v[70:71], v[68:69] neg_lo:[0,1] neg_hi:[0,1]
	v_cvt_f32_i32_e32 v66, v80
	v_add_f32_e32 v55, v55, v65
	v_add_f32_e32 v55, v64, v55
	;; [unrolled: 1-line block ×4, first 2 shown]
	v_sub_f32_e32 v65, v64, v84
	v_mul_f32_e32 v55, v82, v55
	v_sub_f32_e32 v65, v83, v65
	v_add_f32_e32 v55, v65, v55
	v_add_f32_e32 v67, v64, v55
	v_mul_f32_e32 v68, v67, v67
	v_mov_b32_e32 v65, 0x3ecc95a3
	v_fmac_f32_e32 v65, 0x3e9b6dac, v68
	v_sub_f32_e32 v64, v67, v64
	v_fmaak_f32 v65, v68, v65, 0x3f2aaada
	v_sub_f32_e32 v55, v55, v64
	v_ldexp_f32 v69, v67, 1
	v_mul_f32_e32 v67, v67, v68
	v_mov_b32_e32 v64, 0x3f317218
	v_pk_mul_f32 v[64:65], v[66:67], v[64:65]
	v_ldexp_f32 v55, v55, 1
	v_fma_f32 v67, v66, s22, -v64
	v_fmamk_f32 v68, v66, 0xb102e308, v67
	v_pk_add_f32 v[66:67], v[64:65], v[68:69]
	v_mov_b32_e32 v70, v64
	v_sub_f32_e32 v69, v67, v69
	v_sub_f32_e32 v69, v65, v69
	v_add_f32_e32 v71, v55, v69
	v_pk_add_f32 v[64:65], v[66:67], v[64:65] neg_lo:[0,1] neg_hi:[0,1]
	v_pk_add_f32 v[80:81], v[66:67], v[70:71]
	v_mov_b32_e32 v69, v66
	v_mov_b32_e32 v65, v81
	v_pk_add_f32 v[82:83], v[68:69], v[64:65] neg_lo:[0,1] neg_hi:[0,1]
	v_pk_add_f32 v[64:65], v[68:69], v[64:65]
	v_mov_b32_e32 v70, v71
	v_mov_b32_e32 v68, v65
	v_pk_add_f32 v[84:85], v[68:69], v[66:67] neg_lo:[0,1] neg_hi:[0,1]
	v_mov_b32_e32 v64, v81
	v_mov_b32_e32 v55, v84
	v_pk_add_f32 v[86:87], v[80:81], v[54:55] neg_lo:[0,1] neg_hi:[0,1]
	v_mov_b32_e32 v80, v67
	v_mov_b32_e32 v81, v84
	;; [unrolled: 1-line block ×3, first 2 shown]
	v_pk_add_f32 v[64:65], v[64:65], v[80:81] neg_lo:[0,1] neg_hi:[0,1]
	v_mov_b32_e32 v71, v66
	v_pk_add_f32 v[64:65], v[70:71], v[64:65] neg_lo:[0,1] neg_hi:[0,1]
	v_mov_b32_e32 v86, v82
	v_pk_add_f32 v[66:67], v[86:87], v[64:65]
	v_cmp_eq_f32_e64 s[22:23], s27, v99
	v_mov_b32_e32 v70, v67
	v_pk_add_f32 v[70:71], v[66:67], v[70:71]
	s_mov_b32 s27, 0x33800000
	v_pk_add_f32 v[68:69], v[68:69], v[70:71]
	v_mov_b32_e32 v65, v70
	v_mov_b32_e32 v67, v68
	v_pk_add_f32 v[80:81], v[66:67], v[82:83] neg_lo:[0,1] neg_hi:[0,1]
	v_cmp_lt_f32_e64 s[28:29], |v99|, s27
	v_sub_f32_e32 v55, v66, v80
	v_pk_add_f32 v[64:65], v[64:65], v[80:81] neg_lo:[0,1] neg_hi:[0,1]
	v_sub_f32_e32 v55, v82, v55
	v_add_f32_e32 v55, v64, v55
	v_add_f32_e32 v55, v55, v65
	;; [unrolled: 1-line block ×3, first 2 shown]
	s_or_b64 s[22:23], s[22:23], s[28:29]
	v_cndmask_b32_e64 v55, v55, v99, s[22:23]
	v_add_f32_e32 v55, v54, v55
.LBB451_288:
	s_or_b64 exec, exec, s[24:25]
	v_bfe_u32 v54, v55, 16, 1
	v_add3_u32 v54, v55, v54, s26
	v_and_b32_e32 v54, 0xffff0000, v54
	v_cmp_o_f32_e64 s[22:23], v55, v55
	s_movk_i32 s28, 0x1f8
	s_nop 0
	v_cndmask_b32_e64 v64, v52, v54, s[22:23]
	v_mov_b32_e32 v52, 16
	v_lshlrev_b32_sdwa v21, v52, v21 dst_sel:DWORD dst_unused:UNUSED_PAD src0_sel:DWORD src1_sel:WORD_1
	v_max_f32_e32 v55, v64, v64
	v_max_f32_e32 v54, v21, v21
	v_min_f32_e32 v65, v55, v54
	v_cmp_u_f32_e64 s[24:25], v64, v64
	v_max_f32_e32 v55, v55, v54
	v_cmp_u_f32_e64 s[22:23], v21, v21
	v_cndmask_b32_e64 v65, v65, v64, s[24:25]
	v_cndmask_b32_e64 v55, v55, v64, s[24:25]
	;; [unrolled: 1-line block ×4, first 2 shown]
	v_cmp_neq_f32_e64 s[24:25], v65, v55
	v_cmp_class_f32_e64 s[26:27], v65, s28
	s_or_b64 s[24:25], s[24:25], s[26:27]
	s_and_saveexec_b64 s[26:27], s[24:25]
	s_cbranch_execz .LBB451_290
; %bb.289:
	v_sub_f32_e32 v64, v65, v55
	s_mov_b32 s24, 0x3fb8aa3b
	v_mul_f32_e32 v65, 0x3fb8aa3b, v64
	v_fma_f32 v66, v64, s24, -v65
	v_rndne_f32_e32 v67, v65
	v_fmamk_f32 v66, v64, 0x32a5705f, v66
	v_sub_f32_e32 v65, v65, v67
	v_add_f32_e32 v65, v65, v66
	v_exp_f32_e32 v65, v65
	v_cvt_i32_f32_e32 v66, v67
	s_mov_b32 s24, 0xc2ce8ed0
	v_cmp_ngt_f32_e64 s[24:25], s24, v64
	s_mov_b32 s29, 0x7f800000
	v_ldexp_f32 v65, v65, v66
	v_cndmask_b32_e64 v65, 0, v65, s[24:25]
	s_mov_b32 s24, 0x42b17218
	v_mov_b32_e32 v66, 0x7f800000
	v_cmp_nlt_f32_e64 s[24:25], s24, v64
	s_nop 1
	v_cndmask_b32_e64 v99, v66, v65, s[24:25]
	v_add_f32_e32 v66, 1.0, v99
	v_add_f32_e32 v64, -1.0, v66
	v_sub_f32_e32 v65, v64, v66
	v_add_f32_e32 v65, 1.0, v65
	v_sub_f32_e32 v64, v99, v64
	v_add_f32_e32 v67, v64, v65
	v_frexp_mant_f32_e32 v68, v66
	s_mov_b32 s24, 0x3f2aaaab
	v_cvt_f64_f32_e32 v[64:65], v66
	v_frexp_exp_i32_f64_e32 v64, v[64:65]
	v_cmp_gt_f32_e64 s[24:25], s24, v68
	s_nop 1
	v_subbrev_co_u32_e64 v80, s[24:25], 0, v64, s[24:25]
	v_sub_u32_e32 v64, 0, v80
	v_ldexp_f32 v65, v66, v64
	v_add_f32_e32 v66, -1.0, v65
	v_add_f32_e32 v68, 1.0, v65
	v_ldexp_f32 v64, v67, v64
	v_add_f32_e32 v67, 1.0, v66
	v_add_f32_e32 v69, -1.0, v68
	v_sub_f32_e32 v67, v65, v67
	v_sub_f32_e32 v65, v65, v69
	v_add_f32_e32 v67, v64, v67
	v_add_f32_e32 v64, v64, v65
	;; [unrolled: 1-line block ×3, first 2 shown]
	v_rcp_f32_e32 v83, v81
	v_sub_f32_e32 v65, v68, v81
	v_add_f32_e32 v82, v64, v65
	v_add_f32_e32 v65, v66, v67
	v_mul_f32_e32 v85, v65, v83
	v_sub_f32_e32 v64, v66, v65
	v_mul_f32_e32 v66, v81, v85
	v_fma_f32 v68, v85, v81, -v66
	v_fmac_f32_e32 v68, v85, v82
	v_add_f32_e32 v84, v67, v64
	v_add_f32_e32 v64, v66, v68
	v_sub_f32_e32 v67, v65, v64
	v_pk_add_f32 v[70:71], v[64:65], v[66:67] neg_lo:[0,1] neg_hi:[0,1]
	v_mov_b32_e32 v69, v64
	v_pk_add_f32 v[64:65], v[70:71], v[68:69] neg_lo:[0,1] neg_hi:[0,1]
	s_mov_b32 s24, 0x3f317218
	v_add_f32_e32 v65, v84, v65
	v_add_f32_e32 v64, v64, v65
	v_add_f32_e32 v65, v67, v64
	v_mul_f32_e32 v84, v83, v65
	v_mul_f32_e32 v66, v81, v84
	v_fma_f32 v68, v84, v81, -v66
	v_fmac_f32_e32 v68, v84, v82
	v_sub_f32_e32 v67, v67, v65
	v_add_f32_e32 v81, v64, v67
	v_add_f32_e32 v64, v66, v68
	v_sub_f32_e32 v67, v65, v64
	v_pk_add_f32 v[70:71], v[64:65], v[66:67] neg_lo:[0,1] neg_hi:[0,1]
	v_mov_b32_e32 v69, v64
	v_pk_add_f32 v[64:65], v[70:71], v[68:69] neg_lo:[0,1] neg_hi:[0,1]
	v_cvt_f32_i32_e32 v66, v80
	v_add_f32_e32 v65, v81, v65
	v_add_f32_e32 v64, v64, v65
	;; [unrolled: 1-line block ×4, first 2 shown]
	v_sub_f32_e32 v65, v67, v85
	v_mul_f32_e32 v64, v83, v64
	v_sub_f32_e32 v65, v84, v65
	v_add_f32_e32 v64, v65, v64
	v_add_f32_e32 v68, v67, v64
	v_mul_f32_e32 v70, v68, v68
	v_mov_b32_e32 v65, 0x3ecc95a3
	v_sub_f32_e32 v67, v68, v67
	v_fmac_f32_e32 v65, 0x3e9b6dac, v70
	v_sub_f32_e32 v64, v64, v67
	v_fmaak_f32 v65, v70, v65, 0x3f2aaada
	v_ldexp_f32 v71, v64, 1
	v_mul_f32_e32 v67, v68, v70
	v_mov_b32_e32 v64, 0x3f317218
	v_pk_mul_f32 v[64:65], v[66:67], v[64:65]
	v_ldexp_f32 v69, v68, 1
	v_fma_f32 v67, v66, s24, -v64
	v_fmamk_f32 v68, v66, 0xb102e308, v67
	v_pk_add_f32 v[66:67], v[64:65], v[68:69]
	v_mov_b32_e32 v70, v64
	v_sub_f32_e32 v69, v67, v69
	v_sub_f32_e32 v69, v65, v69
	v_add_f32_e32 v71, v71, v69
	v_pk_add_f32 v[64:65], v[66:67], v[64:65] neg_lo:[0,1] neg_hi:[0,1]
	v_pk_add_f32 v[80:81], v[66:67], v[70:71]
	v_mov_b32_e32 v69, v66
	v_mov_b32_e32 v65, v81
	v_pk_add_f32 v[82:83], v[68:69], v[64:65] neg_lo:[0,1] neg_hi:[0,1]
	v_pk_add_f32 v[64:65], v[68:69], v[64:65]
	v_mov_b32_e32 v70, v71
	v_mov_b32_e32 v68, v65
	v_pk_add_f32 v[84:85], v[68:69], v[66:67] neg_lo:[0,1] neg_hi:[0,1]
	v_mov_b32_e32 v64, v81
	v_mov_b32_e32 v69, v84
	v_pk_add_f32 v[86:87], v[80:81], v[68:69] neg_lo:[0,1] neg_hi:[0,1]
	v_mov_b32_e32 v80, v67
	v_mov_b32_e32 v81, v84
	;; [unrolled: 1-line block ×3, first 2 shown]
	v_pk_add_f32 v[64:65], v[64:65], v[80:81] neg_lo:[0,1] neg_hi:[0,1]
	v_mov_b32_e32 v71, v66
	v_pk_add_f32 v[64:65], v[70:71], v[64:65] neg_lo:[0,1] neg_hi:[0,1]
	v_mov_b32_e32 v86, v82
	v_pk_add_f32 v[66:67], v[86:87], v[64:65]
	v_cmp_eq_f32_e64 s[24:25], s29, v99
	v_mov_b32_e32 v70, v67
	v_pk_add_f32 v[70:71], v[66:67], v[70:71]
	s_mov_b32 s29, 0x33800000
	v_pk_add_f32 v[68:69], v[68:69], v[70:71]
	v_mov_b32_e32 v65, v70
	v_mov_b32_e32 v67, v68
	v_pk_add_f32 v[80:81], v[66:67], v[82:83] neg_lo:[0,1] neg_hi:[0,1]
	v_cmp_lt_f32_e64 s[30:31], |v99|, s29
	v_sub_f32_e32 v66, v66, v80
	v_pk_add_f32 v[64:65], v[64:65], v[80:81] neg_lo:[0,1] neg_hi:[0,1]
	v_sub_f32_e32 v66, v82, v66
	v_add_f32_e32 v64, v64, v66
	v_add_f32_e32 v64, v64, v65
	;; [unrolled: 1-line block ×3, first 2 shown]
	s_or_b64 s[24:25], s[24:25], s[30:31]
	v_cndmask_b32_e64 v64, v64, v99, s[24:25]
	v_add_f32_e32 v64, v55, v64
.LBB451_290:
	s_or_b64 exec, exec, s[26:27]
	v_bfe_u32 v55, v64, 16, 1
	s_movk_i32 s30, 0x7fff
	v_add3_u32 v55, v64, v55, s30
	v_and_b32_e32 v65, 0xffff0000, v55
	v_mov_b32_e32 v55, 0x7fc00000
	v_cmp_o_f32_e64 s[24:25], v64, v64
	v_lshlrev_b32_sdwa v52, v52, v22 dst_sel:DWORD dst_unused:UNUSED_PAD src0_sel:DWORD src1_sel:WORD_0
	v_max_f32_e32 v64, v52, v52
	v_cndmask_b32_e64 v66, v55, v65, s[24:25]
	v_max_f32_e32 v65, v66, v66
	v_min_f32_e32 v67, v65, v64
	v_cmp_u_f32_e64 s[26:27], v66, v66
	v_max_f32_e32 v65, v65, v64
	v_cmp_u_f32_e64 s[24:25], v52, v52
	v_cndmask_b32_e64 v67, v67, v66, s[26:27]
	v_cndmask_b32_e64 v65, v65, v66, s[26:27]
	;; [unrolled: 1-line block ×4, first 2 shown]
	v_cmp_neq_f32_e64 s[26:27], v67, v65
	v_cmp_class_f32_e64 s[28:29], v67, s28
	s_or_b64 s[26:27], s[26:27], s[28:29]
	s_and_saveexec_b64 s[28:29], s[26:27]
	s_cbranch_execz .LBB451_292
; %bb.291:
	v_sub_f32_e32 v66, v67, v65
	s_mov_b32 s26, 0x3fb8aa3b
	v_mul_f32_e32 v67, 0x3fb8aa3b, v66
	v_fma_f32 v68, v66, s26, -v67
	v_rndne_f32_e32 v69, v67
	v_fmamk_f32 v68, v66, 0x32a5705f, v68
	v_sub_f32_e32 v67, v67, v69
	v_add_f32_e32 v67, v67, v68
	v_exp_f32_e32 v67, v67
	v_cvt_i32_f32_e32 v68, v69
	s_mov_b32 s26, 0xc2ce8ed0
	v_cmp_ngt_f32_e64 s[26:27], s26, v66
	s_mov_b32 s31, 0x7f800000
	v_ldexp_f32 v67, v67, v68
	v_cndmask_b32_e64 v67, 0, v67, s[26:27]
	s_mov_b32 s26, 0x42b17218
	v_mov_b32_e32 v68, 0x7f800000
	v_cmp_nlt_f32_e64 s[26:27], s26, v66
	s_nop 1
	v_cndmask_b32_e64 v99, v68, v67, s[26:27]
	v_add_f32_e32 v68, 1.0, v99
	v_add_f32_e32 v66, -1.0, v68
	v_sub_f32_e32 v67, v66, v68
	v_add_f32_e32 v67, 1.0, v67
	v_sub_f32_e32 v66, v99, v66
	v_add_f32_e32 v69, v66, v67
	v_frexp_mant_f32_e32 v70, v68
	s_mov_b32 s26, 0x3f2aaaab
	v_cvt_f64_f32_e32 v[66:67], v68
	v_frexp_exp_i32_f64_e32 v66, v[66:67]
	v_cmp_gt_f32_e64 s[26:27], s26, v70
	s_nop 1
	v_subbrev_co_u32_e64 v82, s[26:27], 0, v66, s[26:27]
	v_sub_u32_e32 v66, 0, v82
	v_ldexp_f32 v67, v68, v66
	v_add_f32_e32 v68, -1.0, v67
	v_add_f32_e32 v70, 1.0, v67
	v_ldexp_f32 v66, v69, v66
	v_add_f32_e32 v69, 1.0, v68
	v_add_f32_e32 v71, -1.0, v70
	v_sub_f32_e32 v69, v67, v69
	v_sub_f32_e32 v67, v67, v71
	v_add_f32_e32 v69, v66, v69
	v_add_f32_e32 v66, v66, v67
	;; [unrolled: 1-line block ×3, first 2 shown]
	v_rcp_f32_e32 v85, v83
	v_sub_f32_e32 v67, v70, v83
	v_add_f32_e32 v84, v66, v67
	v_add_f32_e32 v67, v68, v69
	v_mul_f32_e32 v87, v67, v85
	v_sub_f32_e32 v66, v68, v67
	v_mul_f32_e32 v68, v83, v87
	v_fma_f32 v70, v87, v83, -v68
	v_fmac_f32_e32 v70, v87, v84
	v_add_f32_e32 v86, v69, v66
	v_add_f32_e32 v66, v68, v70
	v_sub_f32_e32 v69, v67, v66
	v_pk_add_f32 v[80:81], v[66:67], v[68:69] neg_lo:[0,1] neg_hi:[0,1]
	v_mov_b32_e32 v71, v66
	v_pk_add_f32 v[66:67], v[80:81], v[70:71] neg_lo:[0,1] neg_hi:[0,1]
	s_mov_b32 s26, 0x3f317218
	v_add_f32_e32 v67, v86, v67
	v_add_f32_e32 v66, v66, v67
	;; [unrolled: 1-line block ×3, first 2 shown]
	v_mul_f32_e32 v86, v85, v67
	v_mul_f32_e32 v68, v83, v86
	v_fma_f32 v70, v86, v83, -v68
	v_fmac_f32_e32 v70, v86, v84
	v_sub_f32_e32 v69, v69, v67
	v_add_f32_e32 v83, v66, v69
	v_add_f32_e32 v66, v68, v70
	v_sub_f32_e32 v69, v67, v66
	v_pk_add_f32 v[80:81], v[66:67], v[68:69] neg_lo:[0,1] neg_hi:[0,1]
	v_mov_b32_e32 v71, v66
	v_pk_add_f32 v[66:67], v[80:81], v[70:71] neg_lo:[0,1] neg_hi:[0,1]
	v_cvt_f32_i32_e32 v68, v82
	v_add_f32_e32 v67, v83, v67
	v_add_f32_e32 v66, v66, v67
	;; [unrolled: 1-line block ×4, first 2 shown]
	v_sub_f32_e32 v67, v69, v87
	v_mul_f32_e32 v66, v85, v66
	v_sub_f32_e32 v67, v86, v67
	v_add_f32_e32 v66, v67, v66
	v_add_f32_e32 v70, v69, v66
	v_mul_f32_e32 v80, v70, v70
	v_mov_b32_e32 v67, 0x3ecc95a3
	v_sub_f32_e32 v69, v70, v69
	v_fmac_f32_e32 v67, 0x3e9b6dac, v80
	v_sub_f32_e32 v66, v66, v69
	v_fmaak_f32 v67, v80, v67, 0x3f2aaada
	v_ldexp_f32 v81, v66, 1
	v_mul_f32_e32 v69, v70, v80
	v_mov_b32_e32 v66, 0x3f317218
	v_pk_mul_f32 v[66:67], v[68:69], v[66:67]
	v_ldexp_f32 v71, v70, 1
	v_fma_f32 v69, v68, s26, -v66
	v_fmamk_f32 v70, v68, 0xb102e308, v69
	v_pk_add_f32 v[68:69], v[66:67], v[70:71]
	v_mov_b32_e32 v80, v66
	v_sub_f32_e32 v71, v69, v71
	v_sub_f32_e32 v71, v67, v71
	v_add_f32_e32 v81, v81, v71
	v_pk_add_f32 v[66:67], v[68:69], v[66:67] neg_lo:[0,1] neg_hi:[0,1]
	v_pk_add_f32 v[82:83], v[68:69], v[80:81]
	v_mov_b32_e32 v71, v68
	v_mov_b32_e32 v67, v83
	v_pk_add_f32 v[84:85], v[70:71], v[66:67] neg_lo:[0,1] neg_hi:[0,1]
	v_pk_add_f32 v[66:67], v[70:71], v[66:67]
	v_mov_b32_e32 v80, v81
	v_mov_b32_e32 v70, v67
	v_pk_add_f32 v[86:87], v[70:71], v[68:69] neg_lo:[0,1] neg_hi:[0,1]
	v_mov_b32_e32 v66, v83
	v_mov_b32_e32 v71, v86
	v_pk_add_f32 v[100:101], v[82:83], v[70:71] neg_lo:[0,1] neg_hi:[0,1]
	v_mov_b32_e32 v82, v69
	v_mov_b32_e32 v83, v86
	;; [unrolled: 1-line block ×3, first 2 shown]
	v_pk_add_f32 v[66:67], v[66:67], v[82:83] neg_lo:[0,1] neg_hi:[0,1]
	v_mov_b32_e32 v81, v68
	v_pk_add_f32 v[66:67], v[80:81], v[66:67] neg_lo:[0,1] neg_hi:[0,1]
	v_mov_b32_e32 v100, v84
	v_pk_add_f32 v[68:69], v[100:101], v[66:67]
	v_cmp_eq_f32_e64 s[26:27], s31, v99
	v_mov_b32_e32 v80, v69
	v_pk_add_f32 v[80:81], v[68:69], v[80:81]
	s_mov_b32 s31, 0x33800000
	v_pk_add_f32 v[70:71], v[70:71], v[80:81]
	v_mov_b32_e32 v67, v80
	v_mov_b32_e32 v69, v70
	v_pk_add_f32 v[82:83], v[68:69], v[84:85] neg_lo:[0,1] neg_hi:[0,1]
	v_cmp_lt_f32_e64 s[34:35], |v99|, s31
	v_sub_f32_e32 v68, v68, v82
	v_pk_add_f32 v[66:67], v[66:67], v[82:83] neg_lo:[0,1] neg_hi:[0,1]
	v_sub_f32_e32 v68, v84, v68
	v_add_f32_e32 v66, v66, v68
	v_add_f32_e32 v66, v66, v67
	;; [unrolled: 1-line block ×3, first 2 shown]
	s_or_b64 s[26:27], s[26:27], s[34:35]
	v_cndmask_b32_e64 v66, v66, v99, s[26:27]
	v_add_f32_e32 v66, v65, v66
.LBB451_292:
	s_or_b64 exec, exec, s[28:29]
	v_bfe_u32 v65, v66, 16, 1
	v_add3_u32 v65, v66, v65, s30
	v_and_b32_e32 v65, 0xffff0000, v65
	v_cmp_o_f32_e64 s[26:27], v66, v66
	s_movk_i32 s34, 0x1f8
	s_nop 0
	v_cndmask_b32_e64 v67, v55, v65, s[26:27]
	v_mov_b32_e32 v55, 16
	v_lshlrev_b32_sdwa v22, v55, v22 dst_sel:DWORD dst_unused:UNUSED_PAD src0_sel:DWORD src1_sel:WORD_1
	v_max_f32_e32 v66, v67, v67
	v_max_f32_e32 v65, v22, v22
	v_min_f32_e32 v68, v66, v65
	v_cmp_u_f32_e64 s[28:29], v67, v67
	v_max_f32_e32 v66, v66, v65
	v_cmp_u_f32_e64 s[26:27], v22, v22
	v_cndmask_b32_e64 v68, v68, v67, s[28:29]
	v_cndmask_b32_e64 v66, v66, v67, s[28:29]
	;; [unrolled: 1-line block ×4, first 2 shown]
	v_cmp_neq_f32_e64 s[28:29], v68, v66
	v_cmp_class_f32_e64 s[30:31], v68, s34
	s_or_b64 s[28:29], s[28:29], s[30:31]
	s_and_saveexec_b64 s[30:31], s[28:29]
	s_cbranch_execz .LBB451_294
; %bb.293:
	v_sub_f32_e32 v67, v68, v66
	s_mov_b32 s28, 0x3fb8aa3b
	v_mul_f32_e32 v68, 0x3fb8aa3b, v67
	v_fma_f32 v69, v67, s28, -v68
	v_rndne_f32_e32 v70, v68
	v_fmamk_f32 v69, v67, 0x32a5705f, v69
	v_sub_f32_e32 v68, v68, v70
	v_add_f32_e32 v68, v68, v69
	v_exp_f32_e32 v68, v68
	v_cvt_i32_f32_e32 v69, v70
	s_mov_b32 s28, 0xc2ce8ed0
	v_cmp_ngt_f32_e64 s[28:29], s28, v67
	s_mov_b32 s35, 0x7f800000
	v_ldexp_f32 v68, v68, v69
	v_cndmask_b32_e64 v68, 0, v68, s[28:29]
	s_mov_b32 s28, 0x42b17218
	v_mov_b32_e32 v69, 0x7f800000
	v_cmp_nlt_f32_e64 s[28:29], s28, v67
	s_nop 1
	v_cndmask_b32_e64 v99, v69, v68, s[28:29]
	v_add_f32_e32 v67, 1.0, v99
	v_add_f32_e32 v68, -1.0, v67
	v_sub_f32_e32 v69, v68, v67
	v_add_f32_e32 v69, 1.0, v69
	v_sub_f32_e32 v68, v99, v68
	v_add_f32_e32 v70, v68, v69
	v_frexp_mant_f32_e32 v71, v67
	s_mov_b32 s28, 0x3f2aaaab
	v_cvt_f64_f32_e32 v[68:69], v67
	v_frexp_exp_i32_f64_e32 v68, v[68:69]
	v_cmp_gt_f32_e64 s[28:29], s28, v71
	s_nop 1
	v_subbrev_co_u32_e64 v84, s[28:29], 0, v68, s[28:29]
	v_sub_u32_e32 v68, 0, v84
	v_ldexp_f32 v67, v67, v68
	v_ldexp_f32 v68, v70, v68
	v_add_f32_e32 v70, -1.0, v67
	v_add_f32_e32 v69, 1.0, v70
	v_sub_f32_e32 v69, v67, v69
	v_add_f32_e32 v71, v68, v69
	v_add_f32_e32 v69, 1.0, v67
	v_add_f32_e32 v80, -1.0, v69
	v_sub_f32_e32 v67, v67, v80
	v_add_f32_e32 v67, v68, v67
	v_add_f32_e32 v85, v69, v67
	v_rcp_f32_e32 v86, v85
	v_sub_f32_e32 v68, v69, v85
	v_add_f32_e32 v69, v70, v71
	v_add_f32_e32 v67, v67, v68
	v_mul_f32_e32 v100, v69, v86
	v_sub_f32_e32 v68, v70, v69
	v_mul_f32_e32 v70, v85, v100
	v_fma_f32 v80, v100, v85, -v70
	v_fmac_f32_e32 v80, v100, v67
	v_add_f32_e32 v87, v71, v68
	v_add_f32_e32 v68, v70, v80
	v_sub_f32_e32 v71, v69, v68
	v_pk_add_f32 v[82:83], v[68:69], v[70:71] neg_lo:[0,1] neg_hi:[0,1]
	v_mov_b32_e32 v81, v68
	v_pk_add_f32 v[68:69], v[82:83], v[80:81] neg_lo:[0,1] neg_hi:[0,1]
	s_mov_b32 s28, 0x3f317218
	v_add_f32_e32 v69, v87, v69
	v_add_f32_e32 v68, v68, v69
	v_add_f32_e32 v69, v71, v68
	v_mul_f32_e32 v87, v86, v69
	v_mul_f32_e32 v70, v85, v87
	v_fma_f32 v80, v87, v85, -v70
	v_fmac_f32_e32 v80, v87, v67
	v_sub_f32_e32 v67, v71, v69
	v_add_f32_e32 v67, v68, v67
	v_add_f32_e32 v68, v70, v80
	v_sub_f32_e32 v71, v69, v68
	v_pk_add_f32 v[82:83], v[68:69], v[70:71] neg_lo:[0,1] neg_hi:[0,1]
	v_mov_b32_e32 v81, v68
	v_pk_add_f32 v[68:69], v[82:83], v[80:81] neg_lo:[0,1] neg_hi:[0,1]
	v_cvt_f32_i32_e32 v70, v84
	v_add_f32_e32 v67, v67, v69
	v_add_f32_e32 v67, v68, v67
	;; [unrolled: 1-line block ×4, first 2 shown]
	v_sub_f32_e32 v69, v68, v100
	v_mul_f32_e32 v67, v86, v67
	v_sub_f32_e32 v69, v87, v69
	v_add_f32_e32 v67, v69, v67
	v_add_f32_e32 v71, v68, v67
	v_mul_f32_e32 v80, v71, v71
	v_mov_b32_e32 v69, 0x3ecc95a3
	v_fmac_f32_e32 v69, 0x3e9b6dac, v80
	v_sub_f32_e32 v68, v71, v68
	v_fmaak_f32 v69, v80, v69, 0x3f2aaada
	v_sub_f32_e32 v67, v67, v68
	v_ldexp_f32 v81, v71, 1
	v_mul_f32_e32 v71, v71, v80
	v_mov_b32_e32 v68, 0x3f317218
	v_pk_mul_f32 v[68:69], v[70:71], v[68:69]
	v_ldexp_f32 v67, v67, 1
	v_fma_f32 v71, v70, s28, -v68
	v_fmamk_f32 v80, v70, 0xb102e308, v71
	v_pk_add_f32 v[70:71], v[68:69], v[80:81]
	v_mov_b32_e32 v82, v68
	v_sub_f32_e32 v81, v71, v81
	v_sub_f32_e32 v81, v69, v81
	v_add_f32_e32 v83, v67, v81
	v_pk_add_f32 v[68:69], v[70:71], v[68:69] neg_lo:[0,1] neg_hi:[0,1]
	v_pk_add_f32 v[84:85], v[70:71], v[82:83]
	v_mov_b32_e32 v81, v70
	v_mov_b32_e32 v69, v85
	v_pk_add_f32 v[86:87], v[80:81], v[68:69] neg_lo:[0,1] neg_hi:[0,1]
	v_pk_add_f32 v[68:69], v[80:81], v[68:69]
	v_mov_b32_e32 v82, v83
	v_mov_b32_e32 v80, v69
	v_pk_add_f32 v[100:101], v[80:81], v[70:71] neg_lo:[0,1] neg_hi:[0,1]
	v_mov_b32_e32 v68, v85
	v_mov_b32_e32 v67, v100
	v_pk_add_f32 v[102:103], v[84:85], v[66:67] neg_lo:[0,1] neg_hi:[0,1]
	v_mov_b32_e32 v84, v71
	v_mov_b32_e32 v85, v100
	;; [unrolled: 1-line block ×3, first 2 shown]
	v_pk_add_f32 v[68:69], v[68:69], v[84:85] neg_lo:[0,1] neg_hi:[0,1]
	v_mov_b32_e32 v83, v70
	v_pk_add_f32 v[68:69], v[82:83], v[68:69] neg_lo:[0,1] neg_hi:[0,1]
	v_mov_b32_e32 v102, v86
	v_pk_add_f32 v[70:71], v[102:103], v[68:69]
	v_cmp_eq_f32_e64 s[28:29], s35, v99
	v_mov_b32_e32 v82, v71
	v_pk_add_f32 v[82:83], v[70:71], v[82:83]
	s_mov_b32 s35, 0x33800000
	v_pk_add_f32 v[80:81], v[80:81], v[82:83]
	v_mov_b32_e32 v69, v82
	v_mov_b32_e32 v71, v80
	v_pk_add_f32 v[84:85], v[70:71], v[86:87] neg_lo:[0,1] neg_hi:[0,1]
	v_cmp_lt_f32_e64 s[36:37], |v99|, s35
	v_sub_f32_e32 v67, v70, v84
	v_pk_add_f32 v[68:69], v[68:69], v[84:85] neg_lo:[0,1] neg_hi:[0,1]
	v_sub_f32_e32 v67, v86, v67
	v_add_f32_e32 v67, v68, v67
	v_add_f32_e32 v67, v67, v69
	;; [unrolled: 1-line block ×3, first 2 shown]
	s_or_b64 s[28:29], s[28:29], s[36:37]
	v_cndmask_b32_e64 v67, v67, v99, s[28:29]
	v_add_f32_e32 v67, v66, v67
.LBB451_294:
	s_or_b64 exec, exec, s[30:31]
	v_bfe_u32 v66, v67, 16, 1
	s_movk_i32 s36, 0x7fff
	v_add3_u32 v66, v67, v66, s36
	v_and_b32_e32 v68, 0xffff0000, v66
	v_mov_b32_e32 v66, 0x7fc00000
	v_cmp_o_f32_e64 s[28:29], v67, v67
	v_lshlrev_b32_sdwa v55, v55, v23 dst_sel:DWORD dst_unused:UNUSED_PAD src0_sel:DWORD src1_sel:WORD_0
	v_max_f32_e32 v67, v55, v55
	v_cndmask_b32_e64 v69, v66, v68, s[28:29]
	v_max_f32_e32 v68, v69, v69
	v_min_f32_e32 v70, v68, v67
	v_cmp_u_f32_e64 s[30:31], v69, v69
	v_max_f32_e32 v68, v68, v67
	v_cmp_u_f32_e64 s[28:29], v55, v55
	v_cndmask_b32_e64 v70, v70, v69, s[30:31]
	v_cndmask_b32_e64 v68, v68, v69, s[30:31]
	v_cndmask_b32_e64 v70, v70, v55, s[28:29]
	v_cndmask_b32_e64 v68, v68, v55, s[28:29]
	v_cmp_neq_f32_e64 s[30:31], v70, v68
	v_cmp_class_f32_e64 s[34:35], v70, s34
	s_or_b64 s[30:31], s[30:31], s[34:35]
	s_and_saveexec_b64 s[34:35], s[30:31]
	s_cbranch_execz .LBB451_296
; %bb.295:
	v_sub_f32_e32 v69, v70, v68
	s_mov_b32 s30, 0x3fb8aa3b
	v_mul_f32_e32 v70, 0x3fb8aa3b, v69
	v_fma_f32 v71, v69, s30, -v70
	v_rndne_f32_e32 v80, v70
	v_fmamk_f32 v71, v69, 0x32a5705f, v71
	v_sub_f32_e32 v70, v70, v80
	v_add_f32_e32 v70, v70, v71
	v_exp_f32_e32 v70, v70
	v_cvt_i32_f32_e32 v71, v80
	s_mov_b32 s30, 0xc2ce8ed0
	v_cmp_ngt_f32_e64 s[30:31], s30, v69
	s_mov_b32 s37, 0x7f800000
	v_ldexp_f32 v70, v70, v71
	v_cndmask_b32_e64 v70, 0, v70, s[30:31]
	s_mov_b32 s30, 0x42b17218
	v_mov_b32_e32 v71, 0x7f800000
	v_cmp_nlt_f32_e64 s[30:31], s30, v69
	s_nop 1
	v_cndmask_b32_e64 v99, v71, v70, s[30:31]
	v_add_f32_e32 v69, 1.0, v99
	v_add_f32_e32 v70, -1.0, v69
	v_sub_f32_e32 v71, v70, v69
	v_add_f32_e32 v71, 1.0, v71
	v_sub_f32_e32 v70, v99, v70
	v_add_f32_e32 v80, v70, v71
	v_frexp_mant_f32_e32 v81, v69
	s_mov_b32 s30, 0x3f2aaaab
	v_cvt_f64_f32_e32 v[70:71], v69
	v_frexp_exp_i32_f64_e32 v70, v[70:71]
	v_cmp_gt_f32_e64 s[30:31], s30, v81
	s_nop 1
	v_subbrev_co_u32_e64 v86, s[30:31], 0, v70, s[30:31]
	v_sub_u32_e32 v70, 0, v86
	v_ldexp_f32 v69, v69, v70
	v_ldexp_f32 v70, v80, v70
	v_add_f32_e32 v80, -1.0, v69
	v_add_f32_e32 v71, 1.0, v80
	v_sub_f32_e32 v71, v69, v71
	v_add_f32_e32 v81, v70, v71
	v_add_f32_e32 v71, 1.0, v69
	v_add_f32_e32 v82, -1.0, v71
	v_sub_f32_e32 v69, v69, v82
	v_add_f32_e32 v69, v70, v69
	v_add_f32_e32 v87, v71, v69
	v_rcp_f32_e32 v100, v87
	v_sub_f32_e32 v70, v71, v87
	v_add_f32_e32 v71, v80, v81
	v_add_f32_e32 v69, v69, v70
	v_mul_f32_e32 v102, v71, v100
	v_sub_f32_e32 v70, v80, v71
	v_mul_f32_e32 v80, v87, v102
	v_fma_f32 v82, v102, v87, -v80
	v_fmac_f32_e32 v82, v102, v69
	v_add_f32_e32 v101, v81, v70
	v_add_f32_e32 v70, v80, v82
	v_sub_f32_e32 v81, v71, v70
	v_pk_add_f32 v[84:85], v[70:71], v[80:81] neg_lo:[0,1] neg_hi:[0,1]
	v_mov_b32_e32 v83, v70
	v_pk_add_f32 v[70:71], v[84:85], v[82:83] neg_lo:[0,1] neg_hi:[0,1]
	s_mov_b32 s30, 0x3f317218
	v_add_f32_e32 v71, v101, v71
	v_add_f32_e32 v70, v70, v71
	;; [unrolled: 1-line block ×3, first 2 shown]
	v_mul_f32_e32 v101, v100, v71
	v_mul_f32_e32 v80, v87, v101
	v_fma_f32 v82, v101, v87, -v80
	v_fmac_f32_e32 v82, v101, v69
	v_sub_f32_e32 v69, v81, v71
	v_add_f32_e32 v69, v70, v69
	v_add_f32_e32 v70, v80, v82
	v_sub_f32_e32 v81, v71, v70
	v_pk_add_f32 v[84:85], v[70:71], v[80:81] neg_lo:[0,1] neg_hi:[0,1]
	v_mov_b32_e32 v83, v70
	v_pk_add_f32 v[70:71], v[84:85], v[82:83] neg_lo:[0,1] neg_hi:[0,1]
	v_cvt_f32_i32_e32 v80, v86
	v_add_f32_e32 v69, v69, v71
	v_add_f32_e32 v69, v70, v69
	;; [unrolled: 1-line block ×4, first 2 shown]
	v_sub_f32_e32 v71, v70, v102
	v_mul_f32_e32 v69, v100, v69
	v_sub_f32_e32 v71, v101, v71
	v_add_f32_e32 v69, v71, v69
	v_add_f32_e32 v81, v70, v69
	v_mul_f32_e32 v82, v81, v81
	v_mov_b32_e32 v71, 0x3ecc95a3
	v_fmac_f32_e32 v71, 0x3e9b6dac, v82
	v_sub_f32_e32 v70, v81, v70
	v_fmaak_f32 v71, v82, v71, 0x3f2aaada
	v_sub_f32_e32 v69, v69, v70
	v_ldexp_f32 v83, v81, 1
	v_mul_f32_e32 v81, v81, v82
	v_mov_b32_e32 v70, 0x3f317218
	v_pk_mul_f32 v[70:71], v[80:81], v[70:71]
	v_ldexp_f32 v69, v69, 1
	v_fma_f32 v81, v80, s30, -v70
	v_fmamk_f32 v82, v80, 0xb102e308, v81
	v_pk_add_f32 v[80:81], v[70:71], v[82:83]
	v_mov_b32_e32 v84, v70
	v_sub_f32_e32 v83, v81, v83
	v_sub_f32_e32 v83, v71, v83
	v_add_f32_e32 v85, v69, v83
	v_pk_add_f32 v[70:71], v[80:81], v[70:71] neg_lo:[0,1] neg_hi:[0,1]
	v_pk_add_f32 v[86:87], v[80:81], v[84:85]
	v_mov_b32_e32 v83, v80
	v_mov_b32_e32 v71, v87
	v_pk_add_f32 v[100:101], v[82:83], v[70:71] neg_lo:[0,1] neg_hi:[0,1]
	v_pk_add_f32 v[70:71], v[82:83], v[70:71]
	v_mov_b32_e32 v84, v85
	v_mov_b32_e32 v82, v71
	v_pk_add_f32 v[102:103], v[82:83], v[80:81] neg_lo:[0,1] neg_hi:[0,1]
	v_mov_b32_e32 v70, v87
	v_mov_b32_e32 v69, v102
	v_pk_add_f32 v[112:113], v[86:87], v[68:69] neg_lo:[0,1] neg_hi:[0,1]
	v_mov_b32_e32 v86, v81
	v_mov_b32_e32 v87, v102
	;; [unrolled: 1-line block ×3, first 2 shown]
	v_pk_add_f32 v[70:71], v[70:71], v[86:87] neg_lo:[0,1] neg_hi:[0,1]
	v_mov_b32_e32 v85, v80
	v_pk_add_f32 v[70:71], v[84:85], v[70:71] neg_lo:[0,1] neg_hi:[0,1]
	v_mov_b32_e32 v112, v100
	v_pk_add_f32 v[80:81], v[112:113], v[70:71]
	v_cmp_eq_f32_e64 s[30:31], s37, v99
	v_mov_b32_e32 v84, v81
	v_pk_add_f32 v[84:85], v[80:81], v[84:85]
	s_mov_b32 s37, 0x33800000
	v_pk_add_f32 v[82:83], v[82:83], v[84:85]
	v_mov_b32_e32 v71, v84
	v_mov_b32_e32 v81, v82
	v_pk_add_f32 v[86:87], v[80:81], v[100:101] neg_lo:[0,1] neg_hi:[0,1]
	v_cmp_lt_f32_e64 s[38:39], |v99|, s37
	v_sub_f32_e32 v69, v80, v86
	v_pk_add_f32 v[70:71], v[70:71], v[86:87] neg_lo:[0,1] neg_hi:[0,1]
	v_sub_f32_e32 v69, v100, v69
	v_add_f32_e32 v69, v70, v69
	v_add_f32_e32 v69, v69, v71
	;; [unrolled: 1-line block ×3, first 2 shown]
	s_or_b64 s[30:31], s[30:31], s[38:39]
	v_cndmask_b32_e64 v69, v69, v99, s[30:31]
	v_add_f32_e32 v69, v68, v69
.LBB451_296:
	s_or_b64 exec, exec, s[34:35]
	v_bfe_u32 v68, v69, 16, 1
	v_add3_u32 v68, v69, v68, s36
	v_and_b32_e32 v68, 0xffff0000, v68
	v_cmp_o_f32_e64 s[30:31], v69, v69
	s_movk_i32 s38, 0x1f8
	s_nop 0
	v_cndmask_b32_e64 v70, v66, v68, s[30:31]
	v_mov_b32_e32 v66, 16
	v_lshlrev_b32_sdwa v23, v66, v23 dst_sel:DWORD dst_unused:UNUSED_PAD src0_sel:DWORD src1_sel:WORD_1
	v_max_f32_e32 v69, v70, v70
	v_max_f32_e32 v68, v23, v23
	v_min_f32_e32 v71, v69, v68
	v_cmp_u_f32_e64 s[34:35], v70, v70
	v_max_f32_e32 v69, v69, v68
	v_cmp_u_f32_e64 s[30:31], v23, v23
	v_cndmask_b32_e64 v71, v71, v70, s[34:35]
	v_cndmask_b32_e64 v69, v69, v70, s[34:35]
	;; [unrolled: 1-line block ×4, first 2 shown]
	v_cmp_neq_f32_e64 s[34:35], v71, v69
	v_cmp_class_f32_e64 s[36:37], v71, s38
	s_or_b64 s[34:35], s[34:35], s[36:37]
	s_and_saveexec_b64 s[36:37], s[34:35]
	s_cbranch_execz .LBB451_298
; %bb.297:
	v_sub_f32_e32 v70, v71, v69
	s_mov_b32 s34, 0x3fb8aa3b
	v_mul_f32_e32 v71, 0x3fb8aa3b, v70
	v_fma_f32 v80, v70, s34, -v71
	v_rndne_f32_e32 v81, v71
	v_fmamk_f32 v80, v70, 0x32a5705f, v80
	v_sub_f32_e32 v71, v71, v81
	v_add_f32_e32 v71, v71, v80
	v_exp_f32_e32 v71, v71
	v_cvt_i32_f32_e32 v80, v81
	s_mov_b32 s34, 0xc2ce8ed0
	v_cmp_ngt_f32_e64 s[34:35], s34, v70
	s_mov_b32 s39, 0x7f800000
	v_ldexp_f32 v71, v71, v80
	v_cndmask_b32_e64 v71, 0, v71, s[34:35]
	s_mov_b32 s34, 0x42b17218
	v_mov_b32_e32 v80, 0x7f800000
	v_cmp_nlt_f32_e64 s[34:35], s34, v70
	s_nop 1
	v_cndmask_b32_e64 v99, v80, v71, s[34:35]
	v_add_f32_e32 v80, 1.0, v99
	v_add_f32_e32 v70, -1.0, v80
	v_sub_f32_e32 v71, v70, v80
	v_add_f32_e32 v71, 1.0, v71
	v_sub_f32_e32 v70, v99, v70
	v_add_f32_e32 v81, v70, v71
	v_frexp_mant_f32_e32 v82, v80
	s_mov_b32 s34, 0x3f2aaaab
	v_cvt_f64_f32_e32 v[70:71], v80
	v_frexp_exp_i32_f64_e32 v70, v[70:71]
	v_cmp_gt_f32_e64 s[34:35], s34, v82
	s_nop 1
	v_subbrev_co_u32_e64 v86, s[34:35], 0, v70, s[34:35]
	v_sub_u32_e32 v70, 0, v86
	v_ldexp_f32 v71, v80, v70
	v_add_f32_e32 v80, -1.0, v71
	v_add_f32_e32 v82, 1.0, v71
	v_ldexp_f32 v70, v81, v70
	v_add_f32_e32 v81, 1.0, v80
	v_add_f32_e32 v83, -1.0, v82
	v_sub_f32_e32 v81, v71, v81
	v_sub_f32_e32 v71, v71, v83
	v_add_f32_e32 v81, v70, v81
	v_add_f32_e32 v70, v70, v71
	;; [unrolled: 1-line block ×3, first 2 shown]
	v_rcp_f32_e32 v101, v87
	v_sub_f32_e32 v71, v82, v87
	v_add_f32_e32 v100, v70, v71
	v_add_f32_e32 v71, v80, v81
	v_mul_f32_e32 v103, v71, v101
	v_sub_f32_e32 v70, v80, v71
	v_mul_f32_e32 v80, v87, v103
	v_fma_f32 v82, v103, v87, -v80
	v_fmac_f32_e32 v82, v103, v100
	v_add_f32_e32 v102, v81, v70
	v_add_f32_e32 v70, v80, v82
	v_sub_f32_e32 v81, v71, v70
	v_pk_add_f32 v[84:85], v[70:71], v[80:81] neg_lo:[0,1] neg_hi:[0,1]
	v_mov_b32_e32 v83, v70
	v_pk_add_f32 v[70:71], v[84:85], v[82:83] neg_lo:[0,1] neg_hi:[0,1]
	s_mov_b32 s34, 0x3f317218
	v_add_f32_e32 v71, v102, v71
	v_add_f32_e32 v70, v70, v71
	v_add_f32_e32 v71, v81, v70
	v_mul_f32_e32 v102, v101, v71
	v_mul_f32_e32 v80, v87, v102
	v_fma_f32 v82, v102, v87, -v80
	v_fmac_f32_e32 v82, v102, v100
	v_sub_f32_e32 v81, v81, v71
	v_add_f32_e32 v87, v70, v81
	v_add_f32_e32 v70, v80, v82
	v_sub_f32_e32 v81, v71, v70
	v_pk_add_f32 v[84:85], v[70:71], v[80:81] neg_lo:[0,1] neg_hi:[0,1]
	v_mov_b32_e32 v83, v70
	v_pk_add_f32 v[70:71], v[84:85], v[82:83] neg_lo:[0,1] neg_hi:[0,1]
	v_cvt_f32_i32_e32 v80, v86
	v_add_f32_e32 v71, v87, v71
	v_add_f32_e32 v70, v70, v71
	;; [unrolled: 1-line block ×4, first 2 shown]
	v_sub_f32_e32 v71, v81, v103
	v_mul_f32_e32 v70, v101, v70
	v_sub_f32_e32 v71, v102, v71
	v_add_f32_e32 v70, v71, v70
	v_add_f32_e32 v82, v81, v70
	v_mul_f32_e32 v84, v82, v82
	v_mov_b32_e32 v71, 0x3ecc95a3
	v_sub_f32_e32 v81, v82, v81
	v_fmac_f32_e32 v71, 0x3e9b6dac, v84
	v_sub_f32_e32 v70, v70, v81
	v_fmaak_f32 v71, v84, v71, 0x3f2aaada
	v_ldexp_f32 v85, v70, 1
	v_mul_f32_e32 v81, v82, v84
	v_mov_b32_e32 v70, 0x3f317218
	v_pk_mul_f32 v[70:71], v[80:81], v[70:71]
	v_ldexp_f32 v83, v82, 1
	v_fma_f32 v81, v80, s34, -v70
	v_fmamk_f32 v82, v80, 0xb102e308, v81
	v_pk_add_f32 v[80:81], v[70:71], v[82:83]
	v_mov_b32_e32 v84, v70
	v_sub_f32_e32 v83, v81, v83
	v_sub_f32_e32 v83, v71, v83
	v_add_f32_e32 v85, v85, v83
	v_pk_add_f32 v[70:71], v[80:81], v[70:71] neg_lo:[0,1] neg_hi:[0,1]
	v_pk_add_f32 v[86:87], v[80:81], v[84:85]
	v_mov_b32_e32 v83, v80
	v_mov_b32_e32 v71, v87
	v_pk_add_f32 v[100:101], v[82:83], v[70:71] neg_lo:[0,1] neg_hi:[0,1]
	v_pk_add_f32 v[70:71], v[82:83], v[70:71]
	v_mov_b32_e32 v84, v85
	v_mov_b32_e32 v82, v71
	v_pk_add_f32 v[102:103], v[82:83], v[80:81] neg_lo:[0,1] neg_hi:[0,1]
	v_mov_b32_e32 v70, v87
	v_mov_b32_e32 v83, v102
	v_pk_add_f32 v[112:113], v[86:87], v[82:83] neg_lo:[0,1] neg_hi:[0,1]
	v_mov_b32_e32 v86, v81
	v_mov_b32_e32 v87, v102
	;; [unrolled: 1-line block ×3, first 2 shown]
	v_pk_add_f32 v[70:71], v[70:71], v[86:87] neg_lo:[0,1] neg_hi:[0,1]
	v_mov_b32_e32 v85, v80
	v_pk_add_f32 v[70:71], v[84:85], v[70:71] neg_lo:[0,1] neg_hi:[0,1]
	v_mov_b32_e32 v112, v100
	v_pk_add_f32 v[80:81], v[112:113], v[70:71]
	v_cmp_eq_f32_e64 s[34:35], s39, v99
	v_mov_b32_e32 v84, v81
	v_pk_add_f32 v[84:85], v[80:81], v[84:85]
	s_mov_b32 s39, 0x33800000
	v_pk_add_f32 v[82:83], v[82:83], v[84:85]
	v_mov_b32_e32 v71, v84
	v_mov_b32_e32 v81, v82
	v_pk_add_f32 v[86:87], v[80:81], v[100:101] neg_lo:[0,1] neg_hi:[0,1]
	v_cmp_lt_f32_e64 s[40:41], |v99|, s39
	v_sub_f32_e32 v80, v80, v86
	v_pk_add_f32 v[70:71], v[70:71], v[86:87] neg_lo:[0,1] neg_hi:[0,1]
	v_sub_f32_e32 v80, v100, v80
	v_add_f32_e32 v70, v70, v80
	v_add_f32_e32 v70, v70, v71
	;; [unrolled: 1-line block ×3, first 2 shown]
	s_or_b64 s[34:35], s[34:35], s[40:41]
	v_cndmask_b32_e64 v70, v70, v99, s[34:35]
	v_add_f32_e32 v70, v69, v70
.LBB451_298:
	s_or_b64 exec, exec, s[36:37]
	v_bfe_u32 v69, v70, 16, 1
	s_movk_i32 s40, 0x7fff
	v_add3_u32 v69, v70, v69, s40
	v_and_b32_e32 v71, 0xffff0000, v69
	v_mov_b32_e32 v69, 0x7fc00000
	v_cmp_o_f32_e64 s[34:35], v70, v70
	v_lshlrev_b32_sdwa v66, v66, v16 dst_sel:DWORD dst_unused:UNUSED_PAD src0_sel:DWORD src1_sel:WORD_0
	v_max_f32_e32 v70, v66, v66
	v_cndmask_b32_e64 v80, v69, v71, s[34:35]
	v_max_f32_e32 v71, v80, v80
	v_min_f32_e32 v81, v71, v70
	v_cmp_u_f32_e64 s[36:37], v80, v80
	v_max_f32_e32 v71, v71, v70
	v_cmp_u_f32_e64 s[34:35], v66, v66
	v_cndmask_b32_e64 v81, v81, v80, s[36:37]
	v_cndmask_b32_e64 v71, v71, v80, s[36:37]
	v_cndmask_b32_e64 v81, v81, v66, s[34:35]
	v_cndmask_b32_e64 v71, v71, v66, s[34:35]
	v_cmp_neq_f32_e64 s[36:37], v81, v71
	v_cmp_class_f32_e64 s[38:39], v81, s38
	s_or_b64 s[36:37], s[36:37], s[38:39]
	s_and_saveexec_b64 s[38:39], s[36:37]
	s_cbranch_execz .LBB451_300
; %bb.299:
	v_sub_f32_e32 v80, v81, v71
	s_mov_b32 s36, 0x3fb8aa3b
	v_mul_f32_e32 v81, 0x3fb8aa3b, v80
	v_fma_f32 v82, v80, s36, -v81
	v_rndne_f32_e32 v83, v81
	v_fmamk_f32 v82, v80, 0x32a5705f, v82
	v_sub_f32_e32 v81, v81, v83
	v_add_f32_e32 v81, v81, v82
	v_exp_f32_e32 v81, v81
	v_cvt_i32_f32_e32 v82, v83
	s_mov_b32 s36, 0xc2ce8ed0
	v_cmp_ngt_f32_e64 s[36:37], s36, v80
	s_mov_b32 s41, 0x7f800000
	v_ldexp_f32 v81, v81, v82
	v_cndmask_b32_e64 v81, 0, v81, s[36:37]
	s_mov_b32 s36, 0x42b17218
	v_mov_b32_e32 v82, 0x7f800000
	v_cmp_nlt_f32_e64 s[36:37], s36, v80
	s_nop 1
	v_cndmask_b32_e64 v99, v82, v81, s[36:37]
	v_add_f32_e32 v82, 1.0, v99
	v_add_f32_e32 v80, -1.0, v82
	v_sub_f32_e32 v81, v80, v82
	v_add_f32_e32 v81, 1.0, v81
	v_sub_f32_e32 v80, v99, v80
	v_add_f32_e32 v83, v80, v81
	v_frexp_mant_f32_e32 v84, v82
	s_mov_b32 s36, 0x3f2aaaab
	v_cvt_f64_f32_e32 v[80:81], v82
	v_frexp_exp_i32_f64_e32 v80, v[80:81]
	v_cmp_gt_f32_e64 s[36:37], s36, v84
	s_nop 1
	v_subbrev_co_u32_e64 v100, s[36:37], 0, v80, s[36:37]
	v_sub_u32_e32 v80, 0, v100
	v_ldexp_f32 v81, v82, v80
	v_add_f32_e32 v82, -1.0, v81
	v_add_f32_e32 v84, 1.0, v81
	v_ldexp_f32 v80, v83, v80
	v_add_f32_e32 v83, 1.0, v82
	v_add_f32_e32 v85, -1.0, v84
	v_sub_f32_e32 v83, v81, v83
	v_sub_f32_e32 v81, v81, v85
	v_add_f32_e32 v83, v80, v83
	v_add_f32_e32 v80, v80, v81
	;; [unrolled: 1-line block ×3, first 2 shown]
	v_rcp_f32_e32 v103, v101
	v_sub_f32_e32 v81, v84, v101
	v_add_f32_e32 v102, v80, v81
	v_add_f32_e32 v81, v82, v83
	v_mul_f32_e32 v113, v81, v103
	v_sub_f32_e32 v80, v82, v81
	v_mul_f32_e32 v82, v101, v113
	v_fma_f32 v84, v113, v101, -v82
	v_fmac_f32_e32 v84, v113, v102
	v_add_f32_e32 v112, v83, v80
	v_add_f32_e32 v80, v82, v84
	v_sub_f32_e32 v83, v81, v80
	v_pk_add_f32 v[86:87], v[80:81], v[82:83] neg_lo:[0,1] neg_hi:[0,1]
	v_mov_b32_e32 v85, v80
	v_pk_add_f32 v[80:81], v[86:87], v[84:85] neg_lo:[0,1] neg_hi:[0,1]
	s_mov_b32 s36, 0x3f317218
	v_add_f32_e32 v81, v112, v81
	v_add_f32_e32 v80, v80, v81
	;; [unrolled: 1-line block ×3, first 2 shown]
	v_mul_f32_e32 v112, v103, v81
	v_mul_f32_e32 v82, v101, v112
	v_fma_f32 v84, v112, v101, -v82
	v_fmac_f32_e32 v84, v112, v102
	v_sub_f32_e32 v83, v83, v81
	v_add_f32_e32 v101, v80, v83
	v_add_f32_e32 v80, v82, v84
	v_sub_f32_e32 v83, v81, v80
	v_pk_add_f32 v[86:87], v[80:81], v[82:83] neg_lo:[0,1] neg_hi:[0,1]
	v_mov_b32_e32 v85, v80
	v_pk_add_f32 v[80:81], v[86:87], v[84:85] neg_lo:[0,1] neg_hi:[0,1]
	v_cvt_f32_i32_e32 v82, v100
	v_add_f32_e32 v81, v101, v81
	v_add_f32_e32 v80, v80, v81
	;; [unrolled: 1-line block ×4, first 2 shown]
	v_sub_f32_e32 v81, v83, v113
	v_mul_f32_e32 v80, v103, v80
	v_sub_f32_e32 v81, v112, v81
	v_add_f32_e32 v80, v81, v80
	v_add_f32_e32 v84, v83, v80
	v_mul_f32_e32 v86, v84, v84
	v_mov_b32_e32 v81, 0x3ecc95a3
	v_sub_f32_e32 v83, v84, v83
	v_fmac_f32_e32 v81, 0x3e9b6dac, v86
	v_sub_f32_e32 v80, v80, v83
	v_fmaak_f32 v81, v86, v81, 0x3f2aaada
	v_ldexp_f32 v87, v80, 1
	v_mul_f32_e32 v83, v84, v86
	v_mov_b32_e32 v80, 0x3f317218
	v_pk_mul_f32 v[80:81], v[82:83], v[80:81]
	v_ldexp_f32 v85, v84, 1
	v_fma_f32 v83, v82, s36, -v80
	v_fmamk_f32 v84, v82, 0xb102e308, v83
	v_pk_add_f32 v[82:83], v[80:81], v[84:85]
	v_mov_b32_e32 v86, v80
	v_sub_f32_e32 v85, v83, v85
	v_sub_f32_e32 v85, v81, v85
	v_add_f32_e32 v87, v87, v85
	v_pk_add_f32 v[80:81], v[82:83], v[80:81] neg_lo:[0,1] neg_hi:[0,1]
	v_pk_add_f32 v[100:101], v[82:83], v[86:87]
	v_mov_b32_e32 v85, v82
	v_mov_b32_e32 v81, v101
	v_pk_add_f32 v[102:103], v[84:85], v[80:81] neg_lo:[0,1] neg_hi:[0,1]
	v_pk_add_f32 v[80:81], v[84:85], v[80:81]
	v_mov_b32_e32 v86, v87
	v_mov_b32_e32 v84, v81
	v_pk_add_f32 v[112:113], v[84:85], v[82:83] neg_lo:[0,1] neg_hi:[0,1]
	v_mov_b32_e32 v80, v101
	v_mov_b32_e32 v85, v112
	v_pk_add_f32 v[114:115], v[100:101], v[84:85] neg_lo:[0,1] neg_hi:[0,1]
	v_mov_b32_e32 v100, v83
	v_mov_b32_e32 v101, v112
	;; [unrolled: 1-line block ×3, first 2 shown]
	v_pk_add_f32 v[80:81], v[80:81], v[100:101] neg_lo:[0,1] neg_hi:[0,1]
	v_mov_b32_e32 v87, v82
	v_pk_add_f32 v[80:81], v[86:87], v[80:81] neg_lo:[0,1] neg_hi:[0,1]
	v_mov_b32_e32 v114, v102
	v_pk_add_f32 v[82:83], v[114:115], v[80:81]
	v_cmp_eq_f32_e64 s[36:37], s41, v99
	v_mov_b32_e32 v86, v83
	v_pk_add_f32 v[86:87], v[82:83], v[86:87]
	s_mov_b32 s41, 0x33800000
	v_pk_add_f32 v[84:85], v[84:85], v[86:87]
	v_mov_b32_e32 v81, v86
	v_mov_b32_e32 v83, v84
	v_pk_add_f32 v[100:101], v[82:83], v[102:103] neg_lo:[0,1] neg_hi:[0,1]
	v_cmp_lt_f32_e64 s[42:43], |v99|, s41
	v_sub_f32_e32 v82, v82, v100
	v_pk_add_f32 v[80:81], v[80:81], v[100:101] neg_lo:[0,1] neg_hi:[0,1]
	v_sub_f32_e32 v82, v102, v82
	v_add_f32_e32 v80, v80, v82
	v_add_f32_e32 v80, v80, v81
	v_add_f32_e32 v80, v84, v80
	s_or_b64 s[36:37], s[36:37], s[42:43]
	v_cndmask_b32_e64 v80, v80, v99, s[36:37]
	v_add_f32_e32 v80, v71, v80
.LBB451_300:
	s_or_b64 exec, exec, s[38:39]
	v_bfe_u32 v71, v80, 16, 1
	v_add3_u32 v71, v80, v71, s40
	v_and_b32_e32 v71, 0xffff0000, v71
	v_cmp_o_f32_e64 s[36:37], v80, v80
	s_movk_i32 s42, 0x1f8
	s_nop 0
	v_cndmask_b32_e64 v81, v69, v71, s[36:37]
	v_mov_b32_e32 v69, 16
	v_lshlrev_b32_sdwa v16, v69, v16 dst_sel:DWORD dst_unused:UNUSED_PAD src0_sel:DWORD src1_sel:WORD_1
	v_max_f32_e32 v80, v81, v81
	v_max_f32_e32 v71, v16, v16
	v_min_f32_e32 v82, v80, v71
	v_cmp_u_f32_e64 s[38:39], v81, v81
	v_max_f32_e32 v80, v80, v71
	v_cmp_u_f32_e64 s[36:37], v16, v16
	v_cndmask_b32_e64 v82, v82, v81, s[38:39]
	v_cndmask_b32_e64 v80, v80, v81, s[38:39]
	;; [unrolled: 1-line block ×4, first 2 shown]
	v_cmp_neq_f32_e64 s[38:39], v82, v80
	v_cmp_class_f32_e64 s[40:41], v82, s42
	s_or_b64 s[38:39], s[38:39], s[40:41]
	s_and_saveexec_b64 s[40:41], s[38:39]
	s_cbranch_execz .LBB451_302
; %bb.301:
	v_sub_f32_e32 v81, v82, v80
	s_mov_b32 s38, 0x3fb8aa3b
	v_mul_f32_e32 v82, 0x3fb8aa3b, v81
	v_fma_f32 v83, v81, s38, -v82
	v_rndne_f32_e32 v84, v82
	v_fmamk_f32 v83, v81, 0x32a5705f, v83
	v_sub_f32_e32 v82, v82, v84
	v_add_f32_e32 v82, v82, v83
	v_exp_f32_e32 v82, v82
	v_cvt_i32_f32_e32 v83, v84
	s_mov_b32 s38, 0xc2ce8ed0
	v_cmp_ngt_f32_e64 s[38:39], s38, v81
	s_mov_b32 s43, 0x7f800000
	v_ldexp_f32 v82, v82, v83
	v_cndmask_b32_e64 v82, 0, v82, s[38:39]
	s_mov_b32 s38, 0x42b17218
	v_mov_b32_e32 v83, 0x7f800000
	v_cmp_nlt_f32_e64 s[38:39], s38, v81
	s_nop 1
	v_cndmask_b32_e64 v99, v83, v82, s[38:39]
	v_add_f32_e32 v81, 1.0, v99
	v_add_f32_e32 v82, -1.0, v81
	v_sub_f32_e32 v83, v82, v81
	v_add_f32_e32 v83, 1.0, v83
	v_sub_f32_e32 v82, v99, v82
	v_add_f32_e32 v84, v82, v83
	v_frexp_mant_f32_e32 v85, v81
	s_mov_b32 s38, 0x3f2aaaab
	v_cvt_f64_f32_e32 v[82:83], v81
	v_frexp_exp_i32_f64_e32 v82, v[82:83]
	v_cmp_gt_f32_e64 s[38:39], s38, v85
	s_nop 1
	v_subbrev_co_u32_e64 v102, s[38:39], 0, v82, s[38:39]
	v_sub_u32_e32 v82, 0, v102
	v_ldexp_f32 v81, v81, v82
	v_ldexp_f32 v82, v84, v82
	v_add_f32_e32 v84, -1.0, v81
	v_add_f32_e32 v83, 1.0, v84
	v_sub_f32_e32 v83, v81, v83
	v_add_f32_e32 v85, v82, v83
	v_add_f32_e32 v83, 1.0, v81
	v_add_f32_e32 v86, -1.0, v83
	v_sub_f32_e32 v81, v81, v86
	v_add_f32_e32 v81, v82, v81
	v_add_f32_e32 v103, v83, v81
	v_rcp_f32_e32 v112, v103
	v_sub_f32_e32 v82, v83, v103
	v_add_f32_e32 v83, v84, v85
	v_add_f32_e32 v81, v81, v82
	v_mul_f32_e32 v114, v83, v112
	v_sub_f32_e32 v82, v84, v83
	v_mul_f32_e32 v84, v103, v114
	v_fma_f32 v86, v114, v103, -v84
	v_fmac_f32_e32 v86, v114, v81
	v_add_f32_e32 v113, v85, v82
	v_add_f32_e32 v82, v84, v86
	v_sub_f32_e32 v85, v83, v82
	v_pk_add_f32 v[100:101], v[82:83], v[84:85] neg_lo:[0,1] neg_hi:[0,1]
	v_mov_b32_e32 v87, v82
	v_pk_add_f32 v[82:83], v[100:101], v[86:87] neg_lo:[0,1] neg_hi:[0,1]
	s_mov_b32 s38, 0x3f317218
	v_add_f32_e32 v83, v113, v83
	v_add_f32_e32 v82, v82, v83
	;; [unrolled: 1-line block ×3, first 2 shown]
	v_mul_f32_e32 v113, v112, v83
	v_mul_f32_e32 v84, v103, v113
	v_fma_f32 v86, v113, v103, -v84
	v_fmac_f32_e32 v86, v113, v81
	v_sub_f32_e32 v81, v85, v83
	v_add_f32_e32 v81, v82, v81
	v_add_f32_e32 v82, v84, v86
	v_sub_f32_e32 v85, v83, v82
	v_pk_add_f32 v[100:101], v[82:83], v[84:85] neg_lo:[0,1] neg_hi:[0,1]
	v_mov_b32_e32 v87, v82
	v_pk_add_f32 v[82:83], v[100:101], v[86:87] neg_lo:[0,1] neg_hi:[0,1]
	v_cvt_f32_i32_e32 v84, v102
	v_add_f32_e32 v81, v81, v83
	v_add_f32_e32 v81, v82, v81
	v_add_f32_e32 v82, v114, v113
	v_add_f32_e32 v81, v85, v81
	v_sub_f32_e32 v83, v82, v114
	v_mul_f32_e32 v81, v112, v81
	v_sub_f32_e32 v83, v113, v83
	v_add_f32_e32 v81, v83, v81
	v_add_f32_e32 v85, v82, v81
	v_mul_f32_e32 v86, v85, v85
	v_mov_b32_e32 v83, 0x3ecc95a3
	v_fmac_f32_e32 v83, 0x3e9b6dac, v86
	v_sub_f32_e32 v82, v85, v82
	v_fmaak_f32 v83, v86, v83, 0x3f2aaada
	v_sub_f32_e32 v81, v81, v82
	v_ldexp_f32 v87, v85, 1
	v_mul_f32_e32 v85, v85, v86
	v_mov_b32_e32 v82, 0x3f317218
	v_pk_mul_f32 v[82:83], v[84:85], v[82:83]
	v_ldexp_f32 v81, v81, 1
	v_fma_f32 v85, v84, s38, -v82
	v_fmamk_f32 v86, v84, 0xb102e308, v85
	v_pk_add_f32 v[84:85], v[82:83], v[86:87]
	v_mov_b32_e32 v100, v82
	v_sub_f32_e32 v87, v85, v87
	v_sub_f32_e32 v87, v83, v87
	v_add_f32_e32 v101, v81, v87
	v_pk_add_f32 v[82:83], v[84:85], v[82:83] neg_lo:[0,1] neg_hi:[0,1]
	v_pk_add_f32 v[102:103], v[84:85], v[100:101]
	v_mov_b32_e32 v87, v84
	v_mov_b32_e32 v83, v103
	v_pk_add_f32 v[112:113], v[86:87], v[82:83] neg_lo:[0,1] neg_hi:[0,1]
	v_pk_add_f32 v[82:83], v[86:87], v[82:83]
	v_mov_b32_e32 v100, v101
	v_mov_b32_e32 v86, v83
	v_pk_add_f32 v[114:115], v[86:87], v[84:85] neg_lo:[0,1] neg_hi:[0,1]
	v_mov_b32_e32 v82, v103
	v_mov_b32_e32 v81, v114
	v_pk_add_f32 v[116:117], v[102:103], v[80:81] neg_lo:[0,1] neg_hi:[0,1]
	v_mov_b32_e32 v102, v85
	v_mov_b32_e32 v103, v114
	;; [unrolled: 1-line block ×3, first 2 shown]
	v_pk_add_f32 v[82:83], v[82:83], v[102:103] neg_lo:[0,1] neg_hi:[0,1]
	v_mov_b32_e32 v101, v84
	v_pk_add_f32 v[82:83], v[100:101], v[82:83] neg_lo:[0,1] neg_hi:[0,1]
	v_mov_b32_e32 v116, v112
	v_pk_add_f32 v[84:85], v[116:117], v[82:83]
	v_cmp_eq_f32_e64 s[38:39], s43, v99
	v_mov_b32_e32 v100, v85
	v_pk_add_f32 v[100:101], v[84:85], v[100:101]
	s_mov_b32 s43, 0x33800000
	v_pk_add_f32 v[86:87], v[86:87], v[100:101]
	v_mov_b32_e32 v83, v100
	v_mov_b32_e32 v85, v86
	v_pk_add_f32 v[102:103], v[84:85], v[112:113] neg_lo:[0,1] neg_hi:[0,1]
	v_cmp_lt_f32_e64 s[44:45], |v99|, s43
	v_sub_f32_e32 v81, v84, v102
	v_pk_add_f32 v[82:83], v[82:83], v[102:103] neg_lo:[0,1] neg_hi:[0,1]
	v_sub_f32_e32 v81, v112, v81
	v_add_f32_e32 v81, v82, v81
	v_add_f32_e32 v81, v81, v83
	;; [unrolled: 1-line block ×3, first 2 shown]
	s_or_b64 s[38:39], s[38:39], s[44:45]
	v_cndmask_b32_e64 v81, v81, v99, s[38:39]
	v_add_f32_e32 v81, v80, v81
.LBB451_302:
	s_or_b64 exec, exec, s[40:41]
	v_bfe_u32 v80, v81, 16, 1
	s_movk_i32 s44, 0x7fff
	v_add3_u32 v80, v81, v80, s44
	v_and_b32_e32 v82, 0xffff0000, v80
	v_mov_b32_e32 v80, 0x7fc00000
	v_cmp_o_f32_e64 s[38:39], v81, v81
	v_lshlrev_b32_sdwa v69, v69, v17 dst_sel:DWORD dst_unused:UNUSED_PAD src0_sel:DWORD src1_sel:WORD_0
	v_max_f32_e32 v81, v69, v69
	v_cndmask_b32_e64 v83, v80, v82, s[38:39]
	v_max_f32_e32 v82, v83, v83
	v_min_f32_e32 v84, v82, v81
	v_cmp_u_f32_e64 s[40:41], v83, v83
	v_max_f32_e32 v82, v82, v81
	v_cmp_u_f32_e64 s[38:39], v69, v69
	v_cndmask_b32_e64 v84, v84, v83, s[40:41]
	v_cndmask_b32_e64 v82, v82, v83, s[40:41]
	v_cndmask_b32_e64 v84, v84, v69, s[38:39]
	v_cndmask_b32_e64 v82, v82, v69, s[38:39]
	v_cmp_neq_f32_e64 s[40:41], v84, v82
	v_cmp_class_f32_e64 s[42:43], v84, s42
	s_or_b64 s[40:41], s[40:41], s[42:43]
	s_and_saveexec_b64 s[42:43], s[40:41]
	s_cbranch_execz .LBB451_304
; %bb.303:
	v_sub_f32_e32 v83, v84, v82
	s_mov_b32 s40, 0x3fb8aa3b
	v_mul_f32_e32 v84, 0x3fb8aa3b, v83
	v_fma_f32 v85, v83, s40, -v84
	v_rndne_f32_e32 v86, v84
	v_fmamk_f32 v85, v83, 0x32a5705f, v85
	v_sub_f32_e32 v84, v84, v86
	v_add_f32_e32 v84, v84, v85
	v_exp_f32_e32 v84, v84
	v_cvt_i32_f32_e32 v85, v86
	s_mov_b32 s40, 0xc2ce8ed0
	v_cmp_ngt_f32_e64 s[40:41], s40, v83
	s_mov_b32 s45, 0x7f800000
	v_ldexp_f32 v84, v84, v85
	v_cndmask_b32_e64 v84, 0, v84, s[40:41]
	s_mov_b32 s40, 0x42b17218
	v_mov_b32_e32 v85, 0x7f800000
	v_cmp_nlt_f32_e64 s[40:41], s40, v83
	s_nop 1
	v_cndmask_b32_e64 v99, v85, v84, s[40:41]
	v_add_f32_e32 v83, 1.0, v99
	v_add_f32_e32 v84, -1.0, v83
	v_sub_f32_e32 v85, v84, v83
	v_add_f32_e32 v85, 1.0, v85
	v_sub_f32_e32 v84, v99, v84
	v_add_f32_e32 v86, v84, v85
	v_frexp_mant_f32_e32 v87, v83
	s_mov_b32 s40, 0x3f2aaaab
	v_cvt_f64_f32_e32 v[84:85], v83
	v_frexp_exp_i32_f64_e32 v84, v[84:85]
	v_cmp_gt_f32_e64 s[40:41], s40, v87
	s_nop 1
	v_subbrev_co_u32_e64 v112, s[40:41], 0, v84, s[40:41]
	v_sub_u32_e32 v84, 0, v112
	v_ldexp_f32 v83, v83, v84
	v_ldexp_f32 v84, v86, v84
	v_add_f32_e32 v86, -1.0, v83
	v_add_f32_e32 v85, 1.0, v86
	v_sub_f32_e32 v85, v83, v85
	v_add_f32_e32 v87, v84, v85
	v_add_f32_e32 v85, 1.0, v83
	v_add_f32_e32 v100, -1.0, v85
	v_sub_f32_e32 v83, v83, v100
	v_add_f32_e32 v83, v84, v83
	v_add_f32_e32 v113, v85, v83
	v_rcp_f32_e32 v114, v113
	v_sub_f32_e32 v84, v85, v113
	v_add_f32_e32 v85, v86, v87
	v_add_f32_e32 v83, v83, v84
	v_mul_f32_e32 v116, v85, v114
	v_sub_f32_e32 v84, v86, v85
	v_mul_f32_e32 v86, v113, v116
	v_fma_f32 v100, v116, v113, -v86
	v_fmac_f32_e32 v100, v116, v83
	v_add_f32_e32 v115, v87, v84
	v_add_f32_e32 v84, v86, v100
	v_sub_f32_e32 v87, v85, v84
	v_pk_add_f32 v[102:103], v[84:85], v[86:87] neg_lo:[0,1] neg_hi:[0,1]
	v_mov_b32_e32 v101, v84
	v_pk_add_f32 v[84:85], v[102:103], v[100:101] neg_lo:[0,1] neg_hi:[0,1]
	s_mov_b32 s40, 0x3f317218
	v_add_f32_e32 v85, v115, v85
	v_add_f32_e32 v84, v84, v85
	;; [unrolled: 1-line block ×3, first 2 shown]
	v_mul_f32_e32 v115, v114, v85
	v_mul_f32_e32 v86, v113, v115
	v_fma_f32 v100, v115, v113, -v86
	v_fmac_f32_e32 v100, v115, v83
	v_sub_f32_e32 v83, v87, v85
	v_add_f32_e32 v83, v84, v83
	v_add_f32_e32 v84, v86, v100
	v_sub_f32_e32 v87, v85, v84
	v_pk_add_f32 v[102:103], v[84:85], v[86:87] neg_lo:[0,1] neg_hi:[0,1]
	v_mov_b32_e32 v101, v84
	v_pk_add_f32 v[84:85], v[102:103], v[100:101] neg_lo:[0,1] neg_hi:[0,1]
	v_cvt_f32_i32_e32 v86, v112
	v_add_f32_e32 v83, v83, v85
	v_add_f32_e32 v83, v84, v83
	;; [unrolled: 1-line block ×4, first 2 shown]
	v_sub_f32_e32 v85, v84, v116
	v_mul_f32_e32 v83, v114, v83
	v_sub_f32_e32 v85, v115, v85
	v_add_f32_e32 v83, v85, v83
	v_add_f32_e32 v87, v84, v83
	v_mul_f32_e32 v100, v87, v87
	v_mov_b32_e32 v85, 0x3ecc95a3
	v_fmac_f32_e32 v85, 0x3e9b6dac, v100
	v_sub_f32_e32 v84, v87, v84
	v_fmaak_f32 v85, v100, v85, 0x3f2aaada
	v_sub_f32_e32 v83, v83, v84
	v_ldexp_f32 v101, v87, 1
	v_mul_f32_e32 v87, v87, v100
	v_mov_b32_e32 v84, 0x3f317218
	v_pk_mul_f32 v[84:85], v[86:87], v[84:85]
	v_ldexp_f32 v83, v83, 1
	v_fma_f32 v87, v86, s40, -v84
	v_fmamk_f32 v100, v86, 0xb102e308, v87
	v_pk_add_f32 v[86:87], v[84:85], v[100:101]
	v_mov_b32_e32 v102, v84
	v_sub_f32_e32 v101, v87, v101
	v_sub_f32_e32 v101, v85, v101
	v_add_f32_e32 v103, v83, v101
	v_pk_add_f32 v[84:85], v[86:87], v[84:85] neg_lo:[0,1] neg_hi:[0,1]
	v_pk_add_f32 v[112:113], v[86:87], v[102:103]
	v_mov_b32_e32 v101, v86
	v_mov_b32_e32 v85, v113
	v_pk_add_f32 v[114:115], v[100:101], v[84:85] neg_lo:[0,1] neg_hi:[0,1]
	v_pk_add_f32 v[84:85], v[100:101], v[84:85]
	v_mov_b32_e32 v102, v103
	v_mov_b32_e32 v100, v85
	v_pk_add_f32 v[116:117], v[100:101], v[86:87] neg_lo:[0,1] neg_hi:[0,1]
	v_mov_b32_e32 v84, v113
	v_mov_b32_e32 v83, v116
	v_pk_add_f32 v[118:119], v[112:113], v[82:83] neg_lo:[0,1] neg_hi:[0,1]
	v_mov_b32_e32 v112, v87
	v_mov_b32_e32 v113, v116
	;; [unrolled: 1-line block ×3, first 2 shown]
	v_pk_add_f32 v[84:85], v[84:85], v[112:113] neg_lo:[0,1] neg_hi:[0,1]
	v_mov_b32_e32 v103, v86
	v_pk_add_f32 v[84:85], v[102:103], v[84:85] neg_lo:[0,1] neg_hi:[0,1]
	v_mov_b32_e32 v118, v114
	v_pk_add_f32 v[86:87], v[118:119], v[84:85]
	v_cmp_eq_f32_e64 s[40:41], s45, v99
	v_mov_b32_e32 v102, v87
	v_pk_add_f32 v[102:103], v[86:87], v[102:103]
	s_mov_b32 s45, 0x33800000
	v_pk_add_f32 v[100:101], v[100:101], v[102:103]
	v_mov_b32_e32 v85, v102
	v_mov_b32_e32 v87, v100
	v_pk_add_f32 v[112:113], v[86:87], v[114:115] neg_lo:[0,1] neg_hi:[0,1]
	v_cmp_lt_f32_e64 s[46:47], |v99|, s45
	v_sub_f32_e32 v83, v86, v112
	v_pk_add_f32 v[84:85], v[84:85], v[112:113] neg_lo:[0,1] neg_hi:[0,1]
	v_sub_f32_e32 v83, v114, v83
	v_add_f32_e32 v83, v84, v83
	v_add_f32_e32 v83, v83, v85
	;; [unrolled: 1-line block ×3, first 2 shown]
	s_or_b64 s[40:41], s[40:41], s[46:47]
	v_cndmask_b32_e64 v83, v83, v99, s[40:41]
	v_add_f32_e32 v83, v82, v83
.LBB451_304:
	s_or_b64 exec, exec, s[42:43]
	v_bfe_u32 v82, v83, 16, 1
	v_add3_u32 v82, v83, v82, s44
	v_and_b32_e32 v82, 0xffff0000, v82
	v_cmp_o_f32_e64 s[40:41], v83, v83
	s_movk_i32 s46, 0x1f8
	s_nop 0
	v_cndmask_b32_e64 v84, v80, v82, s[40:41]
	v_mov_b32_e32 v80, 16
	v_lshlrev_b32_sdwa v17, v80, v17 dst_sel:DWORD dst_unused:UNUSED_PAD src0_sel:DWORD src1_sel:WORD_1
	v_max_f32_e32 v83, v84, v84
	v_max_f32_e32 v82, v17, v17
	v_min_f32_e32 v85, v83, v82
	v_cmp_u_f32_e64 s[42:43], v84, v84
	v_max_f32_e32 v83, v83, v82
	v_cmp_u_f32_e64 s[40:41], v17, v17
	v_cndmask_b32_e64 v85, v85, v84, s[42:43]
	v_cndmask_b32_e64 v83, v83, v84, s[42:43]
	;; [unrolled: 1-line block ×4, first 2 shown]
	v_cmp_neq_f32_e64 s[42:43], v85, v83
	v_cmp_class_f32_e64 s[44:45], v85, s46
	s_or_b64 s[42:43], s[42:43], s[44:45]
	s_and_saveexec_b64 s[44:45], s[42:43]
	s_cbranch_execz .LBB451_306
; %bb.305:
	v_sub_f32_e32 v84, v85, v83
	s_mov_b32 s42, 0x3fb8aa3b
	v_mul_f32_e32 v85, 0x3fb8aa3b, v84
	v_fma_f32 v86, v84, s42, -v85
	v_rndne_f32_e32 v87, v85
	v_fmamk_f32 v86, v84, 0x32a5705f, v86
	v_sub_f32_e32 v85, v85, v87
	v_add_f32_e32 v85, v85, v86
	v_exp_f32_e32 v85, v85
	v_cvt_i32_f32_e32 v86, v87
	s_mov_b32 s42, 0xc2ce8ed0
	v_cmp_ngt_f32_e64 s[42:43], s42, v84
	s_mov_b32 s47, 0x7f800000
	v_ldexp_f32 v85, v85, v86
	v_cndmask_b32_e64 v85, 0, v85, s[42:43]
	s_mov_b32 s42, 0x42b17218
	v_mov_b32_e32 v86, 0x7f800000
	v_cmp_nlt_f32_e64 s[42:43], s42, v84
	s_nop 1
	v_cndmask_b32_e64 v128, v86, v85, s[42:43]
	v_add_f32_e32 v86, 1.0, v128
	v_add_f32_e32 v84, -1.0, v86
	v_sub_f32_e32 v85, v84, v86
	v_add_f32_e32 v85, 1.0, v85
	v_sub_f32_e32 v84, v128, v84
	v_add_f32_e32 v87, v84, v85
	v_frexp_mant_f32_e32 v99, v86
	s_mov_b32 s42, 0x3f2aaaab
	v_cvt_f64_f32_e32 v[84:85], v86
	v_frexp_exp_i32_f64_e32 v84, v[84:85]
	v_cmp_gt_f32_e64 s[42:43], s42, v99
	s_nop 1
	v_subbrev_co_u32_e64 v99, s[42:43], 0, v84, s[42:43]
	v_sub_u32_e32 v84, 0, v99
	v_ldexp_f32 v85, v86, v84
	v_add_f32_e32 v86, -1.0, v85
	v_add_f32_e32 v100, 1.0, v85
	v_ldexp_f32 v84, v87, v84
	v_add_f32_e32 v87, 1.0, v86
	v_add_f32_e32 v101, -1.0, v100
	v_sub_f32_e32 v87, v85, v87
	v_sub_f32_e32 v85, v85, v101
	v_add_f32_e32 v87, v84, v87
	v_add_f32_e32 v84, v84, v85
	;; [unrolled: 1-line block ×3, first 2 shown]
	v_rcp_f32_e32 v114, v112
	v_sub_f32_e32 v85, v100, v112
	v_add_f32_e32 v113, v84, v85
	v_add_f32_e32 v85, v86, v87
	v_mul_f32_e32 v116, v85, v114
	v_sub_f32_e32 v84, v86, v85
	v_mul_f32_e32 v86, v112, v116
	v_fma_f32 v100, v116, v112, -v86
	v_fmac_f32_e32 v100, v116, v113
	v_add_f32_e32 v115, v87, v84
	v_add_f32_e32 v84, v86, v100
	v_sub_f32_e32 v87, v85, v84
	v_pk_add_f32 v[102:103], v[84:85], v[86:87] neg_lo:[0,1] neg_hi:[0,1]
	v_mov_b32_e32 v101, v84
	v_pk_add_f32 v[84:85], v[102:103], v[100:101] neg_lo:[0,1] neg_hi:[0,1]
	s_mov_b32 s42, 0x3f317218
	v_add_f32_e32 v85, v115, v85
	v_add_f32_e32 v84, v84, v85
	;; [unrolled: 1-line block ×3, first 2 shown]
	v_mul_f32_e32 v115, v114, v85
	v_mul_f32_e32 v86, v112, v115
	v_fma_f32 v100, v115, v112, -v86
	v_fmac_f32_e32 v100, v115, v113
	v_sub_f32_e32 v87, v87, v85
	v_add_f32_e32 v112, v84, v87
	v_add_f32_e32 v84, v86, v100
	v_sub_f32_e32 v87, v85, v84
	v_pk_add_f32 v[102:103], v[84:85], v[86:87] neg_lo:[0,1] neg_hi:[0,1]
	v_mov_b32_e32 v101, v84
	v_pk_add_f32 v[84:85], v[102:103], v[100:101] neg_lo:[0,1] neg_hi:[0,1]
	v_cvt_f32_i32_e32 v86, v99
	v_add_f32_e32 v85, v112, v85
	v_add_f32_e32 v84, v84, v85
	;; [unrolled: 1-line block ×4, first 2 shown]
	v_sub_f32_e32 v85, v87, v116
	v_mul_f32_e32 v84, v114, v84
	v_sub_f32_e32 v85, v115, v85
	v_add_f32_e32 v84, v85, v84
	v_add_f32_e32 v100, v87, v84
	v_mul_f32_e32 v102, v100, v100
	v_mov_b32_e32 v85, 0x3ecc95a3
	v_sub_f32_e32 v87, v100, v87
	v_fmac_f32_e32 v85, 0x3e9b6dac, v102
	v_sub_f32_e32 v84, v84, v87
	v_fmaak_f32 v85, v102, v85, 0x3f2aaada
	v_ldexp_f32 v99, v84, 1
	v_mul_f32_e32 v87, v100, v102
	v_mov_b32_e32 v84, 0x3f317218
	v_pk_mul_f32 v[84:85], v[86:87], v[84:85]
	v_ldexp_f32 v101, v100, 1
	v_fma_f32 v87, v86, s42, -v84
	v_fmamk_f32 v100, v86, 0xb102e308, v87
	v_pk_add_f32 v[86:87], v[84:85], v[100:101]
	v_mov_b32_e32 v102, v84
	v_sub_f32_e32 v101, v87, v101
	v_sub_f32_e32 v101, v85, v101
	v_add_f32_e32 v103, v99, v101
	v_pk_add_f32 v[84:85], v[86:87], v[84:85] neg_lo:[0,1] neg_hi:[0,1]
	v_pk_add_f32 v[112:113], v[86:87], v[102:103]
	v_mov_b32_e32 v101, v86
	v_mov_b32_e32 v85, v113
	v_pk_add_f32 v[114:115], v[100:101], v[84:85] neg_lo:[0,1] neg_hi:[0,1]
	v_pk_add_f32 v[84:85], v[100:101], v[84:85]
	v_mov_b32_e32 v102, v103
	v_mov_b32_e32 v100, v85
	v_pk_add_f32 v[116:117], v[100:101], v[86:87] neg_lo:[0,1] neg_hi:[0,1]
	v_mov_b32_e32 v84, v113
	v_mov_b32_e32 v99, v116
	v_pk_add_f32 v[118:119], v[112:113], v[98:99] neg_lo:[0,1] neg_hi:[0,1]
	v_mov_b32_e32 v112, v87
	v_mov_b32_e32 v113, v116
	;; [unrolled: 1-line block ×3, first 2 shown]
	v_pk_add_f32 v[84:85], v[84:85], v[112:113] neg_lo:[0,1] neg_hi:[0,1]
	v_mov_b32_e32 v103, v86
	v_pk_add_f32 v[84:85], v[102:103], v[84:85] neg_lo:[0,1] neg_hi:[0,1]
	v_mov_b32_e32 v118, v114
	v_pk_add_f32 v[86:87], v[118:119], v[84:85]
	v_cmp_eq_f32_e64 s[42:43], s47, v128
	v_mov_b32_e32 v102, v87
	v_pk_add_f32 v[102:103], v[86:87], v[102:103]
	s_mov_b32 s47, 0x33800000
	v_pk_add_f32 v[100:101], v[100:101], v[102:103]
	v_mov_b32_e32 v85, v102
	v_mov_b32_e32 v87, v100
	v_pk_add_f32 v[112:113], v[86:87], v[114:115] neg_lo:[0,1] neg_hi:[0,1]
	v_cmp_lt_f32_e64 s[48:49], |v128|, s47
	v_sub_f32_e32 v86, v86, v112
	v_pk_add_f32 v[84:85], v[84:85], v[112:113] neg_lo:[0,1] neg_hi:[0,1]
	v_sub_f32_e32 v86, v114, v86
	v_add_f32_e32 v84, v84, v86
	v_add_f32_e32 v84, v84, v85
	;; [unrolled: 1-line block ×3, first 2 shown]
	s_or_b64 s[42:43], s[42:43], s[48:49]
	v_cndmask_b32_e64 v84, v84, v128, s[42:43]
	v_add_f32_e32 v84, v83, v84
.LBB451_306:
	s_or_b64 exec, exec, s[44:45]
	v_bfe_u32 v83, v84, 16, 1
	s_movk_i32 s48, 0x7fff
	v_add3_u32 v83, v84, v83, s48
	v_and_b32_e32 v85, 0xffff0000, v83
	v_mov_b32_e32 v83, 0x7fc00000
	v_cmp_o_f32_e64 s[42:43], v84, v84
	v_lshlrev_b32_sdwa v80, v80, v18 dst_sel:DWORD dst_unused:UNUSED_PAD src0_sel:DWORD src1_sel:WORD_0
	v_max_f32_e32 v84, v80, v80
	v_cndmask_b32_e64 v86, v83, v85, s[42:43]
	v_max_f32_e32 v85, v86, v86
	v_min_f32_e32 v87, v85, v84
	v_cmp_u_f32_e64 s[44:45], v86, v86
	v_max_f32_e32 v85, v85, v84
	v_cmp_u_f32_e64 s[42:43], v80, v80
	v_cndmask_b32_e64 v87, v87, v86, s[44:45]
	v_cndmask_b32_e64 v85, v85, v86, s[44:45]
	;; [unrolled: 1-line block ×4, first 2 shown]
	v_cmp_neq_f32_e64 s[44:45], v87, v85
	v_cmp_class_f32_e64 s[46:47], v87, s46
	s_or_b64 s[44:45], s[44:45], s[46:47]
	s_and_saveexec_b64 s[46:47], s[44:45]
	s_cbranch_execz .LBB451_308
; %bb.307:
	v_sub_f32_e32 v86, v87, v85
	s_mov_b32 s44, 0x3fb8aa3b
	v_mul_f32_e32 v87, 0x3fb8aa3b, v86
	v_fma_f32 v99, v86, s44, -v87
	v_rndne_f32_e32 v100, v87
	v_fmamk_f32 v99, v86, 0x32a5705f, v99
	v_sub_f32_e32 v87, v87, v100
	v_add_f32_e32 v87, v87, v99
	v_exp_f32_e32 v87, v87
	v_cvt_i32_f32_e32 v99, v100
	s_mov_b32 s44, 0xc2ce8ed0
	v_cmp_ngt_f32_e64 s[44:45], s44, v86
	s_mov_b32 s49, 0x7f800000
	v_ldexp_f32 v87, v87, v99
	v_cndmask_b32_e64 v87, 0, v87, s[44:45]
	s_mov_b32 s44, 0x42b17218
	v_mov_b32_e32 v99, 0x7f800000
	v_cmp_nlt_f32_e64 s[44:45], s44, v86
	s_nop 1
	v_cndmask_b32_e64 v130, v99, v87, s[44:45]
	v_add_f32_e32 v99, 1.0, v130
	v_add_f32_e32 v86, -1.0, v99
	v_sub_f32_e32 v87, v86, v99
	v_add_f32_e32 v87, 1.0, v87
	v_sub_f32_e32 v86, v130, v86
	v_add_f32_e32 v100, v86, v87
	v_frexp_mant_f32_e32 v101, v99
	s_mov_b32 s44, 0x3f2aaaab
	v_cvt_f64_f32_e32 v[86:87], v99
	v_frexp_exp_i32_f64_e32 v86, v[86:87]
	v_cmp_gt_f32_e64 s[44:45], s44, v101
	s_nop 1
	v_subbrev_co_u32_e64 v114, s[44:45], 0, v86, s[44:45]
	v_sub_u32_e32 v86, 0, v114
	v_ldexp_f32 v87, v99, v86
	v_add_f32_e32 v99, -1.0, v87
	v_add_f32_e32 v101, 1.0, v87
	v_ldexp_f32 v86, v100, v86
	v_add_f32_e32 v100, 1.0, v99
	v_add_f32_e32 v102, -1.0, v101
	v_sub_f32_e32 v100, v87, v100
	v_sub_f32_e32 v87, v87, v102
	v_add_f32_e32 v100, v86, v100
	v_add_f32_e32 v86, v86, v87
	v_add_f32_e32 v115, v101, v86
	v_rcp_f32_e32 v117, v115
	v_sub_f32_e32 v87, v101, v115
	v_add_f32_e32 v116, v86, v87
	v_add_f32_e32 v87, v99, v100
	v_sub_f32_e32 v86, v99, v87
	v_mul_f32_e32 v118, v87, v117
	v_add_f32_e32 v99, v100, v86
	v_mul_f32_e32 v100, v115, v118
	v_fma_f32 v102, v118, v115, -v100
	v_fmac_f32_e32 v102, v118, v116
	v_add_f32_e32 v86, v100, v102
	v_sub_f32_e32 v101, v87, v86
	v_pk_add_f32 v[112:113], v[86:87], v[100:101] neg_lo:[0,1] neg_hi:[0,1]
	v_mov_b32_e32 v103, v86
	v_pk_add_f32 v[86:87], v[112:113], v[102:103] neg_lo:[0,1] neg_hi:[0,1]
	s_mov_b32 s44, 0x3f317218
	v_add_f32_e32 v87, v99, v87
	v_add_f32_e32 v86, v86, v87
	;; [unrolled: 1-line block ×3, first 2 shown]
	v_mul_f32_e32 v99, v117, v87
	v_mul_f32_e32 v100, v115, v99
	v_fma_f32 v102, v99, v115, -v100
	v_fmac_f32_e32 v102, v99, v116
	v_sub_f32_e32 v101, v101, v87
	v_add_f32_e32 v115, v86, v101
	v_add_f32_e32 v86, v100, v102
	v_sub_f32_e32 v101, v87, v86
	v_pk_add_f32 v[112:113], v[86:87], v[100:101] neg_lo:[0,1] neg_hi:[0,1]
	v_mov_b32_e32 v103, v86
	v_pk_add_f32 v[86:87], v[112:113], v[102:103] neg_lo:[0,1] neg_hi:[0,1]
	v_cvt_f32_i32_e32 v100, v114
	v_add_f32_e32 v87, v115, v87
	v_add_f32_e32 v86, v86, v87
	;; [unrolled: 1-line block ×4, first 2 shown]
	v_sub_f32_e32 v87, v101, v118
	v_mul_f32_e32 v86, v117, v86
	v_sub_f32_e32 v87, v99, v87
	v_add_f32_e32 v86, v87, v86
	v_add_f32_e32 v99, v101, v86
	v_mul_f32_e32 v102, v99, v99
	v_mov_b32_e32 v87, 0x3ecc95a3
	v_sub_f32_e32 v101, v99, v101
	v_fmac_f32_e32 v87, 0x3e9b6dac, v102
	v_sub_f32_e32 v86, v86, v101
	v_fmaak_f32 v87, v102, v87, 0x3f2aaada
	v_ldexp_f32 v112, v86, 1
	v_mul_f32_e32 v101, v99, v102
	v_mov_b32_e32 v86, 0x3f317218
	v_pk_mul_f32 v[86:87], v[100:101], v[86:87]
	v_ldexp_f32 v103, v99, 1
	v_fma_f32 v99, v100, s44, -v86
	v_fmamk_f32 v102, v100, 0xb102e308, v99
	v_pk_add_f32 v[100:101], v[86:87], v[102:103]
	v_cmp_eq_f32_e64 s[44:45], s49, v130
	v_sub_f32_e32 v99, v101, v103
	v_sub_f32_e32 v99, v87, v99
	v_add_f32_e32 v113, v112, v99
	v_mov_b32_e32 v112, v86
	v_pk_add_f32 v[86:87], v[100:101], v[86:87] neg_lo:[0,1] neg_hi:[0,1]
	v_pk_add_f32 v[114:115], v[100:101], v[112:113]
	v_mov_b32_e32 v103, v100
	v_mov_b32_e32 v87, v115
	v_pk_add_f32 v[116:117], v[102:103], v[86:87] neg_lo:[0,1] neg_hi:[0,1]
	v_pk_add_f32 v[86:87], v[102:103], v[86:87]
	v_mov_b32_e32 v112, v113
	v_mov_b32_e32 v102, v87
	v_pk_add_f32 v[118:119], v[102:103], v[100:101] neg_lo:[0,1] neg_hi:[0,1]
	v_mov_b32_e32 v86, v115
	v_mov_b32_e32 v99, v118
	v_pk_add_f32 v[128:129], v[114:115], v[98:99] neg_lo:[0,1] neg_hi:[0,1]
	v_mov_b32_e32 v114, v101
	v_mov_b32_e32 v115, v118
	;; [unrolled: 1-line block ×3, first 2 shown]
	v_pk_add_f32 v[86:87], v[86:87], v[114:115] neg_lo:[0,1] neg_hi:[0,1]
	v_mov_b32_e32 v113, v100
	v_pk_add_f32 v[86:87], v[112:113], v[86:87] neg_lo:[0,1] neg_hi:[0,1]
	v_mov_b32_e32 v128, v116
	v_pk_add_f32 v[100:101], v[128:129], v[86:87]
	s_mov_b32 s49, 0x33800000
	v_mov_b32_e32 v112, v101
	v_pk_add_f32 v[112:113], v[100:101], v[112:113]
	v_cmp_lt_f32_e64 s[52:53], |v130|, s49
	v_pk_add_f32 v[102:103], v[102:103], v[112:113]
	v_mov_b32_e32 v87, v112
	v_mov_b32_e32 v101, v102
	v_pk_add_f32 v[114:115], v[100:101], v[116:117] neg_lo:[0,1] neg_hi:[0,1]
	s_or_b64 s[44:45], s[44:45], s[52:53]
	v_sub_f32_e32 v99, v100, v114
	v_pk_add_f32 v[86:87], v[86:87], v[114:115] neg_lo:[0,1] neg_hi:[0,1]
	v_sub_f32_e32 v99, v116, v99
	v_add_f32_e32 v86, v86, v99
	v_add_f32_e32 v86, v86, v87
	;; [unrolled: 1-line block ×3, first 2 shown]
	v_cndmask_b32_e64 v86, v86, v130, s[44:45]
	v_add_f32_e32 v86, v85, v86
.LBB451_308:
	s_or_b64 exec, exec, s[46:47]
	v_bfe_u32 v85, v86, 16, 1
	v_add3_u32 v85, v86, v85, s48
	v_and_b32_e32 v85, 0xffff0000, v85
	v_cmp_o_f32_e64 s[44:45], v86, v86
	s_movk_i32 s52, 0x1f8
	s_nop 0
	v_cndmask_b32_e64 v99, v83, v85, s[44:45]
	v_mov_b32_e32 v83, 16
	v_lshlrev_b32_sdwa v18, v83, v18 dst_sel:DWORD dst_unused:UNUSED_PAD src0_sel:DWORD src1_sel:WORD_1
	v_max_f32_e32 v86, v99, v99
	v_max_f32_e32 v85, v18, v18
	v_min_f32_e32 v87, v86, v85
	v_cmp_u_f32_e64 s[46:47], v99, v99
	v_max_f32_e32 v86, v86, v85
	v_cmp_u_f32_e64 s[44:45], v18, v18
	v_cndmask_b32_e64 v87, v87, v99, s[46:47]
	v_cndmask_b32_e64 v86, v86, v99, s[46:47]
	v_cndmask_b32_e64 v87, v87, v18, s[44:45]
	v_cndmask_b32_e64 v86, v86, v18, s[44:45]
	v_cmp_neq_f32_e64 s[46:47], v87, v86
	v_cmp_class_f32_e64 s[48:49], v87, s52
	s_or_b64 s[46:47], s[46:47], s[48:49]
	s_and_saveexec_b64 s[48:49], s[46:47]
	s_cbranch_execz .LBB451_310
; %bb.309:
	v_sub_f32_e32 v87, v87, v86
	s_mov_b32 s46, 0x3fb8aa3b
	v_mul_f32_e32 v99, 0x3fb8aa3b, v87
	v_fma_f32 v100, v87, s46, -v99
	v_rndne_f32_e32 v101, v99
	v_fmamk_f32 v100, v87, 0x32a5705f, v100
	v_sub_f32_e32 v99, v99, v101
	v_add_f32_e32 v99, v99, v100
	v_exp_f32_e32 v99, v99
	v_cvt_i32_f32_e32 v100, v101
	s_mov_b32 s46, 0xc2ce8ed0
	v_cmp_ngt_f32_e64 s[46:47], s46, v87
	s_mov_b32 s53, 0x7f800000
	v_ldexp_f32 v99, v99, v100
	v_cndmask_b32_e64 v99, 0, v99, s[46:47]
	s_mov_b32 s46, 0x42b17218
	v_mov_b32_e32 v100, 0x7f800000
	v_cmp_nlt_f32_e64 s[46:47], s46, v87
	s_nop 1
	v_cndmask_b32_e64 v99, v100, v99, s[46:47]
	v_add_f32_e32 v87, 1.0, v99
	v_add_f32_e32 v100, -1.0, v87
	v_sub_f32_e32 v101, v100, v87
	v_add_f32_e32 v101, 1.0, v101
	v_sub_f32_e32 v100, v99, v100
	v_add_f32_e32 v102, v100, v101
	v_frexp_mant_f32_e32 v103, v87
	s_mov_b32 s46, 0x3f2aaaab
	v_cvt_f64_f32_e32 v[100:101], v87
	v_frexp_exp_i32_f64_e32 v100, v[100:101]
	v_cmp_gt_f32_e64 s[46:47], s46, v103
	s_nop 1
	v_subbrev_co_u32_e64 v116, s[46:47], 0, v100, s[46:47]
	v_sub_u32_e32 v100, 0, v116
	v_ldexp_f32 v87, v87, v100
	v_ldexp_f32 v100, v102, v100
	v_add_f32_e32 v102, -1.0, v87
	v_add_f32_e32 v101, 1.0, v102
	v_sub_f32_e32 v101, v87, v101
	v_add_f32_e32 v103, v100, v101
	v_add_f32_e32 v101, 1.0, v87
	v_add_f32_e32 v112, -1.0, v101
	v_sub_f32_e32 v87, v87, v112
	v_add_f32_e32 v87, v100, v87
	v_add_f32_e32 v117, v101, v87
	v_rcp_f32_e32 v118, v117
	v_sub_f32_e32 v100, v101, v117
	v_add_f32_e32 v101, v102, v103
	v_add_f32_e32 v87, v87, v100
	v_mul_f32_e32 v128, v101, v118
	v_sub_f32_e32 v100, v102, v101
	v_mul_f32_e32 v102, v117, v128
	v_fma_f32 v112, v128, v117, -v102
	v_fmac_f32_e32 v112, v128, v87
	v_add_f32_e32 v119, v103, v100
	v_add_f32_e32 v100, v102, v112
	v_sub_f32_e32 v103, v101, v100
	v_pk_add_f32 v[114:115], v[100:101], v[102:103] neg_lo:[0,1] neg_hi:[0,1]
	v_mov_b32_e32 v113, v100
	v_pk_add_f32 v[100:101], v[114:115], v[112:113] neg_lo:[0,1] neg_hi:[0,1]
	s_mov_b32 s46, 0x3f317218
	v_add_f32_e32 v101, v119, v101
	v_add_f32_e32 v100, v100, v101
	;; [unrolled: 1-line block ×3, first 2 shown]
	v_mul_f32_e32 v119, v118, v101
	v_mul_f32_e32 v102, v117, v119
	v_fma_f32 v112, v119, v117, -v102
	v_fmac_f32_e32 v112, v119, v87
	v_sub_f32_e32 v87, v103, v101
	v_add_f32_e32 v87, v100, v87
	v_add_f32_e32 v100, v102, v112
	v_sub_f32_e32 v103, v101, v100
	v_pk_add_f32 v[114:115], v[100:101], v[102:103] neg_lo:[0,1] neg_hi:[0,1]
	v_mov_b32_e32 v113, v100
	v_pk_add_f32 v[100:101], v[114:115], v[112:113] neg_lo:[0,1] neg_hi:[0,1]
	v_cvt_f32_i32_e32 v102, v116
	v_add_f32_e32 v87, v87, v101
	v_add_f32_e32 v87, v100, v87
	;; [unrolled: 1-line block ×4, first 2 shown]
	v_sub_f32_e32 v101, v100, v128
	v_mul_f32_e32 v87, v118, v87
	v_sub_f32_e32 v101, v119, v101
	v_add_f32_e32 v87, v101, v87
	v_add_f32_e32 v103, v100, v87
	v_mul_f32_e32 v112, v103, v103
	v_mov_b32_e32 v101, 0x3ecc95a3
	v_fmac_f32_e32 v101, 0x3e9b6dac, v112
	v_sub_f32_e32 v100, v103, v100
	v_fmaak_f32 v101, v112, v101, 0x3f2aaada
	v_sub_f32_e32 v87, v87, v100
	v_ldexp_f32 v113, v103, 1
	v_mul_f32_e32 v103, v103, v112
	v_mov_b32_e32 v100, 0x3f317218
	v_pk_mul_f32 v[100:101], v[102:103], v[100:101]
	v_ldexp_f32 v87, v87, 1
	v_fma_f32 v103, v102, s46, -v100
	v_fmamk_f32 v112, v102, 0xb102e308, v103
	v_pk_add_f32 v[102:103], v[100:101], v[112:113]
	v_mov_b32_e32 v114, v100
	v_sub_f32_e32 v113, v103, v113
	v_sub_f32_e32 v113, v101, v113
	v_add_f32_e32 v115, v87, v113
	v_pk_add_f32 v[100:101], v[102:103], v[100:101] neg_lo:[0,1] neg_hi:[0,1]
	v_pk_add_f32 v[116:117], v[102:103], v[114:115]
	v_mov_b32_e32 v113, v102
	v_mov_b32_e32 v101, v117
	v_pk_add_f32 v[118:119], v[112:113], v[100:101] neg_lo:[0,1] neg_hi:[0,1]
	v_pk_add_f32 v[100:101], v[112:113], v[100:101]
	v_mov_b32_e32 v114, v115
	v_mov_b32_e32 v112, v101
	v_pk_add_f32 v[128:129], v[112:113], v[102:103] neg_lo:[0,1] neg_hi:[0,1]
	v_mov_b32_e32 v100, v117
	v_mov_b32_e32 v87, v128
	v_pk_add_f32 v[130:131], v[116:117], v[86:87] neg_lo:[0,1] neg_hi:[0,1]
	v_mov_b32_e32 v116, v103
	v_mov_b32_e32 v117, v128
	;; [unrolled: 1-line block ×3, first 2 shown]
	v_pk_add_f32 v[100:101], v[100:101], v[116:117] neg_lo:[0,1] neg_hi:[0,1]
	v_mov_b32_e32 v115, v102
	v_pk_add_f32 v[100:101], v[114:115], v[100:101] neg_lo:[0,1] neg_hi:[0,1]
	v_mov_b32_e32 v130, v118
	v_pk_add_f32 v[102:103], v[130:131], v[100:101]
	v_cmp_eq_f32_e64 s[46:47], s53, v99
	v_mov_b32_e32 v114, v103
	v_pk_add_f32 v[114:115], v[102:103], v[114:115]
	s_mov_b32 s53, 0x33800000
	v_pk_add_f32 v[112:113], v[112:113], v[114:115]
	v_mov_b32_e32 v101, v114
	v_mov_b32_e32 v103, v112
	v_pk_add_f32 v[116:117], v[102:103], v[118:119] neg_lo:[0,1] neg_hi:[0,1]
	v_cmp_lt_f32_e64 s[54:55], |v99|, s53
	v_sub_f32_e32 v87, v102, v116
	v_pk_add_f32 v[100:101], v[100:101], v[116:117] neg_lo:[0,1] neg_hi:[0,1]
	v_sub_f32_e32 v87, v118, v87
	v_add_f32_e32 v87, v100, v87
	v_add_f32_e32 v87, v87, v101
	;; [unrolled: 1-line block ×3, first 2 shown]
	s_or_b64 s[46:47], s[46:47], s[54:55]
	v_cndmask_b32_e64 v87, v87, v99, s[46:47]
	v_add_f32_e32 v99, v86, v87
.LBB451_310:
	s_or_b64 exec, exec, s[48:49]
	v_bfe_u32 v86, v99, 16, 1
	s_movk_i32 s54, 0x7fff
	v_add3_u32 v86, v99, v86, s54
	v_and_b32_e32 v86, 0xffff0000, v86
	v_mov_b32_e32 v87, 0x7fc00000
	v_cmp_o_f32_e64 s[46:47], v99, v99
	v_lshlrev_b32_sdwa v83, v83, v19 dst_sel:DWORD dst_unused:UNUSED_PAD src0_sel:DWORD src1_sel:WORD_0
	s_nop 0
	v_cndmask_b32_e64 v100, v87, v86, s[46:47]
	v_max_f32_e32 v99, v100, v100
	v_max_f32_e32 v86, v83, v83
	v_min_f32_e32 v101, v99, v86
	v_cmp_u_f32_e64 s[48:49], v100, v100
	v_max_f32_e32 v99, v99, v86
	v_cmp_u_f32_e64 s[46:47], v83, v83
	v_cndmask_b32_e64 v101, v101, v100, s[48:49]
	v_cndmask_b32_e64 v99, v99, v100, s[48:49]
	;; [unrolled: 1-line block ×4, first 2 shown]
	v_cmp_neq_f32_e64 s[48:49], v101, v99
	v_cmp_class_f32_e64 s[52:53], v101, s52
	s_or_b64 s[48:49], s[48:49], s[52:53]
	s_and_saveexec_b64 s[52:53], s[48:49]
	s_cbranch_execz .LBB451_312
; %bb.311:
	v_sub_f32_e32 v100, v101, v99
	s_mov_b32 s48, 0x3fb8aa3b
	v_mul_f32_e32 v101, 0x3fb8aa3b, v100
	v_fma_f32 v102, v100, s48, -v101
	v_rndne_f32_e32 v103, v101
	v_fmamk_f32 v102, v100, 0x32a5705f, v102
	v_sub_f32_e32 v101, v101, v103
	v_add_f32_e32 v101, v101, v102
	v_exp_f32_e32 v101, v101
	v_cvt_i32_f32_e32 v102, v103
	s_mov_b32 s48, 0xc2ce8ed0
	v_cmp_ngt_f32_e64 s[48:49], s48, v100
	s_mov_b32 s55, 0x7f800000
	v_ldexp_f32 v101, v101, v102
	v_cndmask_b32_e64 v101, 0, v101, s[48:49]
	s_mov_b32 s48, 0x42b17218
	v_mov_b32_e32 v102, 0x7f800000
	v_cmp_nlt_f32_e64 s[48:49], s48, v100
	s_nop 1
	v_cndmask_b32_e64 v132, v102, v101, s[48:49]
	v_add_f32_e32 v102, 1.0, v132
	v_add_f32_e32 v100, -1.0, v102
	v_sub_f32_e32 v101, v100, v102
	v_add_f32_e32 v101, 1.0, v101
	v_sub_f32_e32 v100, v132, v100
	v_add_f32_e32 v103, v100, v101
	v_frexp_mant_f32_e32 v112, v102
	s_mov_b32 s48, 0x3f2aaaab
	v_cvt_f64_f32_e32 v[100:101], v102
	v_frexp_exp_i32_f64_e32 v100, v[100:101]
	v_cmp_gt_f32_e64 s[48:49], s48, v112
	s_nop 1
	v_subbrev_co_u32_e64 v116, s[48:49], 0, v100, s[48:49]
	v_sub_u32_e32 v100, 0, v116
	v_ldexp_f32 v101, v102, v100
	v_add_f32_e32 v102, -1.0, v101
	v_add_f32_e32 v112, 1.0, v101
	v_ldexp_f32 v100, v103, v100
	v_add_f32_e32 v103, 1.0, v102
	v_add_f32_e32 v113, -1.0, v112
	v_sub_f32_e32 v103, v101, v103
	v_sub_f32_e32 v101, v101, v113
	v_add_f32_e32 v103, v100, v103
	v_add_f32_e32 v100, v100, v101
	;; [unrolled: 1-line block ×3, first 2 shown]
	v_rcp_f32_e32 v119, v117
	v_sub_f32_e32 v101, v112, v117
	v_add_f32_e32 v118, v100, v101
	v_add_f32_e32 v101, v102, v103
	v_mul_f32_e32 v129, v101, v119
	v_sub_f32_e32 v100, v102, v101
	v_mul_f32_e32 v102, v117, v129
	v_fma_f32 v112, v129, v117, -v102
	v_fmac_f32_e32 v112, v129, v118
	v_add_f32_e32 v128, v103, v100
	v_add_f32_e32 v100, v102, v112
	v_sub_f32_e32 v103, v101, v100
	v_pk_add_f32 v[114:115], v[100:101], v[102:103] neg_lo:[0,1] neg_hi:[0,1]
	v_mov_b32_e32 v113, v100
	v_pk_add_f32 v[100:101], v[114:115], v[112:113] neg_lo:[0,1] neg_hi:[0,1]
	s_mov_b32 s48, 0x3f317218
	v_add_f32_e32 v101, v128, v101
	v_add_f32_e32 v100, v100, v101
	;; [unrolled: 1-line block ×3, first 2 shown]
	v_mul_f32_e32 v128, v119, v101
	v_mul_f32_e32 v102, v117, v128
	v_fma_f32 v112, v128, v117, -v102
	v_fmac_f32_e32 v112, v128, v118
	v_sub_f32_e32 v103, v103, v101
	v_add_f32_e32 v117, v100, v103
	v_add_f32_e32 v100, v102, v112
	v_sub_f32_e32 v103, v101, v100
	v_pk_add_f32 v[114:115], v[100:101], v[102:103] neg_lo:[0,1] neg_hi:[0,1]
	v_mov_b32_e32 v113, v100
	v_pk_add_f32 v[100:101], v[114:115], v[112:113] neg_lo:[0,1] neg_hi:[0,1]
	v_cvt_f32_i32_e32 v102, v116
	v_add_f32_e32 v101, v117, v101
	v_add_f32_e32 v100, v100, v101
	;; [unrolled: 1-line block ×4, first 2 shown]
	v_sub_f32_e32 v101, v103, v129
	v_mul_f32_e32 v100, v119, v100
	v_sub_f32_e32 v101, v128, v101
	v_add_f32_e32 v100, v101, v100
	v_add_f32_e32 v112, v103, v100
	v_mul_f32_e32 v114, v112, v112
	v_mov_b32_e32 v101, 0x3ecc95a3
	v_sub_f32_e32 v103, v112, v103
	v_fmac_f32_e32 v101, 0x3e9b6dac, v114
	v_sub_f32_e32 v100, v100, v103
	v_fmaak_f32 v101, v114, v101, 0x3f2aaada
	v_ldexp_f32 v115, v100, 1
	v_mul_f32_e32 v103, v112, v114
	v_mov_b32_e32 v100, 0x3f317218
	v_pk_mul_f32 v[100:101], v[102:103], v[100:101]
	v_ldexp_f32 v113, v112, 1
	v_fma_f32 v103, v102, s48, -v100
	v_fmamk_f32 v112, v102, 0xb102e308, v103
	v_pk_add_f32 v[102:103], v[100:101], v[112:113]
	v_mov_b32_e32 v114, v100
	v_sub_f32_e32 v113, v103, v113
	v_sub_f32_e32 v113, v101, v113
	v_add_f32_e32 v115, v115, v113
	v_pk_add_f32 v[100:101], v[102:103], v[100:101] neg_lo:[0,1] neg_hi:[0,1]
	v_pk_add_f32 v[116:117], v[102:103], v[114:115]
	v_mov_b32_e32 v113, v102
	v_mov_b32_e32 v101, v117
	v_pk_add_f32 v[118:119], v[112:113], v[100:101] neg_lo:[0,1] neg_hi:[0,1]
	v_pk_add_f32 v[100:101], v[112:113], v[100:101]
	v_mov_b32_e32 v114, v115
	v_mov_b32_e32 v112, v101
	v_pk_add_f32 v[128:129], v[112:113], v[102:103] neg_lo:[0,1] neg_hi:[0,1]
	v_mov_b32_e32 v100, v117
	v_mov_b32_e32 v113, v128
	v_pk_add_f32 v[130:131], v[116:117], v[112:113] neg_lo:[0,1] neg_hi:[0,1]
	v_mov_b32_e32 v116, v103
	v_mov_b32_e32 v117, v128
	;; [unrolled: 1-line block ×3, first 2 shown]
	v_pk_add_f32 v[100:101], v[100:101], v[116:117] neg_lo:[0,1] neg_hi:[0,1]
	v_mov_b32_e32 v115, v102
	v_pk_add_f32 v[100:101], v[114:115], v[100:101] neg_lo:[0,1] neg_hi:[0,1]
	v_mov_b32_e32 v130, v118
	v_pk_add_f32 v[102:103], v[130:131], v[100:101]
	v_cmp_eq_f32_e64 s[48:49], s55, v132
	v_mov_b32_e32 v114, v103
	v_pk_add_f32 v[114:115], v[102:103], v[114:115]
	s_mov_b32 s55, 0x33800000
	v_pk_add_f32 v[112:113], v[112:113], v[114:115]
	v_mov_b32_e32 v101, v114
	v_mov_b32_e32 v103, v112
	v_pk_add_f32 v[116:117], v[102:103], v[118:119] neg_lo:[0,1] neg_hi:[0,1]
	v_cmp_lt_f32_e64 s[56:57], |v132|, s55
	v_sub_f32_e32 v102, v102, v116
	v_pk_add_f32 v[100:101], v[100:101], v[116:117] neg_lo:[0,1] neg_hi:[0,1]
	v_sub_f32_e32 v102, v118, v102
	v_add_f32_e32 v100, v100, v102
	v_add_f32_e32 v100, v100, v101
	v_add_f32_e32 v100, v112, v100
	s_or_b64 s[48:49], s[48:49], s[56:57]
	v_cndmask_b32_e64 v100, v100, v132, s[48:49]
	v_add_f32_e32 v100, v99, v100
.LBB451_312:
	s_or_b64 exec, exec, s[52:53]
	v_bfe_u32 v99, v100, 16, 1
	v_add3_u32 v99, v100, v99, s54
	v_and_b32_e32 v99, 0xffff0000, v99
	v_cmp_o_f32_e64 s[48:49], v100, v100
	s_movk_i32 s54, 0x1f8
	s_nop 0
	v_cndmask_b32_e64 v100, v87, v99, s[48:49]
	v_mov_b32_e32 v87, 16
	v_lshlrev_b32_sdwa v19, v87, v19 dst_sel:DWORD dst_unused:UNUSED_PAD src0_sel:DWORD src1_sel:WORD_1
	v_max_f32_e32 v99, v100, v100
	v_max_f32_e32 v87, v19, v19
	v_min_f32_e32 v101, v99, v87
	v_cmp_u_f32_e64 s[52:53], v100, v100
	v_max_f32_e32 v99, v99, v87
	v_cmp_u_f32_e64 s[48:49], v19, v19
	v_cndmask_b32_e64 v101, v101, v100, s[52:53]
	v_cndmask_b32_e64 v99, v99, v100, s[52:53]
	;; [unrolled: 1-line block ×4, first 2 shown]
	v_cmp_neq_f32_e64 s[52:53], v101, v99
	v_cmp_class_f32_e64 s[54:55], v101, s54
	s_or_b64 s[52:53], s[52:53], s[54:55]
	s_and_saveexec_b64 s[54:55], s[52:53]
	s_cbranch_execz .LBB451_314
; %bb.313:
	v_sub_f32_e32 v100, v101, v99
	s_mov_b32 s52, 0x3fb8aa3b
	v_mul_f32_e32 v101, 0x3fb8aa3b, v100
	v_fma_f32 v102, v100, s52, -v101
	v_rndne_f32_e32 v103, v101
	v_fmamk_f32 v102, v100, 0x32a5705f, v102
	v_sub_f32_e32 v101, v101, v103
	v_add_f32_e32 v101, v101, v102
	v_exp_f32_e32 v101, v101
	v_cvt_i32_f32_e32 v102, v103
	s_mov_b32 s52, 0xc2ce8ed0
	v_cmp_ngt_f32_e64 s[52:53], s52, v100
	s_mov_b32 s56, 0x7f800000
	v_ldexp_f32 v101, v101, v102
	v_cndmask_b32_e64 v101, 0, v101, s[52:53]
	s_mov_b32 s52, 0x42b17218
	v_mov_b32_e32 v102, 0x7f800000
	v_cmp_nlt_f32_e64 s[52:53], s52, v100
	s_nop 1
	v_cndmask_b32_e64 v132, v102, v101, s[52:53]
	v_add_f32_e32 v102, 1.0, v132
	v_add_f32_e32 v100, -1.0, v102
	v_sub_f32_e32 v101, v100, v102
	v_add_f32_e32 v101, 1.0, v101
	v_sub_f32_e32 v100, v132, v100
	v_add_f32_e32 v103, v100, v101
	v_frexp_mant_f32_e32 v112, v102
	s_mov_b32 s52, 0x3f2aaaab
	v_cvt_f64_f32_e32 v[100:101], v102
	v_frexp_exp_i32_f64_e32 v100, v[100:101]
	v_cmp_gt_f32_e64 s[52:53], s52, v112
	s_nop 1
	v_subbrev_co_u32_e64 v116, s[52:53], 0, v100, s[52:53]
	v_sub_u32_e32 v100, 0, v116
	v_ldexp_f32 v101, v102, v100
	v_add_f32_e32 v102, -1.0, v101
	v_add_f32_e32 v112, 1.0, v101
	v_ldexp_f32 v100, v103, v100
	v_add_f32_e32 v103, 1.0, v102
	v_add_f32_e32 v113, -1.0, v112
	v_sub_f32_e32 v103, v101, v103
	v_sub_f32_e32 v101, v101, v113
	v_add_f32_e32 v103, v100, v103
	v_add_f32_e32 v100, v100, v101
	;; [unrolled: 1-line block ×3, first 2 shown]
	v_rcp_f32_e32 v119, v117
	v_sub_f32_e32 v101, v112, v117
	v_add_f32_e32 v118, v100, v101
	v_add_f32_e32 v101, v102, v103
	v_mul_f32_e32 v129, v101, v119
	v_sub_f32_e32 v100, v102, v101
	v_mul_f32_e32 v102, v117, v129
	v_fma_f32 v112, v129, v117, -v102
	v_fmac_f32_e32 v112, v129, v118
	v_add_f32_e32 v128, v103, v100
	v_add_f32_e32 v100, v102, v112
	v_sub_f32_e32 v103, v101, v100
	v_pk_add_f32 v[114:115], v[100:101], v[102:103] neg_lo:[0,1] neg_hi:[0,1]
	v_mov_b32_e32 v113, v100
	v_pk_add_f32 v[100:101], v[114:115], v[112:113] neg_lo:[0,1] neg_hi:[0,1]
	s_mov_b32 s52, 0x3f317218
	v_add_f32_e32 v101, v128, v101
	v_add_f32_e32 v100, v100, v101
	;; [unrolled: 1-line block ×3, first 2 shown]
	v_mul_f32_e32 v128, v119, v101
	v_mul_f32_e32 v102, v117, v128
	v_fma_f32 v112, v128, v117, -v102
	v_fmac_f32_e32 v112, v128, v118
	v_sub_f32_e32 v103, v103, v101
	v_add_f32_e32 v117, v100, v103
	v_add_f32_e32 v100, v102, v112
	v_sub_f32_e32 v103, v101, v100
	v_pk_add_f32 v[114:115], v[100:101], v[102:103] neg_lo:[0,1] neg_hi:[0,1]
	v_mov_b32_e32 v113, v100
	v_pk_add_f32 v[100:101], v[114:115], v[112:113] neg_lo:[0,1] neg_hi:[0,1]
	v_cvt_f32_i32_e32 v102, v116
	v_add_f32_e32 v101, v117, v101
	v_add_f32_e32 v100, v100, v101
	;; [unrolled: 1-line block ×4, first 2 shown]
	v_sub_f32_e32 v101, v103, v129
	v_mul_f32_e32 v100, v119, v100
	v_sub_f32_e32 v101, v128, v101
	v_add_f32_e32 v100, v101, v100
	v_add_f32_e32 v112, v103, v100
	v_mul_f32_e32 v114, v112, v112
	v_mov_b32_e32 v101, 0x3ecc95a3
	v_sub_f32_e32 v103, v112, v103
	v_fmac_f32_e32 v101, 0x3e9b6dac, v114
	v_sub_f32_e32 v100, v100, v103
	v_fmaak_f32 v101, v114, v101, 0x3f2aaada
	v_ldexp_f32 v115, v100, 1
	v_mul_f32_e32 v103, v112, v114
	v_mov_b32_e32 v100, 0x3f317218
	v_pk_mul_f32 v[100:101], v[102:103], v[100:101]
	v_ldexp_f32 v113, v112, 1
	v_fma_f32 v103, v102, s52, -v100
	v_fmamk_f32 v112, v102, 0xb102e308, v103
	v_pk_add_f32 v[102:103], v[100:101], v[112:113]
	v_mov_b32_e32 v114, v100
	v_sub_f32_e32 v113, v103, v113
	v_sub_f32_e32 v113, v101, v113
	v_add_f32_e32 v115, v115, v113
	v_pk_add_f32 v[100:101], v[102:103], v[100:101] neg_lo:[0,1] neg_hi:[0,1]
	v_pk_add_f32 v[116:117], v[102:103], v[114:115]
	v_mov_b32_e32 v113, v102
	v_mov_b32_e32 v101, v117
	v_pk_add_f32 v[118:119], v[112:113], v[100:101] neg_lo:[0,1] neg_hi:[0,1]
	v_pk_add_f32 v[100:101], v[112:113], v[100:101]
	v_mov_b32_e32 v114, v115
	v_mov_b32_e32 v112, v101
	v_pk_add_f32 v[128:129], v[112:113], v[102:103] neg_lo:[0,1] neg_hi:[0,1]
	v_mov_b32_e32 v100, v117
	v_mov_b32_e32 v113, v128
	v_pk_add_f32 v[130:131], v[116:117], v[112:113] neg_lo:[0,1] neg_hi:[0,1]
	v_mov_b32_e32 v116, v103
	v_mov_b32_e32 v117, v128
	;; [unrolled: 1-line block ×3, first 2 shown]
	v_pk_add_f32 v[100:101], v[100:101], v[116:117] neg_lo:[0,1] neg_hi:[0,1]
	v_mov_b32_e32 v115, v102
	v_pk_add_f32 v[100:101], v[114:115], v[100:101] neg_lo:[0,1] neg_hi:[0,1]
	v_mov_b32_e32 v130, v118
	v_pk_add_f32 v[102:103], v[130:131], v[100:101]
	v_cmp_eq_f32_e64 s[52:53], s56, v132
	v_mov_b32_e32 v114, v103
	v_pk_add_f32 v[114:115], v[102:103], v[114:115]
	s_mov_b32 s56, 0x33800000
	v_pk_add_f32 v[112:113], v[112:113], v[114:115]
	v_mov_b32_e32 v101, v114
	v_mov_b32_e32 v103, v112
	v_pk_add_f32 v[116:117], v[102:103], v[118:119] neg_lo:[0,1] neg_hi:[0,1]
	v_cmp_lt_f32_e64 s[56:57], |v132|, s56
	v_sub_f32_e32 v102, v102, v116
	v_pk_add_f32 v[100:101], v[100:101], v[116:117] neg_lo:[0,1] neg_hi:[0,1]
	v_sub_f32_e32 v102, v118, v102
	v_add_f32_e32 v100, v100, v102
	v_add_f32_e32 v100, v100, v101
	;; [unrolled: 1-line block ×3, first 2 shown]
	s_or_b64 s[52:53], s[52:53], s[56:57]
	v_cndmask_b32_e64 v100, v100, v132, s[52:53]
	v_add_f32_e32 v100, v99, v100
.LBB451_314:
	s_or_b64 exec, exec, s[54:55]
	v_bfe_u32 v99, v100, 16, 1
	s_movk_i32 s52, 0x7fff
	v_add3_u32 v99, v100, v99, s52
	v_lshrrev_b32_e32 v99, 16, v99
	v_mov_b32_e32 v101, 0x7fc0
	v_cmp_o_f32_e64 s[52:53], v100, v100
	s_nop 1
	v_cndmask_b32_e64 v101, v101, v99, s[52:53]
	v_mbcnt_lo_u32_b32 v99, -1, 0
	v_mbcnt_hi_u32_b32 v99, -1, v99
	v_and_b32_e32 v100, 15, v99
	v_and_b32_e32 v102, 0xffff, v101
	v_cmp_ne_u32_e64 s[52:53], 0, v100
	s_nop 0
	v_mov_b32_dpp v103, v102 row_shr:1 row_mask:0xf bank_mask:0xf
	s_and_saveexec_b64 s[56:57], s[52:53]
	s_cbranch_execz .LBB451_318
; %bb.315:
	v_lshlrev_b32_e32 v103, 16, v103
	v_lshlrev_b32_e32 v101, 16, v102
	v_max_f32_e32 v112, v101, v101
	v_max_f32_e32 v113, v103, v103
	v_min_f32_e32 v102, v113, v112
	v_cmp_u_f32_e64 s[52:53], v103, v103
	v_max_f32_e32 v112, v113, v112
	v_cmp_u_f32_e64 s[54:55], v101, v101
	v_cndmask_b32_e64 v102, v102, v103, s[52:53]
	v_cndmask_b32_e64 v112, v112, v103, s[52:53]
	;; [unrolled: 1-line block ×4, first 2 shown]
	s_movk_i32 s54, 0x1f8
	v_cmp_neq_f32_e64 s[52:53], v102, v101
	v_cmp_class_f32_e64 s[54:55], v102, s54
	s_or_b64 s[52:53], s[52:53], s[54:55]
	s_and_saveexec_b64 s[54:55], s[52:53]
	s_cbranch_execz .LBB451_317
; %bb.316:
	v_sub_f32_e32 v102, v102, v101
	s_mov_b32 s52, 0x3fb8aa3b
	v_mul_f32_e32 v103, 0x3fb8aa3b, v102
	v_fma_f32 v112, v102, s52, -v103
	v_rndne_f32_e32 v113, v103
	v_fmamk_f32 v112, v102, 0x32a5705f, v112
	v_sub_f32_e32 v103, v103, v113
	v_add_f32_e32 v103, v103, v112
	v_exp_f32_e32 v103, v103
	v_cvt_i32_f32_e32 v112, v113
	s_mov_b32 s52, 0xc2ce8ed0
	v_cmp_ngt_f32_e64 s[52:53], s52, v102
	s_mov_b32 s60, 0x7f800000
	v_ldexp_f32 v103, v103, v112
	v_cndmask_b32_e64 v103, 0, v103, s[52:53]
	s_mov_b32 s52, 0x42b17218
	v_mov_b32_e32 v112, 0x7f800000
	v_cmp_nlt_f32_e64 s[52:53], s52, v102
	s_nop 1
	v_cndmask_b32_e64 v134, v112, v103, s[52:53]
	v_add_f32_e32 v112, 1.0, v134
	v_add_f32_e32 v102, -1.0, v112
	v_sub_f32_e32 v103, v102, v112
	v_add_f32_e32 v103, 1.0, v103
	v_sub_f32_e32 v102, v134, v102
	v_add_f32_e32 v113, v102, v103
	v_frexp_mant_f32_e32 v114, v112
	s_mov_b32 s52, 0x3f2aaaab
	v_cvt_f64_f32_e32 v[102:103], v112
	v_frexp_exp_i32_f64_e32 v102, v[102:103]
	v_cmp_gt_f32_e64 s[52:53], s52, v114
	s_nop 1
	v_subbrev_co_u32_e64 v118, s[52:53], 0, v102, s[52:53]
	v_sub_u32_e32 v102, 0, v118
	v_ldexp_f32 v103, v112, v102
	v_add_f32_e32 v112, -1.0, v103
	v_add_f32_e32 v114, 1.0, v103
	v_ldexp_f32 v102, v113, v102
	v_add_f32_e32 v113, 1.0, v112
	v_add_f32_e32 v115, -1.0, v114
	v_sub_f32_e32 v113, v103, v113
	v_sub_f32_e32 v103, v103, v115
	v_add_f32_e32 v113, v102, v113
	v_add_f32_e32 v102, v102, v103
	;; [unrolled: 1-line block ×3, first 2 shown]
	v_rcp_f32_e32 v129, v119
	v_sub_f32_e32 v103, v114, v119
	v_add_f32_e32 v128, v102, v103
	v_add_f32_e32 v103, v112, v113
	v_mul_f32_e32 v131, v103, v129
	v_sub_f32_e32 v102, v112, v103
	v_mul_f32_e32 v112, v119, v131
	v_fma_f32 v114, v131, v119, -v112
	v_fmac_f32_e32 v114, v131, v128
	v_add_f32_e32 v130, v113, v102
	v_add_f32_e32 v102, v112, v114
	v_sub_f32_e32 v113, v103, v102
	v_pk_add_f32 v[116:117], v[102:103], v[112:113] neg_lo:[0,1] neg_hi:[0,1]
	v_mov_b32_e32 v115, v102
	v_pk_add_f32 v[102:103], v[116:117], v[114:115] neg_lo:[0,1] neg_hi:[0,1]
	s_mov_b32 s52, 0x3f317218
	v_add_f32_e32 v103, v130, v103
	v_add_f32_e32 v102, v102, v103
	;; [unrolled: 1-line block ×3, first 2 shown]
	v_mul_f32_e32 v130, v129, v103
	v_mul_f32_e32 v112, v119, v130
	v_fma_f32 v114, v130, v119, -v112
	v_fmac_f32_e32 v114, v130, v128
	v_sub_f32_e32 v113, v113, v103
	v_add_f32_e32 v119, v102, v113
	v_add_f32_e32 v102, v112, v114
	v_sub_f32_e32 v113, v103, v102
	v_pk_add_f32 v[116:117], v[102:103], v[112:113] neg_lo:[0,1] neg_hi:[0,1]
	v_mov_b32_e32 v115, v102
	v_pk_add_f32 v[102:103], v[116:117], v[114:115] neg_lo:[0,1] neg_hi:[0,1]
	v_cvt_f32_i32_e32 v112, v118
	v_add_f32_e32 v103, v119, v103
	v_add_f32_e32 v102, v102, v103
	;; [unrolled: 1-line block ×4, first 2 shown]
	v_sub_f32_e32 v103, v113, v131
	v_mul_f32_e32 v102, v129, v102
	v_sub_f32_e32 v103, v130, v103
	v_add_f32_e32 v102, v103, v102
	v_add_f32_e32 v114, v113, v102
	v_mul_f32_e32 v116, v114, v114
	v_mov_b32_e32 v103, 0x3ecc95a3
	v_sub_f32_e32 v113, v114, v113
	v_fmac_f32_e32 v103, 0x3e9b6dac, v116
	v_sub_f32_e32 v102, v102, v113
	v_fmaak_f32 v103, v116, v103, 0x3f2aaada
	v_ldexp_f32 v117, v102, 1
	v_mul_f32_e32 v113, v114, v116
	v_mov_b32_e32 v102, 0x3f317218
	v_pk_mul_f32 v[102:103], v[112:113], v[102:103]
	v_ldexp_f32 v115, v114, 1
	v_fma_f32 v113, v112, s52, -v102
	v_fmamk_f32 v114, v112, 0xb102e308, v113
	v_pk_add_f32 v[112:113], v[102:103], v[114:115]
	v_mov_b32_e32 v116, v102
	v_sub_f32_e32 v115, v113, v115
	v_sub_f32_e32 v115, v103, v115
	v_add_f32_e32 v117, v117, v115
	v_pk_add_f32 v[102:103], v[112:113], v[102:103] neg_lo:[0,1] neg_hi:[0,1]
	v_pk_add_f32 v[118:119], v[112:113], v[116:117]
	v_mov_b32_e32 v115, v112
	v_mov_b32_e32 v103, v119
	v_pk_add_f32 v[128:129], v[114:115], v[102:103] neg_lo:[0,1] neg_hi:[0,1]
	v_pk_add_f32 v[102:103], v[114:115], v[102:103]
	v_mov_b32_e32 v116, v117
	v_mov_b32_e32 v114, v103
	v_pk_add_f32 v[130:131], v[114:115], v[112:113] neg_lo:[0,1] neg_hi:[0,1]
	v_mov_b32_e32 v102, v119
	v_mov_b32_e32 v115, v130
	v_pk_add_f32 v[132:133], v[118:119], v[114:115] neg_lo:[0,1] neg_hi:[0,1]
	v_mov_b32_e32 v118, v113
	v_mov_b32_e32 v119, v130
	;; [unrolled: 1-line block ×3, first 2 shown]
	v_pk_add_f32 v[102:103], v[102:103], v[118:119] neg_lo:[0,1] neg_hi:[0,1]
	v_mov_b32_e32 v117, v112
	v_pk_add_f32 v[102:103], v[116:117], v[102:103] neg_lo:[0,1] neg_hi:[0,1]
	v_mov_b32_e32 v132, v128
	v_pk_add_f32 v[112:113], v[132:133], v[102:103]
	v_cmp_eq_f32_e64 s[52:53], s60, v134
	v_mov_b32_e32 v116, v113
	v_pk_add_f32 v[116:117], v[112:113], v[116:117]
	s_mov_b32 s60, 0x33800000
	v_pk_add_f32 v[114:115], v[114:115], v[116:117]
	v_mov_b32_e32 v103, v116
	v_mov_b32_e32 v113, v114
	v_pk_add_f32 v[118:119], v[112:113], v[128:129] neg_lo:[0,1] neg_hi:[0,1]
	v_cmp_lt_f32_e64 s[60:61], |v134|, s60
	v_sub_f32_e32 v112, v112, v118
	v_pk_add_f32 v[102:103], v[102:103], v[118:119] neg_lo:[0,1] neg_hi:[0,1]
	v_sub_f32_e32 v112, v128, v112
	v_add_f32_e32 v102, v102, v112
	v_add_f32_e32 v102, v102, v103
	;; [unrolled: 1-line block ×3, first 2 shown]
	s_or_b64 s[52:53], s[52:53], s[60:61]
	v_cndmask_b32_e64 v102, v102, v134, s[52:53]
	v_add_f32_e32 v103, v101, v102
.LBB451_317:
	s_or_b64 exec, exec, s[54:55]
	v_bfe_u32 v101, v103, 16, 1
	s_movk_i32 s52, 0x7fff
	v_add3_u32 v101, v103, v101, s52
	v_lshrrev_b32_e32 v101, 16, v101
	v_mov_b32_e32 v102, 0x7fc0
	v_cmp_o_f32_e64 s[52:53], v103, v103
	s_nop 1
	v_cndmask_b32_e64 v101, v102, v101, s[52:53]
	v_and_b32_e32 v102, 0xffff, v101
.LBB451_318:
	s_or_b64 exec, exec, s[56:57]
	s_nop 0
	v_mov_b32_dpp v103, v102 row_shr:2 row_mask:0xf bank_mask:0xf
	v_cmp_lt_u32_e64 s[52:53], 1, v100
	s_and_saveexec_b64 s[56:57], s[52:53]
	s_cbranch_execz .LBB451_322
; %bb.319:
	v_lshlrev_b32_e32 v103, 16, v103
	v_lshlrev_b32_e32 v101, 16, v102
	v_max_f32_e32 v112, v101, v101
	v_max_f32_e32 v113, v103, v103
	v_min_f32_e32 v102, v113, v112
	v_cmp_u_f32_e64 s[52:53], v103, v103
	v_max_f32_e32 v112, v113, v112
	v_cmp_u_f32_e64 s[54:55], v101, v101
	v_cndmask_b32_e64 v102, v102, v103, s[52:53]
	v_cndmask_b32_e64 v112, v112, v103, s[52:53]
	v_cndmask_b32_e64 v102, v102, v101, s[54:55]
	v_cndmask_b32_e64 v101, v112, v101, s[54:55]
	s_movk_i32 s54, 0x1f8
	v_cmp_neq_f32_e64 s[52:53], v102, v101
	v_cmp_class_f32_e64 s[54:55], v102, s54
	s_or_b64 s[52:53], s[52:53], s[54:55]
	s_and_saveexec_b64 s[54:55], s[52:53]
	s_cbranch_execz .LBB451_321
; %bb.320:
	v_sub_f32_e32 v102, v102, v101
	s_mov_b32 s52, 0x3fb8aa3b
	v_mul_f32_e32 v103, 0x3fb8aa3b, v102
	v_fma_f32 v112, v102, s52, -v103
	v_rndne_f32_e32 v113, v103
	v_fmamk_f32 v112, v102, 0x32a5705f, v112
	v_sub_f32_e32 v103, v103, v113
	v_add_f32_e32 v103, v103, v112
	v_exp_f32_e32 v103, v103
	v_cvt_i32_f32_e32 v112, v113
	s_mov_b32 s52, 0xc2ce8ed0
	v_cmp_ngt_f32_e64 s[52:53], s52, v102
	s_mov_b32 s60, 0x7f800000
	v_ldexp_f32 v103, v103, v112
	v_cndmask_b32_e64 v103, 0, v103, s[52:53]
	s_mov_b32 s52, 0x42b17218
	v_mov_b32_e32 v112, 0x7f800000
	v_cmp_nlt_f32_e64 s[52:53], s52, v102
	s_nop 1
	v_cndmask_b32_e64 v134, v112, v103, s[52:53]
	v_add_f32_e32 v112, 1.0, v134
	v_add_f32_e32 v102, -1.0, v112
	v_sub_f32_e32 v103, v102, v112
	v_add_f32_e32 v103, 1.0, v103
	v_sub_f32_e32 v102, v134, v102
	v_add_f32_e32 v113, v102, v103
	v_frexp_mant_f32_e32 v114, v112
	s_mov_b32 s52, 0x3f2aaaab
	v_cvt_f64_f32_e32 v[102:103], v112
	v_frexp_exp_i32_f64_e32 v102, v[102:103]
	v_cmp_gt_f32_e64 s[52:53], s52, v114
	s_nop 1
	v_subbrev_co_u32_e64 v118, s[52:53], 0, v102, s[52:53]
	v_sub_u32_e32 v102, 0, v118
	v_ldexp_f32 v103, v112, v102
	v_add_f32_e32 v112, -1.0, v103
	v_add_f32_e32 v114, 1.0, v103
	v_ldexp_f32 v102, v113, v102
	v_add_f32_e32 v113, 1.0, v112
	v_add_f32_e32 v115, -1.0, v114
	v_sub_f32_e32 v113, v103, v113
	v_sub_f32_e32 v103, v103, v115
	v_add_f32_e32 v113, v102, v113
	v_add_f32_e32 v102, v102, v103
	;; [unrolled: 1-line block ×3, first 2 shown]
	v_rcp_f32_e32 v129, v119
	v_sub_f32_e32 v103, v114, v119
	v_add_f32_e32 v128, v102, v103
	v_add_f32_e32 v103, v112, v113
	v_mul_f32_e32 v131, v103, v129
	v_sub_f32_e32 v102, v112, v103
	v_mul_f32_e32 v112, v119, v131
	v_fma_f32 v114, v131, v119, -v112
	v_fmac_f32_e32 v114, v131, v128
	v_add_f32_e32 v130, v113, v102
	v_add_f32_e32 v102, v112, v114
	v_sub_f32_e32 v113, v103, v102
	v_pk_add_f32 v[116:117], v[102:103], v[112:113] neg_lo:[0,1] neg_hi:[0,1]
	v_mov_b32_e32 v115, v102
	v_pk_add_f32 v[102:103], v[116:117], v[114:115] neg_lo:[0,1] neg_hi:[0,1]
	s_mov_b32 s52, 0x3f317218
	v_add_f32_e32 v103, v130, v103
	v_add_f32_e32 v102, v102, v103
	;; [unrolled: 1-line block ×3, first 2 shown]
	v_mul_f32_e32 v130, v129, v103
	v_mul_f32_e32 v112, v119, v130
	v_fma_f32 v114, v130, v119, -v112
	v_fmac_f32_e32 v114, v130, v128
	v_sub_f32_e32 v113, v113, v103
	v_add_f32_e32 v119, v102, v113
	v_add_f32_e32 v102, v112, v114
	v_sub_f32_e32 v113, v103, v102
	v_pk_add_f32 v[116:117], v[102:103], v[112:113] neg_lo:[0,1] neg_hi:[0,1]
	v_mov_b32_e32 v115, v102
	v_pk_add_f32 v[102:103], v[116:117], v[114:115] neg_lo:[0,1] neg_hi:[0,1]
	v_cvt_f32_i32_e32 v112, v118
	v_add_f32_e32 v103, v119, v103
	v_add_f32_e32 v102, v102, v103
	;; [unrolled: 1-line block ×4, first 2 shown]
	v_sub_f32_e32 v103, v113, v131
	v_mul_f32_e32 v102, v129, v102
	v_sub_f32_e32 v103, v130, v103
	v_add_f32_e32 v102, v103, v102
	v_add_f32_e32 v114, v113, v102
	v_mul_f32_e32 v116, v114, v114
	v_mov_b32_e32 v103, 0x3ecc95a3
	v_sub_f32_e32 v113, v114, v113
	v_fmac_f32_e32 v103, 0x3e9b6dac, v116
	v_sub_f32_e32 v102, v102, v113
	v_fmaak_f32 v103, v116, v103, 0x3f2aaada
	v_ldexp_f32 v117, v102, 1
	v_mul_f32_e32 v113, v114, v116
	v_mov_b32_e32 v102, 0x3f317218
	v_pk_mul_f32 v[102:103], v[112:113], v[102:103]
	v_ldexp_f32 v115, v114, 1
	v_fma_f32 v113, v112, s52, -v102
	v_fmamk_f32 v114, v112, 0xb102e308, v113
	v_pk_add_f32 v[112:113], v[102:103], v[114:115]
	v_mov_b32_e32 v116, v102
	v_sub_f32_e32 v115, v113, v115
	v_sub_f32_e32 v115, v103, v115
	v_add_f32_e32 v117, v117, v115
	v_pk_add_f32 v[102:103], v[112:113], v[102:103] neg_lo:[0,1] neg_hi:[0,1]
	v_pk_add_f32 v[118:119], v[112:113], v[116:117]
	v_mov_b32_e32 v115, v112
	v_mov_b32_e32 v103, v119
	v_pk_add_f32 v[128:129], v[114:115], v[102:103] neg_lo:[0,1] neg_hi:[0,1]
	v_pk_add_f32 v[102:103], v[114:115], v[102:103]
	v_mov_b32_e32 v116, v117
	v_mov_b32_e32 v114, v103
	v_pk_add_f32 v[130:131], v[114:115], v[112:113] neg_lo:[0,1] neg_hi:[0,1]
	v_mov_b32_e32 v102, v119
	v_mov_b32_e32 v115, v130
	v_pk_add_f32 v[132:133], v[118:119], v[114:115] neg_lo:[0,1] neg_hi:[0,1]
	v_mov_b32_e32 v118, v113
	v_mov_b32_e32 v119, v130
	;; [unrolled: 1-line block ×3, first 2 shown]
	v_pk_add_f32 v[102:103], v[102:103], v[118:119] neg_lo:[0,1] neg_hi:[0,1]
	v_mov_b32_e32 v117, v112
	v_pk_add_f32 v[102:103], v[116:117], v[102:103] neg_lo:[0,1] neg_hi:[0,1]
	v_mov_b32_e32 v132, v128
	v_pk_add_f32 v[112:113], v[132:133], v[102:103]
	v_cmp_eq_f32_e64 s[52:53], s60, v134
	v_mov_b32_e32 v116, v113
	v_pk_add_f32 v[116:117], v[112:113], v[116:117]
	s_mov_b32 s60, 0x33800000
	v_pk_add_f32 v[114:115], v[114:115], v[116:117]
	v_mov_b32_e32 v103, v116
	v_mov_b32_e32 v113, v114
	v_pk_add_f32 v[118:119], v[112:113], v[128:129] neg_lo:[0,1] neg_hi:[0,1]
	v_cmp_lt_f32_e64 s[60:61], |v134|, s60
	v_sub_f32_e32 v112, v112, v118
	v_pk_add_f32 v[102:103], v[102:103], v[118:119] neg_lo:[0,1] neg_hi:[0,1]
	v_sub_f32_e32 v112, v128, v112
	v_add_f32_e32 v102, v102, v112
	v_add_f32_e32 v102, v102, v103
	;; [unrolled: 1-line block ×3, first 2 shown]
	s_or_b64 s[52:53], s[52:53], s[60:61]
	v_cndmask_b32_e64 v102, v102, v134, s[52:53]
	v_add_f32_e32 v103, v101, v102
.LBB451_321:
	s_or_b64 exec, exec, s[54:55]
	v_bfe_u32 v101, v103, 16, 1
	s_movk_i32 s52, 0x7fff
	v_add3_u32 v101, v103, v101, s52
	v_lshrrev_b32_e32 v101, 16, v101
	v_mov_b32_e32 v102, 0x7fc0
	v_cmp_o_f32_e64 s[52:53], v103, v103
	s_nop 1
	v_cndmask_b32_e64 v101, v102, v101, s[52:53]
	v_and_b32_e32 v102, 0xffff, v101
.LBB451_322:
	s_or_b64 exec, exec, s[56:57]
	s_nop 0
	v_mov_b32_dpp v103, v102 row_shr:4 row_mask:0xf bank_mask:0xf
	v_cmp_lt_u32_e64 s[52:53], 3, v100
	s_and_saveexec_b64 s[56:57], s[52:53]
	s_cbranch_execz .LBB451_326
; %bb.323:
	v_lshlrev_b32_e32 v103, 16, v103
	v_lshlrev_b32_e32 v101, 16, v102
	v_max_f32_e32 v112, v101, v101
	v_max_f32_e32 v113, v103, v103
	v_min_f32_e32 v102, v113, v112
	v_cmp_u_f32_e64 s[52:53], v103, v103
	v_max_f32_e32 v112, v113, v112
	v_cmp_u_f32_e64 s[54:55], v101, v101
	v_cndmask_b32_e64 v102, v102, v103, s[52:53]
	v_cndmask_b32_e64 v112, v112, v103, s[52:53]
	;; [unrolled: 1-line block ×4, first 2 shown]
	s_movk_i32 s54, 0x1f8
	v_cmp_neq_f32_e64 s[52:53], v102, v101
	v_cmp_class_f32_e64 s[54:55], v102, s54
	s_or_b64 s[52:53], s[52:53], s[54:55]
	s_and_saveexec_b64 s[54:55], s[52:53]
	s_cbranch_execz .LBB451_325
; %bb.324:
	v_sub_f32_e32 v102, v102, v101
	s_mov_b32 s52, 0x3fb8aa3b
	v_mul_f32_e32 v103, 0x3fb8aa3b, v102
	v_fma_f32 v112, v102, s52, -v103
	v_rndne_f32_e32 v113, v103
	v_fmamk_f32 v112, v102, 0x32a5705f, v112
	v_sub_f32_e32 v103, v103, v113
	v_add_f32_e32 v103, v103, v112
	v_exp_f32_e32 v103, v103
	v_cvt_i32_f32_e32 v112, v113
	s_mov_b32 s52, 0xc2ce8ed0
	v_cmp_ngt_f32_e64 s[52:53], s52, v102
	s_mov_b32 s60, 0x7f800000
	v_ldexp_f32 v103, v103, v112
	v_cndmask_b32_e64 v103, 0, v103, s[52:53]
	s_mov_b32 s52, 0x42b17218
	v_mov_b32_e32 v112, 0x7f800000
	v_cmp_nlt_f32_e64 s[52:53], s52, v102
	s_nop 1
	v_cndmask_b32_e64 v134, v112, v103, s[52:53]
	v_add_f32_e32 v112, 1.0, v134
	v_add_f32_e32 v102, -1.0, v112
	v_sub_f32_e32 v103, v102, v112
	v_add_f32_e32 v103, 1.0, v103
	v_sub_f32_e32 v102, v134, v102
	v_add_f32_e32 v113, v102, v103
	v_frexp_mant_f32_e32 v114, v112
	s_mov_b32 s52, 0x3f2aaaab
	v_cvt_f64_f32_e32 v[102:103], v112
	v_frexp_exp_i32_f64_e32 v102, v[102:103]
	v_cmp_gt_f32_e64 s[52:53], s52, v114
	s_nop 1
	v_subbrev_co_u32_e64 v118, s[52:53], 0, v102, s[52:53]
	v_sub_u32_e32 v102, 0, v118
	v_ldexp_f32 v103, v112, v102
	v_add_f32_e32 v112, -1.0, v103
	v_add_f32_e32 v114, 1.0, v103
	v_ldexp_f32 v102, v113, v102
	v_add_f32_e32 v113, 1.0, v112
	v_add_f32_e32 v115, -1.0, v114
	v_sub_f32_e32 v113, v103, v113
	v_sub_f32_e32 v103, v103, v115
	v_add_f32_e32 v113, v102, v113
	v_add_f32_e32 v102, v102, v103
	;; [unrolled: 1-line block ×3, first 2 shown]
	v_rcp_f32_e32 v129, v119
	v_sub_f32_e32 v103, v114, v119
	v_add_f32_e32 v128, v102, v103
	v_add_f32_e32 v103, v112, v113
	v_mul_f32_e32 v131, v103, v129
	v_sub_f32_e32 v102, v112, v103
	v_mul_f32_e32 v112, v119, v131
	v_fma_f32 v114, v131, v119, -v112
	v_fmac_f32_e32 v114, v131, v128
	v_add_f32_e32 v130, v113, v102
	v_add_f32_e32 v102, v112, v114
	v_sub_f32_e32 v113, v103, v102
	v_pk_add_f32 v[116:117], v[102:103], v[112:113] neg_lo:[0,1] neg_hi:[0,1]
	v_mov_b32_e32 v115, v102
	v_pk_add_f32 v[102:103], v[116:117], v[114:115] neg_lo:[0,1] neg_hi:[0,1]
	s_mov_b32 s52, 0x3f317218
	v_add_f32_e32 v103, v130, v103
	v_add_f32_e32 v102, v102, v103
	;; [unrolled: 1-line block ×3, first 2 shown]
	v_mul_f32_e32 v130, v129, v103
	v_mul_f32_e32 v112, v119, v130
	v_fma_f32 v114, v130, v119, -v112
	v_fmac_f32_e32 v114, v130, v128
	v_sub_f32_e32 v113, v113, v103
	v_add_f32_e32 v119, v102, v113
	v_add_f32_e32 v102, v112, v114
	v_sub_f32_e32 v113, v103, v102
	v_pk_add_f32 v[116:117], v[102:103], v[112:113] neg_lo:[0,1] neg_hi:[0,1]
	v_mov_b32_e32 v115, v102
	v_pk_add_f32 v[102:103], v[116:117], v[114:115] neg_lo:[0,1] neg_hi:[0,1]
	v_cvt_f32_i32_e32 v112, v118
	v_add_f32_e32 v103, v119, v103
	v_add_f32_e32 v102, v102, v103
	;; [unrolled: 1-line block ×4, first 2 shown]
	v_sub_f32_e32 v103, v113, v131
	v_mul_f32_e32 v102, v129, v102
	v_sub_f32_e32 v103, v130, v103
	v_add_f32_e32 v102, v103, v102
	v_add_f32_e32 v114, v113, v102
	v_mul_f32_e32 v116, v114, v114
	v_mov_b32_e32 v103, 0x3ecc95a3
	v_sub_f32_e32 v113, v114, v113
	v_fmac_f32_e32 v103, 0x3e9b6dac, v116
	v_sub_f32_e32 v102, v102, v113
	v_fmaak_f32 v103, v116, v103, 0x3f2aaada
	v_ldexp_f32 v117, v102, 1
	v_mul_f32_e32 v113, v114, v116
	v_mov_b32_e32 v102, 0x3f317218
	v_pk_mul_f32 v[102:103], v[112:113], v[102:103]
	v_ldexp_f32 v115, v114, 1
	v_fma_f32 v113, v112, s52, -v102
	v_fmamk_f32 v114, v112, 0xb102e308, v113
	v_pk_add_f32 v[112:113], v[102:103], v[114:115]
	v_mov_b32_e32 v116, v102
	v_sub_f32_e32 v115, v113, v115
	v_sub_f32_e32 v115, v103, v115
	v_add_f32_e32 v117, v117, v115
	v_pk_add_f32 v[102:103], v[112:113], v[102:103] neg_lo:[0,1] neg_hi:[0,1]
	v_pk_add_f32 v[118:119], v[112:113], v[116:117]
	v_mov_b32_e32 v115, v112
	v_mov_b32_e32 v103, v119
	v_pk_add_f32 v[128:129], v[114:115], v[102:103] neg_lo:[0,1] neg_hi:[0,1]
	v_pk_add_f32 v[102:103], v[114:115], v[102:103]
	v_mov_b32_e32 v116, v117
	v_mov_b32_e32 v114, v103
	v_pk_add_f32 v[130:131], v[114:115], v[112:113] neg_lo:[0,1] neg_hi:[0,1]
	v_mov_b32_e32 v102, v119
	v_mov_b32_e32 v115, v130
	v_pk_add_f32 v[132:133], v[118:119], v[114:115] neg_lo:[0,1] neg_hi:[0,1]
	v_mov_b32_e32 v118, v113
	v_mov_b32_e32 v119, v130
	;; [unrolled: 1-line block ×3, first 2 shown]
	v_pk_add_f32 v[102:103], v[102:103], v[118:119] neg_lo:[0,1] neg_hi:[0,1]
	v_mov_b32_e32 v117, v112
	v_pk_add_f32 v[102:103], v[116:117], v[102:103] neg_lo:[0,1] neg_hi:[0,1]
	v_mov_b32_e32 v132, v128
	v_pk_add_f32 v[112:113], v[132:133], v[102:103]
	v_cmp_eq_f32_e64 s[52:53], s60, v134
	v_mov_b32_e32 v116, v113
	v_pk_add_f32 v[116:117], v[112:113], v[116:117]
	s_mov_b32 s60, 0x33800000
	v_pk_add_f32 v[114:115], v[114:115], v[116:117]
	v_mov_b32_e32 v103, v116
	v_mov_b32_e32 v113, v114
	v_pk_add_f32 v[118:119], v[112:113], v[128:129] neg_lo:[0,1] neg_hi:[0,1]
	v_cmp_lt_f32_e64 s[60:61], |v134|, s60
	v_sub_f32_e32 v112, v112, v118
	v_pk_add_f32 v[102:103], v[102:103], v[118:119] neg_lo:[0,1] neg_hi:[0,1]
	v_sub_f32_e32 v112, v128, v112
	v_add_f32_e32 v102, v102, v112
	v_add_f32_e32 v102, v102, v103
	;; [unrolled: 1-line block ×3, first 2 shown]
	s_or_b64 s[52:53], s[52:53], s[60:61]
	v_cndmask_b32_e64 v102, v102, v134, s[52:53]
	v_add_f32_e32 v103, v101, v102
.LBB451_325:
	s_or_b64 exec, exec, s[54:55]
	v_bfe_u32 v101, v103, 16, 1
	s_movk_i32 s52, 0x7fff
	v_add3_u32 v101, v103, v101, s52
	v_lshrrev_b32_e32 v101, 16, v101
	v_mov_b32_e32 v102, 0x7fc0
	v_cmp_o_f32_e64 s[52:53], v103, v103
	s_nop 1
	v_cndmask_b32_e64 v101, v102, v101, s[52:53]
	v_and_b32_e32 v102, 0xffff, v101
.LBB451_326:
	s_or_b64 exec, exec, s[56:57]
	s_nop 0
	v_mov_b32_dpp v103, v102 row_shr:8 row_mask:0xf bank_mask:0xf
	v_cmp_lt_u32_e64 s[52:53], 7, v100
	s_and_saveexec_b64 s[56:57], s[52:53]
	s_cbranch_execz .LBB451_330
; %bb.327:
	v_lshlrev_b32_e32 v101, 16, v103
	v_lshlrev_b32_e32 v100, 16, v102
	v_max_f32_e32 v103, v100, v100
	v_max_f32_e32 v112, v101, v101
	v_min_f32_e32 v102, v112, v103
	v_cmp_u_f32_e64 s[52:53], v101, v101
	v_max_f32_e32 v103, v112, v103
	v_cmp_u_f32_e64 s[54:55], v100, v100
	v_cndmask_b32_e64 v102, v102, v101, s[52:53]
	v_cndmask_b32_e64 v103, v103, v101, s[52:53]
	;; [unrolled: 1-line block ×4, first 2 shown]
	s_movk_i32 s54, 0x1f8
	v_cmp_neq_f32_e64 s[52:53], v102, v100
	v_cmp_class_f32_e64 s[54:55], v102, s54
	s_or_b64 s[52:53], s[52:53], s[54:55]
	s_and_saveexec_b64 s[54:55], s[52:53]
	s_cbranch_execz .LBB451_329
; %bb.328:
	v_sub_f32_e32 v101, v102, v100
	s_mov_b32 s52, 0x3fb8aa3b
	v_mul_f32_e32 v102, 0x3fb8aa3b, v101
	v_fma_f32 v103, v101, s52, -v102
	v_rndne_f32_e32 v112, v102
	v_fmamk_f32 v103, v101, 0x32a5705f, v103
	v_sub_f32_e32 v102, v102, v112
	v_add_f32_e32 v102, v102, v103
	v_exp_f32_e32 v102, v102
	v_cvt_i32_f32_e32 v103, v112
	s_mov_b32 s52, 0xc2ce8ed0
	v_cmp_ngt_f32_e64 s[52:53], s52, v101
	s_mov_b32 s60, 0x7f800000
	v_ldexp_f32 v102, v102, v103
	v_cndmask_b32_e64 v102, 0, v102, s[52:53]
	s_mov_b32 s52, 0x42b17218
	v_mov_b32_e32 v103, 0x7f800000
	v_cmp_nlt_f32_e64 s[52:53], s52, v101
	s_nop 1
	v_cndmask_b32_e64 v134, v103, v102, s[52:53]
	v_add_f32_e32 v101, 1.0, v134
	v_add_f32_e32 v102, -1.0, v101
	v_sub_f32_e32 v103, v102, v101
	v_add_f32_e32 v103, 1.0, v103
	v_sub_f32_e32 v102, v134, v102
	v_add_f32_e32 v112, v102, v103
	v_frexp_mant_f32_e32 v113, v101
	s_mov_b32 s52, 0x3f2aaaab
	v_cvt_f64_f32_e32 v[102:103], v101
	v_frexp_exp_i32_f64_e32 v102, v[102:103]
	v_cmp_gt_f32_e64 s[52:53], s52, v113
	s_nop 1
	v_subbrev_co_u32_e64 v118, s[52:53], 0, v102, s[52:53]
	v_sub_u32_e32 v102, 0, v118
	v_ldexp_f32 v101, v101, v102
	v_ldexp_f32 v102, v112, v102
	v_add_f32_e32 v112, -1.0, v101
	v_add_f32_e32 v103, 1.0, v112
	v_sub_f32_e32 v103, v101, v103
	v_add_f32_e32 v113, v102, v103
	v_add_f32_e32 v103, 1.0, v101
	v_add_f32_e32 v114, -1.0, v103
	v_sub_f32_e32 v101, v101, v114
	v_add_f32_e32 v101, v102, v101
	v_add_f32_e32 v119, v103, v101
	v_rcp_f32_e32 v128, v119
	v_sub_f32_e32 v102, v103, v119
	v_add_f32_e32 v103, v112, v113
	v_add_f32_e32 v101, v101, v102
	v_mul_f32_e32 v130, v103, v128
	v_sub_f32_e32 v102, v112, v103
	v_mul_f32_e32 v112, v119, v130
	v_fma_f32 v114, v130, v119, -v112
	v_fmac_f32_e32 v114, v130, v101
	v_add_f32_e32 v129, v113, v102
	v_add_f32_e32 v102, v112, v114
	v_sub_f32_e32 v113, v103, v102
	v_pk_add_f32 v[116:117], v[102:103], v[112:113] neg_lo:[0,1] neg_hi:[0,1]
	v_mov_b32_e32 v115, v102
	v_pk_add_f32 v[102:103], v[116:117], v[114:115] neg_lo:[0,1] neg_hi:[0,1]
	s_mov_b32 s52, 0x3f317218
	v_add_f32_e32 v103, v129, v103
	v_add_f32_e32 v102, v102, v103
	;; [unrolled: 1-line block ×3, first 2 shown]
	v_mul_f32_e32 v129, v128, v103
	v_mul_f32_e32 v112, v119, v129
	v_fma_f32 v114, v129, v119, -v112
	v_fmac_f32_e32 v114, v129, v101
	v_sub_f32_e32 v101, v113, v103
	v_add_f32_e32 v101, v102, v101
	v_add_f32_e32 v102, v112, v114
	v_sub_f32_e32 v113, v103, v102
	v_pk_add_f32 v[116:117], v[102:103], v[112:113] neg_lo:[0,1] neg_hi:[0,1]
	v_mov_b32_e32 v115, v102
	v_pk_add_f32 v[102:103], v[116:117], v[114:115] neg_lo:[0,1] neg_hi:[0,1]
	v_cvt_f32_i32_e32 v112, v118
	v_add_f32_e32 v101, v101, v103
	v_add_f32_e32 v101, v102, v101
	;; [unrolled: 1-line block ×4, first 2 shown]
	v_sub_f32_e32 v103, v102, v130
	v_mul_f32_e32 v101, v128, v101
	v_sub_f32_e32 v103, v129, v103
	v_add_f32_e32 v101, v103, v101
	v_add_f32_e32 v113, v102, v101
	v_mul_f32_e32 v114, v113, v113
	v_mov_b32_e32 v103, 0x3ecc95a3
	v_fmac_f32_e32 v103, 0x3e9b6dac, v114
	v_sub_f32_e32 v102, v113, v102
	v_fmaak_f32 v103, v114, v103, 0x3f2aaada
	v_sub_f32_e32 v101, v101, v102
	v_ldexp_f32 v115, v113, 1
	v_mul_f32_e32 v113, v113, v114
	v_mov_b32_e32 v102, 0x3f317218
	v_pk_mul_f32 v[102:103], v[112:113], v[102:103]
	v_ldexp_f32 v101, v101, 1
	v_fma_f32 v113, v112, s52, -v102
	v_fmamk_f32 v114, v112, 0xb102e308, v113
	v_pk_add_f32 v[112:113], v[102:103], v[114:115]
	v_mov_b32_e32 v116, v102
	v_sub_f32_e32 v115, v113, v115
	v_sub_f32_e32 v115, v103, v115
	v_add_f32_e32 v117, v101, v115
	v_pk_add_f32 v[102:103], v[112:113], v[102:103] neg_lo:[0,1] neg_hi:[0,1]
	v_pk_add_f32 v[118:119], v[112:113], v[116:117]
	v_mov_b32_e32 v115, v112
	v_mov_b32_e32 v103, v119
	v_pk_add_f32 v[128:129], v[114:115], v[102:103] neg_lo:[0,1] neg_hi:[0,1]
	v_pk_add_f32 v[102:103], v[114:115], v[102:103]
	v_mov_b32_e32 v116, v117
	v_mov_b32_e32 v114, v103
	v_pk_add_f32 v[130:131], v[114:115], v[112:113] neg_lo:[0,1] neg_hi:[0,1]
	v_mov_b32_e32 v102, v119
	v_mov_b32_e32 v101, v130
	v_pk_add_f32 v[132:133], v[118:119], v[100:101] neg_lo:[0,1] neg_hi:[0,1]
	v_mov_b32_e32 v118, v113
	v_mov_b32_e32 v119, v130
	;; [unrolled: 1-line block ×3, first 2 shown]
	v_pk_add_f32 v[102:103], v[102:103], v[118:119] neg_lo:[0,1] neg_hi:[0,1]
	v_mov_b32_e32 v117, v112
	v_pk_add_f32 v[102:103], v[116:117], v[102:103] neg_lo:[0,1] neg_hi:[0,1]
	v_mov_b32_e32 v132, v128
	v_pk_add_f32 v[112:113], v[132:133], v[102:103]
	v_cmp_eq_f32_e64 s[52:53], s60, v134
	v_mov_b32_e32 v116, v113
	v_pk_add_f32 v[116:117], v[112:113], v[116:117]
	s_mov_b32 s60, 0x33800000
	v_pk_add_f32 v[114:115], v[114:115], v[116:117]
	v_mov_b32_e32 v103, v116
	v_mov_b32_e32 v113, v114
	v_pk_add_f32 v[118:119], v[112:113], v[128:129] neg_lo:[0,1] neg_hi:[0,1]
	v_cmp_lt_f32_e64 s[60:61], |v134|, s60
	v_sub_f32_e32 v101, v112, v118
	v_pk_add_f32 v[102:103], v[102:103], v[118:119] neg_lo:[0,1] neg_hi:[0,1]
	v_sub_f32_e32 v101, v128, v101
	v_add_f32_e32 v101, v102, v101
	v_add_f32_e32 v101, v101, v103
	;; [unrolled: 1-line block ×3, first 2 shown]
	s_or_b64 s[52:53], s[52:53], s[60:61]
	v_cndmask_b32_e64 v101, v101, v134, s[52:53]
	v_add_f32_e32 v101, v100, v101
.LBB451_329:
	s_or_b64 exec, exec, s[54:55]
	v_bfe_u32 v100, v101, 16, 1
	s_movk_i32 s52, 0x7fff
	v_add3_u32 v100, v101, v100, s52
	v_lshrrev_b32_e32 v100, 16, v100
	v_mov_b32_e32 v102, 0x7fc0
	v_cmp_o_f32_e64 s[52:53], v101, v101
	s_nop 1
	v_cndmask_b32_e64 v101, v102, v100, s[52:53]
	v_and_b32_e32 v102, 0xffff, v101
.LBB451_330:
	s_or_b64 exec, exec, s[56:57]
	v_and_b32_e32 v103, 16, v99
	v_mov_b32_dpp v100, v102 row_bcast:15 row_mask:0xf bank_mask:0xf
	v_cmp_ne_u32_e64 s[52:53], 0, v103
	s_and_saveexec_b64 s[56:57], s[52:53]
	s_cbranch_execz .LBB451_334
; %bb.331:
	v_lshlrev_b32_e32 v101, 16, v100
	v_lshlrev_b32_e32 v100, 16, v102
	v_max_f32_e32 v103, v100, v100
	v_max_f32_e32 v112, v101, v101
	v_min_f32_e32 v102, v112, v103
	v_cmp_u_f32_e64 s[52:53], v101, v101
	v_max_f32_e32 v103, v112, v103
	v_cmp_u_f32_e64 s[54:55], v100, v100
	v_cndmask_b32_e64 v102, v102, v101, s[52:53]
	v_cndmask_b32_e64 v103, v103, v101, s[52:53]
	;; [unrolled: 1-line block ×4, first 2 shown]
	s_movk_i32 s54, 0x1f8
	v_cmp_neq_f32_e64 s[52:53], v102, v100
	v_cmp_class_f32_e64 s[54:55], v102, s54
	s_or_b64 s[52:53], s[52:53], s[54:55]
	s_and_saveexec_b64 s[54:55], s[52:53]
	s_cbranch_execz .LBB451_333
; %bb.332:
	v_sub_f32_e32 v101, v102, v100
	s_mov_b32 s52, 0x3fb8aa3b
	v_mul_f32_e32 v102, 0x3fb8aa3b, v101
	v_fma_f32 v103, v101, s52, -v102
	v_rndne_f32_e32 v112, v102
	v_fmamk_f32 v103, v101, 0x32a5705f, v103
	v_sub_f32_e32 v102, v102, v112
	v_add_f32_e32 v102, v102, v103
	v_exp_f32_e32 v102, v102
	v_cvt_i32_f32_e32 v103, v112
	s_mov_b32 s52, 0xc2ce8ed0
	v_cmp_ngt_f32_e64 s[52:53], s52, v101
	s_mov_b32 s60, 0x7f800000
	v_ldexp_f32 v102, v102, v103
	v_cndmask_b32_e64 v102, 0, v102, s[52:53]
	s_mov_b32 s52, 0x42b17218
	v_mov_b32_e32 v103, 0x7f800000
	v_cmp_nlt_f32_e64 s[52:53], s52, v101
	s_nop 1
	v_cndmask_b32_e64 v134, v103, v102, s[52:53]
	v_add_f32_e32 v101, 1.0, v134
	v_add_f32_e32 v102, -1.0, v101
	v_sub_f32_e32 v103, v102, v101
	v_add_f32_e32 v103, 1.0, v103
	v_sub_f32_e32 v102, v134, v102
	v_add_f32_e32 v112, v102, v103
	v_frexp_mant_f32_e32 v113, v101
	s_mov_b32 s52, 0x3f2aaaab
	v_cvt_f64_f32_e32 v[102:103], v101
	v_frexp_exp_i32_f64_e32 v102, v[102:103]
	v_cmp_gt_f32_e64 s[52:53], s52, v113
	s_nop 1
	v_subbrev_co_u32_e64 v118, s[52:53], 0, v102, s[52:53]
	v_sub_u32_e32 v102, 0, v118
	v_ldexp_f32 v101, v101, v102
	v_ldexp_f32 v102, v112, v102
	v_add_f32_e32 v112, -1.0, v101
	v_add_f32_e32 v103, 1.0, v112
	v_sub_f32_e32 v103, v101, v103
	v_add_f32_e32 v113, v102, v103
	v_add_f32_e32 v103, 1.0, v101
	v_add_f32_e32 v114, -1.0, v103
	v_sub_f32_e32 v101, v101, v114
	v_add_f32_e32 v101, v102, v101
	v_add_f32_e32 v119, v103, v101
	v_rcp_f32_e32 v128, v119
	v_sub_f32_e32 v102, v103, v119
	v_add_f32_e32 v103, v112, v113
	v_add_f32_e32 v101, v101, v102
	v_mul_f32_e32 v130, v103, v128
	v_sub_f32_e32 v102, v112, v103
	v_mul_f32_e32 v112, v119, v130
	v_fma_f32 v114, v130, v119, -v112
	v_fmac_f32_e32 v114, v130, v101
	v_add_f32_e32 v129, v113, v102
	v_add_f32_e32 v102, v112, v114
	v_sub_f32_e32 v113, v103, v102
	v_pk_add_f32 v[116:117], v[102:103], v[112:113] neg_lo:[0,1] neg_hi:[0,1]
	v_mov_b32_e32 v115, v102
	v_pk_add_f32 v[102:103], v[116:117], v[114:115] neg_lo:[0,1] neg_hi:[0,1]
	s_mov_b32 s52, 0x3f317218
	v_add_f32_e32 v103, v129, v103
	v_add_f32_e32 v102, v102, v103
	;; [unrolled: 1-line block ×3, first 2 shown]
	v_mul_f32_e32 v129, v128, v103
	v_mul_f32_e32 v112, v119, v129
	v_fma_f32 v114, v129, v119, -v112
	v_fmac_f32_e32 v114, v129, v101
	v_sub_f32_e32 v101, v113, v103
	v_add_f32_e32 v101, v102, v101
	v_add_f32_e32 v102, v112, v114
	v_sub_f32_e32 v113, v103, v102
	v_pk_add_f32 v[116:117], v[102:103], v[112:113] neg_lo:[0,1] neg_hi:[0,1]
	v_mov_b32_e32 v115, v102
	v_pk_add_f32 v[102:103], v[116:117], v[114:115] neg_lo:[0,1] neg_hi:[0,1]
	v_cvt_f32_i32_e32 v112, v118
	v_add_f32_e32 v101, v101, v103
	v_add_f32_e32 v101, v102, v101
	v_add_f32_e32 v102, v130, v129
	v_add_f32_e32 v101, v113, v101
	v_sub_f32_e32 v103, v102, v130
	v_mul_f32_e32 v101, v128, v101
	v_sub_f32_e32 v103, v129, v103
	v_add_f32_e32 v101, v103, v101
	v_add_f32_e32 v113, v102, v101
	v_mul_f32_e32 v114, v113, v113
	v_mov_b32_e32 v103, 0x3ecc95a3
	v_fmac_f32_e32 v103, 0x3e9b6dac, v114
	v_sub_f32_e32 v102, v113, v102
	v_fmaak_f32 v103, v114, v103, 0x3f2aaada
	v_sub_f32_e32 v101, v101, v102
	v_ldexp_f32 v115, v113, 1
	v_mul_f32_e32 v113, v113, v114
	v_mov_b32_e32 v102, 0x3f317218
	v_pk_mul_f32 v[102:103], v[112:113], v[102:103]
	v_ldexp_f32 v101, v101, 1
	v_fma_f32 v113, v112, s52, -v102
	v_fmamk_f32 v114, v112, 0xb102e308, v113
	v_pk_add_f32 v[112:113], v[102:103], v[114:115]
	v_mov_b32_e32 v116, v102
	v_sub_f32_e32 v115, v113, v115
	v_sub_f32_e32 v115, v103, v115
	v_add_f32_e32 v117, v101, v115
	v_pk_add_f32 v[102:103], v[112:113], v[102:103] neg_lo:[0,1] neg_hi:[0,1]
	v_pk_add_f32 v[118:119], v[112:113], v[116:117]
	v_mov_b32_e32 v115, v112
	v_mov_b32_e32 v103, v119
	v_pk_add_f32 v[128:129], v[114:115], v[102:103] neg_lo:[0,1] neg_hi:[0,1]
	v_pk_add_f32 v[102:103], v[114:115], v[102:103]
	v_mov_b32_e32 v116, v117
	v_mov_b32_e32 v114, v103
	v_pk_add_f32 v[130:131], v[114:115], v[112:113] neg_lo:[0,1] neg_hi:[0,1]
	v_mov_b32_e32 v102, v119
	v_mov_b32_e32 v101, v130
	v_pk_add_f32 v[132:133], v[118:119], v[100:101] neg_lo:[0,1] neg_hi:[0,1]
	v_mov_b32_e32 v118, v113
	v_mov_b32_e32 v119, v130
	v_mov_b32_e32 v129, v103
	v_pk_add_f32 v[102:103], v[102:103], v[118:119] neg_lo:[0,1] neg_hi:[0,1]
	v_mov_b32_e32 v117, v112
	v_pk_add_f32 v[102:103], v[116:117], v[102:103] neg_lo:[0,1] neg_hi:[0,1]
	v_mov_b32_e32 v132, v128
	v_pk_add_f32 v[112:113], v[132:133], v[102:103]
	v_cmp_eq_f32_e64 s[52:53], s60, v134
	v_mov_b32_e32 v116, v113
	v_pk_add_f32 v[116:117], v[112:113], v[116:117]
	s_mov_b32 s60, 0x33800000
	v_pk_add_f32 v[114:115], v[114:115], v[116:117]
	v_mov_b32_e32 v103, v116
	v_mov_b32_e32 v113, v114
	v_pk_add_f32 v[118:119], v[112:113], v[128:129] neg_lo:[0,1] neg_hi:[0,1]
	v_cmp_lt_f32_e64 s[60:61], |v134|, s60
	v_sub_f32_e32 v101, v112, v118
	v_pk_add_f32 v[102:103], v[102:103], v[118:119] neg_lo:[0,1] neg_hi:[0,1]
	v_sub_f32_e32 v101, v128, v101
	v_add_f32_e32 v101, v102, v101
	v_add_f32_e32 v101, v101, v103
	;; [unrolled: 1-line block ×3, first 2 shown]
	s_or_b64 s[52:53], s[52:53], s[60:61]
	v_cndmask_b32_e64 v101, v101, v134, s[52:53]
	v_add_f32_e32 v101, v100, v101
.LBB451_333:
	s_or_b64 exec, exec, s[54:55]
	v_bfe_u32 v100, v101, 16, 1
	s_movk_i32 s52, 0x7fff
	v_add3_u32 v100, v101, v100, s52
	v_lshrrev_b32_e32 v100, 16, v100
	v_mov_b32_e32 v102, 0x7fc0
	v_cmp_o_f32_e64 s[52:53], v101, v101
	s_nop 1
	v_cndmask_b32_e64 v101, v102, v100, s[52:53]
	v_and_b32_e32 v102, 0xffff, v101
.LBB451_334:
	s_or_b64 exec, exec, s[56:57]
	s_nop 0
	v_mov_b32_dpp v100, v102 row_bcast:31 row_mask:0xf bank_mask:0xf
	v_cmp_lt_u32_e64 s[52:53], 31, v99
	s_and_saveexec_b64 s[56:57], s[52:53]
	s_cbranch_execz .LBB451_338
; %bb.335:
	v_lshlrev_b32_e32 v101, 16, v100
	v_lshlrev_b32_e32 v100, 16, v102
	v_max_f32_e32 v103, v100, v100
	v_max_f32_e32 v112, v101, v101
	v_min_f32_e32 v102, v112, v103
	v_cmp_u_f32_e64 s[52:53], v101, v101
	v_max_f32_e32 v103, v112, v103
	v_cmp_u_f32_e64 s[54:55], v100, v100
	v_cndmask_b32_e64 v102, v102, v101, s[52:53]
	v_cndmask_b32_e64 v103, v103, v101, s[52:53]
	;; [unrolled: 1-line block ×4, first 2 shown]
	s_movk_i32 s54, 0x1f8
	v_cmp_neq_f32_e64 s[52:53], v102, v100
	v_cmp_class_f32_e64 s[54:55], v102, s54
	s_or_b64 s[52:53], s[52:53], s[54:55]
	s_and_saveexec_b64 s[54:55], s[52:53]
	s_cbranch_execz .LBB451_337
; %bb.336:
	v_sub_f32_e32 v101, v102, v100
	s_mov_b32 s52, 0x3fb8aa3b
	v_mul_f32_e32 v102, 0x3fb8aa3b, v101
	v_fma_f32 v103, v101, s52, -v102
	v_rndne_f32_e32 v112, v102
	v_fmamk_f32 v103, v101, 0x32a5705f, v103
	v_sub_f32_e32 v102, v102, v112
	v_add_f32_e32 v102, v102, v103
	v_exp_f32_e32 v102, v102
	v_cvt_i32_f32_e32 v103, v112
	s_mov_b32 s52, 0xc2ce8ed0
	v_cmp_ngt_f32_e64 s[52:53], s52, v101
	s_mov_b32 s60, 0x7f800000
	v_ldexp_f32 v102, v102, v103
	v_cndmask_b32_e64 v102, 0, v102, s[52:53]
	s_mov_b32 s52, 0x42b17218
	v_mov_b32_e32 v103, 0x7f800000
	v_cmp_nlt_f32_e64 s[52:53], s52, v101
	s_nop 1
	v_cndmask_b32_e64 v134, v103, v102, s[52:53]
	v_add_f32_e32 v101, 1.0, v134
	v_add_f32_e32 v102, -1.0, v101
	v_sub_f32_e32 v103, v102, v101
	v_add_f32_e32 v103, 1.0, v103
	v_sub_f32_e32 v102, v134, v102
	v_add_f32_e32 v112, v102, v103
	v_frexp_mant_f32_e32 v113, v101
	s_mov_b32 s52, 0x3f2aaaab
	v_cvt_f64_f32_e32 v[102:103], v101
	v_frexp_exp_i32_f64_e32 v102, v[102:103]
	v_cmp_gt_f32_e64 s[52:53], s52, v113
	s_nop 1
	v_subbrev_co_u32_e64 v118, s[52:53], 0, v102, s[52:53]
	v_sub_u32_e32 v102, 0, v118
	v_ldexp_f32 v101, v101, v102
	v_ldexp_f32 v102, v112, v102
	v_add_f32_e32 v112, -1.0, v101
	v_add_f32_e32 v103, 1.0, v112
	v_sub_f32_e32 v103, v101, v103
	v_add_f32_e32 v113, v102, v103
	v_add_f32_e32 v103, 1.0, v101
	v_add_f32_e32 v114, -1.0, v103
	v_sub_f32_e32 v101, v101, v114
	v_add_f32_e32 v101, v102, v101
	v_add_f32_e32 v119, v103, v101
	v_rcp_f32_e32 v128, v119
	v_sub_f32_e32 v102, v103, v119
	v_add_f32_e32 v103, v112, v113
	v_add_f32_e32 v101, v101, v102
	v_mul_f32_e32 v130, v103, v128
	v_sub_f32_e32 v102, v112, v103
	v_mul_f32_e32 v112, v119, v130
	v_fma_f32 v114, v130, v119, -v112
	v_fmac_f32_e32 v114, v130, v101
	v_add_f32_e32 v129, v113, v102
	v_add_f32_e32 v102, v112, v114
	v_sub_f32_e32 v113, v103, v102
	v_pk_add_f32 v[116:117], v[102:103], v[112:113] neg_lo:[0,1] neg_hi:[0,1]
	v_mov_b32_e32 v115, v102
	v_pk_add_f32 v[102:103], v[116:117], v[114:115] neg_lo:[0,1] neg_hi:[0,1]
	s_mov_b32 s52, 0x3f317218
	v_add_f32_e32 v103, v129, v103
	v_add_f32_e32 v102, v102, v103
	;; [unrolled: 1-line block ×3, first 2 shown]
	v_mul_f32_e32 v129, v128, v103
	v_mul_f32_e32 v112, v119, v129
	v_fma_f32 v114, v129, v119, -v112
	v_fmac_f32_e32 v114, v129, v101
	v_sub_f32_e32 v101, v113, v103
	v_add_f32_e32 v101, v102, v101
	v_add_f32_e32 v102, v112, v114
	v_sub_f32_e32 v113, v103, v102
	v_pk_add_f32 v[116:117], v[102:103], v[112:113] neg_lo:[0,1] neg_hi:[0,1]
	v_mov_b32_e32 v115, v102
	v_pk_add_f32 v[102:103], v[116:117], v[114:115] neg_lo:[0,1] neg_hi:[0,1]
	v_cvt_f32_i32_e32 v112, v118
	v_add_f32_e32 v101, v101, v103
	v_add_f32_e32 v101, v102, v101
	;; [unrolled: 1-line block ×4, first 2 shown]
	v_sub_f32_e32 v103, v102, v130
	v_mul_f32_e32 v101, v128, v101
	v_sub_f32_e32 v103, v129, v103
	v_add_f32_e32 v101, v103, v101
	v_add_f32_e32 v113, v102, v101
	v_mul_f32_e32 v114, v113, v113
	v_mov_b32_e32 v103, 0x3ecc95a3
	v_fmac_f32_e32 v103, 0x3e9b6dac, v114
	v_sub_f32_e32 v102, v113, v102
	v_fmaak_f32 v103, v114, v103, 0x3f2aaada
	v_sub_f32_e32 v101, v101, v102
	v_ldexp_f32 v115, v113, 1
	v_mul_f32_e32 v113, v113, v114
	v_mov_b32_e32 v102, 0x3f317218
	v_pk_mul_f32 v[102:103], v[112:113], v[102:103]
	v_ldexp_f32 v101, v101, 1
	v_fma_f32 v113, v112, s52, -v102
	v_fmamk_f32 v114, v112, 0xb102e308, v113
	v_pk_add_f32 v[112:113], v[102:103], v[114:115]
	v_mov_b32_e32 v116, v102
	v_sub_f32_e32 v115, v113, v115
	v_sub_f32_e32 v115, v103, v115
	v_add_f32_e32 v117, v101, v115
	v_pk_add_f32 v[102:103], v[112:113], v[102:103] neg_lo:[0,1] neg_hi:[0,1]
	v_pk_add_f32 v[118:119], v[112:113], v[116:117]
	v_mov_b32_e32 v115, v112
	v_mov_b32_e32 v103, v119
	v_pk_add_f32 v[128:129], v[114:115], v[102:103] neg_lo:[0,1] neg_hi:[0,1]
	v_pk_add_f32 v[102:103], v[114:115], v[102:103]
	v_mov_b32_e32 v116, v117
	v_mov_b32_e32 v114, v103
	v_pk_add_f32 v[130:131], v[114:115], v[112:113] neg_lo:[0,1] neg_hi:[0,1]
	v_mov_b32_e32 v102, v119
	v_mov_b32_e32 v101, v130
	v_pk_add_f32 v[132:133], v[118:119], v[100:101] neg_lo:[0,1] neg_hi:[0,1]
	v_mov_b32_e32 v118, v113
	v_mov_b32_e32 v119, v130
	;; [unrolled: 1-line block ×3, first 2 shown]
	v_pk_add_f32 v[102:103], v[102:103], v[118:119] neg_lo:[0,1] neg_hi:[0,1]
	v_mov_b32_e32 v117, v112
	v_pk_add_f32 v[102:103], v[116:117], v[102:103] neg_lo:[0,1] neg_hi:[0,1]
	v_mov_b32_e32 v132, v128
	v_pk_add_f32 v[112:113], v[132:133], v[102:103]
	v_cmp_eq_f32_e64 s[52:53], s60, v134
	v_mov_b32_e32 v116, v113
	v_pk_add_f32 v[116:117], v[112:113], v[116:117]
	s_mov_b32 s60, 0x33800000
	v_pk_add_f32 v[114:115], v[114:115], v[116:117]
	v_mov_b32_e32 v103, v116
	v_mov_b32_e32 v113, v114
	v_pk_add_f32 v[118:119], v[112:113], v[128:129] neg_lo:[0,1] neg_hi:[0,1]
	v_cmp_lt_f32_e64 s[60:61], |v134|, s60
	v_sub_f32_e32 v101, v112, v118
	v_pk_add_f32 v[102:103], v[102:103], v[118:119] neg_lo:[0,1] neg_hi:[0,1]
	v_sub_f32_e32 v101, v128, v101
	v_add_f32_e32 v101, v102, v101
	v_add_f32_e32 v101, v101, v103
	;; [unrolled: 1-line block ×3, first 2 shown]
	s_or_b64 s[52:53], s[52:53], s[60:61]
	v_cndmask_b32_e64 v101, v101, v134, s[52:53]
	v_add_f32_e32 v101, v100, v101
.LBB451_337:
	s_or_b64 exec, exec, s[54:55]
	v_bfe_u32 v100, v101, 16, 1
	s_movk_i32 s52, 0x7fff
	v_add3_u32 v100, v101, v100, s52
	v_lshrrev_b32_e32 v100, 16, v100
	v_mov_b32_e32 v102, 0x7fc0
	v_cmp_o_f32_e64 s[52:53], v101, v101
	s_nop 1
	v_cndmask_b32_e64 v101, v102, v100, s[52:53]
.LBB451_338:
	s_or_b64 exec, exec, s[56:57]
	v_and_b32_e32 v102, 0x3c0, v0
	v_min_u32_e32 v102, 0xc0, v102
	v_or_b32_e32 v102, 63, v102
	v_lshrrev_b32_e32 v100, 6, v0
	v_cmp_eq_u32_e64 s[52:53], v102, v0
	s_and_saveexec_b64 s[54:55], s[52:53]
	s_cbranch_execz .LBB451_340
; %bb.339:
	v_lshlrev_b32_e32 v102, 1, v100
	ds_write_b16 v102, v101
.LBB451_340:
	s_or_b64 exec, exec, s[54:55]
	v_cmp_gt_u32_e64 s[52:53], 4, v0
	s_waitcnt lgkmcnt(0)
	s_barrier
	s_and_saveexec_b64 s[56:57], s[52:53]
	s_cbranch_execz .LBB451_350
; %bb.341:
	ds_read_u16 v103, v10
	v_and_b32_e32 v102, 3, v99
	v_cmp_ne_u32_e64 s[52:53], 0, v102
	s_waitcnt lgkmcnt(0)
	v_and_b32_e32 v113, 0xffff, v103
	s_nop 1
	v_mov_b32_dpp v112, v113 row_shr:1 row_mask:0xf bank_mask:0xf
	s_and_saveexec_b64 s[60:61], s[52:53]
	s_cbranch_execz .LBB451_345
; %bb.342:
	v_lshlrev_b32_e32 v112, 16, v112
	v_lshlrev_b32_e32 v103, 16, v113
	v_max_f32_e32 v114, v103, v103
	v_max_f32_e32 v115, v112, v112
	v_min_f32_e32 v113, v115, v114
	v_cmp_u_f32_e64 s[52:53], v112, v112
	v_max_f32_e32 v114, v115, v114
	v_cmp_u_f32_e64 s[54:55], v103, v103
	v_cndmask_b32_e64 v113, v113, v112, s[52:53]
	v_cndmask_b32_e64 v114, v114, v112, s[52:53]
	;; [unrolled: 1-line block ×4, first 2 shown]
	s_movk_i32 s54, 0x1f8
	v_cmp_neq_f32_e64 s[52:53], v113, v103
	v_cmp_class_f32_e64 s[54:55], v113, s54
	s_or_b64 s[52:53], s[52:53], s[54:55]
	s_and_saveexec_b64 s[54:55], s[52:53]
	s_cbranch_execz .LBB451_344
; %bb.343:
	v_sub_f32_e32 v112, v113, v103
	s_mov_b32 s52, 0x3fb8aa3b
	v_mul_f32_e32 v113, 0x3fb8aa3b, v112
	v_fma_f32 v114, v112, s52, -v113
	v_rndne_f32_e32 v115, v113
	v_fmamk_f32 v114, v112, 0x32a5705f, v114
	v_sub_f32_e32 v113, v113, v115
	v_add_f32_e32 v113, v113, v114
	v_exp_f32_e32 v113, v113
	v_cvt_i32_f32_e32 v114, v115
	s_mov_b32 s52, 0xc2ce8ed0
	v_cmp_ngt_f32_e64 s[52:53], s52, v112
	s_mov_b32 s62, 0x7f800000
	v_ldexp_f32 v113, v113, v114
	v_cndmask_b32_e64 v113, 0, v113, s[52:53]
	s_mov_b32 s52, 0x42b17218
	v_mov_b32_e32 v114, 0x7f800000
	v_cmp_nlt_f32_e64 s[52:53], s52, v112
	s_nop 1
	v_cndmask_b32_e64 v144, v114, v113, s[52:53]
	v_add_f32_e32 v114, 1.0, v144
	v_add_f32_e32 v112, -1.0, v114
	v_sub_f32_e32 v113, v112, v114
	v_add_f32_e32 v113, 1.0, v113
	v_sub_f32_e32 v112, v144, v112
	v_add_f32_e32 v115, v112, v113
	v_frexp_mant_f32_e32 v116, v114
	s_mov_b32 s52, 0x3f2aaaab
	v_cvt_f64_f32_e32 v[112:113], v114
	v_frexp_exp_i32_f64_e32 v112, v[112:113]
	v_cmp_gt_f32_e64 s[52:53], s52, v116
	s_nop 1
	v_subbrev_co_u32_e64 v128, s[52:53], 0, v112, s[52:53]
	v_sub_u32_e32 v112, 0, v128
	v_ldexp_f32 v113, v114, v112
	v_add_f32_e32 v114, -1.0, v113
	v_add_f32_e32 v116, 1.0, v113
	v_ldexp_f32 v112, v115, v112
	v_add_f32_e32 v115, 1.0, v114
	v_add_f32_e32 v117, -1.0, v116
	v_sub_f32_e32 v115, v113, v115
	v_sub_f32_e32 v113, v113, v117
	v_add_f32_e32 v115, v112, v115
	v_add_f32_e32 v112, v112, v113
	;; [unrolled: 1-line block ×3, first 2 shown]
	v_rcp_f32_e32 v131, v129
	v_sub_f32_e32 v113, v116, v129
	v_add_f32_e32 v130, v112, v113
	v_add_f32_e32 v113, v114, v115
	v_mul_f32_e32 v133, v113, v131
	v_sub_f32_e32 v112, v114, v113
	v_mul_f32_e32 v114, v129, v133
	v_fma_f32 v116, v133, v129, -v114
	v_fmac_f32_e32 v116, v133, v130
	v_add_f32_e32 v132, v115, v112
	v_add_f32_e32 v112, v114, v116
	v_sub_f32_e32 v115, v113, v112
	v_pk_add_f32 v[118:119], v[112:113], v[114:115] neg_lo:[0,1] neg_hi:[0,1]
	v_mov_b32_e32 v117, v112
	v_pk_add_f32 v[112:113], v[118:119], v[116:117] neg_lo:[0,1] neg_hi:[0,1]
	s_mov_b32 s52, 0x3f317218
	v_add_f32_e32 v113, v132, v113
	v_add_f32_e32 v112, v112, v113
	;; [unrolled: 1-line block ×3, first 2 shown]
	v_mul_f32_e32 v132, v131, v113
	v_mul_f32_e32 v114, v129, v132
	v_fma_f32 v116, v132, v129, -v114
	v_fmac_f32_e32 v116, v132, v130
	v_sub_f32_e32 v115, v115, v113
	v_add_f32_e32 v129, v112, v115
	v_add_f32_e32 v112, v114, v116
	v_sub_f32_e32 v115, v113, v112
	v_pk_add_f32 v[118:119], v[112:113], v[114:115] neg_lo:[0,1] neg_hi:[0,1]
	v_mov_b32_e32 v117, v112
	v_pk_add_f32 v[112:113], v[118:119], v[116:117] neg_lo:[0,1] neg_hi:[0,1]
	v_cvt_f32_i32_e32 v114, v128
	v_add_f32_e32 v113, v129, v113
	v_add_f32_e32 v112, v112, v113
	;; [unrolled: 1-line block ×4, first 2 shown]
	v_sub_f32_e32 v113, v115, v133
	v_mul_f32_e32 v112, v131, v112
	v_sub_f32_e32 v113, v132, v113
	v_add_f32_e32 v112, v113, v112
	v_add_f32_e32 v116, v115, v112
	v_mul_f32_e32 v118, v116, v116
	v_mov_b32_e32 v113, 0x3ecc95a3
	v_sub_f32_e32 v115, v116, v115
	v_fmac_f32_e32 v113, 0x3e9b6dac, v118
	v_sub_f32_e32 v112, v112, v115
	v_fmaak_f32 v113, v118, v113, 0x3f2aaada
	v_ldexp_f32 v119, v112, 1
	v_mul_f32_e32 v115, v116, v118
	v_mov_b32_e32 v112, 0x3f317218
	v_pk_mul_f32 v[112:113], v[114:115], v[112:113]
	v_ldexp_f32 v117, v116, 1
	v_fma_f32 v115, v114, s52, -v112
	v_fmamk_f32 v116, v114, 0xb102e308, v115
	v_pk_add_f32 v[114:115], v[112:113], v[116:117]
	v_mov_b32_e32 v118, v112
	v_sub_f32_e32 v117, v115, v117
	v_sub_f32_e32 v117, v113, v117
	v_add_f32_e32 v119, v119, v117
	v_pk_add_f32 v[112:113], v[114:115], v[112:113] neg_lo:[0,1] neg_hi:[0,1]
	v_pk_add_f32 v[128:129], v[114:115], v[118:119]
	v_mov_b32_e32 v117, v114
	v_mov_b32_e32 v113, v129
	v_pk_add_f32 v[130:131], v[116:117], v[112:113] neg_lo:[0,1] neg_hi:[0,1]
	v_pk_add_f32 v[112:113], v[116:117], v[112:113]
	v_mov_b32_e32 v118, v119
	v_mov_b32_e32 v116, v113
	v_pk_add_f32 v[132:133], v[116:117], v[114:115] neg_lo:[0,1] neg_hi:[0,1]
	v_mov_b32_e32 v112, v129
	v_mov_b32_e32 v117, v132
	v_pk_add_f32 v[134:135], v[128:129], v[116:117] neg_lo:[0,1] neg_hi:[0,1]
	v_mov_b32_e32 v128, v115
	v_mov_b32_e32 v129, v132
	;; [unrolled: 1-line block ×3, first 2 shown]
	v_pk_add_f32 v[112:113], v[112:113], v[128:129] neg_lo:[0,1] neg_hi:[0,1]
	v_mov_b32_e32 v119, v114
	v_pk_add_f32 v[112:113], v[118:119], v[112:113] neg_lo:[0,1] neg_hi:[0,1]
	v_mov_b32_e32 v134, v130
	v_pk_add_f32 v[114:115], v[134:135], v[112:113]
	v_cmp_eq_f32_e64 s[52:53], s62, v144
	v_mov_b32_e32 v118, v115
	v_pk_add_f32 v[118:119], v[114:115], v[118:119]
	s_mov_b32 s62, 0x33800000
	v_pk_add_f32 v[116:117], v[116:117], v[118:119]
	v_mov_b32_e32 v113, v118
	v_mov_b32_e32 v115, v116
	v_pk_add_f32 v[128:129], v[114:115], v[130:131] neg_lo:[0,1] neg_hi:[0,1]
	v_cmp_lt_f32_e64 s[62:63], |v144|, s62
	v_sub_f32_e32 v114, v114, v128
	v_pk_add_f32 v[112:113], v[112:113], v[128:129] neg_lo:[0,1] neg_hi:[0,1]
	v_sub_f32_e32 v114, v130, v114
	v_add_f32_e32 v112, v112, v114
	v_add_f32_e32 v112, v112, v113
	;; [unrolled: 1-line block ×3, first 2 shown]
	s_or_b64 s[52:53], s[52:53], s[62:63]
	v_cndmask_b32_e64 v112, v112, v144, s[52:53]
	v_add_f32_e32 v112, v103, v112
.LBB451_344:
	s_or_b64 exec, exec, s[54:55]
	v_bfe_u32 v103, v112, 16, 1
	s_movk_i32 s52, 0x7fff
	v_add3_u32 v103, v112, v103, s52
	v_lshrrev_b32_e32 v103, 16, v103
	v_mov_b32_e32 v113, 0x7fc0
	v_cmp_o_f32_e64 s[52:53], v112, v112
	s_nop 1
	v_cndmask_b32_e64 v103, v113, v103, s[52:53]
	v_and_b32_e32 v113, 0xffff, v103
.LBB451_345:
	s_or_b64 exec, exec, s[60:61]
	s_nop 0
	v_mov_b32_dpp v112, v113 row_shr:2 row_mask:0xf bank_mask:0xf
	v_cmp_lt_u32_e64 s[52:53], 1, v102
	s_and_saveexec_b64 s[60:61], s[52:53]
	s_cbranch_execz .LBB451_349
; %bb.346:
	v_lshlrev_b32_e32 v103, 16, v112
	v_lshlrev_b32_e32 v102, 16, v113
	v_max_f32_e32 v113, v102, v102
	v_max_f32_e32 v114, v103, v103
	v_min_f32_e32 v112, v114, v113
	v_cmp_u_f32_e64 s[52:53], v103, v103
	v_max_f32_e32 v113, v114, v113
	v_cmp_u_f32_e64 s[54:55], v102, v102
	v_cndmask_b32_e64 v112, v112, v103, s[52:53]
	v_cndmask_b32_e64 v113, v113, v103, s[52:53]
	;; [unrolled: 1-line block ×4, first 2 shown]
	s_movk_i32 s54, 0x1f8
	v_cmp_neq_f32_e64 s[52:53], v112, v102
	v_cmp_class_f32_e64 s[54:55], v112, s54
	s_or_b64 s[52:53], s[52:53], s[54:55]
	s_and_saveexec_b64 s[54:55], s[52:53]
	s_cbranch_execz .LBB451_348
; %bb.347:
	v_sub_f32_e32 v103, v112, v102
	s_mov_b32 s52, 0x3fb8aa3b
	v_mul_f32_e32 v112, 0x3fb8aa3b, v103
	v_fma_f32 v113, v103, s52, -v112
	v_rndne_f32_e32 v114, v112
	v_fmamk_f32 v113, v103, 0x32a5705f, v113
	v_sub_f32_e32 v112, v112, v114
	v_add_f32_e32 v112, v112, v113
	v_exp_f32_e32 v112, v112
	v_cvt_i32_f32_e32 v113, v114
	s_mov_b32 s52, 0xc2ce8ed0
	v_cmp_ngt_f32_e64 s[52:53], s52, v103
	s_mov_b32 s62, 0x7f800000
	v_ldexp_f32 v112, v112, v113
	v_cndmask_b32_e64 v112, 0, v112, s[52:53]
	s_mov_b32 s52, 0x42b17218
	v_mov_b32_e32 v113, 0x7f800000
	v_cmp_nlt_f32_e64 s[52:53], s52, v103
	s_nop 1
	v_cndmask_b32_e64 v144, v113, v112, s[52:53]
	v_add_f32_e32 v103, 1.0, v144
	v_add_f32_e32 v112, -1.0, v103
	v_sub_f32_e32 v113, v112, v103
	v_add_f32_e32 v113, 1.0, v113
	v_sub_f32_e32 v112, v144, v112
	v_add_f32_e32 v114, v112, v113
	v_frexp_mant_f32_e32 v115, v103
	s_mov_b32 s52, 0x3f2aaaab
	v_cvt_f64_f32_e32 v[112:113], v103
	v_frexp_exp_i32_f64_e32 v112, v[112:113]
	v_cmp_gt_f32_e64 s[52:53], s52, v115
	s_nop 1
	v_subbrev_co_u32_e64 v128, s[52:53], 0, v112, s[52:53]
	v_sub_u32_e32 v112, 0, v128
	v_ldexp_f32 v103, v103, v112
	v_ldexp_f32 v112, v114, v112
	v_add_f32_e32 v114, -1.0, v103
	v_add_f32_e32 v113, 1.0, v114
	v_sub_f32_e32 v113, v103, v113
	v_add_f32_e32 v115, v112, v113
	v_add_f32_e32 v113, 1.0, v103
	v_add_f32_e32 v116, -1.0, v113
	v_sub_f32_e32 v103, v103, v116
	v_add_f32_e32 v103, v112, v103
	v_add_f32_e32 v129, v113, v103
	v_rcp_f32_e32 v130, v129
	v_sub_f32_e32 v112, v113, v129
	v_add_f32_e32 v113, v114, v115
	v_add_f32_e32 v103, v103, v112
	v_mul_f32_e32 v132, v113, v130
	v_sub_f32_e32 v112, v114, v113
	v_mul_f32_e32 v114, v129, v132
	v_fma_f32 v116, v132, v129, -v114
	v_fmac_f32_e32 v116, v132, v103
	v_add_f32_e32 v131, v115, v112
	v_add_f32_e32 v112, v114, v116
	v_sub_f32_e32 v115, v113, v112
	v_pk_add_f32 v[118:119], v[112:113], v[114:115] neg_lo:[0,1] neg_hi:[0,1]
	v_mov_b32_e32 v117, v112
	v_pk_add_f32 v[112:113], v[118:119], v[116:117] neg_lo:[0,1] neg_hi:[0,1]
	s_mov_b32 s52, 0x3f317218
	v_add_f32_e32 v113, v131, v113
	v_add_f32_e32 v112, v112, v113
	;; [unrolled: 1-line block ×3, first 2 shown]
	v_mul_f32_e32 v131, v130, v113
	v_mul_f32_e32 v114, v129, v131
	v_fma_f32 v116, v131, v129, -v114
	v_fmac_f32_e32 v116, v131, v103
	v_sub_f32_e32 v103, v115, v113
	v_add_f32_e32 v103, v112, v103
	v_add_f32_e32 v112, v114, v116
	v_sub_f32_e32 v115, v113, v112
	v_pk_add_f32 v[118:119], v[112:113], v[114:115] neg_lo:[0,1] neg_hi:[0,1]
	v_mov_b32_e32 v117, v112
	v_pk_add_f32 v[112:113], v[118:119], v[116:117] neg_lo:[0,1] neg_hi:[0,1]
	v_cvt_f32_i32_e32 v114, v128
	v_add_f32_e32 v103, v103, v113
	v_add_f32_e32 v103, v112, v103
	;; [unrolled: 1-line block ×4, first 2 shown]
	v_sub_f32_e32 v113, v112, v132
	v_mul_f32_e32 v103, v130, v103
	v_sub_f32_e32 v113, v131, v113
	v_add_f32_e32 v103, v113, v103
	v_add_f32_e32 v115, v112, v103
	v_mul_f32_e32 v116, v115, v115
	v_mov_b32_e32 v113, 0x3ecc95a3
	v_fmac_f32_e32 v113, 0x3e9b6dac, v116
	v_sub_f32_e32 v112, v115, v112
	v_fmaak_f32 v113, v116, v113, 0x3f2aaada
	v_sub_f32_e32 v103, v103, v112
	v_ldexp_f32 v117, v115, 1
	v_mul_f32_e32 v115, v115, v116
	v_mov_b32_e32 v112, 0x3f317218
	v_pk_mul_f32 v[112:113], v[114:115], v[112:113]
	v_ldexp_f32 v103, v103, 1
	v_fma_f32 v115, v114, s52, -v112
	v_fmamk_f32 v116, v114, 0xb102e308, v115
	v_pk_add_f32 v[114:115], v[112:113], v[116:117]
	v_mov_b32_e32 v118, v112
	v_sub_f32_e32 v117, v115, v117
	v_sub_f32_e32 v117, v113, v117
	v_add_f32_e32 v119, v103, v117
	v_pk_add_f32 v[112:113], v[114:115], v[112:113] neg_lo:[0,1] neg_hi:[0,1]
	v_pk_add_f32 v[128:129], v[114:115], v[118:119]
	v_mov_b32_e32 v117, v114
	v_mov_b32_e32 v113, v129
	v_pk_add_f32 v[130:131], v[116:117], v[112:113] neg_lo:[0,1] neg_hi:[0,1]
	v_pk_add_f32 v[112:113], v[116:117], v[112:113]
	v_mov_b32_e32 v118, v119
	v_mov_b32_e32 v116, v113
	v_pk_add_f32 v[132:133], v[116:117], v[114:115] neg_lo:[0,1] neg_hi:[0,1]
	v_mov_b32_e32 v112, v129
	v_mov_b32_e32 v103, v132
	v_pk_add_f32 v[134:135], v[128:129], v[102:103] neg_lo:[0,1] neg_hi:[0,1]
	v_mov_b32_e32 v128, v115
	v_mov_b32_e32 v129, v132
	;; [unrolled: 1-line block ×3, first 2 shown]
	v_pk_add_f32 v[112:113], v[112:113], v[128:129] neg_lo:[0,1] neg_hi:[0,1]
	v_mov_b32_e32 v119, v114
	v_pk_add_f32 v[112:113], v[118:119], v[112:113] neg_lo:[0,1] neg_hi:[0,1]
	v_mov_b32_e32 v134, v130
	v_pk_add_f32 v[114:115], v[134:135], v[112:113]
	v_cmp_eq_f32_e64 s[52:53], s62, v144
	v_mov_b32_e32 v118, v115
	v_pk_add_f32 v[118:119], v[114:115], v[118:119]
	s_mov_b32 s62, 0x33800000
	v_pk_add_f32 v[116:117], v[116:117], v[118:119]
	v_mov_b32_e32 v113, v118
	v_mov_b32_e32 v115, v116
	v_pk_add_f32 v[128:129], v[114:115], v[130:131] neg_lo:[0,1] neg_hi:[0,1]
	v_cmp_lt_f32_e64 s[62:63], |v144|, s62
	v_sub_f32_e32 v103, v114, v128
	v_pk_add_f32 v[112:113], v[112:113], v[128:129] neg_lo:[0,1] neg_hi:[0,1]
	v_sub_f32_e32 v103, v130, v103
	v_add_f32_e32 v103, v112, v103
	v_add_f32_e32 v103, v103, v113
	;; [unrolled: 1-line block ×3, first 2 shown]
	s_or_b64 s[52:53], s[52:53], s[62:63]
	v_cndmask_b32_e64 v103, v103, v144, s[52:53]
	v_add_f32_e32 v103, v102, v103
.LBB451_348:
	s_or_b64 exec, exec, s[54:55]
	v_bfe_u32 v102, v103, 16, 1
	s_movk_i32 s52, 0x7fff
	v_add3_u32 v102, v103, v102, s52
	v_lshrrev_b32_e32 v102, 16, v102
	v_mov_b32_e32 v112, 0x7fc0
	v_cmp_o_f32_e64 s[52:53], v103, v103
	s_nop 1
	v_cndmask_b32_e64 v103, v112, v102, s[52:53]
.LBB451_349:
	s_or_b64 exec, exec, s[60:61]
	ds_write_b16 v10, v103
.LBB451_350:
	s_or_b64 exec, exec, s[56:57]
	v_cmp_lt_u32_e64 s[52:53], 63, v0
	s_waitcnt lgkmcnt(0)
	s_barrier
	s_waitcnt lgkmcnt(0)
                                        ; implicit-def: $vgpr102
	s_and_saveexec_b64 s[56:57], s[52:53]
	s_cbranch_execz .LBB451_354
; %bb.351:
	v_lshl_add_u32 v100, v100, 1, -2
	ds_read_u16 v102, v100
	v_lshlrev_b32_e32 v100, 16, v101
	v_max_f32_e32 v112, v100, v100
	v_cmp_u_f32_e64 s[54:55], v100, v100
	s_waitcnt lgkmcnt(0)
	v_lshlrev_b32_e32 v101, 16, v102
	v_max_f32_e32 v113, v101, v101
	v_min_f32_e32 v103, v113, v112
	v_cmp_u_f32_e64 s[52:53], v101, v101
	v_max_f32_e32 v112, v113, v112
	s_nop 0
	v_cndmask_b32_e64 v103, v103, v101, s[52:53]
	v_cndmask_b32_e64 v112, v112, v101, s[52:53]
	;; [unrolled: 1-line block ×4, first 2 shown]
	s_movk_i32 s54, 0x1f8
	v_cmp_neq_f32_e64 s[52:53], v103, v100
	v_cmp_class_f32_e64 s[54:55], v103, s54
	s_or_b64 s[52:53], s[52:53], s[54:55]
	s_and_saveexec_b64 s[54:55], s[52:53]
	s_cbranch_execz .LBB451_353
; %bb.352:
	v_sub_f32_e32 v101, v103, v100
	s_mov_b32 s52, 0x3fb8aa3b
	v_mul_f32_e32 v103, 0x3fb8aa3b, v101
	v_fma_f32 v112, v101, s52, -v103
	v_rndne_f32_e32 v113, v103
	v_fmamk_f32 v112, v101, 0x32a5705f, v112
	v_sub_f32_e32 v103, v103, v113
	v_add_f32_e32 v103, v103, v112
	v_exp_f32_e32 v103, v103
	v_cvt_i32_f32_e32 v112, v113
	s_mov_b32 s52, 0xc2ce8ed0
	v_cmp_ngt_f32_e64 s[52:53], s52, v101
	s_mov_b32 s60, 0x7f800000
	v_ldexp_f32 v103, v103, v112
	v_cndmask_b32_e64 v103, 0, v103, s[52:53]
	s_mov_b32 s52, 0x42b17218
	v_mov_b32_e32 v112, 0x7f800000
	v_cmp_nlt_f32_e64 s[52:53], s52, v101
	s_nop 1
	v_cndmask_b32_e64 v103, v112, v103, s[52:53]
	v_add_f32_e32 v101, 1.0, v103
	v_add_f32_e32 v112, -1.0, v101
	v_sub_f32_e32 v113, v112, v101
	v_add_f32_e32 v113, 1.0, v113
	v_sub_f32_e32 v112, v103, v112
	v_add_f32_e32 v114, v112, v113
	v_frexp_mant_f32_e32 v115, v101
	s_mov_b32 s52, 0x3f2aaaab
	v_cvt_f64_f32_e32 v[112:113], v101
	v_frexp_exp_i32_f64_e32 v112, v[112:113]
	v_cmp_gt_f32_e64 s[52:53], s52, v115
	s_nop 1
	v_subbrev_co_u32_e64 v128, s[52:53], 0, v112, s[52:53]
	v_sub_u32_e32 v112, 0, v128
	v_ldexp_f32 v101, v101, v112
	v_ldexp_f32 v112, v114, v112
	v_add_f32_e32 v114, -1.0, v101
	v_add_f32_e32 v113, 1.0, v114
	v_sub_f32_e32 v113, v101, v113
	v_add_f32_e32 v115, v112, v113
	v_add_f32_e32 v113, 1.0, v101
	v_add_f32_e32 v116, -1.0, v113
	v_sub_f32_e32 v101, v101, v116
	v_add_f32_e32 v101, v112, v101
	v_add_f32_e32 v129, v113, v101
	v_rcp_f32_e32 v130, v129
	v_sub_f32_e32 v112, v113, v129
	v_add_f32_e32 v113, v114, v115
	v_add_f32_e32 v101, v101, v112
	v_mul_f32_e32 v132, v113, v130
	v_sub_f32_e32 v112, v114, v113
	v_mul_f32_e32 v114, v129, v132
	v_fma_f32 v116, v132, v129, -v114
	v_fmac_f32_e32 v116, v132, v101
	v_add_f32_e32 v131, v115, v112
	v_add_f32_e32 v112, v114, v116
	v_sub_f32_e32 v115, v113, v112
	v_pk_add_f32 v[118:119], v[112:113], v[114:115] neg_lo:[0,1] neg_hi:[0,1]
	v_mov_b32_e32 v117, v112
	v_pk_add_f32 v[112:113], v[118:119], v[116:117] neg_lo:[0,1] neg_hi:[0,1]
	s_mov_b32 s52, 0x3f317218
	v_add_f32_e32 v113, v131, v113
	v_add_f32_e32 v112, v112, v113
	;; [unrolled: 1-line block ×3, first 2 shown]
	v_mul_f32_e32 v131, v130, v113
	v_mul_f32_e32 v114, v129, v131
	v_fma_f32 v116, v131, v129, -v114
	v_fmac_f32_e32 v116, v131, v101
	v_sub_f32_e32 v101, v115, v113
	v_add_f32_e32 v101, v112, v101
	v_add_f32_e32 v112, v114, v116
	v_sub_f32_e32 v115, v113, v112
	v_pk_add_f32 v[118:119], v[112:113], v[114:115] neg_lo:[0,1] neg_hi:[0,1]
	v_mov_b32_e32 v117, v112
	v_pk_add_f32 v[112:113], v[118:119], v[116:117] neg_lo:[0,1] neg_hi:[0,1]
	v_cvt_f32_i32_e32 v114, v128
	v_add_f32_e32 v101, v101, v113
	v_add_f32_e32 v101, v112, v101
	;; [unrolled: 1-line block ×4, first 2 shown]
	v_sub_f32_e32 v113, v112, v132
	v_mul_f32_e32 v101, v130, v101
	v_sub_f32_e32 v113, v131, v113
	v_add_f32_e32 v101, v113, v101
	v_add_f32_e32 v115, v112, v101
	v_mul_f32_e32 v116, v115, v115
	v_mov_b32_e32 v113, 0x3ecc95a3
	v_fmac_f32_e32 v113, 0x3e9b6dac, v116
	v_sub_f32_e32 v112, v115, v112
	v_fmaak_f32 v113, v116, v113, 0x3f2aaada
	v_sub_f32_e32 v101, v101, v112
	v_ldexp_f32 v117, v115, 1
	v_mul_f32_e32 v115, v115, v116
	v_mov_b32_e32 v112, 0x3f317218
	v_pk_mul_f32 v[112:113], v[114:115], v[112:113]
	v_ldexp_f32 v101, v101, 1
	v_fma_f32 v115, v114, s52, -v112
	v_fmamk_f32 v116, v114, 0xb102e308, v115
	v_pk_add_f32 v[114:115], v[112:113], v[116:117]
	v_mov_b32_e32 v118, v112
	v_sub_f32_e32 v117, v115, v117
	v_sub_f32_e32 v117, v113, v117
	v_add_f32_e32 v119, v101, v117
	v_pk_add_f32 v[112:113], v[114:115], v[112:113] neg_lo:[0,1] neg_hi:[0,1]
	v_pk_add_f32 v[128:129], v[114:115], v[118:119]
	v_mov_b32_e32 v117, v114
	v_mov_b32_e32 v113, v129
	v_pk_add_f32 v[130:131], v[116:117], v[112:113] neg_lo:[0,1] neg_hi:[0,1]
	v_pk_add_f32 v[112:113], v[116:117], v[112:113]
	v_mov_b32_e32 v118, v119
	v_mov_b32_e32 v116, v113
	v_pk_add_f32 v[132:133], v[116:117], v[114:115] neg_lo:[0,1] neg_hi:[0,1]
	v_mov_b32_e32 v112, v129
	v_mov_b32_e32 v101, v132
	v_pk_add_f32 v[134:135], v[128:129], v[100:101] neg_lo:[0,1] neg_hi:[0,1]
	v_mov_b32_e32 v128, v115
	v_mov_b32_e32 v129, v132
	;; [unrolled: 1-line block ×3, first 2 shown]
	v_pk_add_f32 v[112:113], v[112:113], v[128:129] neg_lo:[0,1] neg_hi:[0,1]
	v_mov_b32_e32 v119, v114
	v_pk_add_f32 v[112:113], v[118:119], v[112:113] neg_lo:[0,1] neg_hi:[0,1]
	v_mov_b32_e32 v134, v130
	v_pk_add_f32 v[114:115], v[134:135], v[112:113]
	v_cmp_eq_f32_e64 s[52:53], s60, v103
	v_mov_b32_e32 v118, v115
	v_pk_add_f32 v[118:119], v[114:115], v[118:119]
	s_mov_b32 s60, 0x33800000
	v_pk_add_f32 v[116:117], v[116:117], v[118:119]
	v_mov_b32_e32 v113, v118
	v_mov_b32_e32 v115, v116
	v_pk_add_f32 v[128:129], v[114:115], v[130:131] neg_lo:[0,1] neg_hi:[0,1]
	v_cmp_lt_f32_e64 s[60:61], |v103|, s60
	v_sub_f32_e32 v101, v114, v128
	v_pk_add_f32 v[112:113], v[112:113], v[128:129] neg_lo:[0,1] neg_hi:[0,1]
	v_sub_f32_e32 v101, v130, v101
	v_add_f32_e32 v101, v112, v101
	v_add_f32_e32 v101, v101, v113
	;; [unrolled: 1-line block ×3, first 2 shown]
	s_or_b64 s[52:53], s[52:53], s[60:61]
	v_cndmask_b32_e64 v101, v101, v103, s[52:53]
	v_add_f32_e32 v101, v100, v101
.LBB451_353:
	s_or_b64 exec, exec, s[54:55]
	v_bfe_u32 v100, v101, 16, 1
	s_movk_i32 s52, 0x7fff
	v_add3_u32 v100, v101, v100, s52
	v_lshrrev_b32_e32 v100, 16, v100
	v_mov_b32_e32 v103, 0x7fc0
	v_cmp_o_f32_e64 s[52:53], v101, v101
	s_nop 1
	v_cndmask_b32_e64 v101, v103, v100, s[52:53]
.LBB451_354:
	s_or_b64 exec, exec, s[56:57]
	v_and_b32_e32 v100, 0xffff, v101
	v_add_u32_e32 v101, -1, v99
	v_and_b32_e32 v103, 64, v99
	v_cmp_lt_i32_e64 s[52:53], v101, v103
	s_nop 1
	v_cndmask_b32_e64 v101, v101, v99, s[52:53]
	v_lshlrev_b32_e32 v101, 2, v101
	ds_bpermute_b32 v100, v101, v100
	s_and_saveexec_b64 s[52:53], vcc
	s_cbranch_execz .LBB451_358
; %bb.355:
	v_cmp_eq_u32_e32 vcc, 0, v99
	s_waitcnt lgkmcnt(0)
	s_nop 0
	v_cndmask_b32_e32 v11, v100, v102, vcc
	v_lshlrev_b32_e32 v96, 16, v11
	v_max_f32_e32 v11, v96, v96
	v_min_f32_e32 v98, v11, v97
	v_cmp_u_f32_e32 vcc, v96, v96
	v_max_f32_e32 v11, v11, v97
	s_nop 0
	v_cndmask_b32_e32 v98, v98, v96, vcc
	v_cndmask_b32_e32 v11, v11, v96, vcc
	v_cndmask_b32_e64 v98, v98, v33, s[50:51]
	v_cndmask_b32_e64 v11, v11, v33, s[50:51]
	s_movk_i32 s50, 0x1f8
	v_cmp_neq_f32_e32 vcc, v98, v11
	v_cmp_class_f32_e64 s[50:51], v98, s50
	s_or_b64 vcc, vcc, s[50:51]
	s_and_saveexec_b64 s[50:51], vcc
	s_cbranch_execz .LBB451_357
; %bb.356:
	v_sub_f32_e32 v33, v98, v11
	s_mov_b32 s54, 0x3fb8aa3b
	v_mul_f32_e32 v96, 0x3fb8aa3b, v33
	v_fma_f32 v97, v33, s54, -v96
	v_rndne_f32_e32 v98, v96
	v_fmamk_f32 v97, v33, 0x32a5705f, v97
	v_sub_f32_e32 v96, v96, v98
	v_add_f32_e32 v96, v96, v97
	v_exp_f32_e32 v96, v96
	v_cvt_i32_f32_e32 v97, v98
	s_mov_b32 s54, 0xc2ce8ed0
	v_cmp_ngt_f32_e32 vcc, s54, v33
	s_mov_b32 s54, 0x42b17218
	v_ldexp_f32 v96, v96, v97
	v_cndmask_b32_e32 v96, 0, v96, vcc
	v_mov_b32_e32 v97, 0x7f800000
	v_cmp_nlt_f32_e32 vcc, s54, v33
	s_mov_b32 s54, 0x3f2aaaab
	s_mov_b32 s55, 0x7f800000
	v_cndmask_b32_e32 v128, v97, v96, vcc
	v_add_f32_e32 v33, 1.0, v128
	v_add_f32_e32 v96, -1.0, v33
	v_sub_f32_e32 v97, v96, v33
	v_add_f32_e32 v97, 1.0, v97
	v_sub_f32_e32 v96, v128, v96
	v_add_f32_e32 v98, v96, v97
	v_frexp_mant_f32_e32 v99, v33
	v_cvt_f64_f32_e32 v[96:97], v33
	v_frexp_exp_i32_f64_e32 v96, v[96:97]
	v_cmp_gt_f32_e32 vcc, s54, v99
	s_mov_b32 s54, 0x3f317218
	s_nop 0
	v_subbrev_co_u32_e32 v112, vcc, 0, v96, vcc
	v_sub_u32_e32 v96, 0, v112
	v_ldexp_f32 v33, v33, v96
	v_ldexp_f32 v96, v98, v96
	v_add_f32_e32 v98, -1.0, v33
	v_add_f32_e32 v97, 1.0, v98
	v_sub_f32_e32 v97, v33, v97
	v_add_f32_e32 v99, v96, v97
	v_add_f32_e32 v97, 1.0, v33
	v_add_f32_e32 v100, -1.0, v97
	v_sub_f32_e32 v33, v33, v100
	v_add_f32_e32 v33, v96, v33
	v_add_f32_e32 v113, v97, v33
	v_rcp_f32_e32 v114, v113
	v_sub_f32_e32 v96, v97, v113
	v_add_f32_e32 v97, v98, v99
	v_add_f32_e32 v33, v33, v96
	v_mul_f32_e32 v116, v97, v114
	v_sub_f32_e32 v96, v98, v97
	v_mul_f32_e32 v98, v113, v116
	v_fma_f32 v100, v116, v113, -v98
	v_fmac_f32_e32 v100, v116, v33
	v_add_f32_e32 v115, v99, v96
	v_add_f32_e32 v96, v98, v100
	v_sub_f32_e32 v99, v97, v96
	v_pk_add_f32 v[102:103], v[96:97], v[98:99] neg_lo:[0,1] neg_hi:[0,1]
	v_mov_b32_e32 v101, v96
	v_pk_add_f32 v[96:97], v[102:103], v[100:101] neg_lo:[0,1] neg_hi:[0,1]
	v_cmp_eq_f32_e32 vcc, s55, v128
	v_add_f32_e32 v97, v115, v97
	v_add_f32_e32 v96, v96, v97
	;; [unrolled: 1-line block ×3, first 2 shown]
	v_mul_f32_e32 v115, v114, v97
	v_mul_f32_e32 v98, v113, v115
	v_fma_f32 v100, v115, v113, -v98
	v_fmac_f32_e32 v100, v115, v33
	v_sub_f32_e32 v33, v99, v97
	v_add_f32_e32 v33, v96, v33
	v_add_f32_e32 v96, v98, v100
	v_sub_f32_e32 v99, v97, v96
	v_pk_add_f32 v[102:103], v[96:97], v[98:99] neg_lo:[0,1] neg_hi:[0,1]
	v_mov_b32_e32 v101, v96
	v_pk_add_f32 v[96:97], v[102:103], v[100:101] neg_lo:[0,1] neg_hi:[0,1]
	v_cvt_f32_i32_e32 v98, v112
	v_add_f32_e32 v33, v33, v97
	v_add_f32_e32 v33, v96, v33
	;; [unrolled: 1-line block ×4, first 2 shown]
	v_sub_f32_e32 v97, v96, v116
	v_mul_f32_e32 v33, v114, v33
	v_sub_f32_e32 v97, v115, v97
	v_add_f32_e32 v33, v97, v33
	v_add_f32_e32 v99, v96, v33
	v_mul_f32_e32 v100, v99, v99
	v_mov_b32_e32 v97, 0x3ecc95a3
	v_fmac_f32_e32 v97, 0x3e9b6dac, v100
	v_sub_f32_e32 v96, v99, v96
	v_fmaak_f32 v97, v100, v97, 0x3f2aaada
	v_sub_f32_e32 v33, v33, v96
	v_ldexp_f32 v101, v99, 1
	v_mul_f32_e32 v99, v99, v100
	v_mov_b32_e32 v96, 0x3f317218
	v_pk_mul_f32 v[96:97], v[98:99], v[96:97]
	v_ldexp_f32 v33, v33, 1
	v_fma_f32 v99, v98, s54, -v96
	v_fmamk_f32 v100, v98, 0xb102e308, v99
	v_pk_add_f32 v[98:99], v[96:97], v[100:101]
	v_mov_b32_e32 v102, v96
	v_sub_f32_e32 v101, v99, v101
	v_sub_f32_e32 v101, v97, v101
	v_add_f32_e32 v103, v33, v101
	v_pk_add_f32 v[96:97], v[98:99], v[96:97] neg_lo:[0,1] neg_hi:[0,1]
	v_pk_add_f32 v[112:113], v[98:99], v[102:103]
	v_mov_b32_e32 v101, v98
	v_mov_b32_e32 v97, v113
	v_pk_add_f32 v[114:115], v[100:101], v[96:97] neg_lo:[0,1] neg_hi:[0,1]
	v_pk_add_f32 v[96:97], v[100:101], v[96:97]
	v_mov_b32_e32 v102, v103
	v_mov_b32_e32 v100, v97
	v_pk_add_f32 v[116:117], v[100:101], v[98:99] neg_lo:[0,1] neg_hi:[0,1]
	v_mov_b32_e32 v96, v113
	v_mov_b32_e32 v33, v116
	v_pk_add_f32 v[118:119], v[112:113], v[32:33] neg_lo:[0,1] neg_hi:[0,1]
	v_mov_b32_e32 v112, v99
	v_mov_b32_e32 v113, v116
	v_mov_b32_e32 v115, v97
	v_pk_add_f32 v[96:97], v[96:97], v[112:113] neg_lo:[0,1] neg_hi:[0,1]
	v_mov_b32_e32 v103, v98
	v_pk_add_f32 v[96:97], v[102:103], v[96:97] neg_lo:[0,1] neg_hi:[0,1]
	v_mov_b32_e32 v118, v114
	v_pk_add_f32 v[98:99], v[118:119], v[96:97]
	s_mov_b32 s54, 0x33800000
	v_mov_b32_e32 v102, v99
	v_pk_add_f32 v[102:103], v[98:99], v[102:103]
	v_cmp_lt_f32_e64 s[54:55], |v128|, s54
	v_pk_add_f32 v[100:101], v[100:101], v[102:103]
	v_mov_b32_e32 v97, v102
	v_mov_b32_e32 v99, v100
	v_pk_add_f32 v[112:113], v[98:99], v[114:115] neg_lo:[0,1] neg_hi:[0,1]
	s_or_b64 vcc, vcc, s[54:55]
	v_sub_f32_e32 v33, v98, v112
	v_pk_add_f32 v[96:97], v[96:97], v[112:113] neg_lo:[0,1] neg_hi:[0,1]
	v_sub_f32_e32 v33, v114, v33
	v_add_f32_e32 v33, v96, v33
	v_add_f32_e32 v33, v33, v97
	;; [unrolled: 1-line block ×3, first 2 shown]
	v_cndmask_b32_e32 v33, v33, v128, vcc
	v_add_f32_e32 v96, v11, v33
.LBB451_357:
	s_or_b64 exec, exec, s[50:51]
	v_bfe_u32 v11, v96, 16, 1
	s_movk_i32 vcc_lo, 0x7fff
	v_add3_u32 v11, v96, v11, vcc_lo
	v_lshrrev_b32_e32 v11, 16, v11
	v_mov_b32_e32 v33, 0x7fc0
	v_cmp_o_f32_e32 vcc, v96, v96
	;;#ASMSTART
	;;#ASMEND
	s_nop 1
	v_cndmask_b32_e32 v11, v33, v11, vcc
	v_lshlrev_b32_e32 v33, 16, v11
	v_max_f32_e32 v97, v33, v33
	v_min_f32_e32 v96, v97, v32
	v_max_f32_e32 v98, v97, v32
.LBB451_358:
	s_or_b64 exec, exec, s[52:53]
	v_cmp_u_f32_e32 vcc, v33, v33
	s_movk_i32 s50, 0x1f8
	s_nop 0
	v_cndmask_b32_e32 v32, v96, v33, vcc
	v_cndmask_b32_e32 v96, v98, v33, vcc
	v_cndmask_b32_e64 v32, v32, v2, s[2:3]
	v_cndmask_b32_e64 v2, v96, v2, s[2:3]
	v_cmp_neq_f32_e32 vcc, v32, v2
	v_cmp_class_f32_e64 s[2:3], v32, s50
	s_or_b64 vcc, vcc, s[2:3]
	s_and_saveexec_b64 s[2:3], vcc
	s_cbranch_execz .LBB451_360
; %bb.359:
	v_sub_f32_e32 v32, v32, v2
	s_mov_b32 s51, 0x3fb8aa3b
	v_mul_f32_e32 v33, 0x3fb8aa3b, v32
	v_fma_f32 v96, v32, s51, -v33
	v_rndne_f32_e32 v97, v33
	v_fmamk_f32 v96, v32, 0x32a5705f, v96
	v_sub_f32_e32 v33, v33, v97
	v_add_f32_e32 v33, v33, v96
	v_exp_f32_e32 v33, v33
	v_cvt_i32_f32_e32 v96, v97
	s_mov_b32 s51, 0xc2ce8ed0
	v_cmp_ngt_f32_e32 vcc, s51, v32
	s_mov_b32 s51, 0x42b17218
	v_ldexp_f32 v33, v33, v96
	v_cndmask_b32_e32 v33, 0, v33, vcc
	v_mov_b32_e32 v96, 0x7f800000
	v_cmp_nlt_f32_e32 vcc, s51, v32
	s_mov_b32 s51, 0x3f2aaaab
	s_mov_b32 s52, 0x7f800000
	v_cndmask_b32_e32 v118, v96, v33, vcc
	v_add_f32_e32 v96, 1.0, v118
	v_add_f32_e32 v32, -1.0, v96
	v_sub_f32_e32 v33, v32, v96
	v_add_f32_e32 v33, 1.0, v33
	v_sub_f32_e32 v32, v118, v32
	v_add_f32_e32 v97, v32, v33
	v_frexp_mant_f32_e32 v98, v96
	v_cvt_f64_f32_e32 v[32:33], v96
	v_frexp_exp_i32_f64_e32 v32, v[32:33]
	v_cmp_gt_f32_e32 vcc, s51, v98
	s_mov_b32 s51, 0x3f317218
	s_nop 0
	v_subbrev_co_u32_e32 v102, vcc, 0, v32, vcc
	v_sub_u32_e32 v32, 0, v102
	v_ldexp_f32 v33, v96, v32
	v_add_f32_e32 v96, -1.0, v33
	v_add_f32_e32 v98, 1.0, v33
	v_ldexp_f32 v32, v97, v32
	v_add_f32_e32 v97, 1.0, v96
	v_add_f32_e32 v99, -1.0, v98
	v_sub_f32_e32 v97, v33, v97
	v_sub_f32_e32 v33, v33, v99
	v_add_f32_e32 v97, v32, v97
	v_add_f32_e32 v32, v32, v33
	v_add_f32_e32 v103, v98, v32
	v_rcp_f32_e32 v113, v103
	v_sub_f32_e32 v33, v98, v103
	v_add_f32_e32 v112, v32, v33
	v_add_f32_e32 v33, v96, v97
	v_mul_f32_e32 v115, v33, v113
	v_sub_f32_e32 v32, v96, v33
	v_mul_f32_e32 v96, v103, v115
	v_fma_f32 v98, v115, v103, -v96
	v_fmac_f32_e32 v98, v115, v112
	v_add_f32_e32 v114, v97, v32
	v_add_f32_e32 v32, v96, v98
	v_sub_f32_e32 v97, v33, v32
	s_waitcnt lgkmcnt(0)
	v_pk_add_f32 v[100:101], v[32:33], v[96:97] neg_lo:[0,1] neg_hi:[0,1]
	v_mov_b32_e32 v99, v32
	v_pk_add_f32 v[32:33], v[100:101], v[98:99] neg_lo:[0,1] neg_hi:[0,1]
	v_cmp_eq_f32_e32 vcc, s52, v118
	v_add_f32_e32 v33, v114, v33
	v_add_f32_e32 v32, v32, v33
	;; [unrolled: 1-line block ×3, first 2 shown]
	v_mul_f32_e32 v114, v113, v33
	v_mul_f32_e32 v96, v103, v114
	v_fma_f32 v98, v114, v103, -v96
	v_fmac_f32_e32 v98, v114, v112
	v_sub_f32_e32 v97, v97, v33
	v_add_f32_e32 v103, v32, v97
	v_add_f32_e32 v32, v96, v98
	v_sub_f32_e32 v97, v33, v32
	v_pk_add_f32 v[100:101], v[32:33], v[96:97] neg_lo:[0,1] neg_hi:[0,1]
	v_mov_b32_e32 v99, v32
	v_pk_add_f32 v[32:33], v[100:101], v[98:99] neg_lo:[0,1] neg_hi:[0,1]
	v_cvt_f32_i32_e32 v96, v102
	v_add_f32_e32 v33, v103, v33
	v_add_f32_e32 v32, v32, v33
	v_add_f32_e32 v32, v97, v32
	v_add_f32_e32 v97, v115, v114
	v_sub_f32_e32 v33, v97, v115
	v_mul_f32_e32 v32, v113, v32
	v_sub_f32_e32 v33, v114, v33
	v_add_f32_e32 v32, v33, v32
	v_add_f32_e32 v98, v97, v32
	v_mul_f32_e32 v100, v98, v98
	v_mov_b32_e32 v33, 0x3ecc95a3
	v_sub_f32_e32 v97, v98, v97
	v_fmac_f32_e32 v33, 0x3e9b6dac, v100
	v_sub_f32_e32 v32, v32, v97
	v_fmaak_f32 v33, v100, v33, 0x3f2aaada
	v_ldexp_f32 v101, v32, 1
	v_mul_f32_e32 v97, v98, v100
	v_mov_b32_e32 v32, 0x3f317218
	v_pk_mul_f32 v[32:33], v[96:97], v[32:33]
	v_ldexp_f32 v99, v98, 1
	v_fma_f32 v97, v96, s51, -v32
	v_fmamk_f32 v98, v96, 0xb102e308, v97
	v_pk_add_f32 v[96:97], v[32:33], v[98:99]
	v_mov_b32_e32 v100, v32
	v_sub_f32_e32 v99, v97, v99
	v_sub_f32_e32 v99, v33, v99
	v_add_f32_e32 v101, v101, v99
	v_pk_add_f32 v[32:33], v[96:97], v[32:33] neg_lo:[0,1] neg_hi:[0,1]
	v_pk_add_f32 v[102:103], v[96:97], v[100:101]
	v_mov_b32_e32 v99, v96
	v_mov_b32_e32 v33, v103
	v_pk_add_f32 v[112:113], v[98:99], v[32:33] neg_lo:[0,1] neg_hi:[0,1]
	v_pk_add_f32 v[32:33], v[98:99], v[32:33]
	v_mov_b32_e32 v100, v101
	v_mov_b32_e32 v98, v33
	v_pk_add_f32 v[114:115], v[98:99], v[96:97] neg_lo:[0,1] neg_hi:[0,1]
	v_mov_b32_e32 v32, v103
	v_mov_b32_e32 v99, v114
	v_pk_add_f32 v[116:117], v[102:103], v[98:99] neg_lo:[0,1] neg_hi:[0,1]
	v_mov_b32_e32 v102, v97
	v_mov_b32_e32 v103, v114
	;; [unrolled: 1-line block ×3, first 2 shown]
	v_pk_add_f32 v[32:33], v[32:33], v[102:103] neg_lo:[0,1] neg_hi:[0,1]
	v_mov_b32_e32 v101, v96
	v_pk_add_f32 v[32:33], v[100:101], v[32:33] neg_lo:[0,1] neg_hi:[0,1]
	v_mov_b32_e32 v116, v112
	v_pk_add_f32 v[96:97], v[116:117], v[32:33]
	s_mov_b32 s51, 0x33800000
	v_mov_b32_e32 v100, v97
	v_pk_add_f32 v[100:101], v[96:97], v[100:101]
	v_cmp_lt_f32_e64 s[52:53], |v118|, s51
	v_pk_add_f32 v[98:99], v[98:99], v[100:101]
	v_mov_b32_e32 v33, v100
	v_mov_b32_e32 v97, v98
	v_pk_add_f32 v[102:103], v[96:97], v[112:113] neg_lo:[0,1] neg_hi:[0,1]
	s_or_b64 vcc, vcc, s[52:53]
	v_sub_f32_e32 v96, v96, v102
	v_pk_add_f32 v[32:33], v[32:33], v[102:103] neg_lo:[0,1] neg_hi:[0,1]
	v_sub_f32_e32 v96, v112, v96
	v_add_f32_e32 v32, v32, v96
	v_add_f32_e32 v32, v32, v33
	;; [unrolled: 1-line block ×3, first 2 shown]
	v_cndmask_b32_e32 v32, v32, v118, vcc
	v_add_f32_e32 v33, v2, v32
.LBB451_360:
	s_or_b64 exec, exec, s[2:3]
	v_bfe_u32 v2, v33, 16, 1
	s_movk_i32 s51, 0x7fff
	v_add3_u32 v2, v33, v2, s51
	v_lshrrev_b32_e32 v32, 16, v2
	v_mov_b32_e32 v2, 0x7fc0
	v_cmp_o_f32_e32 vcc, v33, v33
	s_nop 1
	v_cndmask_b32_e32 v32, v2, v32, vcc
	v_lshlrev_b32_e32 v33, 16, v32
	v_max_f32_e32 v97, v33, v33
	v_min_f32_e32 v96, v97, v24
	v_cmp_u_f32_e32 vcc, v33, v33
	v_max_f32_e32 v24, v97, v24
	s_nop 0
	v_cndmask_b32_e32 v96, v96, v33, vcc
	v_cndmask_b32_e32 v24, v24, v33, vcc
	v_cndmask_b32_e64 v96, v96, v3, s[4:5]
	v_cndmask_b32_e64 v3, v24, v3, s[4:5]
	v_cmp_neq_f32_e32 vcc, v96, v3
	v_cmp_class_f32_e64 s[2:3], v96, s50
	s_or_b64 s[4:5], vcc, s[2:3]
	s_and_saveexec_b64 s[2:3], s[4:5]
	s_cbranch_execz .LBB451_362
; %bb.361:
	v_sub_f32_e32 v24, v96, v3
	s_mov_b32 s4, 0x3fb8aa3b
	v_mul_f32_e32 v33, 0x3fb8aa3b, v24
	v_fma_f32 v96, v24, s4, -v33
	v_rndne_f32_e32 v97, v33
	v_fmamk_f32 v96, v24, 0x32a5705f, v96
	v_sub_f32_e32 v33, v33, v97
	v_add_f32_e32 v33, v33, v96
	v_exp_f32_e32 v33, v33
	v_cvt_i32_f32_e32 v96, v97
	s_mov_b32 s4, 0xc2ce8ed0
	v_cmp_ngt_f32_e32 vcc, s4, v24
	s_mov_b32 s4, 0x42b17218
	v_ldexp_f32 v33, v33, v96
	v_cndmask_b32_e32 v33, 0, v33, vcc
	v_mov_b32_e32 v96, 0x7f800000
	v_cmp_nlt_f32_e32 vcc, s4, v24
	s_mov_b32 s4, 0x3f2aaaab
	s_mov_b32 s5, 0x7f800000
	v_cndmask_b32_e32 v118, v96, v33, vcc
	v_add_f32_e32 v24, 1.0, v118
	v_add_f32_e32 v33, -1.0, v24
	v_sub_f32_e32 v96, v33, v24
	v_add_f32_e32 v96, 1.0, v96
	v_sub_f32_e32 v33, v118, v33
	v_add_f32_e32 v33, v33, v96
	v_frexp_mant_f32_e32 v98, v24
	v_cvt_f64_f32_e32 v[96:97], v24
	v_frexp_exp_i32_f64_e32 v96, v[96:97]
	v_cmp_gt_f32_e32 vcc, s4, v98
	s_mov_b32 s4, 0x3f317218
	s_nop 0
	v_subbrev_co_u32_e32 v112, vcc, 0, v96, vcc
	v_sub_u32_e32 v96, 0, v112
	v_ldexp_f32 v24, v24, v96
	v_ldexp_f32 v33, v33, v96
	v_add_f32_e32 v96, -1.0, v24
	v_add_f32_e32 v97, 1.0, v96
	v_sub_f32_e32 v97, v24, v97
	v_add_f32_e32 v98, v33, v97
	v_add_f32_e32 v97, 1.0, v24
	v_add_f32_e32 v99, -1.0, v97
	v_sub_f32_e32 v24, v24, v99
	v_add_f32_e32 v24, v33, v24
	v_add_f32_e32 v33, v97, v24
	v_rcp_f32_e32 v113, v33
	v_sub_f32_e32 v97, v97, v33
	v_add_f32_e32 v24, v24, v97
	v_add_f32_e32 v97, v96, v98
	v_sub_f32_e32 v96, v96, v97
	v_mul_f32_e32 v115, v97, v113
	v_add_f32_e32 v114, v98, v96
	v_mul_f32_e32 v98, v33, v115
	s_waitcnt lgkmcnt(0)
	v_fma_f32 v100, v115, v33, -v98
	v_fmac_f32_e32 v100, v115, v24
	v_add_f32_e32 v96, v98, v100
	v_sub_f32_e32 v99, v97, v96
	v_pk_add_f32 v[102:103], v[96:97], v[98:99] neg_lo:[0,1] neg_hi:[0,1]
	v_mov_b32_e32 v101, v96
	v_pk_add_f32 v[96:97], v[102:103], v[100:101] neg_lo:[0,1] neg_hi:[0,1]
	v_cmp_eq_f32_e32 vcc, s5, v118
	v_add_f32_e32 v97, v114, v97
	v_add_f32_e32 v96, v96, v97
	;; [unrolled: 1-line block ×3, first 2 shown]
	v_mul_f32_e32 v114, v113, v97
	v_mul_f32_e32 v98, v33, v114
	v_fma_f32 v100, v114, v33, -v98
	v_fmac_f32_e32 v100, v114, v24
	v_sub_f32_e32 v24, v99, v97
	v_add_f32_e32 v24, v96, v24
	v_add_f32_e32 v96, v98, v100
	v_sub_f32_e32 v99, v97, v96
	v_pk_add_f32 v[102:103], v[96:97], v[98:99] neg_lo:[0,1] neg_hi:[0,1]
	v_mov_b32_e32 v101, v96
	v_pk_add_f32 v[96:97], v[102:103], v[100:101] neg_lo:[0,1] neg_hi:[0,1]
	v_add_f32_e32 v33, v115, v114
	v_add_f32_e32 v24, v24, v97
	;; [unrolled: 1-line block ×4, first 2 shown]
	v_sub_f32_e32 v96, v33, v115
	v_mul_f32_e32 v24, v113, v24
	v_sub_f32_e32 v96, v114, v96
	v_add_f32_e32 v24, v96, v24
	v_add_f32_e32 v96, v33, v24
	v_cvt_f32_i32_e32 v98, v112
	v_mul_f32_e32 v99, v96, v96
	v_mov_b32_e32 v97, 0x3ecc95a3
	v_fmac_f32_e32 v97, 0x3e9b6dac, v99
	v_fmaak_f32 v97, v99, v97, 0x3f2aaada
	v_sub_f32_e32 v33, v96, v33
	v_ldexp_f32 v101, v96, 1
	v_mul_f32_e32 v99, v96, v99
	v_mov_b32_e32 v96, 0x3f317218
	v_pk_mul_f32 v[96:97], v[98:99], v[96:97]
	v_sub_f32_e32 v24, v24, v33
	v_fma_f32 v33, v98, s4, -v96
	v_fmamk_f32 v100, v98, 0xb102e308, v33
	v_pk_add_f32 v[98:99], v[96:97], v[100:101]
	v_ldexp_f32 v24, v24, 1
	v_sub_f32_e32 v33, v99, v101
	v_sub_f32_e32 v33, v97, v33
	v_add_f32_e32 v103, v24, v33
	v_mov_b32_e32 v102, v96
	v_pk_add_f32 v[96:97], v[98:99], v[96:97] neg_lo:[0,1] neg_hi:[0,1]
	v_pk_add_f32 v[112:113], v[98:99], v[102:103]
	v_mov_b32_e32 v101, v98
	v_mov_b32_e32 v97, v113
	v_pk_add_f32 v[114:115], v[100:101], v[96:97] neg_lo:[0,1] neg_hi:[0,1]
	v_pk_add_f32 v[96:97], v[100:101], v[96:97]
	s_mov_b32 s4, 0x33800000
	v_mov_b32_e32 v24, v97
	v_pk_add_f32 v[100:101], v[24:25], v[98:99] neg_lo:[0,1] neg_hi:[0,1]
	v_mov_b32_e32 v96, v113
	v_mov_b32_e32 v33, v100
	v_pk_add_f32 v[116:117], v[112:113], v[32:33] neg_lo:[0,1] neg_hi:[0,1]
	v_mov_b32_e32 v112, v99
	v_mov_b32_e32 v113, v100
	;; [unrolled: 1-line block ×3, first 2 shown]
	v_pk_add_f32 v[96:97], v[96:97], v[112:113] neg_lo:[0,1] neg_hi:[0,1]
	v_mov_b32_e32 v100, v103
	v_mov_b32_e32 v101, v98
	v_pk_add_f32 v[96:97], v[100:101], v[96:97] neg_lo:[0,1] neg_hi:[0,1]
	v_mov_b32_e32 v116, v114
	v_pk_add_f32 v[98:99], v[116:117], v[96:97]
	v_cmp_lt_f32_e64 s[4:5], |v118|, s4
	v_mov_b32_e32 v100, v99
	v_pk_add_f32 v[100:101], v[98:99], v[100:101]
	s_or_b64 vcc, vcc, s[4:5]
	v_pk_add_f32 v[102:103], v[24:25], v[100:101]
	v_mov_b32_e32 v97, v100
	v_mov_b32_e32 v99, v102
	v_pk_add_f32 v[112:113], v[98:99], v[114:115] neg_lo:[0,1] neg_hi:[0,1]
	s_nop 0
	v_sub_f32_e32 v24, v98, v112
	v_pk_add_f32 v[96:97], v[96:97], v[112:113] neg_lo:[0,1] neg_hi:[0,1]
	v_sub_f32_e32 v24, v114, v24
	v_add_f32_e32 v24, v96, v24
	v_add_f32_e32 v24, v24, v97
	;; [unrolled: 1-line block ×3, first 2 shown]
	v_cndmask_b32_e32 v24, v24, v118, vcc
	v_add_f32_e32 v33, v3, v24
.LBB451_362:
	s_or_b64 exec, exec, s[2:3]
	v_bfe_u32 v3, v33, 16, 1
	v_add3_u32 v3, v33, v3, s51
	v_lshrrev_b32_e32 v3, 16, v3
	v_cmp_o_f32_e32 vcc, v33, v33
	s_movk_i32 s4, 0x1f8
	s_nop 0
	v_cndmask_b32_e32 v33, v2, v3, vcc
	v_lshlrev_b32_e32 v3, 16, v33
	v_max_f32_e32 v2, v3, v3
	v_min_f32_e32 v24, v2, v34
	v_cmp_u_f32_e32 vcc, v3, v3
	v_max_f32_e32 v2, v2, v34
	s_nop 0
	v_cndmask_b32_e32 v24, v24, v3, vcc
	v_cndmask_b32_e32 v2, v2, v3, vcc
	v_cndmask_b32_e64 v24, v24, v6, s[6:7]
	v_cndmask_b32_e64 v2, v2, v6, s[6:7]
	v_cmp_neq_f32_e32 vcc, v24, v2
	v_cmp_class_f32_e64 s[2:3], v24, s4
	s_or_b64 s[6:7], vcc, s[2:3]
	s_and_saveexec_b64 s[2:3], s[6:7]
	s_cbranch_execz .LBB451_364
; %bb.363:
	v_sub_f32_e32 v3, v24, v2
	s_mov_b32 s5, 0x3fb8aa3b
	v_mul_f32_e32 v6, 0x3fb8aa3b, v3
	v_fma_f32 v24, v3, s5, -v6
	v_rndne_f32_e32 v34, v6
	v_fmamk_f32 v24, v3, 0x32a5705f, v24
	v_sub_f32_e32 v6, v6, v34
	v_add_f32_e32 v6, v6, v24
	v_exp_f32_e32 v6, v6
	v_cvt_i32_f32_e32 v24, v34
	s_mov_b32 s5, 0xc2ce8ed0
	v_cmp_ngt_f32_e32 vcc, s5, v3
	s_mov_b32 s5, 0x42b17218
	v_ldexp_f32 v6, v6, v24
	v_cndmask_b32_e32 v6, 0, v6, vcc
	v_mov_b32_e32 v24, 0x7f800000
	v_cmp_nlt_f32_e32 vcc, s5, v3
	s_mov_b32 s5, 0x3f2aaaab
	s_mov_b32 s6, 0x7f800000
	v_cndmask_b32_e32 v34, v24, v6, vcc
	v_add_f32_e32 v3, 1.0, v34
	v_add_f32_e32 v6, -1.0, v3
	v_sub_f32_e32 v24, v6, v3
	v_add_f32_e32 v24, 1.0, v24
	v_sub_f32_e32 v6, v34, v6
	v_add_f32_e32 v6, v6, v24
	v_frexp_mant_f32_e32 v24, v3
	v_cvt_f64_f32_e32 v[96:97], v3
	v_frexp_exp_i32_f64_e32 v96, v[96:97]
	v_cmp_gt_f32_e32 vcc, s5, v24
	s_mov_b32 s5, 0x3f317218
	s_nop 0
	v_subbrev_co_u32_e32 v24, vcc, 0, v96, vcc
	v_sub_u32_e32 v96, 0, v24
	v_ldexp_f32 v3, v3, v96
	v_ldexp_f32 v6, v6, v96
	v_add_f32_e32 v96, -1.0, v3
	v_add_f32_e32 v97, 1.0, v96
	v_sub_f32_e32 v97, v3, v97
	v_add_f32_e32 v98, v6, v97
	v_add_f32_e32 v97, 1.0, v3
	v_add_f32_e32 v99, -1.0, v97
	v_sub_f32_e32 v3, v3, v99
	v_add_f32_e32 v3, v6, v3
	v_add_f32_e32 v6, v97, v3
	v_rcp_f32_e32 v112, v6
	v_sub_f32_e32 v97, v97, v6
	v_add_f32_e32 v3, v3, v97
	v_add_f32_e32 v97, v96, v98
	v_sub_f32_e32 v96, v96, v97
	v_mul_f32_e32 v114, v97, v112
	v_add_f32_e32 v113, v98, v96
	v_mul_f32_e32 v98, v6, v114
	s_waitcnt lgkmcnt(0)
	v_fma_f32 v100, v114, v6, -v98
	v_fmac_f32_e32 v100, v114, v3
	v_add_f32_e32 v96, v98, v100
	v_sub_f32_e32 v99, v97, v96
	v_pk_add_f32 v[102:103], v[96:97], v[98:99] neg_lo:[0,1] neg_hi:[0,1]
	v_mov_b32_e32 v101, v96
	v_pk_add_f32 v[96:97], v[102:103], v[100:101] neg_lo:[0,1] neg_hi:[0,1]
	v_cmp_eq_f32_e32 vcc, s6, v34
	v_add_f32_e32 v97, v113, v97
	v_add_f32_e32 v96, v96, v97
	;; [unrolled: 1-line block ×3, first 2 shown]
	v_mul_f32_e32 v113, v112, v97
	v_mul_f32_e32 v98, v6, v113
	v_fma_f32 v100, v113, v6, -v98
	v_fmac_f32_e32 v100, v113, v3
	v_sub_f32_e32 v3, v99, v97
	v_add_f32_e32 v3, v96, v3
	v_add_f32_e32 v96, v98, v100
	v_sub_f32_e32 v99, v97, v96
	v_pk_add_f32 v[102:103], v[96:97], v[98:99] neg_lo:[0,1] neg_hi:[0,1]
	v_mov_b32_e32 v101, v96
	v_pk_add_f32 v[96:97], v[102:103], v[100:101] neg_lo:[0,1] neg_hi:[0,1]
	v_add_f32_e32 v6, v114, v113
	v_add_f32_e32 v3, v3, v97
	;; [unrolled: 1-line block ×4, first 2 shown]
	v_sub_f32_e32 v96, v6, v114
	v_mul_f32_e32 v3, v112, v3
	v_sub_f32_e32 v96, v113, v96
	v_add_f32_e32 v3, v96, v3
	v_add_f32_e32 v96, v6, v3
	v_cvt_f32_i32_e32 v98, v24
	v_mul_f32_e32 v99, v96, v96
	v_mov_b32_e32 v97, 0x3ecc95a3
	v_fmac_f32_e32 v97, 0x3e9b6dac, v99
	v_fmaak_f32 v97, v99, v97, 0x3f2aaada
	v_sub_f32_e32 v6, v96, v6
	v_ldexp_f32 v101, v96, 1
	v_mul_f32_e32 v99, v96, v99
	v_mov_b32_e32 v96, 0x3f317218
	v_pk_mul_f32 v[96:97], v[98:99], v[96:97]
	v_sub_f32_e32 v3, v3, v6
	v_fma_f32 v6, v98, s5, -v96
	v_fmamk_f32 v100, v98, 0xb102e308, v6
	v_pk_add_f32 v[98:99], v[96:97], v[100:101]
	v_ldexp_f32 v3, v3, 1
	v_sub_f32_e32 v6, v99, v101
	v_sub_f32_e32 v6, v97, v6
	v_add_f32_e32 v103, v3, v6
	v_mov_b32_e32 v102, v96
	v_pk_add_f32 v[96:97], v[98:99], v[96:97] neg_lo:[0,1] neg_hi:[0,1]
	v_pk_add_f32 v[112:113], v[98:99], v[102:103]
	v_mov_b32_e32 v101, v98
	v_mov_b32_e32 v97, v113
	v_pk_add_f32 v[114:115], v[100:101], v[96:97] neg_lo:[0,1] neg_hi:[0,1]
	v_pk_add_f32 v[96:97], v[100:101], v[96:97]
	s_mov_b32 s5, 0x33800000
	v_mov_b32_e32 v6, v97
	v_pk_add_f32 v[100:101], v[6:7], v[98:99] neg_lo:[0,1] neg_hi:[0,1]
	v_mov_b32_e32 v96, v113
	v_mov_b32_e32 v3, v100
	v_pk_add_f32 v[116:117], v[112:113], v[2:3] neg_lo:[0,1] neg_hi:[0,1]
	v_mov_b32_e32 v112, v99
	v_mov_b32_e32 v113, v100
	;; [unrolled: 1-line block ×3, first 2 shown]
	v_pk_add_f32 v[96:97], v[96:97], v[112:113] neg_lo:[0,1] neg_hi:[0,1]
	v_mov_b32_e32 v100, v103
	v_mov_b32_e32 v101, v98
	v_pk_add_f32 v[96:97], v[100:101], v[96:97] neg_lo:[0,1] neg_hi:[0,1]
	v_mov_b32_e32 v116, v114
	v_pk_add_f32 v[98:99], v[116:117], v[96:97]
	v_cmp_lt_f32_e64 s[6:7], |v34|, s5
	v_mov_b32_e32 v24, v99
	v_pk_add_f32 v[100:101], v[98:99], v[24:25]
	s_or_b64 vcc, vcc, s[6:7]
	v_pk_add_f32 v[102:103], v[6:7], v[100:101]
	v_mov_b32_e32 v97, v100
	v_mov_b32_e32 v99, v102
	v_pk_add_f32 v[112:113], v[98:99], v[114:115] neg_lo:[0,1] neg_hi:[0,1]
	s_nop 0
	v_sub_f32_e32 v3, v98, v112
	v_pk_add_f32 v[96:97], v[96:97], v[112:113] neg_lo:[0,1] neg_hi:[0,1]
	v_sub_f32_e32 v3, v114, v3
	v_add_f32_e32 v3, v96, v3
	v_add_f32_e32 v3, v3, v97
	;; [unrolled: 1-line block ×3, first 2 shown]
	v_cndmask_b32_e32 v3, v3, v34, vcc
	v_add_f32_e32 v3, v2, v3
.LBB451_364:
	s_or_b64 exec, exec, s[2:3]
	v_bfe_u32 v2, v3, 16, 1
	s_movk_i32 s5, 0x7fff
	v_add3_u32 v2, v3, v2, s5
	v_lshrrev_b32_e32 v6, 16, v2
	v_mov_b32_e32 v2, 0x7fc0
	v_cmp_o_f32_e32 vcc, v3, v3
	s_nop 1
	v_cndmask_b32_e32 v34, v2, v6, vcc
	v_lshlrev_b32_e32 v6, 16, v34
	v_max_f32_e32 v3, v6, v6
	v_min_f32_e32 v24, v3, v35
	v_cmp_u_f32_e32 vcc, v6, v6
	v_max_f32_e32 v3, v3, v35
	s_nop 0
	v_cndmask_b32_e32 v24, v24, v6, vcc
	v_cndmask_b32_e32 v3, v3, v6, vcc
	v_cndmask_b32_e64 v24, v24, v7, s[8:9]
	v_cndmask_b32_e64 v3, v3, v7, s[8:9]
	v_cmp_neq_f32_e32 vcc, v24, v3
	v_cmp_class_f32_e64 s[2:3], v24, s4
	s_or_b64 s[6:7], vcc, s[2:3]
	s_and_saveexec_b64 s[2:3], s[6:7]
	s_cbranch_execz .LBB451_366
; %bb.365:
	v_sub_f32_e32 v6, v24, v3
	s_mov_b32 s4, 0x3fb8aa3b
	v_mul_f32_e32 v7, 0x3fb8aa3b, v6
	v_fma_f32 v24, v6, s4, -v7
	v_rndne_f32_e32 v35, v7
	v_fmamk_f32 v24, v6, 0x32a5705f, v24
	v_sub_f32_e32 v7, v7, v35
	v_add_f32_e32 v7, v7, v24
	v_exp_f32_e32 v7, v7
	v_cvt_i32_f32_e32 v24, v35
	s_mov_b32 s4, 0xc2ce8ed0
	v_cmp_ngt_f32_e32 vcc, s4, v6
	s_mov_b32 s4, 0x42b17218
	v_ldexp_f32 v7, v7, v24
	v_cndmask_b32_e32 v7, 0, v7, vcc
	v_mov_b32_e32 v24, 0x7f800000
	v_cmp_nlt_f32_e32 vcc, s4, v6
	s_mov_b32 s4, 0x3f2aaaab
	s_mov_b32 s6, 0x7f800000
	v_cndmask_b32_e32 v116, v24, v7, vcc
	v_add_f32_e32 v24, 1.0, v116
	v_add_f32_e32 v6, -1.0, v24
	v_sub_f32_e32 v7, v6, v24
	v_add_f32_e32 v7, 1.0, v7
	v_sub_f32_e32 v6, v116, v6
	v_add_f32_e32 v35, v6, v7
	v_frexp_mant_f32_e32 v96, v24
	v_cvt_f64_f32_e32 v[6:7], v24
	v_frexp_exp_i32_f64_e32 v6, v[6:7]
	v_cmp_gt_f32_e32 vcc, s4, v96
	s_mov_b32 s4, 0x3f317218
	s_nop 0
	v_subbrev_co_u32_e32 v102, vcc, 0, v6, vcc
	v_sub_u32_e32 v6, 0, v102
	v_ldexp_f32 v7, v24, v6
	v_add_f32_e32 v24, -1.0, v7
	v_add_f32_e32 v96, 1.0, v7
	v_ldexp_f32 v6, v35, v6
	v_add_f32_e32 v35, 1.0, v24
	v_add_f32_e32 v97, -1.0, v96
	v_sub_f32_e32 v35, v7, v35
	v_sub_f32_e32 v7, v7, v97
	v_add_f32_e32 v35, v6, v35
	v_add_f32_e32 v6, v6, v7
	v_add_f32_e32 v103, v96, v6
	v_rcp_f32_e32 v113, v103
	v_sub_f32_e32 v7, v96, v103
	v_add_f32_e32 v112, v6, v7
	v_add_f32_e32 v7, v24, v35
	v_sub_f32_e32 v6, v24, v7
	v_add_f32_e32 v24, v35, v6
	v_mul_f32_e32 v35, v7, v113
	v_mul_f32_e32 v96, v103, v35
	v_fma_f32 v98, v35, v103, -v96
	v_fmac_f32_e32 v98, v35, v112
	v_add_f32_e32 v6, v96, v98
	v_sub_f32_e32 v97, v7, v6
	s_waitcnt lgkmcnt(0)
	v_pk_add_f32 v[100:101], v[6:7], v[96:97] neg_lo:[0,1] neg_hi:[0,1]
	v_mov_b32_e32 v99, v6
	v_pk_add_f32 v[6:7], v[100:101], v[98:99] neg_lo:[0,1] neg_hi:[0,1]
	v_cmp_eq_f32_e32 vcc, s6, v116
	v_add_f32_e32 v7, v24, v7
	v_add_f32_e32 v6, v6, v7
	;; [unrolled: 1-line block ×3, first 2 shown]
	v_mul_f32_e32 v24, v113, v7
	v_mul_f32_e32 v96, v103, v24
	v_fma_f32 v98, v24, v103, -v96
	v_fmac_f32_e32 v98, v24, v112
	v_sub_f32_e32 v97, v97, v7
	v_add_f32_e32 v103, v6, v97
	v_add_f32_e32 v6, v96, v98
	v_sub_f32_e32 v97, v7, v6
	v_pk_add_f32 v[100:101], v[6:7], v[96:97] neg_lo:[0,1] neg_hi:[0,1]
	v_mov_b32_e32 v99, v6
	v_pk_add_f32 v[6:7], v[100:101], v[98:99] neg_lo:[0,1] neg_hi:[0,1]
	v_cvt_f32_i32_e32 v96, v102
	v_add_f32_e32 v7, v103, v7
	v_add_f32_e32 v6, v6, v7
	;; [unrolled: 1-line block ×4, first 2 shown]
	v_sub_f32_e32 v7, v97, v35
	v_mul_f32_e32 v6, v113, v6
	v_sub_f32_e32 v7, v24, v7
	v_add_f32_e32 v6, v7, v6
	v_add_f32_e32 v24, v97, v6
	v_mul_f32_e32 v35, v24, v24
	v_mov_b32_e32 v7, 0x3ecc95a3
	v_sub_f32_e32 v97, v24, v97
	v_fmac_f32_e32 v7, 0x3e9b6dac, v35
	v_sub_f32_e32 v6, v6, v97
	v_fmaak_f32 v7, v35, v7, 0x3f2aaada
	v_ldexp_f32 v100, v6, 1
	v_mul_f32_e32 v97, v24, v35
	v_mov_b32_e32 v6, 0x3f317218
	v_pk_mul_f32 v[6:7], v[96:97], v[6:7]
	v_ldexp_f32 v99, v24, 1
	v_fma_f32 v24, v96, s4, -v6
	v_fmamk_f32 v98, v96, 0xb102e308, v24
	v_pk_add_f32 v[96:97], v[6:7], v[98:99]
	s_mov_b32 s4, 0x33800000
	v_sub_f32_e32 v24, v97, v99
	v_sub_f32_e32 v24, v7, v24
	v_add_f32_e32 v101, v100, v24
	v_mov_b32_e32 v100, v6
	v_pk_add_f32 v[6:7], v[96:97], v[6:7] neg_lo:[0,1] neg_hi:[0,1]
	v_pk_add_f32 v[102:103], v[96:97], v[100:101]
	v_mov_b32_e32 v99, v96
	v_mov_b32_e32 v7, v103
	v_pk_add_f32 v[112:113], v[98:99], v[6:7] neg_lo:[0,1] neg_hi:[0,1]
	v_pk_add_f32 v[6:7], v[98:99], v[6:7]
	v_cmp_lt_f32_e64 s[6:7], |v116|, s4
	v_mov_b32_e32 v24, v7
	v_pk_add_f32 v[98:99], v[24:25], v[96:97] neg_lo:[0,1] neg_hi:[0,1]
	v_mov_b32_e32 v6, v103
	v_mov_b32_e32 v35, v98
	v_pk_add_f32 v[114:115], v[102:103], v[34:35] neg_lo:[0,1] neg_hi:[0,1]
	v_mov_b32_e32 v102, v97
	v_mov_b32_e32 v103, v98
	;; [unrolled: 1-line block ×3, first 2 shown]
	v_pk_add_f32 v[6:7], v[6:7], v[102:103] neg_lo:[0,1] neg_hi:[0,1]
	v_mov_b32_e32 v98, v101
	v_mov_b32_e32 v99, v96
	v_pk_add_f32 v[6:7], v[98:99], v[6:7] neg_lo:[0,1] neg_hi:[0,1]
	v_mov_b32_e32 v114, v112
	v_pk_add_f32 v[96:97], v[114:115], v[6:7]
	s_or_b64 vcc, vcc, s[6:7]
	v_mov_b32_e32 v98, v97
	v_pk_add_f32 v[98:99], v[96:97], v[98:99]
	s_nop 0
	v_pk_add_f32 v[100:101], v[24:25], v[98:99]
	v_mov_b32_e32 v7, v98
	v_mov_b32_e32 v97, v100
	v_pk_add_f32 v[102:103], v[96:97], v[112:113] neg_lo:[0,1] neg_hi:[0,1]
	s_nop 0
	v_sub_f32_e32 v24, v96, v102
	v_pk_add_f32 v[6:7], v[6:7], v[102:103] neg_lo:[0,1] neg_hi:[0,1]
	v_sub_f32_e32 v24, v112, v24
	v_add_f32_e32 v6, v6, v24
	v_add_f32_e32 v6, v6, v7
	;; [unrolled: 1-line block ×3, first 2 shown]
	v_cndmask_b32_e32 v6, v6, v116, vcc
	v_add_f32_e32 v6, v3, v6
.LBB451_366:
	s_or_b64 exec, exec, s[2:3]
	v_bfe_u32 v3, v6, 16, 1
	v_add3_u32 v3, v6, v3, s5
	v_lshrrev_b32_e32 v3, 16, v3
	v_cmp_o_f32_e32 vcc, v6, v6
	s_movk_i32 s4, 0x1f8
	s_nop 0
	v_cndmask_b32_e32 v35, v2, v3, vcc
	v_lshlrev_b32_e32 v3, 16, v35
	v_max_f32_e32 v2, v3, v3
	v_min_f32_e32 v6, v2, v36
	v_cmp_u_f32_e32 vcc, v3, v3
	v_max_f32_e32 v2, v2, v36
	s_nop 0
	v_cndmask_b32_e32 v6, v6, v3, vcc
	v_cndmask_b32_e32 v2, v2, v3, vcc
	v_cndmask_b32_e64 v6, v6, v25, s[10:11]
	v_cndmask_b32_e64 v2, v2, v25, s[10:11]
	v_cmp_neq_f32_e32 vcc, v6, v2
	v_cmp_class_f32_e64 s[2:3], v6, s4
	s_or_b64 s[6:7], vcc, s[2:3]
	s_and_saveexec_b64 s[2:3], s[6:7]
	s_cbranch_execz .LBB451_368
; %bb.367:
	v_sub_f32_e32 v3, v6, v2
	s_mov_b32 s5, 0x3fb8aa3b
	v_mul_f32_e32 v6, 0x3fb8aa3b, v3
	v_fma_f32 v7, v3, s5, -v6
	v_rndne_f32_e32 v24, v6
	v_fmamk_f32 v7, v3, 0x32a5705f, v7
	v_sub_f32_e32 v6, v6, v24
	v_add_f32_e32 v6, v6, v7
	v_exp_f32_e32 v6, v6
	v_cvt_i32_f32_e32 v7, v24
	s_mov_b32 s5, 0xc2ce8ed0
	v_cmp_ngt_f32_e32 vcc, s5, v3
	s_mov_b32 s5, 0x42b17218
	v_ldexp_f32 v6, v6, v7
	v_cndmask_b32_e32 v6, 0, v6, vcc
	v_mov_b32_e32 v7, 0x7f800000
	v_cmp_nlt_f32_e32 vcc, s5, v3
	s_mov_b32 s5, 0x3f2aaaab
	s_mov_b32 s6, 0x7f800000
	v_cndmask_b32_e32 v114, v7, v6, vcc
	v_add_f32_e32 v3, 1.0, v114
	v_add_f32_e32 v6, -1.0, v3
	v_sub_f32_e32 v7, v6, v3
	v_add_f32_e32 v7, 1.0, v7
	v_sub_f32_e32 v6, v114, v6
	v_add_f32_e32 v24, v6, v7
	v_frexp_mant_f32_e32 v25, v3
	v_cvt_f64_f32_e32 v[6:7], v3
	v_frexp_exp_i32_f64_e32 v6, v[6:7]
	v_cmp_gt_f32_e32 vcc, s5, v25
	s_mov_b32 s5, 0x3f317218
	s_nop 0
	v_subbrev_co_u32_e32 v36, vcc, 0, v6, vcc
	v_sub_u32_e32 v6, 0, v36
	v_ldexp_f32 v3, v3, v6
	v_ldexp_f32 v6, v24, v6
	v_add_f32_e32 v24, -1.0, v3
	v_add_f32_e32 v7, 1.0, v24
	v_sub_f32_e32 v7, v3, v7
	v_add_f32_e32 v25, v6, v7
	v_add_f32_e32 v7, 1.0, v3
	v_add_f32_e32 v96, -1.0, v7
	v_sub_f32_e32 v3, v3, v96
	v_add_f32_e32 v3, v6, v3
	s_waitcnt lgkmcnt(0)
	v_add_f32_e32 v100, v7, v3
	v_rcp_f32_e32 v101, v100
	v_sub_f32_e32 v6, v7, v100
	v_add_f32_e32 v7, v24, v25
	v_add_f32_e32 v3, v3, v6
	v_mul_f32_e32 v103, v7, v101
	v_sub_f32_e32 v6, v24, v7
	v_mul_f32_e32 v24, v100, v103
	v_fma_f32 v96, v103, v100, -v24
	v_fmac_f32_e32 v96, v103, v3
	v_add_f32_e32 v102, v25, v6
	v_add_f32_e32 v6, v24, v96
	v_sub_f32_e32 v25, v7, v6
	v_pk_add_f32 v[98:99], v[6:7], v[24:25] neg_lo:[0,1] neg_hi:[0,1]
	v_mov_b32_e32 v97, v6
	v_pk_add_f32 v[6:7], v[98:99], v[96:97] neg_lo:[0,1] neg_hi:[0,1]
	v_cmp_eq_f32_e32 vcc, s6, v114
	v_add_f32_e32 v7, v102, v7
	v_add_f32_e32 v6, v6, v7
	v_add_f32_e32 v7, v25, v6
	v_mul_f32_e32 v102, v101, v7
	v_mul_f32_e32 v24, v100, v102
	v_fma_f32 v96, v102, v100, -v24
	v_fmac_f32_e32 v96, v102, v3
	v_sub_f32_e32 v3, v25, v7
	v_add_f32_e32 v3, v6, v3
	v_add_f32_e32 v6, v24, v96
	v_sub_f32_e32 v25, v7, v6
	v_pk_add_f32 v[98:99], v[6:7], v[24:25] neg_lo:[0,1] neg_hi:[0,1]
	v_mov_b32_e32 v97, v6
	v_pk_add_f32 v[6:7], v[98:99], v[96:97] neg_lo:[0,1] neg_hi:[0,1]
	v_cvt_f32_i32_e32 v24, v36
	v_add_f32_e32 v3, v3, v7
	v_add_f32_e32 v3, v6, v3
	;; [unrolled: 1-line block ×4, first 2 shown]
	v_sub_f32_e32 v7, v6, v103
	v_mul_f32_e32 v3, v101, v3
	v_sub_f32_e32 v7, v102, v7
	v_add_f32_e32 v3, v7, v3
	v_add_f32_e32 v25, v6, v3
	v_mul_f32_e32 v96, v25, v25
	v_mov_b32_e32 v7, 0x3ecc95a3
	v_fmac_f32_e32 v7, 0x3e9b6dac, v96
	v_sub_f32_e32 v6, v25, v6
	v_fmaak_f32 v7, v96, v7, 0x3f2aaada
	v_sub_f32_e32 v3, v3, v6
	v_ldexp_f32 v97, v25, 1
	v_mul_f32_e32 v25, v25, v96
	v_mov_b32_e32 v6, 0x3f317218
	v_pk_mul_f32 v[6:7], v[24:25], v[6:7]
	v_ldexp_f32 v3, v3, 1
	v_fma_f32 v25, v24, s5, -v6
	v_fmamk_f32 v96, v24, 0xb102e308, v25
	v_pk_add_f32 v[24:25], v[6:7], v[96:97]
	v_mov_b32_e32 v98, v6
	v_sub_f32_e32 v36, v25, v97
	v_sub_f32_e32 v36, v7, v36
	v_add_f32_e32 v99, v3, v36
	v_pk_add_f32 v[6:7], v[24:25], v[6:7] neg_lo:[0,1] neg_hi:[0,1]
	v_pk_add_f32 v[100:101], v[24:25], v[98:99]
	v_mov_b32_e32 v97, v24
	v_mov_b32_e32 v7, v101
	v_pk_add_f32 v[102:103], v[96:97], v[6:7] neg_lo:[0,1] neg_hi:[0,1]
	v_pk_add_f32 v[6:7], v[96:97], v[6:7]
	s_mov_b32 s5, 0x33800000
	v_mov_b32_e32 v36, v7
	v_pk_add_f32 v[96:97], v[36:37], v[24:25] neg_lo:[0,1] neg_hi:[0,1]
	v_mov_b32_e32 v6, v101
	v_mov_b32_e32 v3, v96
	v_pk_add_f32 v[112:113], v[100:101], v[2:3] neg_lo:[0,1] neg_hi:[0,1]
	v_mov_b32_e32 v100, v25
	v_mov_b32_e32 v101, v96
	;; [unrolled: 1-line block ×3, first 2 shown]
	v_pk_add_f32 v[6:7], v[6:7], v[100:101] neg_lo:[0,1] neg_hi:[0,1]
	v_mov_b32_e32 v96, v99
	v_mov_b32_e32 v97, v24
	v_pk_add_f32 v[6:7], v[96:97], v[6:7] neg_lo:[0,1] neg_hi:[0,1]
	v_mov_b32_e32 v112, v102
	v_pk_add_f32 v[24:25], v[112:113], v[6:7]
	v_cmp_lt_f32_e64 s[6:7], |v114|, s5
	v_mov_b32_e32 v96, v25
	v_pk_add_f32 v[96:97], v[24:25], v[96:97]
	s_or_b64 vcc, vcc, s[6:7]
	v_pk_add_f32 v[98:99], v[36:37], v[96:97]
	v_mov_b32_e32 v7, v96
	v_mov_b32_e32 v25, v98
	v_pk_add_f32 v[100:101], v[24:25], v[102:103] neg_lo:[0,1] neg_hi:[0,1]
	s_nop 0
	v_sub_f32_e32 v3, v24, v100
	v_pk_add_f32 v[6:7], v[6:7], v[100:101] neg_lo:[0,1] neg_hi:[0,1]
	v_sub_f32_e32 v3, v102, v3
	v_add_f32_e32 v3, v6, v3
	v_add_f32_e32 v3, v3, v7
	;; [unrolled: 1-line block ×3, first 2 shown]
	v_cndmask_b32_e32 v3, v3, v114, vcc
	v_add_f32_e32 v3, v2, v3
.LBB451_368:
	s_or_b64 exec, exec, s[2:3]
	v_bfe_u32 v2, v3, 16, 1
	s_movk_i32 s5, 0x7fff
	v_add3_u32 v2, v3, v2, s5
	v_lshrrev_b32_e32 v6, 16, v2
	v_mov_b32_e32 v2, 0x7fc0
	v_cmp_o_f32_e32 vcc, v3, v3
	s_nop 1
	v_cndmask_b32_e32 v36, v2, v6, vcc
	v_lshlrev_b32_e32 v6, 16, v36
	v_max_f32_e32 v3, v6, v6
	v_min_f32_e32 v7, v3, v37
	v_cmp_u_f32_e32 vcc, v6, v6
	v_max_f32_e32 v3, v3, v37
	s_nop 0
	v_cndmask_b32_e32 v7, v7, v6, vcc
	v_cndmask_b32_e32 v3, v3, v6, vcc
	v_cndmask_b32_e64 v7, v7, v26, s[12:13]
	v_cndmask_b32_e64 v3, v3, v26, s[12:13]
	v_cmp_neq_f32_e32 vcc, v7, v3
	v_cmp_class_f32_e64 s[2:3], v7, s4
	s_or_b64 s[6:7], vcc, s[2:3]
	s_and_saveexec_b64 s[2:3], s[6:7]
	s_cbranch_execz .LBB451_370
; %bb.369:
	v_sub_f32_e32 v6, v7, v3
	s_mov_b32 s4, 0x3fb8aa3b
	v_mul_f32_e32 v7, 0x3fb8aa3b, v6
	v_fma_f32 v24, v6, s4, -v7
	v_rndne_f32_e32 v25, v7
	v_fmamk_f32 v24, v6, 0x32a5705f, v24
	v_sub_f32_e32 v7, v7, v25
	v_add_f32_e32 v7, v7, v24
	v_exp_f32_e32 v7, v7
	v_cvt_i32_f32_e32 v24, v25
	s_mov_b32 s4, 0xc2ce8ed0
	v_cmp_ngt_f32_e32 vcc, s4, v6
	s_mov_b32 s4, 0x42b17218
	v_ldexp_f32 v7, v7, v24
	v_cndmask_b32_e32 v7, 0, v7, vcc
	v_mov_b32_e32 v24, 0x7f800000
	v_cmp_nlt_f32_e32 vcc, s4, v6
	s_mov_b32 s4, 0x3f2aaaab
	s_mov_b32 s6, 0x7f800000
	v_cndmask_b32_e32 v114, v24, v7, vcc
	v_add_f32_e32 v24, 1.0, v114
	v_add_f32_e32 v6, -1.0, v24
	v_sub_f32_e32 v7, v6, v24
	v_add_f32_e32 v7, 1.0, v7
	v_sub_f32_e32 v6, v114, v6
	v_add_f32_e32 v25, v6, v7
	v_frexp_mant_f32_e32 v26, v24
	v_cvt_f64_f32_e32 v[6:7], v24
	v_frexp_exp_i32_f64_e32 v6, v[6:7]
	v_cmp_gt_f32_e32 vcc, s4, v26
	s_mov_b32 s4, 0x3f317218
	s_nop 0
	v_subbrev_co_u32_e32 v26, vcc, 0, v6, vcc
	v_sub_u32_e32 v6, 0, v26
	v_ldexp_f32 v7, v24, v6
	v_add_f32_e32 v24, -1.0, v7
	v_add_f32_e32 v37, 1.0, v7
	v_ldexp_f32 v6, v25, v6
	v_add_f32_e32 v25, 1.0, v24
	v_add_f32_e32 v96, -1.0, v37
	v_sub_f32_e32 v25, v7, v25
	v_sub_f32_e32 v7, v7, v96
	v_add_f32_e32 v25, v6, v25
	v_add_f32_e32 v6, v6, v7
	s_waitcnt lgkmcnt(0)
	v_add_f32_e32 v100, v37, v6
	v_rcp_f32_e32 v101, v100
	v_sub_f32_e32 v7, v37, v100
	v_add_f32_e32 v37, v6, v7
	v_add_f32_e32 v7, v24, v25
	v_mul_f32_e32 v103, v7, v101
	v_sub_f32_e32 v6, v24, v7
	v_mul_f32_e32 v24, v100, v103
	v_fma_f32 v96, v103, v100, -v24
	v_fmac_f32_e32 v96, v103, v37
	v_add_f32_e32 v102, v25, v6
	v_add_f32_e32 v6, v24, v96
	v_sub_f32_e32 v25, v7, v6
	v_pk_add_f32 v[98:99], v[6:7], v[24:25] neg_lo:[0,1] neg_hi:[0,1]
	v_mov_b32_e32 v97, v6
	v_pk_add_f32 v[6:7], v[98:99], v[96:97] neg_lo:[0,1] neg_hi:[0,1]
	v_cmp_eq_f32_e32 vcc, s6, v114
	v_add_f32_e32 v7, v102, v7
	v_add_f32_e32 v6, v6, v7
	;; [unrolled: 1-line block ×3, first 2 shown]
	v_mul_f32_e32 v102, v101, v7
	v_mul_f32_e32 v24, v100, v102
	v_fma_f32 v96, v102, v100, -v24
	v_fmac_f32_e32 v96, v102, v37
	v_sub_f32_e32 v25, v25, v7
	v_add_f32_e32 v37, v6, v25
	v_add_f32_e32 v6, v24, v96
	v_sub_f32_e32 v25, v7, v6
	v_pk_add_f32 v[98:99], v[6:7], v[24:25] neg_lo:[0,1] neg_hi:[0,1]
	v_mov_b32_e32 v97, v6
	v_pk_add_f32 v[6:7], v[98:99], v[96:97] neg_lo:[0,1] neg_hi:[0,1]
	v_cvt_f32_i32_e32 v24, v26
	v_add_f32_e32 v7, v37, v7
	v_add_f32_e32 v6, v6, v7
	;; [unrolled: 1-line block ×4, first 2 shown]
	v_sub_f32_e32 v7, v25, v103
	v_mul_f32_e32 v6, v101, v6
	v_sub_f32_e32 v7, v102, v7
	v_add_f32_e32 v6, v7, v6
	v_add_f32_e32 v37, v25, v6
	v_mul_f32_e32 v96, v37, v37
	v_mov_b32_e32 v7, 0x3ecc95a3
	v_sub_f32_e32 v25, v37, v25
	v_fmac_f32_e32 v7, 0x3e9b6dac, v96
	v_sub_f32_e32 v6, v6, v25
	v_fmaak_f32 v7, v96, v7, 0x3f2aaada
	v_ldexp_f32 v26, v6, 1
	v_mul_f32_e32 v25, v37, v96
	v_mov_b32_e32 v6, 0x3f317218
	v_pk_mul_f32 v[6:7], v[24:25], v[6:7]
	v_ldexp_f32 v97, v37, 1
	v_fma_f32 v25, v24, s4, -v6
	v_fmamk_f32 v96, v24, 0xb102e308, v25
	v_pk_add_f32 v[24:25], v[6:7], v[96:97]
	v_mov_b32_e32 v98, v6
	v_sub_f32_e32 v37, v25, v97
	v_sub_f32_e32 v37, v7, v37
	v_add_f32_e32 v99, v26, v37
	v_pk_add_f32 v[6:7], v[24:25], v[6:7] neg_lo:[0,1] neg_hi:[0,1]
	v_pk_add_f32 v[100:101], v[24:25], v[98:99]
	v_mov_b32_e32 v97, v24
	v_mov_b32_e32 v7, v101
	v_pk_add_f32 v[102:103], v[96:97], v[6:7] neg_lo:[0,1] neg_hi:[0,1]
	v_pk_add_f32 v[6:7], v[96:97], v[6:7]
	s_mov_b32 s4, 0x33800000
	v_mov_b32_e32 v26, v7
	v_pk_add_f32 v[96:97], v[26:27], v[24:25] neg_lo:[0,1] neg_hi:[0,1]
	v_mov_b32_e32 v6, v101
	v_mov_b32_e32 v37, v96
	v_pk_add_f32 v[112:113], v[100:101], v[36:37] neg_lo:[0,1] neg_hi:[0,1]
	v_mov_b32_e32 v100, v25
	v_mov_b32_e32 v101, v96
	;; [unrolled: 1-line block ×3, first 2 shown]
	v_pk_add_f32 v[6:7], v[6:7], v[100:101] neg_lo:[0,1] neg_hi:[0,1]
	v_mov_b32_e32 v96, v99
	v_mov_b32_e32 v97, v24
	v_pk_add_f32 v[6:7], v[96:97], v[6:7] neg_lo:[0,1] neg_hi:[0,1]
	v_mov_b32_e32 v112, v102
	v_pk_add_f32 v[24:25], v[112:113], v[6:7]
	v_cmp_lt_f32_e64 s[6:7], |v114|, s4
	v_mov_b32_e32 v96, v25
	v_pk_add_f32 v[96:97], v[24:25], v[96:97]
	s_or_b64 vcc, vcc, s[6:7]
	v_pk_add_f32 v[98:99], v[26:27], v[96:97]
	v_mov_b32_e32 v7, v96
	v_mov_b32_e32 v25, v98
	v_pk_add_f32 v[100:101], v[24:25], v[102:103] neg_lo:[0,1] neg_hi:[0,1]
	s_nop 0
	v_sub_f32_e32 v24, v24, v100
	v_pk_add_f32 v[6:7], v[6:7], v[100:101] neg_lo:[0,1] neg_hi:[0,1]
	v_sub_f32_e32 v24, v102, v24
	v_add_f32_e32 v6, v6, v24
	v_add_f32_e32 v6, v6, v7
	;; [unrolled: 1-line block ×3, first 2 shown]
	v_cndmask_b32_e32 v6, v6, v114, vcc
	v_add_f32_e32 v6, v3, v6
.LBB451_370:
	s_or_b64 exec, exec, s[2:3]
	v_bfe_u32 v3, v6, 16, 1
	v_add3_u32 v3, v6, v3, s5
	v_lshrrev_b32_e32 v3, 16, v3
	v_cmp_o_f32_e32 vcc, v6, v6
	s_movk_i32 s4, 0x1f8
	s_nop 0
	v_cndmask_b32_e32 v37, v2, v3, vcc
	v_lshlrev_b32_e32 v3, 16, v37
	v_max_f32_e32 v2, v3, v3
	v_min_f32_e32 v6, v2, v39
	v_cmp_u_f32_e32 vcc, v3, v3
	v_max_f32_e32 v2, v2, v39
	s_nop 0
	v_cndmask_b32_e32 v6, v6, v3, vcc
	v_cndmask_b32_e32 v2, v2, v3, vcc
	v_cndmask_b32_e64 v6, v6, v27, s[14:15]
	v_cndmask_b32_e64 v2, v2, v27, s[14:15]
	v_cmp_neq_f32_e32 vcc, v6, v2
	v_cmp_class_f32_e64 s[2:3], v6, s4
	s_or_b64 s[6:7], vcc, s[2:3]
	s_and_saveexec_b64 s[2:3], s[6:7]
	s_cbranch_execz .LBB451_372
; %bb.371:
	v_sub_f32_e32 v3, v6, v2
	s_mov_b32 s5, 0x3fb8aa3b
	v_mul_f32_e32 v6, 0x3fb8aa3b, v3
	v_fma_f32 v7, v3, s5, -v6
	v_rndne_f32_e32 v24, v6
	v_fmamk_f32 v7, v3, 0x32a5705f, v7
	v_sub_f32_e32 v6, v6, v24
	v_add_f32_e32 v6, v6, v7
	v_exp_f32_e32 v6, v6
	v_cvt_i32_f32_e32 v7, v24
	s_mov_b32 s5, 0xc2ce8ed0
	v_cmp_ngt_f32_e32 vcc, s5, v3
	s_mov_b32 s5, 0x42b17218
	v_ldexp_f32 v6, v6, v7
	v_cndmask_b32_e32 v6, 0, v6, vcc
	v_mov_b32_e32 v7, 0x7f800000
	v_cmp_nlt_f32_e32 vcc, s5, v3
	s_mov_b32 s5, 0x3f2aaaab
	s_mov_b32 s6, 0x7f800000
	v_cndmask_b32_e32 v39, v7, v6, vcc
	v_add_f32_e32 v3, 1.0, v39
	v_add_f32_e32 v6, -1.0, v3
	v_sub_f32_e32 v7, v6, v3
	v_add_f32_e32 v7, 1.0, v7
	v_sub_f32_e32 v6, v39, v6
	v_add_f32_e32 v24, v6, v7
	v_frexp_mant_f32_e32 v25, v3
	v_cvt_f64_f32_e32 v[6:7], v3
	v_frexp_exp_i32_f64_e32 v6, v[6:7]
	v_cmp_gt_f32_e32 vcc, s5, v25
	s_mov_b32 s5, 0x3f317218
	s_nop 0
	v_subbrev_co_u32_e32 v98, vcc, 0, v6, vcc
	v_sub_u32_e32 v6, 0, v98
	v_ldexp_f32 v3, v3, v6
	v_ldexp_f32 v6, v24, v6
	v_add_f32_e32 v24, -1.0, v3
	v_add_f32_e32 v7, 1.0, v24
	v_sub_f32_e32 v7, v3, v7
	v_add_f32_e32 v25, v6, v7
	v_add_f32_e32 v7, 1.0, v3
	v_add_f32_e32 v26, -1.0, v7
	v_sub_f32_e32 v3, v3, v26
	v_add_f32_e32 v3, v6, v3
	v_add_f32_e32 v99, v7, v3
	s_waitcnt lgkmcnt(0)
	v_rcp_f32_e32 v100, v99
	v_sub_f32_e32 v6, v7, v99
	v_add_f32_e32 v7, v24, v25
	v_add_f32_e32 v3, v3, v6
	v_mul_f32_e32 v102, v7, v100
	v_sub_f32_e32 v6, v24, v7
	v_mul_f32_e32 v24, v99, v102
	v_fma_f32 v26, v102, v99, -v24
	v_fmac_f32_e32 v26, v102, v3
	v_add_f32_e32 v101, v25, v6
	v_add_f32_e32 v6, v24, v26
	v_sub_f32_e32 v25, v7, v6
	v_pk_add_f32 v[96:97], v[6:7], v[24:25] neg_lo:[0,1] neg_hi:[0,1]
	v_mov_b32_e32 v27, v6
	v_pk_add_f32 v[6:7], v[96:97], v[26:27] neg_lo:[0,1] neg_hi:[0,1]
	v_cmp_eq_f32_e32 vcc, s6, v39
	v_add_f32_e32 v7, v101, v7
	v_add_f32_e32 v6, v6, v7
	;; [unrolled: 1-line block ×3, first 2 shown]
	v_mul_f32_e32 v101, v100, v7
	v_mul_f32_e32 v24, v99, v101
	v_fma_f32 v26, v101, v99, -v24
	v_fmac_f32_e32 v26, v101, v3
	v_sub_f32_e32 v3, v25, v7
	v_add_f32_e32 v3, v6, v3
	v_add_f32_e32 v6, v24, v26
	v_sub_f32_e32 v25, v7, v6
	v_pk_add_f32 v[96:97], v[6:7], v[24:25] neg_lo:[0,1] neg_hi:[0,1]
	v_mov_b32_e32 v27, v6
	v_pk_add_f32 v[6:7], v[96:97], v[26:27] neg_lo:[0,1] neg_hi:[0,1]
	v_cvt_f32_i32_e32 v24, v98
	v_add_f32_e32 v3, v3, v7
	v_add_f32_e32 v3, v6, v3
	;; [unrolled: 1-line block ×4, first 2 shown]
	v_sub_f32_e32 v7, v6, v102
	v_mul_f32_e32 v3, v100, v3
	v_sub_f32_e32 v7, v101, v7
	v_add_f32_e32 v3, v7, v3
	v_add_f32_e32 v25, v6, v3
	v_mul_f32_e32 v26, v25, v25
	v_mov_b32_e32 v7, 0x3ecc95a3
	v_fmac_f32_e32 v7, 0x3e9b6dac, v26
	v_sub_f32_e32 v6, v25, v6
	v_fmaak_f32 v7, v26, v7, 0x3f2aaada
	v_sub_f32_e32 v3, v3, v6
	v_ldexp_f32 v27, v25, 1
	v_mul_f32_e32 v25, v25, v26
	v_mov_b32_e32 v6, 0x3f317218
	v_pk_mul_f32 v[6:7], v[24:25], v[6:7]
	v_ldexp_f32 v3, v3, 1
	v_fma_f32 v25, v24, s5, -v6
	v_fmamk_f32 v26, v24, 0xb102e308, v25
	v_pk_add_f32 v[24:25], v[6:7], v[26:27]
	v_mov_b32_e32 v96, v6
	v_sub_f32_e32 v27, v25, v27
	v_sub_f32_e32 v27, v7, v27
	v_add_f32_e32 v97, v3, v27
	v_pk_add_f32 v[6:7], v[24:25], v[6:7] neg_lo:[0,1] neg_hi:[0,1]
	v_pk_add_f32 v[98:99], v[24:25], v[96:97]
	v_mov_b32_e32 v27, v24
	v_mov_b32_e32 v7, v99
	v_pk_add_f32 v[100:101], v[26:27], v[6:7] neg_lo:[0,1] neg_hi:[0,1]
	v_pk_add_f32 v[6:7], v[26:27], v[6:7]
	v_mov_b32_e32 v96, v97
	v_mov_b32_e32 v26, v7
	v_pk_add_f32 v[102:103], v[26:27], v[24:25] neg_lo:[0,1] neg_hi:[0,1]
	v_mov_b32_e32 v6, v99
	v_mov_b32_e32 v3, v102
	v_pk_add_f32 v[112:113], v[98:99], v[2:3] neg_lo:[0,1] neg_hi:[0,1]
	v_mov_b32_e32 v98, v25
	v_mov_b32_e32 v99, v102
	;; [unrolled: 1-line block ×3, first 2 shown]
	v_pk_add_f32 v[6:7], v[6:7], v[98:99] neg_lo:[0,1] neg_hi:[0,1]
	v_mov_b32_e32 v97, v24
	v_pk_add_f32 v[6:7], v[96:97], v[6:7] neg_lo:[0,1] neg_hi:[0,1]
	v_mov_b32_e32 v112, v100
	v_pk_add_f32 v[24:25], v[112:113], v[6:7]
	s_mov_b32 s5, 0x33800000
	v_mov_b32_e32 v96, v25
	v_pk_add_f32 v[96:97], v[24:25], v[96:97]
	v_cmp_lt_f32_e64 s[6:7], |v39|, s5
	v_pk_add_f32 v[26:27], v[26:27], v[96:97]
	v_mov_b32_e32 v7, v96
	v_mov_b32_e32 v25, v26
	v_pk_add_f32 v[98:99], v[24:25], v[100:101] neg_lo:[0,1] neg_hi:[0,1]
	s_or_b64 vcc, vcc, s[6:7]
	v_sub_f32_e32 v3, v24, v98
	v_pk_add_f32 v[6:7], v[6:7], v[98:99] neg_lo:[0,1] neg_hi:[0,1]
	v_sub_f32_e32 v3, v100, v3
	v_add_f32_e32 v3, v6, v3
	v_add_f32_e32 v3, v3, v7
	;; [unrolled: 1-line block ×3, first 2 shown]
	v_cndmask_b32_e32 v3, v3, v39, vcc
	v_add_f32_e32 v3, v2, v3
.LBB451_372:
	s_or_b64 exec, exec, s[2:3]
	v_bfe_u32 v2, v3, 16, 1
	s_movk_i32 s5, 0x7fff
	v_add3_u32 v2, v3, v2, s5
	v_lshrrev_b32_e32 v6, 16, v2
	v_mov_b32_e32 v2, 0x7fc0
	v_cmp_o_f32_e32 vcc, v3, v3
	s_nop 1
	v_cndmask_b32_e32 v39, v2, v6, vcc
	v_lshlrev_b32_e32 v6, 16, v39
	v_max_f32_e32 v3, v6, v6
	v_min_f32_e32 v7, v3, v50
	v_cmp_u_f32_e32 vcc, v6, v6
	v_max_f32_e32 v3, v3, v50
	s_nop 0
	v_cndmask_b32_e32 v7, v7, v6, vcc
	v_cndmask_b32_e32 v3, v3, v6, vcc
	v_cndmask_b32_e64 v7, v7, v38, s[16:17]
	v_cndmask_b32_e64 v3, v3, v38, s[16:17]
	v_cmp_neq_f32_e32 vcc, v7, v3
	v_cmp_class_f32_e64 s[2:3], v7, s4
	s_or_b64 s[6:7], vcc, s[2:3]
	s_and_saveexec_b64 s[2:3], s[6:7]
	s_cbranch_execz .LBB451_374
; %bb.373:
	v_sub_f32_e32 v6, v7, v3
	s_mov_b32 s4, 0x3fb8aa3b
	v_mul_f32_e32 v7, 0x3fb8aa3b, v6
	v_fma_f32 v24, v6, s4, -v7
	v_rndne_f32_e32 v25, v7
	v_fmamk_f32 v24, v6, 0x32a5705f, v24
	v_sub_f32_e32 v7, v7, v25
	v_add_f32_e32 v7, v7, v24
	v_exp_f32_e32 v7, v7
	v_cvt_i32_f32_e32 v24, v25
	s_mov_b32 s4, 0xc2ce8ed0
	v_cmp_ngt_f32_e32 vcc, s4, v6
	s_mov_b32 s4, 0x42b17218
	v_ldexp_f32 v7, v7, v24
	v_cndmask_b32_e32 v7, 0, v7, vcc
	v_mov_b32_e32 v24, 0x7f800000
	v_cmp_nlt_f32_e32 vcc, s4, v6
	s_mov_b32 s4, 0x3f2aaaab
	s_mov_b32 s6, 0x7f800000
	v_cndmask_b32_e32 v50, v24, v7, vcc
	v_add_f32_e32 v24, 1.0, v50
	v_add_f32_e32 v6, -1.0, v24
	v_sub_f32_e32 v7, v6, v24
	v_add_f32_e32 v7, 1.0, v7
	v_sub_f32_e32 v6, v50, v6
	v_add_f32_e32 v25, v6, v7
	v_frexp_mant_f32_e32 v26, v24
	v_cvt_f64_f32_e32 v[6:7], v24
	v_frexp_exp_i32_f64_e32 v6, v[6:7]
	v_cmp_gt_f32_e32 vcc, s4, v26
	s_mov_b32 s4, 0x3f317218
	s_nop 0
	v_subbrev_co_u32_e32 v38, vcc, 0, v6, vcc
	v_sub_u32_e32 v6, 0, v38
	v_ldexp_f32 v7, v24, v6
	v_add_f32_e32 v24, -1.0, v7
	v_add_f32_e32 v26, 1.0, v7
	v_ldexp_f32 v6, v25, v6
	v_add_f32_e32 v25, 1.0, v24
	v_add_f32_e32 v27, -1.0, v26
	v_sub_f32_e32 v25, v7, v25
	v_sub_f32_e32 v7, v7, v27
	v_add_f32_e32 v25, v6, v25
	v_add_f32_e32 v6, v6, v7
	;; [unrolled: 1-line block ×3, first 2 shown]
	s_waitcnt lgkmcnt(0)
	v_rcp_f32_e32 v100, v98
	v_sub_f32_e32 v7, v26, v98
	v_add_f32_e32 v99, v6, v7
	v_add_f32_e32 v7, v24, v25
	v_mul_f32_e32 v102, v7, v100
	v_sub_f32_e32 v6, v24, v7
	v_mul_f32_e32 v24, v98, v102
	v_fma_f32 v26, v102, v98, -v24
	v_fmac_f32_e32 v26, v102, v99
	v_add_f32_e32 v101, v25, v6
	v_add_f32_e32 v6, v24, v26
	v_sub_f32_e32 v25, v7, v6
	v_pk_add_f32 v[96:97], v[6:7], v[24:25] neg_lo:[0,1] neg_hi:[0,1]
	v_mov_b32_e32 v27, v6
	v_pk_add_f32 v[6:7], v[96:97], v[26:27] neg_lo:[0,1] neg_hi:[0,1]
	v_cmp_eq_f32_e32 vcc, s6, v50
	v_add_f32_e32 v7, v101, v7
	v_add_f32_e32 v6, v6, v7
	;; [unrolled: 1-line block ×3, first 2 shown]
	v_mul_f32_e32 v101, v100, v7
	v_mul_f32_e32 v24, v98, v101
	v_fma_f32 v26, v101, v98, -v24
	v_fmac_f32_e32 v26, v101, v99
	v_sub_f32_e32 v25, v25, v7
	v_add_f32_e32 v98, v6, v25
	v_add_f32_e32 v6, v24, v26
	v_sub_f32_e32 v25, v7, v6
	v_pk_add_f32 v[96:97], v[6:7], v[24:25] neg_lo:[0,1] neg_hi:[0,1]
	v_mov_b32_e32 v27, v6
	v_pk_add_f32 v[6:7], v[96:97], v[26:27] neg_lo:[0,1] neg_hi:[0,1]
	v_cvt_f32_i32_e32 v24, v38
	v_add_f32_e32 v7, v98, v7
	v_add_f32_e32 v6, v6, v7
	;; [unrolled: 1-line block ×4, first 2 shown]
	v_sub_f32_e32 v7, v25, v102
	v_mul_f32_e32 v6, v100, v6
	v_sub_f32_e32 v7, v101, v7
	v_add_f32_e32 v6, v7, v6
	v_add_f32_e32 v26, v25, v6
	v_mul_f32_e32 v96, v26, v26
	v_mov_b32_e32 v7, 0x3ecc95a3
	v_sub_f32_e32 v25, v26, v25
	v_fmac_f32_e32 v7, 0x3e9b6dac, v96
	v_sub_f32_e32 v6, v6, v25
	v_fmaak_f32 v7, v96, v7, 0x3f2aaada
	v_ldexp_f32 v38, v6, 1
	v_mul_f32_e32 v25, v26, v96
	v_mov_b32_e32 v6, 0x3f317218
	v_pk_mul_f32 v[6:7], v[24:25], v[6:7]
	v_ldexp_f32 v27, v26, 1
	v_fma_f32 v25, v24, s4, -v6
	v_fmamk_f32 v26, v24, 0xb102e308, v25
	v_pk_add_f32 v[24:25], v[6:7], v[26:27]
	v_mov_b32_e32 v96, v6
	v_sub_f32_e32 v27, v25, v27
	v_sub_f32_e32 v27, v7, v27
	v_add_f32_e32 v97, v38, v27
	v_pk_add_f32 v[6:7], v[24:25], v[6:7] neg_lo:[0,1] neg_hi:[0,1]
	v_pk_add_f32 v[98:99], v[24:25], v[96:97]
	v_mov_b32_e32 v27, v24
	v_mov_b32_e32 v7, v99
	v_pk_add_f32 v[100:101], v[26:27], v[6:7] neg_lo:[0,1] neg_hi:[0,1]
	v_pk_add_f32 v[6:7], v[26:27], v[6:7]
	v_mov_b32_e32 v96, v97
	v_mov_b32_e32 v26, v7
	v_pk_add_f32 v[102:103], v[26:27], v[24:25] neg_lo:[0,1] neg_hi:[0,1]
	v_mov_b32_e32 v6, v99
	v_mov_b32_e32 v27, v102
	v_pk_add_f32 v[112:113], v[98:99], v[26:27] neg_lo:[0,1] neg_hi:[0,1]
	v_mov_b32_e32 v98, v25
	v_mov_b32_e32 v99, v102
	;; [unrolled: 1-line block ×3, first 2 shown]
	v_pk_add_f32 v[6:7], v[6:7], v[98:99] neg_lo:[0,1] neg_hi:[0,1]
	v_mov_b32_e32 v97, v24
	v_pk_add_f32 v[6:7], v[96:97], v[6:7] neg_lo:[0,1] neg_hi:[0,1]
	v_mov_b32_e32 v112, v100
	v_pk_add_f32 v[24:25], v[112:113], v[6:7]
	s_mov_b32 s4, 0x33800000
	v_mov_b32_e32 v38, v25
	v_pk_add_f32 v[96:97], v[24:25], v[38:39]
	v_cmp_lt_f32_e64 s[6:7], |v50|, s4
	v_pk_add_f32 v[26:27], v[26:27], v[96:97]
	v_mov_b32_e32 v7, v96
	v_mov_b32_e32 v25, v26
	v_pk_add_f32 v[98:99], v[24:25], v[100:101] neg_lo:[0,1] neg_hi:[0,1]
	s_or_b64 vcc, vcc, s[6:7]
	v_sub_f32_e32 v24, v24, v98
	v_pk_add_f32 v[6:7], v[6:7], v[98:99] neg_lo:[0,1] neg_hi:[0,1]
	v_sub_f32_e32 v24, v100, v24
	v_add_f32_e32 v6, v6, v24
	v_add_f32_e32 v6, v6, v7
	;; [unrolled: 1-line block ×3, first 2 shown]
	v_cndmask_b32_e32 v6, v6, v50, vcc
	v_add_f32_e32 v6, v3, v6
.LBB451_374:
	s_or_b64 exec, exec, s[2:3]
	v_bfe_u32 v3, v6, 16, 1
	v_add3_u32 v3, v6, v3, s5
	v_lshrrev_b32_e32 v3, 16, v3
	v_cmp_o_f32_e32 vcc, v6, v6
	s_movk_i32 s4, 0x1f8
	s_nop 0
	v_cndmask_b32_e32 v38, v2, v3, vcc
	v_lshlrev_b32_e32 v3, 16, v38
	v_max_f32_e32 v2, v3, v3
	v_min_f32_e32 v6, v2, v51
	v_cmp_u_f32_e32 vcc, v3, v3
	v_max_f32_e32 v2, v2, v51
	s_nop 0
	v_cndmask_b32_e32 v6, v6, v3, vcc
	v_cndmask_b32_e32 v2, v2, v3, vcc
	v_cndmask_b32_e64 v6, v6, v20, s[18:19]
	v_cndmask_b32_e64 v2, v2, v20, s[18:19]
	v_cmp_neq_f32_e32 vcc, v6, v2
	v_cmp_class_f32_e64 s[2:3], v6, s4
	s_or_b64 s[6:7], vcc, s[2:3]
	s_and_saveexec_b64 s[2:3], s[6:7]
	s_cbranch_execz .LBB451_376
; %bb.375:
	v_sub_f32_e32 v3, v6, v2
	s_mov_b32 s5, 0x3fb8aa3b
	v_mul_f32_e32 v6, 0x3fb8aa3b, v3
	v_fma_f32 v7, v3, s5, -v6
	v_rndne_f32_e32 v20, v6
	v_fmamk_f32 v7, v3, 0x32a5705f, v7
	v_sub_f32_e32 v6, v6, v20
	v_add_f32_e32 v6, v6, v7
	v_exp_f32_e32 v6, v6
	v_cvt_i32_f32_e32 v7, v20
	s_mov_b32 s5, 0xc2ce8ed0
	v_cmp_ngt_f32_e32 vcc, s5, v3
	s_mov_b32 s5, 0x42b17218
	v_ldexp_f32 v6, v6, v7
	v_cndmask_b32_e32 v6, 0, v6, vcc
	v_mov_b32_e32 v7, 0x7f800000
	v_cmp_nlt_f32_e32 vcc, s5, v3
	s_mov_b32 s5, 0x3f2aaaab
	s_mov_b32 s6, 0x7f800000
	v_cndmask_b32_e32 v102, v7, v6, vcc
	v_add_f32_e32 v3, 1.0, v102
	v_add_f32_e32 v6, -1.0, v3
	v_sub_f32_e32 v7, v6, v3
	v_add_f32_e32 v7, 1.0, v7
	v_sub_f32_e32 v6, v102, v6
	v_add_f32_e32 v20, v6, v7
	v_frexp_mant_f32_e32 v24, v3
	v_cvt_f64_f32_e32 v[6:7], v3
	v_frexp_exp_i32_f64_e32 v6, v[6:7]
	v_cmp_gt_f32_e32 vcc, s5, v24
	s_mov_b32 s5, 0x3f317218
	s_nop 0
	v_subbrev_co_u32_e32 v96, vcc, 0, v6, vcc
	v_sub_u32_e32 v6, 0, v96
	v_ldexp_f32 v3, v3, v6
	v_ldexp_f32 v6, v20, v6
	v_add_f32_e32 v20, -1.0, v3
	v_add_f32_e32 v7, 1.0, v20
	v_sub_f32_e32 v7, v3, v7
	v_add_f32_e32 v24, v6, v7
	v_add_f32_e32 v7, 1.0, v3
	v_add_f32_e32 v25, -1.0, v7
	v_sub_f32_e32 v3, v3, v25
	v_add_f32_e32 v3, v6, v3
	v_add_f32_e32 v97, v7, v3
	v_rcp_f32_e32 v98, v97
	v_sub_f32_e32 v6, v7, v97
	v_add_f32_e32 v7, v20, v24
	v_add_f32_e32 v3, v3, v6
	v_sub_f32_e32 v6, v20, v7
	v_mul_f32_e32 v99, v7, v98
	v_add_f32_e32 v20, v24, v6
	v_mul_f32_e32 v24, v97, v99
	v_fma_f32 v26, v99, v97, -v24
	v_fmac_f32_e32 v26, v99, v3
	v_add_f32_e32 v6, v24, v26
	v_sub_f32_e32 v25, v7, v6
	v_pk_add_f32 v[50:51], v[6:7], v[24:25] neg_lo:[0,1] neg_hi:[0,1]
	v_mov_b32_e32 v27, v6
	v_pk_add_f32 v[6:7], v[50:51], v[26:27] neg_lo:[0,1] neg_hi:[0,1]
	v_cmp_eq_f32_e32 vcc, s6, v102
	v_add_f32_e32 v7, v20, v7
	v_add_f32_e32 v6, v6, v7
	;; [unrolled: 1-line block ×3, first 2 shown]
	v_mul_f32_e32 v20, v98, v7
	v_mul_f32_e32 v24, v97, v20
	v_fma_f32 v26, v20, v97, -v24
	v_fmac_f32_e32 v26, v20, v3
	v_sub_f32_e32 v3, v25, v7
	v_add_f32_e32 v3, v6, v3
	v_add_f32_e32 v6, v24, v26
	v_sub_f32_e32 v25, v7, v6
	v_pk_add_f32 v[50:51], v[6:7], v[24:25] neg_lo:[0,1] neg_hi:[0,1]
	v_mov_b32_e32 v27, v6
	v_pk_add_f32 v[6:7], v[50:51], v[26:27] neg_lo:[0,1] neg_hi:[0,1]
	v_cvt_f32_i32_e32 v24, v96
	v_add_f32_e32 v3, v3, v7
	v_add_f32_e32 v3, v6, v3
	;; [unrolled: 1-line block ×4, first 2 shown]
	v_sub_f32_e32 v7, v6, v99
	v_mul_f32_e32 v3, v98, v3
	v_sub_f32_e32 v7, v20, v7
	v_add_f32_e32 v3, v7, v3
	v_add_f32_e32 v20, v6, v3
	v_mul_f32_e32 v25, v20, v20
	v_mov_b32_e32 v7, 0x3ecc95a3
	v_fmac_f32_e32 v7, 0x3e9b6dac, v25
	v_sub_f32_e32 v6, v20, v6
	v_fmaak_f32 v7, v25, v7, 0x3f2aaada
	v_sub_f32_e32 v3, v3, v6
	v_mul_f32_e32 v25, v20, v25
	v_mov_b32_e32 v6, 0x3f317218
	v_pk_mul_f32 v[6:7], v[24:25], v[6:7]
	v_ldexp_f32 v27, v20, 1
	v_fma_f32 v20, v24, s5, -v6
	v_fmamk_f32 v26, v24, 0xb102e308, v20
	v_pk_add_f32 v[24:25], v[6:7], v[26:27]
	v_ldexp_f32 v3, v3, 1
	v_sub_f32_e32 v20, v25, v27
	v_sub_f32_e32 v20, v7, v20
	v_add_f32_e32 v51, v3, v20
	v_mov_b32_e32 v50, v6
	v_pk_add_f32 v[6:7], v[24:25], v[6:7] neg_lo:[0,1] neg_hi:[0,1]
	v_pk_add_f32 v[96:97], v[24:25], v[50:51]
	v_mov_b32_e32 v27, v24
	v_mov_b32_e32 v7, v97
	v_pk_add_f32 v[98:99], v[26:27], v[6:7] neg_lo:[0,1] neg_hi:[0,1]
	v_pk_add_f32 v[6:7], v[26:27], v[6:7]
	s_mov_b32 s5, 0x33800000
	v_mov_b32_e32 v20, v7
	v_pk_add_f32 v[26:27], v[20:21], v[24:25] neg_lo:[0,1] neg_hi:[0,1]
	v_mov_b32_e32 v6, v97
	v_mov_b32_e32 v3, v26
	s_waitcnt lgkmcnt(0)
	v_pk_add_f32 v[100:101], v[96:97], v[2:3] neg_lo:[0,1] neg_hi:[0,1]
	v_mov_b32_e32 v96, v25
	v_mov_b32_e32 v97, v26
	;; [unrolled: 1-line block ×3, first 2 shown]
	v_pk_add_f32 v[6:7], v[6:7], v[96:97] neg_lo:[0,1] neg_hi:[0,1]
	v_mov_b32_e32 v26, v51
	v_mov_b32_e32 v27, v24
	v_pk_add_f32 v[6:7], v[26:27], v[6:7] neg_lo:[0,1] neg_hi:[0,1]
	v_mov_b32_e32 v100, v98
	v_pk_add_f32 v[24:25], v[100:101], v[6:7]
	v_cmp_lt_f32_e64 s[6:7], |v102|, s5
	v_mov_b32_e32 v26, v25
	v_pk_add_f32 v[26:27], v[24:25], v[26:27]
	s_or_b64 vcc, vcc, s[6:7]
	v_pk_add_f32 v[50:51], v[20:21], v[26:27]
	v_mov_b32_e32 v7, v26
	v_mov_b32_e32 v25, v50
	v_pk_add_f32 v[96:97], v[24:25], v[98:99] neg_lo:[0,1] neg_hi:[0,1]
	s_nop 0
	v_sub_f32_e32 v3, v24, v96
	v_pk_add_f32 v[6:7], v[6:7], v[96:97] neg_lo:[0,1] neg_hi:[0,1]
	v_sub_f32_e32 v3, v98, v3
	v_add_f32_e32 v3, v6, v3
	v_add_f32_e32 v3, v3, v7
	;; [unrolled: 1-line block ×3, first 2 shown]
	v_cndmask_b32_e32 v3, v3, v102, vcc
	v_add_f32_e32 v3, v2, v3
.LBB451_376:
	s_or_b64 exec, exec, s[2:3]
	v_bfe_u32 v2, v3, 16, 1
	s_movk_i32 s5, 0x7fff
	v_add3_u32 v2, v3, v2, s5
	v_lshrrev_b32_e32 v6, 16, v2
	v_mov_b32_e32 v2, 0x7fc0
	v_cmp_o_f32_e32 vcc, v3, v3
	s_nop 1
	v_cndmask_b32_e32 v50, v2, v6, vcc
	v_lshlrev_b32_e32 v6, 16, v50
	v_max_f32_e32 v3, v6, v6
	v_min_f32_e32 v7, v3, v53
	v_cmp_u_f32_e32 vcc, v6, v6
	v_max_f32_e32 v3, v3, v53
	s_nop 0
	v_cndmask_b32_e32 v7, v7, v6, vcc
	v_cndmask_b32_e32 v3, v3, v6, vcc
	v_cndmask_b32_e64 v7, v7, v49, s[20:21]
	v_cndmask_b32_e64 v3, v3, v49, s[20:21]
	v_cmp_neq_f32_e32 vcc, v7, v3
	v_cmp_class_f32_e64 s[2:3], v7, s4
	s_or_b64 s[6:7], vcc, s[2:3]
	s_and_saveexec_b64 s[2:3], s[6:7]
	s_cbranch_execz .LBB451_378
; %bb.377:
	v_sub_f32_e32 v6, v7, v3
	s_mov_b32 s4, 0x3fb8aa3b
	v_mul_f32_e32 v7, 0x3fb8aa3b, v6
	v_fma_f32 v20, v6, s4, -v7
	v_rndne_f32_e32 v24, v7
	v_fmamk_f32 v20, v6, 0x32a5705f, v20
	v_sub_f32_e32 v7, v7, v24
	v_add_f32_e32 v7, v7, v20
	v_exp_f32_e32 v7, v7
	v_cvt_i32_f32_e32 v20, v24
	s_mov_b32 s4, 0xc2ce8ed0
	v_cmp_ngt_f32_e32 vcc, s4, v6
	s_mov_b32 s4, 0x42b17218
	v_ldexp_f32 v7, v7, v20
	v_cndmask_b32_e32 v7, 0, v7, vcc
	v_mov_b32_e32 v20, 0x7f800000
	v_cmp_nlt_f32_e32 vcc, s4, v6
	s_mov_b32 s4, 0x3f2aaaab
	s_mov_b32 s6, 0x7f800000
	v_cndmask_b32_e32 v49, v20, v7, vcc
	v_add_f32_e32 v20, 1.0, v49
	v_add_f32_e32 v6, -1.0, v20
	v_sub_f32_e32 v7, v6, v20
	v_add_f32_e32 v7, 1.0, v7
	v_sub_f32_e32 v6, v49, v6
	v_add_f32_e32 v24, v6, v7
	v_frexp_mant_f32_e32 v25, v20
	v_cvt_f64_f32_e32 v[6:7], v20
	v_frexp_exp_i32_f64_e32 v6, v[6:7]
	v_cmp_gt_f32_e32 vcc, s4, v25
	s_mov_b32 s4, 0x3f317218
	s_nop 0
	v_subbrev_co_u32_e32 v51, vcc, 0, v6, vcc
	v_sub_u32_e32 v6, 0, v51
	v_ldexp_f32 v7, v20, v6
	v_add_f32_e32 v20, -1.0, v7
	v_add_f32_e32 v25, 1.0, v7
	v_ldexp_f32 v6, v24, v6
	v_add_f32_e32 v24, 1.0, v20
	v_add_f32_e32 v26, -1.0, v25
	v_sub_f32_e32 v24, v7, v24
	v_sub_f32_e32 v7, v7, v26
	v_add_f32_e32 v24, v6, v24
	v_add_f32_e32 v6, v6, v7
	;; [unrolled: 1-line block ×3, first 2 shown]
	v_rcp_f32_e32 v99, v53
	v_sub_f32_e32 v7, v25, v53
	v_add_f32_e32 v98, v6, v7
	v_add_f32_e32 v7, v20, v24
	v_sub_f32_e32 v6, v20, v7
	s_waitcnt lgkmcnt(0)
	v_mul_f32_e32 v100, v7, v99
	v_add_f32_e32 v20, v24, v6
	v_mul_f32_e32 v24, v53, v100
	v_fma_f32 v26, v100, v53, -v24
	v_fmac_f32_e32 v26, v100, v98
	v_add_f32_e32 v6, v24, v26
	v_sub_f32_e32 v25, v7, v6
	v_pk_add_f32 v[96:97], v[6:7], v[24:25] neg_lo:[0,1] neg_hi:[0,1]
	v_mov_b32_e32 v27, v6
	v_pk_add_f32 v[6:7], v[96:97], v[26:27] neg_lo:[0,1] neg_hi:[0,1]
	v_cmp_eq_f32_e32 vcc, s6, v49
	v_add_f32_e32 v7, v20, v7
	v_add_f32_e32 v6, v6, v7
	;; [unrolled: 1-line block ×3, first 2 shown]
	v_mul_f32_e32 v20, v99, v7
	v_mul_f32_e32 v24, v53, v20
	v_fma_f32 v26, v20, v53, -v24
	v_fmac_f32_e32 v26, v20, v98
	v_sub_f32_e32 v25, v25, v7
	v_add_f32_e32 v53, v6, v25
	v_add_f32_e32 v6, v24, v26
	v_sub_f32_e32 v25, v7, v6
	v_pk_add_f32 v[96:97], v[6:7], v[24:25] neg_lo:[0,1] neg_hi:[0,1]
	v_mov_b32_e32 v27, v6
	v_pk_add_f32 v[6:7], v[96:97], v[26:27] neg_lo:[0,1] neg_hi:[0,1]
	v_cvt_f32_i32_e32 v24, v51
	v_add_f32_e32 v7, v53, v7
	v_add_f32_e32 v6, v6, v7
	;; [unrolled: 1-line block ×4, first 2 shown]
	v_sub_f32_e32 v7, v25, v100
	v_mul_f32_e32 v6, v99, v6
	v_sub_f32_e32 v7, v20, v7
	v_add_f32_e32 v6, v7, v6
	v_add_f32_e32 v20, v25, v6
	v_mul_f32_e32 v26, v20, v20
	v_mov_b32_e32 v7, 0x3ecc95a3
	v_sub_f32_e32 v25, v20, v25
	v_fmac_f32_e32 v7, 0x3e9b6dac, v26
	v_sub_f32_e32 v6, v6, v25
	v_fmaak_f32 v7, v26, v7, 0x3f2aaada
	v_ldexp_f32 v51, v6, 1
	v_mul_f32_e32 v25, v20, v26
	v_mov_b32_e32 v6, 0x3f317218
	v_pk_mul_f32 v[6:7], v[24:25], v[6:7]
	v_ldexp_f32 v27, v20, 1
	v_fma_f32 v20, v24, s4, -v6
	v_fmamk_f32 v26, v24, 0xb102e308, v20
	v_pk_add_f32 v[24:25], v[6:7], v[26:27]
	v_mov_b32_e32 v96, v6
	v_sub_f32_e32 v20, v25, v27
	v_sub_f32_e32 v20, v7, v20
	v_add_f32_e32 v97, v51, v20
	v_pk_add_f32 v[6:7], v[24:25], v[6:7] neg_lo:[0,1] neg_hi:[0,1]
	v_pk_add_f32 v[98:99], v[24:25], v[96:97]
	v_mov_b32_e32 v27, v24
	v_mov_b32_e32 v7, v99
	v_pk_add_f32 v[100:101], v[26:27], v[6:7] neg_lo:[0,1] neg_hi:[0,1]
	v_pk_add_f32 v[6:7], v[26:27], v[6:7]
	s_mov_b32 s4, 0x33800000
	v_mov_b32_e32 v20, v7
	v_pk_add_f32 v[26:27], v[20:21], v[24:25] neg_lo:[0,1] neg_hi:[0,1]
	v_mov_b32_e32 v6, v99
	v_mov_b32_e32 v27, v26
	v_pk_add_f32 v[102:103], v[98:99], v[26:27] neg_lo:[0,1] neg_hi:[0,1]
	v_mov_b32_e32 v98, v25
	v_mov_b32_e32 v99, v26
	v_mov_b32_e32 v101, v7
	v_pk_add_f32 v[6:7], v[6:7], v[98:99] neg_lo:[0,1] neg_hi:[0,1]
	v_mov_b32_e32 v26, v97
	v_mov_b32_e32 v27, v24
	v_pk_add_f32 v[6:7], v[26:27], v[6:7] neg_lo:[0,1] neg_hi:[0,1]
	v_mov_b32_e32 v102, v100
	v_pk_add_f32 v[24:25], v[102:103], v[6:7]
	v_cmp_lt_f32_e64 s[6:7], |v49|, s4
	v_mov_b32_e32 v26, v25
	v_pk_add_f32 v[26:27], v[24:25], v[26:27]
	s_or_b64 vcc, vcc, s[6:7]
	v_pk_add_f32 v[96:97], v[20:21], v[26:27]
	v_mov_b32_e32 v7, v26
	v_mov_b32_e32 v25, v96
	v_pk_add_f32 v[98:99], v[24:25], v[100:101] neg_lo:[0,1] neg_hi:[0,1]
	s_nop 0
	v_sub_f32_e32 v20, v24, v98
	v_pk_add_f32 v[6:7], v[6:7], v[98:99] neg_lo:[0,1] neg_hi:[0,1]
	v_sub_f32_e32 v20, v100, v20
	v_add_f32_e32 v6, v6, v20
	v_add_f32_e32 v6, v6, v7
	;; [unrolled: 1-line block ×3, first 2 shown]
	v_cndmask_b32_e32 v6, v6, v49, vcc
	v_add_f32_e32 v6, v3, v6
.LBB451_378:
	s_or_b64 exec, exec, s[2:3]
	v_bfe_u32 v3, v6, 16, 1
	v_add3_u32 v3, v6, v3, s5
	v_lshrrev_b32_e32 v3, 16, v3
	v_cmp_o_f32_e32 vcc, v6, v6
	s_movk_i32 s4, 0x1f8
	s_nop 0
	v_cndmask_b32_e32 v49, v2, v3, vcc
	v_lshlrev_b32_e32 v3, 16, v49
	v_max_f32_e32 v2, v3, v3
	v_min_f32_e32 v6, v2, v54
	v_cmp_u_f32_e32 vcc, v3, v3
	v_max_f32_e32 v2, v2, v54
	s_nop 0
	v_cndmask_b32_e32 v6, v6, v3, vcc
	v_cndmask_b32_e32 v2, v2, v3, vcc
	v_cndmask_b32_e64 v6, v6, v21, s[22:23]
	v_cndmask_b32_e64 v2, v2, v21, s[22:23]
	v_cmp_neq_f32_e32 vcc, v6, v2
	v_cmp_class_f32_e64 s[2:3], v6, s4
	s_or_b64 s[6:7], vcc, s[2:3]
	s_and_saveexec_b64 s[2:3], s[6:7]
	s_cbranch_execz .LBB451_380
; %bb.379:
	v_sub_f32_e32 v3, v6, v2
	s_mov_b32 s5, 0x3fb8aa3b
	v_mul_f32_e32 v6, 0x3fb8aa3b, v3
	v_fma_f32 v7, v3, s5, -v6
	v_rndne_f32_e32 v20, v6
	v_fmamk_f32 v7, v3, 0x32a5705f, v7
	v_sub_f32_e32 v6, v6, v20
	v_add_f32_e32 v6, v6, v7
	v_exp_f32_e32 v6, v6
	v_cvt_i32_f32_e32 v7, v20
	s_mov_b32 s5, 0xc2ce8ed0
	v_cmp_ngt_f32_e32 vcc, s5, v3
	s_mov_b32 s5, 0x42b17218
	v_ldexp_f32 v6, v6, v7
	v_cndmask_b32_e32 v6, 0, v6, vcc
	v_mov_b32_e32 v7, 0x7f800000
	v_cmp_nlt_f32_e32 vcc, s5, v3
	s_mov_b32 s5, 0x3f2aaaab
	s_mov_b32 s6, 0x7f800000
	v_cndmask_b32_e32 v51, v7, v6, vcc
	v_add_f32_e32 v3, 1.0, v51
	v_add_f32_e32 v6, -1.0, v3
	v_sub_f32_e32 v7, v6, v3
	v_add_f32_e32 v7, 1.0, v7
	v_sub_f32_e32 v6, v51, v6
	v_add_f32_e32 v20, v6, v7
	v_frexp_mant_f32_e32 v21, v3
	v_cvt_f64_f32_e32 v[6:7], v3
	v_frexp_exp_i32_f64_e32 v6, v[6:7]
	v_cmp_gt_f32_e32 vcc, s5, v21
	s_mov_b32 s5, 0x3f317218
	s_nop 0
	v_subbrev_co_u32_e32 v53, vcc, 0, v6, vcc
	v_sub_u32_e32 v6, 0, v53
	v_ldexp_f32 v3, v3, v6
	v_ldexp_f32 v6, v20, v6
	v_add_f32_e32 v20, -1.0, v3
	v_add_f32_e32 v7, 1.0, v20
	v_sub_f32_e32 v7, v3, v7
	v_add_f32_e32 v21, v6, v7
	v_add_f32_e32 v7, 1.0, v3
	v_add_f32_e32 v24, -1.0, v7
	v_sub_f32_e32 v3, v3, v24
	v_add_f32_e32 v3, v6, v3
	v_add_f32_e32 v54, v7, v3
	v_rcp_f32_e32 v96, v54
	v_sub_f32_e32 v6, v7, v54
	v_add_f32_e32 v7, v20, v21
	v_add_f32_e32 v3, v3, v6
	v_mul_f32_e32 v98, v7, v96
	v_sub_f32_e32 v6, v20, v7
	v_mul_f32_e32 v20, v54, v98
	v_fma_f32 v24, v98, v54, -v20
	v_fmac_f32_e32 v24, v98, v3
	v_add_f32_e32 v97, v21, v6
	v_add_f32_e32 v6, v20, v24
	v_sub_f32_e32 v21, v7, v6
	v_pk_add_f32 v[26:27], v[6:7], v[20:21] neg_lo:[0,1] neg_hi:[0,1]
	v_mov_b32_e32 v25, v6
	v_pk_add_f32 v[6:7], v[26:27], v[24:25] neg_lo:[0,1] neg_hi:[0,1]
	v_cmp_eq_f32_e32 vcc, s6, v51
	v_add_f32_e32 v7, v97, v7
	v_add_f32_e32 v6, v6, v7
	;; [unrolled: 1-line block ×3, first 2 shown]
	v_mul_f32_e32 v97, v96, v7
	v_mul_f32_e32 v20, v54, v97
	v_fma_f32 v24, v97, v54, -v20
	v_fmac_f32_e32 v24, v97, v3
	v_sub_f32_e32 v3, v21, v7
	v_add_f32_e32 v3, v6, v3
	v_add_f32_e32 v6, v20, v24
	v_sub_f32_e32 v21, v7, v6
	v_pk_add_f32 v[26:27], v[6:7], v[20:21] neg_lo:[0,1] neg_hi:[0,1]
	v_mov_b32_e32 v25, v6
	v_pk_add_f32 v[6:7], v[26:27], v[24:25] neg_lo:[0,1] neg_hi:[0,1]
	v_cvt_f32_i32_e32 v20, v53
	v_add_f32_e32 v3, v3, v7
	v_add_f32_e32 v3, v6, v3
	;; [unrolled: 1-line block ×4, first 2 shown]
	v_sub_f32_e32 v7, v6, v98
	v_mul_f32_e32 v3, v96, v3
	v_sub_f32_e32 v7, v97, v7
	v_add_f32_e32 v3, v7, v3
	v_add_f32_e32 v21, v6, v3
	v_mul_f32_e32 v24, v21, v21
	v_mov_b32_e32 v7, 0x3ecc95a3
	v_fmac_f32_e32 v7, 0x3e9b6dac, v24
	v_sub_f32_e32 v6, v21, v6
	v_fmaak_f32 v7, v24, v7, 0x3f2aaada
	v_sub_f32_e32 v3, v3, v6
	v_ldexp_f32 v25, v21, 1
	v_mul_f32_e32 v21, v21, v24
	v_mov_b32_e32 v6, 0x3f317218
	v_pk_mul_f32 v[6:7], v[20:21], v[6:7]
	v_ldexp_f32 v3, v3, 1
	v_fma_f32 v21, v20, s5, -v6
	v_fmamk_f32 v24, v20, 0xb102e308, v21
	v_pk_add_f32 v[20:21], v[6:7], v[24:25]
	v_mov_b32_e32 v26, v6
	v_sub_f32_e32 v25, v21, v25
	v_sub_f32_e32 v25, v7, v25
	v_add_f32_e32 v27, v3, v25
	v_pk_add_f32 v[6:7], v[20:21], v[6:7] neg_lo:[0,1] neg_hi:[0,1]
	v_pk_add_f32 v[96:97], v[20:21], v[26:27]
	v_mov_b32_e32 v25, v20
	v_mov_b32_e32 v7, v97
	v_pk_add_f32 v[98:99], v[24:25], v[6:7] neg_lo:[0,1] neg_hi:[0,1]
	v_pk_add_f32 v[6:7], v[24:25], v[6:7]
	v_mov_b32_e32 v26, v27
	v_mov_b32_e32 v24, v7
	s_waitcnt lgkmcnt(0)
	v_pk_add_f32 v[100:101], v[24:25], v[20:21] neg_lo:[0,1] neg_hi:[0,1]
	v_mov_b32_e32 v6, v97
	v_mov_b32_e32 v3, v100
	v_pk_add_f32 v[102:103], v[96:97], v[2:3] neg_lo:[0,1] neg_hi:[0,1]
	v_mov_b32_e32 v96, v21
	v_mov_b32_e32 v97, v100
	;; [unrolled: 1-line block ×3, first 2 shown]
	v_pk_add_f32 v[6:7], v[6:7], v[96:97] neg_lo:[0,1] neg_hi:[0,1]
	v_mov_b32_e32 v27, v20
	v_pk_add_f32 v[6:7], v[26:27], v[6:7] neg_lo:[0,1] neg_hi:[0,1]
	v_mov_b32_e32 v102, v98
	v_pk_add_f32 v[20:21], v[102:103], v[6:7]
	s_mov_b32 s5, 0x33800000
	v_mov_b32_e32 v26, v21
	v_pk_add_f32 v[26:27], v[20:21], v[26:27]
	v_cmp_lt_f32_e64 s[6:7], |v51|, s5
	v_pk_add_f32 v[24:25], v[24:25], v[26:27]
	v_mov_b32_e32 v7, v26
	v_mov_b32_e32 v21, v24
	v_pk_add_f32 v[96:97], v[20:21], v[98:99] neg_lo:[0,1] neg_hi:[0,1]
	s_or_b64 vcc, vcc, s[6:7]
	v_sub_f32_e32 v3, v20, v96
	v_pk_add_f32 v[6:7], v[6:7], v[96:97] neg_lo:[0,1] neg_hi:[0,1]
	v_sub_f32_e32 v3, v98, v3
	v_add_f32_e32 v3, v6, v3
	v_add_f32_e32 v3, v3, v7
	;; [unrolled: 1-line block ×3, first 2 shown]
	v_cndmask_b32_e32 v3, v3, v51, vcc
	v_add_f32_e32 v3, v2, v3
.LBB451_380:
	s_or_b64 exec, exec, s[2:3]
	v_bfe_u32 v2, v3, 16, 1
	s_movk_i32 s5, 0x7fff
	v_add3_u32 v2, v3, v2, s5
	v_lshrrev_b32_e32 v6, 16, v2
	v_mov_b32_e32 v2, 0x7fc0
	v_cmp_o_f32_e32 vcc, v3, v3
	s_nop 1
	v_cndmask_b32_e32 v51, v2, v6, vcc
	v_lshlrev_b32_e32 v6, 16, v51
	v_max_f32_e32 v3, v6, v6
	v_min_f32_e32 v7, v3, v64
	v_cmp_u_f32_e32 vcc, v6, v6
	v_max_f32_e32 v3, v3, v64
	s_nop 0
	v_cndmask_b32_e32 v7, v7, v6, vcc
	v_cndmask_b32_e32 v3, v3, v6, vcc
	v_cndmask_b32_e64 v7, v7, v52, s[24:25]
	v_cndmask_b32_e64 v3, v3, v52, s[24:25]
	v_cmp_neq_f32_e32 vcc, v7, v3
	v_cmp_class_f32_e64 s[2:3], v7, s4
	s_or_b64 s[6:7], vcc, s[2:3]
	s_and_saveexec_b64 s[2:3], s[6:7]
	s_cbranch_execz .LBB451_382
; %bb.381:
	v_sub_f32_e32 v6, v7, v3
	s_mov_b32 s4, 0x3fb8aa3b
	v_mul_f32_e32 v7, 0x3fb8aa3b, v6
	v_fma_f32 v20, v6, s4, -v7
	v_rndne_f32_e32 v21, v7
	v_fmamk_f32 v20, v6, 0x32a5705f, v20
	v_sub_f32_e32 v7, v7, v21
	v_add_f32_e32 v7, v7, v20
	v_exp_f32_e32 v7, v7
	v_cvt_i32_f32_e32 v20, v21
	s_mov_b32 s4, 0xc2ce8ed0
	v_cmp_ngt_f32_e32 vcc, s4, v6
	s_mov_b32 s4, 0x42b17218
	v_ldexp_f32 v7, v7, v20
	v_cndmask_b32_e32 v7, 0, v7, vcc
	v_mov_b32_e32 v20, 0x7f800000
	v_cmp_nlt_f32_e32 vcc, s4, v6
	s_mov_b32 s4, 0x3f2aaaab
	s_mov_b32 s6, 0x7f800000
	v_cndmask_b32_e32 v54, v20, v7, vcc
	v_add_f32_e32 v20, 1.0, v54
	v_add_f32_e32 v6, -1.0, v20
	v_sub_f32_e32 v7, v6, v20
	v_add_f32_e32 v7, 1.0, v7
	v_sub_f32_e32 v6, v54, v6
	v_add_f32_e32 v21, v6, v7
	v_frexp_mant_f32_e32 v24, v20
	v_cvt_f64_f32_e32 v[6:7], v20
	v_frexp_exp_i32_f64_e32 v6, v[6:7]
	v_cmp_gt_f32_e32 vcc, s4, v24
	s_mov_b32 s4, 0x3f317218
	s_nop 0
	v_subbrev_co_u32_e32 v52, vcc, 0, v6, vcc
	v_sub_u32_e32 v6, 0, v52
	v_ldexp_f32 v7, v20, v6
	v_add_f32_e32 v20, -1.0, v7
	v_add_f32_e32 v24, 1.0, v7
	v_ldexp_f32 v6, v21, v6
	v_add_f32_e32 v21, 1.0, v20
	v_add_f32_e32 v25, -1.0, v24
	v_sub_f32_e32 v21, v7, v21
	v_sub_f32_e32 v7, v7, v25
	v_add_f32_e32 v21, v6, v21
	v_add_f32_e32 v6, v6, v7
	;; [unrolled: 1-line block ×3, first 2 shown]
	v_rcp_f32_e32 v96, v53
	v_sub_f32_e32 v7, v24, v53
	v_add_f32_e32 v64, v6, v7
	v_add_f32_e32 v7, v20, v21
	v_mul_f32_e32 v98, v7, v96
	v_sub_f32_e32 v6, v20, v7
	v_mul_f32_e32 v20, v53, v98
	v_fma_f32 v24, v98, v53, -v20
	v_fmac_f32_e32 v24, v98, v64
	v_add_f32_e32 v97, v21, v6
	v_add_f32_e32 v6, v20, v24
	v_sub_f32_e32 v21, v7, v6
	v_pk_add_f32 v[26:27], v[6:7], v[20:21] neg_lo:[0,1] neg_hi:[0,1]
	v_mov_b32_e32 v25, v6
	v_pk_add_f32 v[6:7], v[26:27], v[24:25] neg_lo:[0,1] neg_hi:[0,1]
	v_cmp_eq_f32_e32 vcc, s6, v54
	v_add_f32_e32 v7, v97, v7
	v_add_f32_e32 v6, v6, v7
	;; [unrolled: 1-line block ×3, first 2 shown]
	v_mul_f32_e32 v97, v96, v7
	v_mul_f32_e32 v20, v53, v97
	v_fma_f32 v24, v97, v53, -v20
	v_fmac_f32_e32 v24, v97, v64
	v_sub_f32_e32 v21, v21, v7
	v_add_f32_e32 v53, v6, v21
	v_add_f32_e32 v6, v20, v24
	v_sub_f32_e32 v21, v7, v6
	v_pk_add_f32 v[26:27], v[6:7], v[20:21] neg_lo:[0,1] neg_hi:[0,1]
	v_mov_b32_e32 v25, v6
	v_pk_add_f32 v[6:7], v[26:27], v[24:25] neg_lo:[0,1] neg_hi:[0,1]
	v_cvt_f32_i32_e32 v20, v52
	v_add_f32_e32 v7, v53, v7
	v_add_f32_e32 v6, v6, v7
	;; [unrolled: 1-line block ×4, first 2 shown]
	v_sub_f32_e32 v7, v21, v98
	v_mul_f32_e32 v6, v96, v6
	v_sub_f32_e32 v7, v97, v7
	v_add_f32_e32 v6, v7, v6
	v_add_f32_e32 v24, v21, v6
	v_mul_f32_e32 v26, v24, v24
	v_mov_b32_e32 v7, 0x3ecc95a3
	v_sub_f32_e32 v21, v24, v21
	v_fmac_f32_e32 v7, 0x3e9b6dac, v26
	v_sub_f32_e32 v6, v6, v21
	v_fmaak_f32 v7, v26, v7, 0x3f2aaada
	v_ldexp_f32 v27, v6, 1
	v_mul_f32_e32 v21, v24, v26
	v_mov_b32_e32 v6, 0x3f317218
	v_pk_mul_f32 v[6:7], v[20:21], v[6:7]
	v_ldexp_f32 v25, v24, 1
	v_fma_f32 v21, v20, s4, -v6
	v_fmamk_f32 v24, v20, 0xb102e308, v21
	v_pk_add_f32 v[20:21], v[6:7], v[24:25]
	v_mov_b32_e32 v26, v6
	v_sub_f32_e32 v25, v21, v25
	v_sub_f32_e32 v25, v7, v25
	v_add_f32_e32 v27, v27, v25
	v_pk_add_f32 v[6:7], v[20:21], v[6:7] neg_lo:[0,1] neg_hi:[0,1]
	v_pk_add_f32 v[52:53], v[20:21], v[26:27]
	v_mov_b32_e32 v25, v20
	v_mov_b32_e32 v7, v53
	v_pk_add_f32 v[96:97], v[24:25], v[6:7] neg_lo:[0,1] neg_hi:[0,1]
	v_pk_add_f32 v[6:7], v[24:25], v[6:7]
	v_mov_b32_e32 v26, v27
	v_mov_b32_e32 v24, v7
	v_pk_add_f32 v[98:99], v[24:25], v[20:21] neg_lo:[0,1] neg_hi:[0,1]
	v_mov_b32_e32 v6, v53
	v_mov_b32_e32 v25, v98
	s_waitcnt lgkmcnt(0)
	v_pk_add_f32 v[100:101], v[52:53], v[24:25] neg_lo:[0,1] neg_hi:[0,1]
	v_mov_b32_e32 v52, v21
	v_mov_b32_e32 v53, v98
	;; [unrolled: 1-line block ×3, first 2 shown]
	v_pk_add_f32 v[6:7], v[6:7], v[52:53] neg_lo:[0,1] neg_hi:[0,1]
	v_mov_b32_e32 v27, v20
	v_pk_add_f32 v[6:7], v[26:27], v[6:7] neg_lo:[0,1] neg_hi:[0,1]
	v_mov_b32_e32 v100, v96
	v_pk_add_f32 v[20:21], v[100:101], v[6:7]
	s_mov_b32 s4, 0x33800000
	v_mov_b32_e32 v26, v21
	v_pk_add_f32 v[26:27], v[20:21], v[26:27]
	v_cmp_lt_f32_e64 s[6:7], |v54|, s4
	v_pk_add_f32 v[24:25], v[24:25], v[26:27]
	v_mov_b32_e32 v7, v26
	v_mov_b32_e32 v21, v24
	v_pk_add_f32 v[52:53], v[20:21], v[96:97] neg_lo:[0,1] neg_hi:[0,1]
	s_or_b64 vcc, vcc, s[6:7]
	v_sub_f32_e32 v20, v20, v52
	v_pk_add_f32 v[6:7], v[6:7], v[52:53] neg_lo:[0,1] neg_hi:[0,1]
	v_sub_f32_e32 v20, v96, v20
	v_add_f32_e32 v6, v6, v20
	v_add_f32_e32 v6, v6, v7
	;; [unrolled: 1-line block ×3, first 2 shown]
	v_cndmask_b32_e32 v6, v6, v54, vcc
	v_add_f32_e32 v6, v3, v6
.LBB451_382:
	s_or_b64 exec, exec, s[2:3]
	v_bfe_u32 v3, v6, 16, 1
	v_add3_u32 v3, v6, v3, s5
	v_lshrrev_b32_e32 v3, 16, v3
	v_cmp_o_f32_e32 vcc, v6, v6
	s_movk_i32 s4, 0x1f8
	s_nop 0
	v_cndmask_b32_e32 v52, v2, v3, vcc
	v_lshlrev_b32_e32 v3, 16, v52
	v_max_f32_e32 v2, v3, v3
	v_min_f32_e32 v6, v2, v65
	v_cmp_u_f32_e32 vcc, v3, v3
	v_max_f32_e32 v2, v2, v65
	s_nop 0
	v_cndmask_b32_e32 v6, v6, v3, vcc
	v_cndmask_b32_e32 v2, v2, v3, vcc
	v_cndmask_b32_e64 v6, v6, v22, s[26:27]
	v_cndmask_b32_e64 v2, v2, v22, s[26:27]
	v_cmp_neq_f32_e32 vcc, v6, v2
	v_cmp_class_f32_e64 s[2:3], v6, s4
	s_or_b64 s[6:7], vcc, s[2:3]
	s_and_saveexec_b64 s[2:3], s[6:7]
	s_cbranch_execz .LBB451_384
; %bb.383:
	v_sub_f32_e32 v3, v6, v2
	s_mov_b32 s5, 0x3fb8aa3b
	v_mul_f32_e32 v6, 0x3fb8aa3b, v3
	v_fma_f32 v7, v3, s5, -v6
	v_rndne_f32_e32 v20, v6
	v_fmamk_f32 v7, v3, 0x32a5705f, v7
	v_sub_f32_e32 v6, v6, v20
	v_add_f32_e32 v6, v6, v7
	v_exp_f32_e32 v6, v6
	v_cvt_i32_f32_e32 v7, v20
	s_mov_b32 s5, 0xc2ce8ed0
	v_cmp_ngt_f32_e32 vcc, s5, v3
	s_mov_b32 s5, 0x42b17218
	v_ldexp_f32 v6, v6, v7
	v_cndmask_b32_e32 v6, 0, v6, vcc
	v_mov_b32_e32 v7, 0x7f800000
	v_cmp_nlt_f32_e32 vcc, s5, v3
	s_mov_b32 s5, 0x3f2aaaab
	s_mov_b32 s6, 0x7f800000
	v_cndmask_b32_e32 v53, v7, v6, vcc
	v_add_f32_e32 v3, 1.0, v53
	v_add_f32_e32 v6, -1.0, v3
	v_sub_f32_e32 v7, v6, v3
	v_add_f32_e32 v7, 1.0, v7
	v_sub_f32_e32 v6, v53, v6
	v_add_f32_e32 v20, v6, v7
	v_frexp_mant_f32_e32 v21, v3
	v_cvt_f64_f32_e32 v[6:7], v3
	v_frexp_exp_i32_f64_e32 v6, v[6:7]
	v_cmp_gt_f32_e32 vcc, s5, v21
	s_mov_b32 s5, 0x3f317218
	s_nop 0
	v_subbrev_co_u32_e32 v22, vcc, 0, v6, vcc
	v_sub_u32_e32 v6, 0, v22
	v_ldexp_f32 v3, v3, v6
	v_ldexp_f32 v6, v20, v6
	v_add_f32_e32 v20, -1.0, v3
	v_add_f32_e32 v7, 1.0, v20
	v_sub_f32_e32 v7, v3, v7
	v_add_f32_e32 v21, v6, v7
	v_add_f32_e32 v7, 1.0, v3
	v_add_f32_e32 v24, -1.0, v7
	v_sub_f32_e32 v3, v3, v24
	v_add_f32_e32 v3, v6, v3
	v_add_f32_e32 v54, v7, v3
	v_rcp_f32_e32 v64, v54
	v_sub_f32_e32 v6, v7, v54
	v_add_f32_e32 v7, v20, v21
	v_add_f32_e32 v3, v3, v6
	v_mul_f32_e32 v96, v7, v64
	v_sub_f32_e32 v6, v20, v7
	v_mul_f32_e32 v20, v54, v96
	v_fma_f32 v24, v96, v54, -v20
	v_fmac_f32_e32 v24, v96, v3
	v_add_f32_e32 v65, v21, v6
	v_add_f32_e32 v6, v20, v24
	v_sub_f32_e32 v21, v7, v6
	v_pk_add_f32 v[26:27], v[6:7], v[20:21] neg_lo:[0,1] neg_hi:[0,1]
	v_mov_b32_e32 v25, v6
	v_pk_add_f32 v[6:7], v[26:27], v[24:25] neg_lo:[0,1] neg_hi:[0,1]
	v_cmp_eq_f32_e32 vcc, s6, v53
	v_add_f32_e32 v7, v65, v7
	v_add_f32_e32 v6, v6, v7
	;; [unrolled: 1-line block ×3, first 2 shown]
	v_mul_f32_e32 v65, v64, v7
	v_mul_f32_e32 v20, v54, v65
	v_fma_f32 v24, v65, v54, -v20
	v_fmac_f32_e32 v24, v65, v3
	v_sub_f32_e32 v3, v21, v7
	v_add_f32_e32 v3, v6, v3
	v_add_f32_e32 v6, v20, v24
	v_sub_f32_e32 v21, v7, v6
	v_pk_add_f32 v[26:27], v[6:7], v[20:21] neg_lo:[0,1] neg_hi:[0,1]
	v_mov_b32_e32 v25, v6
	v_pk_add_f32 v[6:7], v[26:27], v[24:25] neg_lo:[0,1] neg_hi:[0,1]
	v_cvt_f32_i32_e32 v20, v22
	v_add_f32_e32 v3, v3, v7
	v_add_f32_e32 v3, v6, v3
	;; [unrolled: 1-line block ×4, first 2 shown]
	v_sub_f32_e32 v7, v6, v96
	v_mul_f32_e32 v3, v64, v3
	v_sub_f32_e32 v7, v65, v7
	v_add_f32_e32 v3, v7, v3
	v_add_f32_e32 v21, v6, v3
	v_mul_f32_e32 v24, v21, v21
	v_mov_b32_e32 v7, 0x3ecc95a3
	v_fmac_f32_e32 v7, 0x3e9b6dac, v24
	v_sub_f32_e32 v6, v21, v6
	v_fmaak_f32 v7, v24, v7, 0x3f2aaada
	v_sub_f32_e32 v3, v3, v6
	v_ldexp_f32 v25, v21, 1
	v_mul_f32_e32 v21, v21, v24
	v_mov_b32_e32 v6, 0x3f317218
	v_pk_mul_f32 v[6:7], v[20:21], v[6:7]
	v_ldexp_f32 v3, v3, 1
	v_fma_f32 v21, v20, s5, -v6
	v_fmamk_f32 v24, v20, 0xb102e308, v21
	v_pk_add_f32 v[20:21], v[6:7], v[24:25]
	v_mov_b32_e32 v26, v6
	v_sub_f32_e32 v22, v21, v25
	v_sub_f32_e32 v22, v7, v22
	v_add_f32_e32 v27, v3, v22
	v_pk_add_f32 v[6:7], v[20:21], v[6:7] neg_lo:[0,1] neg_hi:[0,1]
	v_pk_add_f32 v[64:65], v[20:21], v[26:27]
	v_mov_b32_e32 v25, v20
	v_mov_b32_e32 v7, v65
	v_pk_add_f32 v[96:97], v[24:25], v[6:7] neg_lo:[0,1] neg_hi:[0,1]
	v_pk_add_f32 v[6:7], v[24:25], v[6:7]
	s_mov_b32 s5, 0x33800000
	v_mov_b32_e32 v22, v7
	v_pk_add_f32 v[24:25], v[22:23], v[20:21] neg_lo:[0,1] neg_hi:[0,1]
	v_mov_b32_e32 v6, v65
	v_mov_b32_e32 v3, v24
	v_pk_add_f32 v[98:99], v[64:65], v[2:3] neg_lo:[0,1] neg_hi:[0,1]
	v_mov_b32_e32 v64, v21
	v_mov_b32_e32 v65, v24
	;; [unrolled: 1-line block ×3, first 2 shown]
	v_pk_add_f32 v[6:7], v[6:7], v[64:65] neg_lo:[0,1] neg_hi:[0,1]
	v_mov_b32_e32 v24, v27
	v_mov_b32_e32 v25, v20
	v_pk_add_f32 v[6:7], v[24:25], v[6:7] neg_lo:[0,1] neg_hi:[0,1]
	v_mov_b32_e32 v98, v96
	v_pk_add_f32 v[20:21], v[98:99], v[6:7]
	v_cmp_lt_f32_e64 s[6:7], |v53|, s5
	v_mov_b32_e32 v24, v21
	v_pk_add_f32 v[24:25], v[20:21], v[24:25]
	s_or_b64 vcc, vcc, s[6:7]
	v_pk_add_f32 v[26:27], v[22:23], v[24:25]
	v_mov_b32_e32 v7, v24
	v_mov_b32_e32 v21, v26
	v_pk_add_f32 v[64:65], v[20:21], v[96:97] neg_lo:[0,1] neg_hi:[0,1]
	s_nop 0
	v_sub_f32_e32 v3, v20, v64
	v_pk_add_f32 v[6:7], v[6:7], v[64:65] neg_lo:[0,1] neg_hi:[0,1]
	v_sub_f32_e32 v3, v96, v3
	v_add_f32_e32 v3, v6, v3
	v_add_f32_e32 v3, v3, v7
	;; [unrolled: 1-line block ×3, first 2 shown]
	v_cndmask_b32_e32 v3, v3, v53, vcc
	v_add_f32_e32 v3, v2, v3
.LBB451_384:
	s_or_b64 exec, exec, s[2:3]
	v_bfe_u32 v2, v3, 16, 1
	s_movk_i32 s5, 0x7fff
	v_add3_u32 v2, v3, v2, s5
	v_lshrrev_b32_e32 v6, 16, v2
	v_mov_b32_e32 v2, 0x7fc0
	v_cmp_o_f32_e32 vcc, v3, v3
	s_nop 1
	v_cndmask_b32_e32 v53, v2, v6, vcc
	v_lshlrev_b32_e32 v6, 16, v53
	v_max_f32_e32 v3, v6, v6
	v_min_f32_e32 v7, v3, v67
	v_cmp_u_f32_e32 vcc, v6, v6
	v_max_f32_e32 v3, v3, v67
	s_nop 0
	v_cndmask_b32_e32 v7, v7, v6, vcc
	v_cndmask_b32_e32 v3, v3, v6, vcc
	v_cndmask_b32_e64 v7, v7, v55, s[28:29]
	v_cndmask_b32_e64 v3, v3, v55, s[28:29]
	v_cmp_neq_f32_e32 vcc, v7, v3
	v_cmp_class_f32_e64 s[2:3], v7, s4
	s_or_b64 s[6:7], vcc, s[2:3]
	s_and_saveexec_b64 s[2:3], s[6:7]
	s_cbranch_execz .LBB451_386
; %bb.385:
	v_sub_f32_e32 v6, v7, v3
	s_mov_b32 s4, 0x3fb8aa3b
	v_mul_f32_e32 v7, 0x3fb8aa3b, v6
	v_fma_f32 v20, v6, s4, -v7
	v_rndne_f32_e32 v21, v7
	v_fmamk_f32 v20, v6, 0x32a5705f, v20
	v_sub_f32_e32 v7, v7, v21
	v_add_f32_e32 v7, v7, v20
	v_exp_f32_e32 v7, v7
	v_cvt_i32_f32_e32 v20, v21
	s_mov_b32 s4, 0xc2ce8ed0
	v_cmp_ngt_f32_e32 vcc, s4, v6
	s_mov_b32 s4, 0x42b17218
	v_ldexp_f32 v7, v7, v20
	v_cndmask_b32_e32 v7, 0, v7, vcc
	v_mov_b32_e32 v20, 0x7f800000
	v_cmp_nlt_f32_e32 vcc, s4, v6
	s_mov_b32 s4, 0x3f2aaaab
	s_mov_b32 s6, 0x7f800000
	v_cndmask_b32_e32 v67, v20, v7, vcc
	v_add_f32_e32 v20, 1.0, v67
	v_add_f32_e32 v6, -1.0, v20
	v_sub_f32_e32 v7, v6, v20
	v_add_f32_e32 v7, 1.0, v7
	v_sub_f32_e32 v6, v67, v6
	v_add_f32_e32 v21, v6, v7
	v_frexp_mant_f32_e32 v22, v20
	v_cvt_f64_f32_e32 v[6:7], v20
	v_frexp_exp_i32_f64_e32 v6, v[6:7]
	v_cmp_gt_f32_e32 vcc, s4, v22
	s_mov_b32 s4, 0x3f317218
	s_nop 0
	v_subbrev_co_u32_e32 v22, vcc, 0, v6, vcc
	v_sub_u32_e32 v6, 0, v22
	v_ldexp_f32 v7, v20, v6
	v_add_f32_e32 v20, -1.0, v7
	v_add_f32_e32 v24, 1.0, v7
	v_ldexp_f32 v6, v21, v6
	v_add_f32_e32 v21, 1.0, v20
	v_add_f32_e32 v25, -1.0, v24
	v_sub_f32_e32 v21, v7, v21
	v_sub_f32_e32 v7, v7, v25
	v_add_f32_e32 v21, v6, v21
	v_add_f32_e32 v6, v6, v7
	;; [unrolled: 1-line block ×3, first 2 shown]
	v_rcp_f32_e32 v64, v54
	v_sub_f32_e32 v7, v24, v54
	v_add_f32_e32 v55, v6, v7
	v_add_f32_e32 v7, v20, v21
	v_mul_f32_e32 v96, v7, v64
	v_sub_f32_e32 v6, v20, v7
	v_mul_f32_e32 v20, v54, v96
	v_fma_f32 v24, v96, v54, -v20
	v_fmac_f32_e32 v24, v96, v55
	v_add_f32_e32 v65, v21, v6
	v_add_f32_e32 v6, v20, v24
	v_sub_f32_e32 v21, v7, v6
	v_pk_add_f32 v[26:27], v[6:7], v[20:21] neg_lo:[0,1] neg_hi:[0,1]
	v_mov_b32_e32 v25, v6
	v_pk_add_f32 v[6:7], v[26:27], v[24:25] neg_lo:[0,1] neg_hi:[0,1]
	v_cmp_eq_f32_e32 vcc, s6, v67
	v_add_f32_e32 v7, v65, v7
	v_add_f32_e32 v6, v6, v7
	;; [unrolled: 1-line block ×3, first 2 shown]
	v_mul_f32_e32 v65, v64, v7
	v_mul_f32_e32 v20, v54, v65
	v_fma_f32 v24, v65, v54, -v20
	v_fmac_f32_e32 v24, v65, v55
	v_sub_f32_e32 v21, v21, v7
	v_add_f32_e32 v54, v6, v21
	v_add_f32_e32 v6, v20, v24
	v_sub_f32_e32 v21, v7, v6
	v_pk_add_f32 v[26:27], v[6:7], v[20:21] neg_lo:[0,1] neg_hi:[0,1]
	v_mov_b32_e32 v25, v6
	v_pk_add_f32 v[6:7], v[26:27], v[24:25] neg_lo:[0,1] neg_hi:[0,1]
	v_cvt_f32_i32_e32 v20, v22
	v_add_f32_e32 v7, v54, v7
	v_add_f32_e32 v6, v6, v7
	;; [unrolled: 1-line block ×4, first 2 shown]
	v_sub_f32_e32 v7, v21, v96
	v_mul_f32_e32 v6, v64, v6
	v_sub_f32_e32 v7, v65, v7
	v_add_f32_e32 v6, v7, v6
	v_add_f32_e32 v24, v21, v6
	v_mul_f32_e32 v26, v24, v24
	v_mov_b32_e32 v7, 0x3ecc95a3
	v_sub_f32_e32 v21, v24, v21
	v_fmac_f32_e32 v7, 0x3e9b6dac, v26
	v_sub_f32_e32 v6, v6, v21
	v_fmaak_f32 v7, v26, v7, 0x3f2aaada
	v_ldexp_f32 v22, v6, 1
	v_mul_f32_e32 v21, v24, v26
	v_mov_b32_e32 v6, 0x3f317218
	v_pk_mul_f32 v[6:7], v[20:21], v[6:7]
	v_ldexp_f32 v25, v24, 1
	v_fma_f32 v21, v20, s4, -v6
	v_fmamk_f32 v24, v20, 0xb102e308, v21
	v_pk_add_f32 v[20:21], v[6:7], v[24:25]
	v_mov_b32_e32 v26, v6
	v_sub_f32_e32 v25, v21, v25
	v_sub_f32_e32 v25, v7, v25
	v_add_f32_e32 v27, v22, v25
	v_pk_add_f32 v[6:7], v[20:21], v[6:7] neg_lo:[0,1] neg_hi:[0,1]
	v_pk_add_f32 v[54:55], v[20:21], v[26:27]
	v_mov_b32_e32 v25, v20
	v_mov_b32_e32 v7, v55
	v_pk_add_f32 v[64:65], v[24:25], v[6:7] neg_lo:[0,1] neg_hi:[0,1]
	v_pk_add_f32 v[6:7], v[24:25], v[6:7]
	s_mov_b32 s4, 0x33800000
	v_mov_b32_e32 v22, v7
	v_pk_add_f32 v[24:25], v[22:23], v[20:21] neg_lo:[0,1] neg_hi:[0,1]
	v_mov_b32_e32 v6, v55
	v_mov_b32_e32 v25, v24
	v_pk_add_f32 v[96:97], v[54:55], v[24:25] neg_lo:[0,1] neg_hi:[0,1]
	v_mov_b32_e32 v54, v21
	v_mov_b32_e32 v55, v24
	;; [unrolled: 1-line block ×3, first 2 shown]
	v_pk_add_f32 v[6:7], v[6:7], v[54:55] neg_lo:[0,1] neg_hi:[0,1]
	v_mov_b32_e32 v24, v27
	v_mov_b32_e32 v25, v20
	v_pk_add_f32 v[6:7], v[24:25], v[6:7] neg_lo:[0,1] neg_hi:[0,1]
	v_mov_b32_e32 v96, v64
	v_pk_add_f32 v[20:21], v[96:97], v[6:7]
	v_cmp_lt_f32_e64 s[6:7], |v67|, s4
	v_mov_b32_e32 v24, v21
	v_pk_add_f32 v[24:25], v[20:21], v[24:25]
	s_or_b64 vcc, vcc, s[6:7]
	v_pk_add_f32 v[26:27], v[22:23], v[24:25]
	v_mov_b32_e32 v7, v24
	v_mov_b32_e32 v21, v26
	v_pk_add_f32 v[54:55], v[20:21], v[64:65] neg_lo:[0,1] neg_hi:[0,1]
	s_nop 0
	v_sub_f32_e32 v20, v20, v54
	v_pk_add_f32 v[6:7], v[6:7], v[54:55] neg_lo:[0,1] neg_hi:[0,1]
	v_sub_f32_e32 v20, v64, v20
	v_add_f32_e32 v6, v6, v20
	v_add_f32_e32 v6, v6, v7
	;; [unrolled: 1-line block ×3, first 2 shown]
	v_cndmask_b32_e32 v6, v6, v67, vcc
	v_add_f32_e32 v6, v3, v6
.LBB451_386:
	s_or_b64 exec, exec, s[2:3]
	v_bfe_u32 v3, v6, 16, 1
	v_add3_u32 v3, v6, v3, s5
	v_lshrrev_b32_e32 v3, 16, v3
	v_cmp_o_f32_e32 vcc, v6, v6
	s_movk_i32 s4, 0x1f8
	s_nop 0
	v_cndmask_b32_e32 v54, v2, v3, vcc
	v_lshlrev_b32_e32 v3, 16, v54
	v_max_f32_e32 v2, v3, v3
	v_min_f32_e32 v6, v2, v68
	v_cmp_u_f32_e32 vcc, v3, v3
	v_max_f32_e32 v2, v2, v68
	s_nop 0
	v_cndmask_b32_e32 v6, v6, v3, vcc
	v_cndmask_b32_e32 v2, v2, v3, vcc
	v_cndmask_b32_e64 v6, v6, v23, s[30:31]
	v_cndmask_b32_e64 v2, v2, v23, s[30:31]
	v_cmp_neq_f32_e32 vcc, v6, v2
	v_cmp_class_f32_e64 s[2:3], v6, s4
	s_or_b64 s[6:7], vcc, s[2:3]
	s_and_saveexec_b64 s[2:3], s[6:7]
	s_cbranch_execz .LBB451_388
; %bb.387:
	v_sub_f32_e32 v3, v6, v2
	s_mov_b32 s5, 0x3fb8aa3b
	v_mul_f32_e32 v6, 0x3fb8aa3b, v3
	v_fma_f32 v7, v3, s5, -v6
	v_rndne_f32_e32 v20, v6
	v_fmamk_f32 v7, v3, 0x32a5705f, v7
	v_sub_f32_e32 v6, v6, v20
	v_add_f32_e32 v6, v6, v7
	v_exp_f32_e32 v6, v6
	v_cvt_i32_f32_e32 v7, v20
	s_mov_b32 s5, 0xc2ce8ed0
	v_cmp_ngt_f32_e32 vcc, s5, v3
	s_mov_b32 s5, 0x42b17218
	v_ldexp_f32 v6, v6, v7
	v_cndmask_b32_e32 v6, 0, v6, vcc
	v_mov_b32_e32 v7, 0x7f800000
	v_cmp_nlt_f32_e32 vcc, s5, v3
	s_mov_b32 s5, 0x3f2aaaab
	s_mov_b32 s6, 0x7f800000
	v_cndmask_b32_e32 v55, v7, v6, vcc
	v_add_f32_e32 v3, 1.0, v55
	v_add_f32_e32 v6, -1.0, v3
	v_sub_f32_e32 v7, v6, v3
	v_add_f32_e32 v7, 1.0, v7
	v_sub_f32_e32 v6, v55, v6
	v_add_f32_e32 v20, v6, v7
	v_frexp_mant_f32_e32 v21, v3
	v_cvt_f64_f32_e32 v[6:7], v3
	v_frexp_exp_i32_f64_e32 v6, v[6:7]
	v_cmp_gt_f32_e32 vcc, s5, v21
	s_mov_b32 s5, 0x3f317218
	s_nop 0
	v_subbrev_co_u32_e32 v26, vcc, 0, v6, vcc
	v_sub_u32_e32 v6, 0, v26
	v_ldexp_f32 v3, v3, v6
	v_ldexp_f32 v6, v20, v6
	v_add_f32_e32 v20, -1.0, v3
	v_add_f32_e32 v7, 1.0, v20
	v_sub_f32_e32 v7, v3, v7
	v_add_f32_e32 v21, v6, v7
	v_add_f32_e32 v7, 1.0, v3
	v_add_f32_e32 v22, -1.0, v7
	v_sub_f32_e32 v3, v3, v22
	v_add_f32_e32 v3, v6, v3
	v_add_f32_e32 v27, v7, v3
	v_rcp_f32_e32 v64, v27
	v_sub_f32_e32 v6, v7, v27
	v_add_f32_e32 v7, v20, v21
	v_add_f32_e32 v3, v3, v6
	v_mul_f32_e32 v67, v7, v64
	v_sub_f32_e32 v6, v20, v7
	v_mul_f32_e32 v20, v27, v67
	v_fma_f32 v22, v67, v27, -v20
	v_fmac_f32_e32 v22, v67, v3
	v_add_f32_e32 v65, v21, v6
	v_add_f32_e32 v6, v20, v22
	v_sub_f32_e32 v21, v7, v6
	v_pk_add_f32 v[24:25], v[6:7], v[20:21] neg_lo:[0,1] neg_hi:[0,1]
	v_mov_b32_e32 v23, v6
	v_pk_add_f32 v[6:7], v[24:25], v[22:23] neg_lo:[0,1] neg_hi:[0,1]
	v_cmp_eq_f32_e32 vcc, s6, v55
	v_add_f32_e32 v7, v65, v7
	v_add_f32_e32 v6, v6, v7
	v_add_f32_e32 v7, v21, v6
	v_mul_f32_e32 v65, v64, v7
	v_mul_f32_e32 v20, v27, v65
	v_fma_f32 v22, v65, v27, -v20
	v_fmac_f32_e32 v22, v65, v3
	v_sub_f32_e32 v3, v21, v7
	v_add_f32_e32 v3, v6, v3
	v_add_f32_e32 v6, v20, v22
	v_sub_f32_e32 v21, v7, v6
	v_pk_add_f32 v[24:25], v[6:7], v[20:21] neg_lo:[0,1] neg_hi:[0,1]
	v_mov_b32_e32 v23, v6
	v_pk_add_f32 v[6:7], v[24:25], v[22:23] neg_lo:[0,1] neg_hi:[0,1]
	v_cvt_f32_i32_e32 v20, v26
	v_add_f32_e32 v3, v3, v7
	v_add_f32_e32 v3, v6, v3
	;; [unrolled: 1-line block ×4, first 2 shown]
	v_sub_f32_e32 v7, v6, v67
	v_mul_f32_e32 v3, v64, v3
	v_sub_f32_e32 v7, v65, v7
	v_add_f32_e32 v3, v7, v3
	v_add_f32_e32 v21, v6, v3
	v_mul_f32_e32 v22, v21, v21
	v_mov_b32_e32 v7, 0x3ecc95a3
	v_fmac_f32_e32 v7, 0x3e9b6dac, v22
	v_sub_f32_e32 v6, v21, v6
	v_fmaak_f32 v7, v22, v7, 0x3f2aaada
	v_sub_f32_e32 v3, v3, v6
	v_ldexp_f32 v23, v21, 1
	v_mul_f32_e32 v21, v21, v22
	v_mov_b32_e32 v6, 0x3f317218
	v_pk_mul_f32 v[6:7], v[20:21], v[6:7]
	v_ldexp_f32 v3, v3, 1
	v_fma_f32 v21, v20, s5, -v6
	v_fmamk_f32 v22, v20, 0xb102e308, v21
	v_pk_add_f32 v[20:21], v[6:7], v[22:23]
	v_mov_b32_e32 v24, v6
	v_sub_f32_e32 v23, v21, v23
	v_sub_f32_e32 v23, v7, v23
	v_add_f32_e32 v25, v3, v23
	v_pk_add_f32 v[6:7], v[20:21], v[6:7] neg_lo:[0,1] neg_hi:[0,1]
	v_pk_add_f32 v[26:27], v[20:21], v[24:25]
	v_mov_b32_e32 v23, v20
	v_mov_b32_e32 v7, v27
	v_pk_add_f32 v[64:65], v[22:23], v[6:7] neg_lo:[0,1] neg_hi:[0,1]
	v_pk_add_f32 v[6:7], v[22:23], v[6:7]
	v_mov_b32_e32 v24, v25
	v_mov_b32_e32 v22, v7
	v_pk_add_f32 v[96:97], v[22:23], v[20:21] neg_lo:[0,1] neg_hi:[0,1]
	v_mov_b32_e32 v6, v27
	v_mov_b32_e32 v3, v96
	v_pk_add_f32 v[98:99], v[26:27], v[2:3] neg_lo:[0,1] neg_hi:[0,1]
	v_mov_b32_e32 v26, v21
	v_mov_b32_e32 v27, v96
	;; [unrolled: 1-line block ×3, first 2 shown]
	v_pk_add_f32 v[6:7], v[6:7], v[26:27] neg_lo:[0,1] neg_hi:[0,1]
	v_mov_b32_e32 v25, v20
	v_pk_add_f32 v[6:7], v[24:25], v[6:7] neg_lo:[0,1] neg_hi:[0,1]
	v_mov_b32_e32 v98, v64
	v_pk_add_f32 v[20:21], v[98:99], v[6:7]
	s_mov_b32 s5, 0x33800000
	v_mov_b32_e32 v24, v21
	v_pk_add_f32 v[24:25], v[20:21], v[24:25]
	v_cmp_lt_f32_e64 s[6:7], |v55|, s5
	v_pk_add_f32 v[22:23], v[22:23], v[24:25]
	v_mov_b32_e32 v7, v24
	v_mov_b32_e32 v21, v22
	v_pk_add_f32 v[26:27], v[20:21], v[64:65] neg_lo:[0,1] neg_hi:[0,1]
	s_or_b64 vcc, vcc, s[6:7]
	v_sub_f32_e32 v3, v20, v26
	v_pk_add_f32 v[6:7], v[6:7], v[26:27] neg_lo:[0,1] neg_hi:[0,1]
	v_sub_f32_e32 v3, v64, v3
	v_add_f32_e32 v3, v6, v3
	v_add_f32_e32 v3, v3, v7
	;; [unrolled: 1-line block ×3, first 2 shown]
	v_cndmask_b32_e32 v3, v3, v55, vcc
	v_add_f32_e32 v3, v2, v3
.LBB451_388:
	s_or_b64 exec, exec, s[2:3]
	v_bfe_u32 v2, v3, 16, 1
	s_movk_i32 s5, 0x7fff
	v_add3_u32 v2, v3, v2, s5
	v_lshrrev_b32_e32 v6, 16, v2
	v_mov_b32_e32 v2, 0x7fc0
	v_cmp_o_f32_e32 vcc, v3, v3
	s_nop 1
	v_cndmask_b32_e32 v55, v2, v6, vcc
	v_lshlrev_b32_e32 v6, 16, v55
	v_max_f32_e32 v3, v6, v6
	v_min_f32_e32 v7, v3, v70
	v_cmp_u_f32_e32 vcc, v6, v6
	v_max_f32_e32 v3, v3, v70
	s_nop 0
	v_cndmask_b32_e32 v7, v7, v6, vcc
	v_cndmask_b32_e32 v3, v3, v6, vcc
	v_cndmask_b32_e64 v7, v7, v66, s[34:35]
	v_cndmask_b32_e64 v3, v3, v66, s[34:35]
	v_cmp_neq_f32_e32 vcc, v7, v3
	v_cmp_class_f32_e64 s[2:3], v7, s4
	s_or_b64 s[6:7], vcc, s[2:3]
	s_and_saveexec_b64 s[2:3], s[6:7]
	s_cbranch_execz .LBB451_390
; %bb.389:
	v_sub_f32_e32 v6, v7, v3
	s_mov_b32 s4, 0x3fb8aa3b
	v_mul_f32_e32 v7, 0x3fb8aa3b, v6
	v_fma_f32 v20, v6, s4, -v7
	v_rndne_f32_e32 v21, v7
	v_fmamk_f32 v20, v6, 0x32a5705f, v20
	v_sub_f32_e32 v7, v7, v21
	v_add_f32_e32 v7, v7, v20
	v_exp_f32_e32 v7, v7
	v_cvt_i32_f32_e32 v20, v21
	s_mov_b32 s4, 0xc2ce8ed0
	v_cmp_ngt_f32_e32 vcc, s4, v6
	s_mov_b32 s4, 0x42b17218
	v_ldexp_f32 v7, v7, v20
	v_cndmask_b32_e32 v7, 0, v7, vcc
	v_mov_b32_e32 v20, 0x7f800000
	v_cmp_nlt_f32_e32 vcc, s4, v6
	s_mov_b32 s4, 0x3f2aaaab
	s_mov_b32 s6, 0x7f800000
	v_cndmask_b32_e32 v68, v20, v7, vcc
	v_add_f32_e32 v20, 1.0, v68
	v_add_f32_e32 v6, -1.0, v20
	v_sub_f32_e32 v7, v6, v20
	v_add_f32_e32 v7, 1.0, v7
	v_sub_f32_e32 v6, v68, v6
	v_add_f32_e32 v21, v6, v7
	v_frexp_mant_f32_e32 v22, v20
	v_cvt_f64_f32_e32 v[6:7], v20
	v_frexp_exp_i32_f64_e32 v6, v[6:7]
	v_cmp_gt_f32_e32 vcc, s4, v22
	s_mov_b32 s4, 0x3f317218
	s_nop 0
	v_subbrev_co_u32_e32 v26, vcc, 0, v6, vcc
	v_sub_u32_e32 v6, 0, v26
	v_ldexp_f32 v7, v20, v6
	v_add_f32_e32 v20, -1.0, v7
	v_add_f32_e32 v22, 1.0, v7
	v_ldexp_f32 v6, v21, v6
	v_add_f32_e32 v21, 1.0, v20
	v_add_f32_e32 v23, -1.0, v22
	v_sub_f32_e32 v21, v7, v21
	v_sub_f32_e32 v7, v7, v23
	v_add_f32_e32 v21, v6, v21
	v_add_f32_e32 v6, v6, v7
	;; [unrolled: 1-line block ×3, first 2 shown]
	v_rcp_f32_e32 v65, v27
	v_sub_f32_e32 v7, v22, v27
	v_add_f32_e32 v64, v6, v7
	v_add_f32_e32 v7, v20, v21
	v_mul_f32_e32 v67, v7, v65
	v_sub_f32_e32 v6, v20, v7
	v_mul_f32_e32 v20, v27, v67
	v_fma_f32 v22, v67, v27, -v20
	v_fmac_f32_e32 v22, v67, v64
	v_add_f32_e32 v66, v21, v6
	v_add_f32_e32 v6, v20, v22
	v_sub_f32_e32 v21, v7, v6
	v_pk_add_f32 v[24:25], v[6:7], v[20:21] neg_lo:[0,1] neg_hi:[0,1]
	v_mov_b32_e32 v23, v6
	v_pk_add_f32 v[6:7], v[24:25], v[22:23] neg_lo:[0,1] neg_hi:[0,1]
	v_cmp_eq_f32_e32 vcc, s6, v68
	v_add_f32_e32 v7, v66, v7
	v_add_f32_e32 v6, v6, v7
	;; [unrolled: 1-line block ×3, first 2 shown]
	v_mul_f32_e32 v66, v65, v7
	v_mul_f32_e32 v20, v27, v66
	v_fma_f32 v22, v66, v27, -v20
	v_fmac_f32_e32 v22, v66, v64
	v_sub_f32_e32 v21, v21, v7
	v_add_f32_e32 v27, v6, v21
	v_add_f32_e32 v6, v20, v22
	v_sub_f32_e32 v21, v7, v6
	v_pk_add_f32 v[24:25], v[6:7], v[20:21] neg_lo:[0,1] neg_hi:[0,1]
	v_mov_b32_e32 v23, v6
	v_pk_add_f32 v[6:7], v[24:25], v[22:23] neg_lo:[0,1] neg_hi:[0,1]
	v_cvt_f32_i32_e32 v20, v26
	v_add_f32_e32 v7, v27, v7
	v_add_f32_e32 v6, v6, v7
	;; [unrolled: 1-line block ×4, first 2 shown]
	v_sub_f32_e32 v7, v21, v67
	v_mul_f32_e32 v6, v65, v6
	v_sub_f32_e32 v7, v66, v7
	v_add_f32_e32 v6, v7, v6
	v_add_f32_e32 v22, v21, v6
	v_mul_f32_e32 v24, v22, v22
	v_mov_b32_e32 v7, 0x3ecc95a3
	v_sub_f32_e32 v21, v22, v21
	v_fmac_f32_e32 v7, 0x3e9b6dac, v24
	v_sub_f32_e32 v6, v6, v21
	v_fmaak_f32 v7, v24, v7, 0x3f2aaada
	v_ldexp_f32 v25, v6, 1
	v_mul_f32_e32 v21, v22, v24
	v_mov_b32_e32 v6, 0x3f317218
	v_pk_mul_f32 v[6:7], v[20:21], v[6:7]
	v_ldexp_f32 v23, v22, 1
	v_fma_f32 v21, v20, s4, -v6
	v_fmamk_f32 v22, v20, 0xb102e308, v21
	v_pk_add_f32 v[20:21], v[6:7], v[22:23]
	v_mov_b32_e32 v24, v6
	v_sub_f32_e32 v23, v21, v23
	v_sub_f32_e32 v23, v7, v23
	v_add_f32_e32 v25, v25, v23
	v_pk_add_f32 v[6:7], v[20:21], v[6:7] neg_lo:[0,1] neg_hi:[0,1]
	v_pk_add_f32 v[26:27], v[20:21], v[24:25]
	v_mov_b32_e32 v23, v20
	v_mov_b32_e32 v7, v27
	v_pk_add_f32 v[64:65], v[22:23], v[6:7] neg_lo:[0,1] neg_hi:[0,1]
	v_pk_add_f32 v[6:7], v[22:23], v[6:7]
	v_mov_b32_e32 v24, v25
	v_mov_b32_e32 v22, v7
	v_pk_add_f32 v[66:67], v[22:23], v[20:21] neg_lo:[0,1] neg_hi:[0,1]
	v_mov_b32_e32 v6, v27
	v_mov_b32_e32 v23, v66
	v_pk_add_f32 v[96:97], v[26:27], v[22:23] neg_lo:[0,1] neg_hi:[0,1]
	v_mov_b32_e32 v26, v21
	v_mov_b32_e32 v27, v66
	;; [unrolled: 1-line block ×3, first 2 shown]
	v_pk_add_f32 v[6:7], v[6:7], v[26:27] neg_lo:[0,1] neg_hi:[0,1]
	v_mov_b32_e32 v25, v20
	v_pk_add_f32 v[6:7], v[24:25], v[6:7] neg_lo:[0,1] neg_hi:[0,1]
	v_mov_b32_e32 v96, v64
	v_pk_add_f32 v[20:21], v[96:97], v[6:7]
	s_mov_b32 s4, 0x33800000
	v_mov_b32_e32 v24, v21
	v_pk_add_f32 v[24:25], v[20:21], v[24:25]
	v_cmp_lt_f32_e64 s[6:7], |v68|, s4
	v_pk_add_f32 v[22:23], v[22:23], v[24:25]
	v_mov_b32_e32 v7, v24
	v_mov_b32_e32 v21, v22
	v_pk_add_f32 v[26:27], v[20:21], v[64:65] neg_lo:[0,1] neg_hi:[0,1]
	s_or_b64 vcc, vcc, s[6:7]
	v_sub_f32_e32 v20, v20, v26
	v_pk_add_f32 v[6:7], v[6:7], v[26:27] neg_lo:[0,1] neg_hi:[0,1]
	v_sub_f32_e32 v20, v64, v20
	v_add_f32_e32 v6, v6, v20
	v_add_f32_e32 v6, v6, v7
	;; [unrolled: 1-line block ×3, first 2 shown]
	v_cndmask_b32_e32 v6, v6, v68, vcc
	v_add_f32_e32 v6, v3, v6
.LBB451_390:
	s_or_b64 exec, exec, s[2:3]
	v_bfe_u32 v3, v6, 16, 1
	v_add3_u32 v3, v6, v3, s5
	v_lshrrev_b32_e32 v3, 16, v3
	v_cmp_o_f32_e32 vcc, v6, v6
	s_movk_i32 s4, 0x1f8
	s_nop 0
	v_cndmask_b32_e32 v64, v2, v3, vcc
	v_lshlrev_b32_e32 v3, 16, v64
	v_max_f32_e32 v2, v3, v3
	v_min_f32_e32 v6, v2, v71
	v_cmp_u_f32_e32 vcc, v3, v3
	v_max_f32_e32 v2, v2, v71
	s_nop 0
	v_cndmask_b32_e32 v6, v6, v3, vcc
	v_cndmask_b32_e32 v2, v2, v3, vcc
	v_cndmask_b32_e64 v6, v6, v16, s[36:37]
	v_cndmask_b32_e64 v2, v2, v16, s[36:37]
	v_cmp_neq_f32_e32 vcc, v6, v2
	v_cmp_class_f32_e64 s[2:3], v6, s4
	s_or_b64 s[6:7], vcc, s[2:3]
	s_and_saveexec_b64 s[2:3], s[6:7]
	s_cbranch_execz .LBB451_392
; %bb.391:
	v_sub_f32_e32 v3, v6, v2
	s_mov_b32 s5, 0x3fb8aa3b
	v_mul_f32_e32 v6, 0x3fb8aa3b, v3
	v_fma_f32 v7, v3, s5, -v6
	v_rndne_f32_e32 v16, v6
	v_fmamk_f32 v7, v3, 0x32a5705f, v7
	v_sub_f32_e32 v6, v6, v16
	v_add_f32_e32 v6, v6, v7
	v_exp_f32_e32 v6, v6
	v_cvt_i32_f32_e32 v7, v16
	s_mov_b32 s5, 0xc2ce8ed0
	v_cmp_ngt_f32_e32 vcc, s5, v3
	s_mov_b32 s5, 0x42b17218
	v_ldexp_f32 v6, v6, v7
	v_cndmask_b32_e32 v6, 0, v6, vcc
	v_mov_b32_e32 v7, 0x7f800000
	v_cmp_nlt_f32_e32 vcc, s5, v3
	s_mov_b32 s5, 0x3f2aaaab
	s_mov_b32 s6, 0x7f800000
	v_cndmask_b32_e32 v65, v7, v6, vcc
	v_add_f32_e32 v3, 1.0, v65
	v_add_f32_e32 v6, -1.0, v3
	v_sub_f32_e32 v7, v6, v3
	v_add_f32_e32 v7, 1.0, v7
	v_sub_f32_e32 v6, v65, v6
	v_add_f32_e32 v16, v6, v7
	v_frexp_mant_f32_e32 v20, v3
	v_cvt_f64_f32_e32 v[6:7], v3
	v_frexp_exp_i32_f64_e32 v6, v[6:7]
	v_cmp_gt_f32_e32 vcc, s5, v20
	s_mov_b32 s5, 0x3f317218
	s_nop 0
	v_subbrev_co_u32_e32 v26, vcc, 0, v6, vcc
	v_sub_u32_e32 v6, 0, v26
	v_ldexp_f32 v3, v3, v6
	v_ldexp_f32 v6, v16, v6
	v_add_f32_e32 v16, -1.0, v3
	v_add_f32_e32 v7, 1.0, v16
	v_sub_f32_e32 v7, v3, v7
	v_add_f32_e32 v20, v6, v7
	v_add_f32_e32 v7, 1.0, v3
	v_add_f32_e32 v21, -1.0, v7
	v_sub_f32_e32 v3, v3, v21
	v_add_f32_e32 v3, v6, v3
	v_add_f32_e32 v27, v7, v3
	v_rcp_f32_e32 v66, v27
	v_sub_f32_e32 v6, v7, v27
	v_add_f32_e32 v7, v16, v20
	v_add_f32_e32 v3, v3, v6
	v_sub_f32_e32 v6, v16, v7
	v_mul_f32_e32 v67, v7, v66
	v_add_f32_e32 v16, v20, v6
	v_mul_f32_e32 v20, v27, v67
	v_fma_f32 v22, v67, v27, -v20
	v_fmac_f32_e32 v22, v67, v3
	v_add_f32_e32 v6, v20, v22
	v_sub_f32_e32 v21, v7, v6
	v_pk_add_f32 v[24:25], v[6:7], v[20:21] neg_lo:[0,1] neg_hi:[0,1]
	v_mov_b32_e32 v23, v6
	v_pk_add_f32 v[6:7], v[24:25], v[22:23] neg_lo:[0,1] neg_hi:[0,1]
	v_cmp_eq_f32_e32 vcc, s6, v65
	v_add_f32_e32 v7, v16, v7
	v_add_f32_e32 v6, v6, v7
	;; [unrolled: 1-line block ×3, first 2 shown]
	v_mul_f32_e32 v16, v66, v7
	v_mul_f32_e32 v20, v27, v16
	v_fma_f32 v22, v16, v27, -v20
	v_fmac_f32_e32 v22, v16, v3
	v_sub_f32_e32 v3, v21, v7
	v_add_f32_e32 v3, v6, v3
	v_add_f32_e32 v6, v20, v22
	v_sub_f32_e32 v21, v7, v6
	v_pk_add_f32 v[24:25], v[6:7], v[20:21] neg_lo:[0,1] neg_hi:[0,1]
	v_mov_b32_e32 v23, v6
	v_pk_add_f32 v[6:7], v[24:25], v[22:23] neg_lo:[0,1] neg_hi:[0,1]
	v_cvt_f32_i32_e32 v20, v26
	v_add_f32_e32 v3, v3, v7
	v_add_f32_e32 v3, v6, v3
	;; [unrolled: 1-line block ×4, first 2 shown]
	v_sub_f32_e32 v7, v6, v67
	v_mul_f32_e32 v3, v66, v3
	v_sub_f32_e32 v7, v16, v7
	v_add_f32_e32 v3, v7, v3
	v_add_f32_e32 v16, v6, v3
	v_mul_f32_e32 v21, v16, v16
	v_mov_b32_e32 v7, 0x3ecc95a3
	v_fmac_f32_e32 v7, 0x3e9b6dac, v21
	v_sub_f32_e32 v6, v16, v6
	v_fmaak_f32 v7, v21, v7, 0x3f2aaada
	v_sub_f32_e32 v3, v3, v6
	v_mul_f32_e32 v21, v16, v21
	v_mov_b32_e32 v6, 0x3f317218
	v_pk_mul_f32 v[6:7], v[20:21], v[6:7]
	v_ldexp_f32 v23, v16, 1
	v_fma_f32 v16, v20, s5, -v6
	v_fmamk_f32 v22, v20, 0xb102e308, v16
	v_pk_add_f32 v[20:21], v[6:7], v[22:23]
	v_ldexp_f32 v3, v3, 1
	v_sub_f32_e32 v16, v21, v23
	v_sub_f32_e32 v16, v7, v16
	v_add_f32_e32 v25, v3, v16
	v_mov_b32_e32 v24, v6
	v_pk_add_f32 v[6:7], v[20:21], v[6:7] neg_lo:[0,1] neg_hi:[0,1]
	v_pk_add_f32 v[26:27], v[20:21], v[24:25]
	v_mov_b32_e32 v23, v20
	v_mov_b32_e32 v7, v27
	v_pk_add_f32 v[66:67], v[22:23], v[6:7] neg_lo:[0,1] neg_hi:[0,1]
	v_pk_add_f32 v[6:7], v[22:23], v[6:7]
	s_mov_b32 s5, 0x33800000
	v_mov_b32_e32 v16, v7
	v_pk_add_f32 v[22:23], v[16:17], v[20:21] neg_lo:[0,1] neg_hi:[0,1]
	v_mov_b32_e32 v6, v27
	v_mov_b32_e32 v3, v22
	v_pk_add_f32 v[70:71], v[26:27], v[2:3] neg_lo:[0,1] neg_hi:[0,1]
	v_mov_b32_e32 v26, v21
	v_mov_b32_e32 v27, v22
	;; [unrolled: 1-line block ×3, first 2 shown]
	v_pk_add_f32 v[6:7], v[6:7], v[26:27] neg_lo:[0,1] neg_hi:[0,1]
	v_mov_b32_e32 v22, v25
	v_mov_b32_e32 v23, v20
	v_pk_add_f32 v[6:7], v[22:23], v[6:7] neg_lo:[0,1] neg_hi:[0,1]
	v_mov_b32_e32 v70, v66
	v_pk_add_f32 v[20:21], v[70:71], v[6:7]
	v_cmp_lt_f32_e64 s[6:7], |v65|, s5
	v_mov_b32_e32 v22, v21
	v_pk_add_f32 v[22:23], v[20:21], v[22:23]
	s_or_b64 vcc, vcc, s[6:7]
	v_pk_add_f32 v[24:25], v[16:17], v[22:23]
	v_mov_b32_e32 v7, v22
	v_mov_b32_e32 v21, v24
	v_pk_add_f32 v[26:27], v[20:21], v[66:67] neg_lo:[0,1] neg_hi:[0,1]
	s_nop 0
	v_sub_f32_e32 v3, v20, v26
	v_pk_add_f32 v[6:7], v[6:7], v[26:27] neg_lo:[0,1] neg_hi:[0,1]
	v_sub_f32_e32 v3, v66, v3
	v_add_f32_e32 v3, v6, v3
	v_add_f32_e32 v3, v3, v7
	;; [unrolled: 1-line block ×3, first 2 shown]
	v_cndmask_b32_e32 v3, v3, v65, vcc
	v_add_f32_e32 v3, v2, v3
.LBB451_392:
	s_or_b64 exec, exec, s[2:3]
	v_bfe_u32 v2, v3, 16, 1
	s_movk_i32 s5, 0x7fff
	v_add3_u32 v2, v3, v2, s5
	v_lshrrev_b32_e32 v6, 16, v2
	v_mov_b32_e32 v2, 0x7fc0
	v_cmp_o_f32_e32 vcc, v3, v3
	s_nop 1
	v_cndmask_b32_e32 v65, v2, v6, vcc
	v_lshlrev_b32_e32 v6, 16, v65
	v_max_f32_e32 v3, v6, v6
	v_min_f32_e32 v7, v3, v81
	v_cmp_u_f32_e32 vcc, v6, v6
	v_max_f32_e32 v3, v3, v81
	s_nop 0
	v_cndmask_b32_e32 v7, v7, v6, vcc
	v_cndmask_b32_e32 v3, v3, v6, vcc
	v_cndmask_b32_e64 v7, v7, v69, s[38:39]
	v_cndmask_b32_e64 v3, v3, v69, s[38:39]
	v_cmp_neq_f32_e32 vcc, v7, v3
	v_cmp_class_f32_e64 s[2:3], v7, s4
	s_or_b64 s[6:7], vcc, s[2:3]
	s_and_saveexec_b64 s[2:3], s[6:7]
	s_cbranch_execz .LBB451_394
; %bb.393:
	v_sub_f32_e32 v6, v7, v3
	s_mov_b32 s4, 0x3fb8aa3b
	v_mul_f32_e32 v7, 0x3fb8aa3b, v6
	v_fma_f32 v16, v6, s4, -v7
	v_rndne_f32_e32 v20, v7
	v_fmamk_f32 v16, v6, 0x32a5705f, v16
	v_sub_f32_e32 v7, v7, v20
	v_add_f32_e32 v7, v7, v16
	v_exp_f32_e32 v7, v7
	v_cvt_i32_f32_e32 v16, v20
	s_mov_b32 s4, 0xc2ce8ed0
	v_cmp_ngt_f32_e32 vcc, s4, v6
	s_mov_b32 s4, 0x42b17218
	v_ldexp_f32 v7, v7, v16
	v_cndmask_b32_e32 v7, 0, v7, vcc
	v_mov_b32_e32 v16, 0x7f800000
	v_cmp_nlt_f32_e32 vcc, s4, v6
	s_mov_b32 s4, 0x3f2aaaab
	s_mov_b32 s6, 0x7f800000
	v_cndmask_b32_e32 v70, v16, v7, vcc
	v_add_f32_e32 v16, 1.0, v70
	v_add_f32_e32 v6, -1.0, v16
	v_sub_f32_e32 v7, v6, v16
	v_add_f32_e32 v7, 1.0, v7
	v_sub_f32_e32 v6, v70, v6
	v_add_f32_e32 v20, v6, v7
	v_frexp_mant_f32_e32 v21, v16
	v_cvt_f64_f32_e32 v[6:7], v16
	v_frexp_exp_i32_f64_e32 v6, v[6:7]
	v_cmp_gt_f32_e32 vcc, s4, v21
	s_mov_b32 s4, 0x3f317218
	s_nop 0
	v_subbrev_co_u32_e32 v26, vcc, 0, v6, vcc
	v_sub_u32_e32 v6, 0, v26
	v_ldexp_f32 v7, v16, v6
	v_add_f32_e32 v16, -1.0, v7
	v_add_f32_e32 v21, 1.0, v7
	v_ldexp_f32 v6, v20, v6
	v_add_f32_e32 v20, 1.0, v16
	v_add_f32_e32 v22, -1.0, v21
	v_sub_f32_e32 v20, v7, v20
	v_sub_f32_e32 v7, v7, v22
	v_add_f32_e32 v20, v6, v20
	v_add_f32_e32 v6, v6, v7
	;; [unrolled: 1-line block ×3, first 2 shown]
	v_rcp_f32_e32 v67, v27
	v_sub_f32_e32 v7, v21, v27
	v_add_f32_e32 v66, v6, v7
	v_add_f32_e32 v7, v16, v20
	v_sub_f32_e32 v6, v16, v7
	v_mul_f32_e32 v68, v7, v67
	v_add_f32_e32 v16, v20, v6
	v_mul_f32_e32 v20, v27, v68
	v_fma_f32 v22, v68, v27, -v20
	v_fmac_f32_e32 v22, v68, v66
	v_add_f32_e32 v6, v20, v22
	v_sub_f32_e32 v21, v7, v6
	v_pk_add_f32 v[24:25], v[6:7], v[20:21] neg_lo:[0,1] neg_hi:[0,1]
	v_mov_b32_e32 v23, v6
	v_pk_add_f32 v[6:7], v[24:25], v[22:23] neg_lo:[0,1] neg_hi:[0,1]
	v_cmp_eq_f32_e32 vcc, s6, v70
	v_add_f32_e32 v7, v16, v7
	v_add_f32_e32 v6, v6, v7
	;; [unrolled: 1-line block ×3, first 2 shown]
	v_mul_f32_e32 v16, v67, v7
	v_mul_f32_e32 v20, v27, v16
	v_fma_f32 v22, v16, v27, -v20
	v_fmac_f32_e32 v22, v16, v66
	v_sub_f32_e32 v21, v21, v7
	v_add_f32_e32 v27, v6, v21
	v_add_f32_e32 v6, v20, v22
	v_sub_f32_e32 v21, v7, v6
	v_pk_add_f32 v[24:25], v[6:7], v[20:21] neg_lo:[0,1] neg_hi:[0,1]
	v_mov_b32_e32 v23, v6
	v_pk_add_f32 v[6:7], v[24:25], v[22:23] neg_lo:[0,1] neg_hi:[0,1]
	v_cvt_f32_i32_e32 v20, v26
	v_add_f32_e32 v7, v27, v7
	v_add_f32_e32 v6, v6, v7
	;; [unrolled: 1-line block ×4, first 2 shown]
	v_sub_f32_e32 v7, v21, v68
	v_mul_f32_e32 v6, v67, v6
	v_sub_f32_e32 v7, v16, v7
	v_add_f32_e32 v6, v7, v6
	v_add_f32_e32 v16, v21, v6
	v_mul_f32_e32 v22, v16, v16
	v_mov_b32_e32 v7, 0x3ecc95a3
	v_sub_f32_e32 v21, v16, v21
	v_fmac_f32_e32 v7, 0x3e9b6dac, v22
	v_sub_f32_e32 v6, v6, v21
	v_fmaak_f32 v7, v22, v7, 0x3f2aaada
	v_ldexp_f32 v24, v6, 1
	v_mul_f32_e32 v21, v16, v22
	v_mov_b32_e32 v6, 0x3f317218
	v_pk_mul_f32 v[6:7], v[20:21], v[6:7]
	v_ldexp_f32 v23, v16, 1
	v_fma_f32 v16, v20, s4, -v6
	v_fmamk_f32 v22, v20, 0xb102e308, v16
	v_pk_add_f32 v[20:21], v[6:7], v[22:23]
	s_mov_b32 s4, 0x33800000
	v_sub_f32_e32 v16, v21, v23
	v_sub_f32_e32 v16, v7, v16
	v_add_f32_e32 v25, v24, v16
	v_mov_b32_e32 v24, v6
	v_pk_add_f32 v[6:7], v[20:21], v[6:7] neg_lo:[0,1] neg_hi:[0,1]
	v_pk_add_f32 v[26:27], v[20:21], v[24:25]
	v_mov_b32_e32 v23, v20
	v_mov_b32_e32 v7, v27
	v_pk_add_f32 v[66:67], v[22:23], v[6:7] neg_lo:[0,1] neg_hi:[0,1]
	v_pk_add_f32 v[6:7], v[22:23], v[6:7]
	v_cmp_lt_f32_e64 s[6:7], |v70|, s4
	v_mov_b32_e32 v16, v7
	v_pk_add_f32 v[22:23], v[16:17], v[20:21] neg_lo:[0,1] neg_hi:[0,1]
	v_mov_b32_e32 v6, v27
	v_mov_b32_e32 v23, v22
	v_pk_add_f32 v[68:69], v[26:27], v[22:23] neg_lo:[0,1] neg_hi:[0,1]
	v_mov_b32_e32 v26, v21
	v_mov_b32_e32 v27, v22
	v_mov_b32_e32 v67, v7
	v_pk_add_f32 v[6:7], v[6:7], v[26:27] neg_lo:[0,1] neg_hi:[0,1]
	v_mov_b32_e32 v22, v25
	v_mov_b32_e32 v23, v20
	v_pk_add_f32 v[6:7], v[22:23], v[6:7] neg_lo:[0,1] neg_hi:[0,1]
	v_mov_b32_e32 v68, v66
	v_pk_add_f32 v[20:21], v[68:69], v[6:7]
	s_or_b64 vcc, vcc, s[6:7]
	v_mov_b32_e32 v22, v21
	v_pk_add_f32 v[22:23], v[20:21], v[22:23]
	s_nop 0
	v_pk_add_f32 v[24:25], v[16:17], v[22:23]
	v_mov_b32_e32 v7, v22
	v_mov_b32_e32 v21, v24
	v_pk_add_f32 v[26:27], v[20:21], v[66:67] neg_lo:[0,1] neg_hi:[0,1]
	s_nop 0
	v_sub_f32_e32 v16, v20, v26
	v_pk_add_f32 v[6:7], v[6:7], v[26:27] neg_lo:[0,1] neg_hi:[0,1]
	v_sub_f32_e32 v16, v66, v16
	v_add_f32_e32 v6, v6, v16
	v_add_f32_e32 v6, v6, v7
	;; [unrolled: 1-line block ×3, first 2 shown]
	v_cndmask_b32_e32 v6, v6, v70, vcc
	v_add_f32_e32 v6, v3, v6
.LBB451_394:
	s_or_b64 exec, exec, s[2:3]
	v_bfe_u32 v3, v6, 16, 1
	v_add3_u32 v3, v6, v3, s5
	v_lshrrev_b32_e32 v3, 16, v3
	v_cmp_o_f32_e32 vcc, v6, v6
	s_movk_i32 s4, 0x1f8
	s_nop 0
	v_cndmask_b32_e32 v66, v2, v3, vcc
	v_lshlrev_b32_e32 v3, 16, v66
	v_max_f32_e32 v2, v3, v3
	v_min_f32_e32 v6, v2, v82
	v_cmp_u_f32_e32 vcc, v3, v3
	v_max_f32_e32 v2, v2, v82
	s_nop 0
	v_cndmask_b32_e32 v6, v6, v3, vcc
	v_cndmask_b32_e32 v2, v2, v3, vcc
	v_cndmask_b32_e64 v6, v6, v17, s[40:41]
	v_cndmask_b32_e64 v2, v2, v17, s[40:41]
	v_cmp_neq_f32_e32 vcc, v6, v2
	v_cmp_class_f32_e64 s[2:3], v6, s4
	s_or_b64 s[6:7], vcc, s[2:3]
	s_and_saveexec_b64 s[2:3], s[6:7]
	s_cbranch_execz .LBB451_396
; %bb.395:
	v_sub_f32_e32 v3, v6, v2
	s_mov_b32 s5, 0x3fb8aa3b
	v_mul_f32_e32 v6, 0x3fb8aa3b, v3
	v_fma_f32 v7, v3, s5, -v6
	v_rndne_f32_e32 v16, v6
	v_fmamk_f32 v7, v3, 0x32a5705f, v7
	v_sub_f32_e32 v6, v6, v16
	v_add_f32_e32 v6, v6, v7
	v_exp_f32_e32 v6, v6
	v_cvt_i32_f32_e32 v7, v16
	s_mov_b32 s5, 0xc2ce8ed0
	v_cmp_ngt_f32_e32 vcc, s5, v3
	s_mov_b32 s5, 0x42b17218
	v_ldexp_f32 v6, v6, v7
	v_cndmask_b32_e32 v6, 0, v6, vcc
	v_mov_b32_e32 v7, 0x7f800000
	v_cmp_nlt_f32_e32 vcc, s5, v3
	s_mov_b32 s5, 0x3f2aaaab
	s_mov_b32 s6, 0x7f800000
	v_cndmask_b32_e32 v67, v7, v6, vcc
	v_add_f32_e32 v3, 1.0, v67
	v_add_f32_e32 v6, -1.0, v3
	v_sub_f32_e32 v7, v6, v3
	v_add_f32_e32 v7, 1.0, v7
	v_sub_f32_e32 v6, v67, v6
	v_add_f32_e32 v16, v6, v7
	v_frexp_mant_f32_e32 v17, v3
	v_cvt_f64_f32_e32 v[6:7], v3
	v_frexp_exp_i32_f64_e32 v6, v[6:7]
	v_cmp_gt_f32_e32 vcc, s5, v17
	s_mov_b32 s5, 0x3f317218
	s_nop 0
	v_subbrev_co_u32_e32 v24, vcc, 0, v6, vcc
	v_sub_u32_e32 v6, 0, v24
	v_ldexp_f32 v3, v3, v6
	v_ldexp_f32 v6, v16, v6
	v_add_f32_e32 v16, -1.0, v3
	v_add_f32_e32 v7, 1.0, v16
	v_sub_f32_e32 v7, v3, v7
	v_add_f32_e32 v17, v6, v7
	v_add_f32_e32 v7, 1.0, v3
	v_add_f32_e32 v20, -1.0, v7
	v_sub_f32_e32 v3, v3, v20
	v_add_f32_e32 v3, v6, v3
	v_add_f32_e32 v25, v7, v3
	v_rcp_f32_e32 v26, v25
	v_sub_f32_e32 v6, v7, v25
	v_add_f32_e32 v7, v16, v17
	v_add_f32_e32 v3, v3, v6
	v_mul_f32_e32 v68, v7, v26
	v_sub_f32_e32 v6, v16, v7
	v_mul_f32_e32 v16, v25, v68
	v_fma_f32 v20, v68, v25, -v16
	v_fmac_f32_e32 v20, v68, v3
	v_add_f32_e32 v27, v17, v6
	v_add_f32_e32 v6, v16, v20
	v_sub_f32_e32 v17, v7, v6
	v_pk_add_f32 v[22:23], v[6:7], v[16:17] neg_lo:[0,1] neg_hi:[0,1]
	v_mov_b32_e32 v21, v6
	v_pk_add_f32 v[6:7], v[22:23], v[20:21] neg_lo:[0,1] neg_hi:[0,1]
	v_cmp_eq_f32_e32 vcc, s6, v67
	v_add_f32_e32 v7, v27, v7
	v_add_f32_e32 v6, v6, v7
	;; [unrolled: 1-line block ×3, first 2 shown]
	v_mul_f32_e32 v27, v26, v7
	v_mul_f32_e32 v16, v25, v27
	v_fma_f32 v20, v27, v25, -v16
	v_fmac_f32_e32 v20, v27, v3
	v_sub_f32_e32 v3, v17, v7
	v_add_f32_e32 v3, v6, v3
	v_add_f32_e32 v6, v16, v20
	v_sub_f32_e32 v17, v7, v6
	v_pk_add_f32 v[22:23], v[6:7], v[16:17] neg_lo:[0,1] neg_hi:[0,1]
	v_mov_b32_e32 v21, v6
	v_pk_add_f32 v[6:7], v[22:23], v[20:21] neg_lo:[0,1] neg_hi:[0,1]
	v_cvt_f32_i32_e32 v16, v24
	v_add_f32_e32 v3, v3, v7
	v_add_f32_e32 v3, v6, v3
	;; [unrolled: 1-line block ×4, first 2 shown]
	v_sub_f32_e32 v7, v6, v68
	v_mul_f32_e32 v3, v26, v3
	v_sub_f32_e32 v7, v27, v7
	v_add_f32_e32 v3, v7, v3
	v_add_f32_e32 v17, v6, v3
	v_mul_f32_e32 v20, v17, v17
	v_mov_b32_e32 v7, 0x3ecc95a3
	v_fmac_f32_e32 v7, 0x3e9b6dac, v20
	v_sub_f32_e32 v6, v17, v6
	v_fmaak_f32 v7, v20, v7, 0x3f2aaada
	v_sub_f32_e32 v3, v3, v6
	v_ldexp_f32 v21, v17, 1
	v_mul_f32_e32 v17, v17, v20
	v_mov_b32_e32 v6, 0x3f317218
	v_pk_mul_f32 v[6:7], v[16:17], v[6:7]
	v_ldexp_f32 v3, v3, 1
	v_fma_f32 v17, v16, s5, -v6
	v_fmamk_f32 v20, v16, 0xb102e308, v17
	v_pk_add_f32 v[16:17], v[6:7], v[20:21]
	v_mov_b32_e32 v22, v6
	v_sub_f32_e32 v21, v17, v21
	v_sub_f32_e32 v21, v7, v21
	v_add_f32_e32 v23, v3, v21
	v_pk_add_f32 v[6:7], v[16:17], v[6:7] neg_lo:[0,1] neg_hi:[0,1]
	v_pk_add_f32 v[24:25], v[16:17], v[22:23]
	v_mov_b32_e32 v21, v16
	v_mov_b32_e32 v7, v25
	v_pk_add_f32 v[26:27], v[20:21], v[6:7] neg_lo:[0,1] neg_hi:[0,1]
	v_pk_add_f32 v[6:7], v[20:21], v[6:7]
	v_mov_b32_e32 v22, v23
	v_mov_b32_e32 v20, v7
	v_pk_add_f32 v[68:69], v[20:21], v[16:17] neg_lo:[0,1] neg_hi:[0,1]
	v_mov_b32_e32 v6, v25
	v_mov_b32_e32 v3, v68
	v_pk_add_f32 v[70:71], v[24:25], v[2:3] neg_lo:[0,1] neg_hi:[0,1]
	v_mov_b32_e32 v24, v17
	v_mov_b32_e32 v25, v68
	;; [unrolled: 1-line block ×3, first 2 shown]
	v_pk_add_f32 v[6:7], v[6:7], v[24:25] neg_lo:[0,1] neg_hi:[0,1]
	v_mov_b32_e32 v23, v16
	v_pk_add_f32 v[6:7], v[22:23], v[6:7] neg_lo:[0,1] neg_hi:[0,1]
	v_mov_b32_e32 v70, v26
	v_pk_add_f32 v[16:17], v[70:71], v[6:7]
	s_mov_b32 s5, 0x33800000
	v_mov_b32_e32 v22, v17
	v_pk_add_f32 v[22:23], v[16:17], v[22:23]
	v_cmp_lt_f32_e64 s[6:7], |v67|, s5
	v_pk_add_f32 v[20:21], v[20:21], v[22:23]
	v_mov_b32_e32 v7, v22
	v_mov_b32_e32 v17, v20
	v_pk_add_f32 v[24:25], v[16:17], v[26:27] neg_lo:[0,1] neg_hi:[0,1]
	s_or_b64 vcc, vcc, s[6:7]
	v_sub_f32_e32 v3, v16, v24
	v_pk_add_f32 v[6:7], v[6:7], v[24:25] neg_lo:[0,1] neg_hi:[0,1]
	v_sub_f32_e32 v3, v26, v3
	v_add_f32_e32 v3, v6, v3
	v_add_f32_e32 v3, v3, v7
	;; [unrolled: 1-line block ×3, first 2 shown]
	v_cndmask_b32_e32 v3, v3, v67, vcc
	v_add_f32_e32 v3, v2, v3
.LBB451_396:
	s_or_b64 exec, exec, s[2:3]
	v_bfe_u32 v2, v3, 16, 1
	s_movk_i32 s5, 0x7fff
	v_add3_u32 v2, v3, v2, s5
	v_lshrrev_b32_e32 v6, 16, v2
	v_mov_b32_e32 v2, 0x7fc0
	v_cmp_o_f32_e32 vcc, v3, v3
	s_nop 1
	v_cndmask_b32_e32 v67, v2, v6, vcc
	v_lshlrev_b32_e32 v6, 16, v67
	v_max_f32_e32 v3, v6, v6
	v_min_f32_e32 v7, v3, v84
	v_cmp_u_f32_e32 vcc, v6, v6
	v_max_f32_e32 v3, v3, v84
	s_nop 0
	v_cndmask_b32_e32 v7, v7, v6, vcc
	v_cndmask_b32_e32 v3, v3, v6, vcc
	v_cndmask_b32_e64 v7, v7, v80, s[42:43]
	v_cndmask_b32_e64 v3, v3, v80, s[42:43]
	v_cmp_neq_f32_e32 vcc, v7, v3
	v_cmp_class_f32_e64 s[2:3], v7, s4
	s_or_b64 s[6:7], vcc, s[2:3]
	s_and_saveexec_b64 s[2:3], s[6:7]
	s_cbranch_execz .LBB451_398
; %bb.397:
	v_sub_f32_e32 v6, v7, v3
	s_mov_b32 s4, 0x3fb8aa3b
	v_mul_f32_e32 v7, 0x3fb8aa3b, v6
	v_fma_f32 v16, v6, s4, -v7
	v_rndne_f32_e32 v17, v7
	v_fmamk_f32 v16, v6, 0x32a5705f, v16
	v_sub_f32_e32 v7, v7, v17
	v_add_f32_e32 v7, v7, v16
	v_exp_f32_e32 v7, v7
	v_cvt_i32_f32_e32 v16, v17
	s_mov_b32 s4, 0xc2ce8ed0
	v_cmp_ngt_f32_e32 vcc, s4, v6
	s_mov_b32 s4, 0x42b17218
	v_ldexp_f32 v7, v7, v16
	v_cndmask_b32_e32 v7, 0, v7, vcc
	v_mov_b32_e32 v16, 0x7f800000
	v_cmp_nlt_f32_e32 vcc, s4, v6
	s_mov_b32 s4, 0x3f2aaaab
	s_mov_b32 s6, 0x7f800000
	v_cndmask_b32_e32 v80, v16, v7, vcc
	v_add_f32_e32 v16, 1.0, v80
	v_add_f32_e32 v6, -1.0, v16
	v_sub_f32_e32 v7, v6, v16
	v_add_f32_e32 v7, 1.0, v7
	v_sub_f32_e32 v6, v80, v6
	v_add_f32_e32 v17, v6, v7
	v_frexp_mant_f32_e32 v20, v16
	v_cvt_f64_f32_e32 v[6:7], v16
	v_frexp_exp_i32_f64_e32 v6, v[6:7]
	v_cmp_gt_f32_e32 vcc, s4, v20
	s_mov_b32 s4, 0x3f317218
	s_nop 0
	v_subbrev_co_u32_e32 v24, vcc, 0, v6, vcc
	v_sub_u32_e32 v6, 0, v24
	v_ldexp_f32 v7, v16, v6
	v_add_f32_e32 v16, -1.0, v7
	v_add_f32_e32 v20, 1.0, v7
	v_ldexp_f32 v6, v17, v6
	v_add_f32_e32 v17, 1.0, v16
	v_add_f32_e32 v21, -1.0, v20
	v_sub_f32_e32 v17, v7, v17
	v_sub_f32_e32 v7, v7, v21
	v_add_f32_e32 v17, v6, v17
	v_add_f32_e32 v6, v6, v7
	;; [unrolled: 1-line block ×3, first 2 shown]
	v_rcp_f32_e32 v27, v25
	v_sub_f32_e32 v7, v20, v25
	v_add_f32_e32 v26, v6, v7
	v_add_f32_e32 v7, v16, v17
	v_mul_f32_e32 v69, v7, v27
	v_sub_f32_e32 v6, v16, v7
	v_mul_f32_e32 v16, v25, v69
	v_fma_f32 v20, v69, v25, -v16
	v_fmac_f32_e32 v20, v69, v26
	v_add_f32_e32 v68, v17, v6
	v_add_f32_e32 v6, v16, v20
	v_sub_f32_e32 v17, v7, v6
	v_pk_add_f32 v[22:23], v[6:7], v[16:17] neg_lo:[0,1] neg_hi:[0,1]
	v_mov_b32_e32 v21, v6
	v_pk_add_f32 v[6:7], v[22:23], v[20:21] neg_lo:[0,1] neg_hi:[0,1]
	v_cmp_eq_f32_e32 vcc, s6, v80
	v_add_f32_e32 v7, v68, v7
	v_add_f32_e32 v6, v6, v7
	v_add_f32_e32 v7, v17, v6
	v_mul_f32_e32 v68, v27, v7
	v_mul_f32_e32 v16, v25, v68
	v_fma_f32 v20, v68, v25, -v16
	v_fmac_f32_e32 v20, v68, v26
	v_sub_f32_e32 v17, v17, v7
	v_add_f32_e32 v25, v6, v17
	v_add_f32_e32 v6, v16, v20
	v_sub_f32_e32 v17, v7, v6
	v_pk_add_f32 v[22:23], v[6:7], v[16:17] neg_lo:[0,1] neg_hi:[0,1]
	v_mov_b32_e32 v21, v6
	v_pk_add_f32 v[6:7], v[22:23], v[20:21] neg_lo:[0,1] neg_hi:[0,1]
	v_cvt_f32_i32_e32 v16, v24
	v_add_f32_e32 v7, v25, v7
	v_add_f32_e32 v6, v6, v7
	v_add_f32_e32 v6, v17, v6
	v_add_f32_e32 v17, v69, v68
	v_sub_f32_e32 v7, v17, v69
	v_mul_f32_e32 v6, v27, v6
	v_sub_f32_e32 v7, v68, v7
	v_add_f32_e32 v6, v7, v6
	v_add_f32_e32 v20, v17, v6
	v_mul_f32_e32 v22, v20, v20
	v_mov_b32_e32 v7, 0x3ecc95a3
	v_sub_f32_e32 v17, v20, v17
	v_fmac_f32_e32 v7, 0x3e9b6dac, v22
	v_sub_f32_e32 v6, v6, v17
	v_fmaak_f32 v7, v22, v7, 0x3f2aaada
	v_ldexp_f32 v23, v6, 1
	v_mul_f32_e32 v17, v20, v22
	v_mov_b32_e32 v6, 0x3f317218
	v_pk_mul_f32 v[6:7], v[16:17], v[6:7]
	v_ldexp_f32 v21, v20, 1
	v_fma_f32 v17, v16, s4, -v6
	v_fmamk_f32 v20, v16, 0xb102e308, v17
	v_pk_add_f32 v[16:17], v[6:7], v[20:21]
	v_mov_b32_e32 v22, v6
	v_sub_f32_e32 v21, v17, v21
	v_sub_f32_e32 v21, v7, v21
	v_add_f32_e32 v23, v23, v21
	v_pk_add_f32 v[6:7], v[16:17], v[6:7] neg_lo:[0,1] neg_hi:[0,1]
	v_pk_add_f32 v[24:25], v[16:17], v[22:23]
	v_mov_b32_e32 v21, v16
	v_mov_b32_e32 v7, v25
	v_pk_add_f32 v[26:27], v[20:21], v[6:7] neg_lo:[0,1] neg_hi:[0,1]
	v_pk_add_f32 v[6:7], v[20:21], v[6:7]
	v_mov_b32_e32 v22, v23
	v_mov_b32_e32 v20, v7
	v_pk_add_f32 v[68:69], v[20:21], v[16:17] neg_lo:[0,1] neg_hi:[0,1]
	v_mov_b32_e32 v6, v25
	v_mov_b32_e32 v21, v68
	v_pk_add_f32 v[70:71], v[24:25], v[20:21] neg_lo:[0,1] neg_hi:[0,1]
	v_mov_b32_e32 v24, v17
	v_mov_b32_e32 v25, v68
	;; [unrolled: 1-line block ×3, first 2 shown]
	v_pk_add_f32 v[6:7], v[6:7], v[24:25] neg_lo:[0,1] neg_hi:[0,1]
	v_mov_b32_e32 v23, v16
	v_pk_add_f32 v[6:7], v[22:23], v[6:7] neg_lo:[0,1] neg_hi:[0,1]
	v_mov_b32_e32 v70, v26
	v_pk_add_f32 v[16:17], v[70:71], v[6:7]
	s_mov_b32 s4, 0x33800000
	v_mov_b32_e32 v22, v17
	v_pk_add_f32 v[22:23], v[16:17], v[22:23]
	v_cmp_lt_f32_e64 s[6:7], |v80|, s4
	v_pk_add_f32 v[20:21], v[20:21], v[22:23]
	v_mov_b32_e32 v7, v22
	v_mov_b32_e32 v17, v20
	v_pk_add_f32 v[24:25], v[16:17], v[26:27] neg_lo:[0,1] neg_hi:[0,1]
	s_or_b64 vcc, vcc, s[6:7]
	v_sub_f32_e32 v16, v16, v24
	v_pk_add_f32 v[6:7], v[6:7], v[24:25] neg_lo:[0,1] neg_hi:[0,1]
	v_sub_f32_e32 v16, v26, v16
	v_add_f32_e32 v6, v6, v16
	v_add_f32_e32 v6, v6, v7
	;; [unrolled: 1-line block ×3, first 2 shown]
	v_cndmask_b32_e32 v6, v6, v80, vcc
	v_add_f32_e32 v6, v3, v6
.LBB451_398:
	s_or_b64 exec, exec, s[2:3]
	v_bfe_u32 v3, v6, 16, 1
	v_add3_u32 v3, v6, v3, s5
	v_lshrrev_b32_e32 v3, 16, v3
	v_cmp_o_f32_e32 vcc, v6, v6
	s_movk_i32 s4, 0x1f8
	s_nop 0
	v_cndmask_b32_e32 v68, v2, v3, vcc
	v_lshlrev_b32_e32 v3, 16, v68
	v_max_f32_e32 v2, v3, v3
	v_min_f32_e32 v6, v2, v85
	v_cmp_u_f32_e32 vcc, v3, v3
	v_max_f32_e32 v2, v2, v85
	s_nop 0
	v_cndmask_b32_e32 v6, v6, v3, vcc
	v_cndmask_b32_e32 v2, v2, v3, vcc
	v_cndmask_b32_e64 v6, v6, v18, s[44:45]
	v_cndmask_b32_e64 v2, v2, v18, s[44:45]
	v_cmp_neq_f32_e32 vcc, v6, v2
	v_cmp_class_f32_e64 s[2:3], v6, s4
	s_or_b64 s[6:7], vcc, s[2:3]
	s_and_saveexec_b64 s[2:3], s[6:7]
	s_cbranch_execz .LBB451_400
; %bb.399:
	v_sub_f32_e32 v3, v6, v2
	s_mov_b32 s5, 0x3fb8aa3b
	v_mul_f32_e32 v6, 0x3fb8aa3b, v3
	v_fma_f32 v7, v3, s5, -v6
	v_rndne_f32_e32 v16, v6
	v_fmamk_f32 v7, v3, 0x32a5705f, v7
	v_sub_f32_e32 v6, v6, v16
	v_add_f32_e32 v6, v6, v7
	v_exp_f32_e32 v6, v6
	v_cvt_i32_f32_e32 v7, v16
	s_mov_b32 s5, 0xc2ce8ed0
	v_cmp_ngt_f32_e32 vcc, s5, v3
	s_mov_b32 s5, 0x42b17218
	v_ldexp_f32 v6, v6, v7
	v_cndmask_b32_e32 v6, 0, v6, vcc
	v_mov_b32_e32 v7, 0x7f800000
	v_cmp_nlt_f32_e32 vcc, s5, v3
	s_mov_b32 s5, 0x3f2aaaab
	s_mov_b32 s6, 0x7f800000
	v_cndmask_b32_e32 v69, v7, v6, vcc
	v_add_f32_e32 v3, 1.0, v69
	v_add_f32_e32 v6, -1.0, v3
	v_sub_f32_e32 v7, v6, v3
	v_add_f32_e32 v7, 1.0, v7
	v_sub_f32_e32 v6, v69, v6
	v_add_f32_e32 v16, v6, v7
	v_frexp_mant_f32_e32 v17, v3
	v_cvt_f64_f32_e32 v[6:7], v3
	v_frexp_exp_i32_f64_e32 v6, v[6:7]
	v_cmp_gt_f32_e32 vcc, s5, v17
	s_mov_b32 s5, 0x3f317218
	s_nop 0
	v_subbrev_co_u32_e32 v18, vcc, 0, v6, vcc
	v_sub_u32_e32 v6, 0, v18
	v_ldexp_f32 v3, v3, v6
	v_ldexp_f32 v6, v16, v6
	v_add_f32_e32 v16, -1.0, v3
	v_add_f32_e32 v7, 1.0, v16
	v_sub_f32_e32 v7, v3, v7
	v_add_f32_e32 v17, v6, v7
	v_add_f32_e32 v7, 1.0, v3
	v_add_f32_e32 v20, -1.0, v7
	v_sub_f32_e32 v3, v3, v20
	v_add_f32_e32 v3, v6, v3
	v_add_f32_e32 v24, v7, v3
	v_rcp_f32_e32 v25, v24
	v_sub_f32_e32 v6, v7, v24
	v_add_f32_e32 v7, v16, v17
	v_add_f32_e32 v3, v3, v6
	v_mul_f32_e32 v27, v7, v25
	v_sub_f32_e32 v6, v16, v7
	v_mul_f32_e32 v16, v24, v27
	v_fma_f32 v20, v27, v24, -v16
	v_fmac_f32_e32 v20, v27, v3
	v_add_f32_e32 v26, v17, v6
	v_add_f32_e32 v6, v16, v20
	v_sub_f32_e32 v17, v7, v6
	v_pk_add_f32 v[22:23], v[6:7], v[16:17] neg_lo:[0,1] neg_hi:[0,1]
	v_mov_b32_e32 v21, v6
	v_pk_add_f32 v[6:7], v[22:23], v[20:21] neg_lo:[0,1] neg_hi:[0,1]
	v_cmp_eq_f32_e32 vcc, s6, v69
	v_add_f32_e32 v7, v26, v7
	v_add_f32_e32 v6, v6, v7
	;; [unrolled: 1-line block ×3, first 2 shown]
	v_mul_f32_e32 v26, v25, v7
	v_mul_f32_e32 v16, v24, v26
	v_fma_f32 v20, v26, v24, -v16
	v_fmac_f32_e32 v20, v26, v3
	v_sub_f32_e32 v3, v17, v7
	v_add_f32_e32 v3, v6, v3
	v_add_f32_e32 v6, v16, v20
	v_sub_f32_e32 v17, v7, v6
	v_pk_add_f32 v[22:23], v[6:7], v[16:17] neg_lo:[0,1] neg_hi:[0,1]
	v_mov_b32_e32 v21, v6
	v_pk_add_f32 v[6:7], v[22:23], v[20:21] neg_lo:[0,1] neg_hi:[0,1]
	v_cvt_f32_i32_e32 v16, v18
	v_add_f32_e32 v3, v3, v7
	v_add_f32_e32 v3, v6, v3
	;; [unrolled: 1-line block ×4, first 2 shown]
	v_sub_f32_e32 v7, v6, v27
	v_mul_f32_e32 v3, v25, v3
	v_sub_f32_e32 v7, v26, v7
	v_add_f32_e32 v3, v7, v3
	v_add_f32_e32 v17, v6, v3
	v_mul_f32_e32 v20, v17, v17
	v_mov_b32_e32 v7, 0x3ecc95a3
	v_fmac_f32_e32 v7, 0x3e9b6dac, v20
	v_sub_f32_e32 v6, v17, v6
	v_fmaak_f32 v7, v20, v7, 0x3f2aaada
	v_sub_f32_e32 v3, v3, v6
	v_ldexp_f32 v21, v17, 1
	v_mul_f32_e32 v17, v17, v20
	v_mov_b32_e32 v6, 0x3f317218
	v_pk_mul_f32 v[6:7], v[16:17], v[6:7]
	v_ldexp_f32 v3, v3, 1
	v_fma_f32 v17, v16, s5, -v6
	v_fmamk_f32 v20, v16, 0xb102e308, v17
	v_pk_add_f32 v[16:17], v[6:7], v[20:21]
	v_mov_b32_e32 v22, v6
	v_sub_f32_e32 v18, v17, v21
	v_sub_f32_e32 v18, v7, v18
	v_add_f32_e32 v23, v3, v18
	v_pk_add_f32 v[6:7], v[16:17], v[6:7] neg_lo:[0,1] neg_hi:[0,1]
	v_pk_add_f32 v[24:25], v[16:17], v[22:23]
	v_mov_b32_e32 v21, v16
	v_mov_b32_e32 v7, v25
	v_pk_add_f32 v[26:27], v[20:21], v[6:7] neg_lo:[0,1] neg_hi:[0,1]
	v_pk_add_f32 v[6:7], v[20:21], v[6:7]
	s_mov_b32 s5, 0x33800000
	v_mov_b32_e32 v18, v7
	v_pk_add_f32 v[20:21], v[18:19], v[16:17] neg_lo:[0,1] neg_hi:[0,1]
	v_mov_b32_e32 v6, v25
	v_mov_b32_e32 v3, v20
	v_pk_add_f32 v[70:71], v[24:25], v[2:3] neg_lo:[0,1] neg_hi:[0,1]
	v_mov_b32_e32 v24, v17
	v_mov_b32_e32 v25, v20
	v_mov_b32_e32 v27, v7
	v_pk_add_f32 v[6:7], v[6:7], v[24:25] neg_lo:[0,1] neg_hi:[0,1]
	v_mov_b32_e32 v20, v23
	v_mov_b32_e32 v21, v16
	v_pk_add_f32 v[6:7], v[20:21], v[6:7] neg_lo:[0,1] neg_hi:[0,1]
	v_mov_b32_e32 v70, v26
	v_pk_add_f32 v[16:17], v[70:71], v[6:7]
	v_cmp_lt_f32_e64 s[6:7], |v69|, s5
	v_mov_b32_e32 v20, v17
	v_pk_add_f32 v[20:21], v[16:17], v[20:21]
	s_or_b64 vcc, vcc, s[6:7]
	v_pk_add_f32 v[22:23], v[18:19], v[20:21]
	v_mov_b32_e32 v7, v20
	v_mov_b32_e32 v17, v22
	v_pk_add_f32 v[24:25], v[16:17], v[26:27] neg_lo:[0,1] neg_hi:[0,1]
	s_nop 0
	v_sub_f32_e32 v3, v16, v24
	v_pk_add_f32 v[6:7], v[6:7], v[24:25] neg_lo:[0,1] neg_hi:[0,1]
	v_sub_f32_e32 v3, v26, v3
	v_add_f32_e32 v3, v6, v3
	v_add_f32_e32 v3, v3, v7
	;; [unrolled: 1-line block ×3, first 2 shown]
	v_cndmask_b32_e32 v3, v3, v69, vcc
	v_add_f32_e32 v3, v2, v3
.LBB451_400:
	s_or_b64 exec, exec, s[2:3]
	v_bfe_u32 v2, v3, 16, 1
	s_movk_i32 s5, 0x7fff
	v_add3_u32 v2, v3, v2, s5
	v_lshrrev_b32_e32 v6, 16, v2
	v_mov_b32_e32 v2, 0x7fc0
	v_cmp_o_f32_e32 vcc, v3, v3
	s_nop 1
	v_cndmask_b32_e32 v69, v2, v6, vcc
	v_lshlrev_b32_e32 v6, 16, v69
	v_max_f32_e32 v3, v6, v6
	v_min_f32_e32 v7, v3, v86
	v_cmp_u_f32_e32 vcc, v6, v6
	v_max_f32_e32 v3, v3, v86
	s_nop 0
	v_cndmask_b32_e32 v7, v7, v6, vcc
	v_cndmask_b32_e32 v3, v3, v6, vcc
	v_cndmask_b32_e64 v7, v7, v83, s[46:47]
	v_cndmask_b32_e64 v3, v3, v83, s[46:47]
	v_cmp_neq_f32_e32 vcc, v7, v3
	v_cmp_class_f32_e64 s[2:3], v7, s4
	s_or_b64 s[6:7], vcc, s[2:3]
	s_and_saveexec_b64 s[2:3], s[6:7]
	s_cbranch_execz .LBB451_402
; %bb.401:
	v_sub_f32_e32 v6, v7, v3
	s_mov_b32 s4, 0x3fb8aa3b
	v_mul_f32_e32 v7, 0x3fb8aa3b, v6
	v_fma_f32 v16, v6, s4, -v7
	v_rndne_f32_e32 v17, v7
	v_fmamk_f32 v16, v6, 0x32a5705f, v16
	v_sub_f32_e32 v7, v7, v17
	v_add_f32_e32 v7, v7, v16
	v_exp_f32_e32 v7, v7
	v_cvt_i32_f32_e32 v16, v17
	s_mov_b32 s4, 0xc2ce8ed0
	v_cmp_ngt_f32_e32 vcc, s4, v6
	s_mov_b32 s4, 0x42b17218
	v_ldexp_f32 v7, v7, v16
	v_cndmask_b32_e32 v7, 0, v7, vcc
	v_mov_b32_e32 v16, 0x7f800000
	v_cmp_nlt_f32_e32 vcc, s4, v6
	s_mov_b32 s4, 0x3f2aaaab
	s_mov_b32 s6, 0x7f800000
	v_cndmask_b32_e32 v80, v16, v7, vcc
	v_add_f32_e32 v16, 1.0, v80
	v_add_f32_e32 v6, -1.0, v16
	v_sub_f32_e32 v7, v6, v16
	v_add_f32_e32 v7, 1.0, v7
	v_sub_f32_e32 v6, v80, v6
	v_add_f32_e32 v17, v6, v7
	v_frexp_mant_f32_e32 v18, v16
	v_cvt_f64_f32_e32 v[6:7], v16
	v_frexp_exp_i32_f64_e32 v6, v[6:7]
	v_cmp_gt_f32_e32 vcc, s4, v18
	s_mov_b32 s4, 0x3f317218
	s_nop 0
	v_subbrev_co_u32_e32 v18, vcc, 0, v6, vcc
	v_sub_u32_e32 v6, 0, v18
	v_ldexp_f32 v7, v16, v6
	v_add_f32_e32 v16, -1.0, v7
	v_add_f32_e32 v20, 1.0, v7
	v_ldexp_f32 v6, v17, v6
	v_add_f32_e32 v17, 1.0, v16
	v_add_f32_e32 v21, -1.0, v20
	v_sub_f32_e32 v17, v7, v17
	v_sub_f32_e32 v7, v7, v21
	v_add_f32_e32 v17, v6, v17
	v_add_f32_e32 v6, v6, v7
	;; [unrolled: 1-line block ×3, first 2 shown]
	v_rcp_f32_e32 v26, v24
	v_sub_f32_e32 v7, v20, v24
	v_add_f32_e32 v25, v6, v7
	v_add_f32_e32 v7, v16, v17
	v_mul_f32_e32 v70, v7, v26
	v_sub_f32_e32 v6, v16, v7
	v_mul_f32_e32 v16, v24, v70
	v_fma_f32 v20, v70, v24, -v16
	v_fmac_f32_e32 v20, v70, v25
	v_add_f32_e32 v27, v17, v6
	v_add_f32_e32 v6, v16, v20
	v_sub_f32_e32 v17, v7, v6
	v_pk_add_f32 v[22:23], v[6:7], v[16:17] neg_lo:[0,1] neg_hi:[0,1]
	v_mov_b32_e32 v21, v6
	v_pk_add_f32 v[6:7], v[22:23], v[20:21] neg_lo:[0,1] neg_hi:[0,1]
	v_cmp_eq_f32_e32 vcc, s6, v80
	v_add_f32_e32 v7, v27, v7
	v_add_f32_e32 v6, v6, v7
	;; [unrolled: 1-line block ×3, first 2 shown]
	v_mul_f32_e32 v27, v26, v7
	v_mul_f32_e32 v16, v24, v27
	v_fma_f32 v20, v27, v24, -v16
	v_fmac_f32_e32 v20, v27, v25
	v_sub_f32_e32 v17, v17, v7
	v_add_f32_e32 v24, v6, v17
	v_add_f32_e32 v6, v16, v20
	v_sub_f32_e32 v17, v7, v6
	v_pk_add_f32 v[22:23], v[6:7], v[16:17] neg_lo:[0,1] neg_hi:[0,1]
	v_mov_b32_e32 v21, v6
	v_pk_add_f32 v[6:7], v[22:23], v[20:21] neg_lo:[0,1] neg_hi:[0,1]
	v_cvt_f32_i32_e32 v16, v18
	v_add_f32_e32 v7, v24, v7
	v_add_f32_e32 v6, v6, v7
	;; [unrolled: 1-line block ×4, first 2 shown]
	v_sub_f32_e32 v7, v17, v70
	v_mul_f32_e32 v6, v26, v6
	v_sub_f32_e32 v7, v27, v7
	v_add_f32_e32 v6, v7, v6
	v_add_f32_e32 v20, v17, v6
	v_mul_f32_e32 v22, v20, v20
	v_mov_b32_e32 v7, 0x3ecc95a3
	v_sub_f32_e32 v17, v20, v17
	v_fmac_f32_e32 v7, 0x3e9b6dac, v22
	v_sub_f32_e32 v6, v6, v17
	v_fmaak_f32 v7, v22, v7, 0x3f2aaada
	v_ldexp_f32 v18, v6, 1
	v_mul_f32_e32 v17, v20, v22
	v_mov_b32_e32 v6, 0x3f317218
	v_pk_mul_f32 v[6:7], v[16:17], v[6:7]
	v_ldexp_f32 v21, v20, 1
	v_fma_f32 v17, v16, s4, -v6
	v_fmamk_f32 v20, v16, 0xb102e308, v17
	v_pk_add_f32 v[16:17], v[6:7], v[20:21]
	v_mov_b32_e32 v22, v6
	v_sub_f32_e32 v21, v17, v21
	v_sub_f32_e32 v21, v7, v21
	v_add_f32_e32 v23, v18, v21
	v_pk_add_f32 v[6:7], v[16:17], v[6:7] neg_lo:[0,1] neg_hi:[0,1]
	v_pk_add_f32 v[24:25], v[16:17], v[22:23]
	v_mov_b32_e32 v21, v16
	v_mov_b32_e32 v7, v25
	v_pk_add_f32 v[26:27], v[20:21], v[6:7] neg_lo:[0,1] neg_hi:[0,1]
	v_pk_add_f32 v[6:7], v[20:21], v[6:7]
	s_mov_b32 s4, 0x33800000
	v_mov_b32_e32 v18, v7
	v_pk_add_f32 v[20:21], v[18:19], v[16:17] neg_lo:[0,1] neg_hi:[0,1]
	v_mov_b32_e32 v6, v25
	v_mov_b32_e32 v21, v20
	v_pk_add_f32 v[70:71], v[24:25], v[20:21] neg_lo:[0,1] neg_hi:[0,1]
	v_mov_b32_e32 v24, v17
	v_mov_b32_e32 v25, v20
	;; [unrolled: 1-line block ×3, first 2 shown]
	v_pk_add_f32 v[6:7], v[6:7], v[24:25] neg_lo:[0,1] neg_hi:[0,1]
	v_mov_b32_e32 v20, v23
	v_mov_b32_e32 v21, v16
	v_pk_add_f32 v[6:7], v[20:21], v[6:7] neg_lo:[0,1] neg_hi:[0,1]
	v_mov_b32_e32 v70, v26
	v_pk_add_f32 v[16:17], v[70:71], v[6:7]
	v_cmp_lt_f32_e64 s[6:7], |v80|, s4
	v_mov_b32_e32 v20, v17
	v_pk_add_f32 v[20:21], v[16:17], v[20:21]
	s_or_b64 vcc, vcc, s[6:7]
	v_pk_add_f32 v[22:23], v[18:19], v[20:21]
	v_mov_b32_e32 v7, v20
	v_mov_b32_e32 v17, v22
	v_pk_add_f32 v[24:25], v[16:17], v[26:27] neg_lo:[0,1] neg_hi:[0,1]
	s_nop 0
	v_sub_f32_e32 v16, v16, v24
	v_pk_add_f32 v[6:7], v[6:7], v[24:25] neg_lo:[0,1] neg_hi:[0,1]
	v_sub_f32_e32 v16, v26, v16
	v_add_f32_e32 v6, v6, v16
	v_add_f32_e32 v6, v6, v7
	;; [unrolled: 1-line block ×3, first 2 shown]
	v_cndmask_b32_e32 v6, v6, v80, vcc
	v_add_f32_e32 v6, v3, v6
.LBB451_402:
	s_or_b64 exec, exec, s[2:3]
	v_bfe_u32 v3, v6, 16, 1
	v_add3_u32 v3, v6, v3, s5
	v_lshrrev_b32_e32 v3, 16, v3
	v_cmp_o_f32_e32 vcc, v6, v6
	s_movk_i32 s2, 0x1f8
	s_nop 0
	v_cndmask_b32_e32 v70, v2, v3, vcc
	v_lshlrev_b32_e32 v3, 16, v70
	v_max_f32_e32 v2, v3, v3
	v_min_f32_e32 v6, v2, v87
	v_cmp_u_f32_e32 vcc, v3, v3
	v_max_f32_e32 v2, v2, v87
	s_nop 0
	v_cndmask_b32_e32 v6, v6, v3, vcc
	v_cndmask_b32_e32 v2, v2, v3, vcc
	v_cndmask_b32_e64 v6, v6, v19, s[48:49]
	v_cndmask_b32_e64 v2, v2, v19, s[48:49]
	v_cmp_neq_f32_e32 vcc, v6, v2
	v_cmp_class_f32_e64 s[2:3], v6, s2
	s_or_b64 s[4:5], vcc, s[2:3]
	s_and_saveexec_b64 s[2:3], s[4:5]
	s_cbranch_execz .LBB451_404
; %bb.403:
	v_sub_f32_e32 v3, v6, v2
	s_mov_b32 s4, 0x3fb8aa3b
	v_mul_f32_e32 v6, 0x3fb8aa3b, v3
	v_fma_f32 v7, v3, s4, -v6
	v_rndne_f32_e32 v16, v6
	v_fmamk_f32 v7, v3, 0x32a5705f, v7
	v_sub_f32_e32 v6, v6, v16
	v_add_f32_e32 v6, v6, v7
	v_exp_f32_e32 v6, v6
	v_cvt_i32_f32_e32 v7, v16
	s_mov_b32 s4, 0xc2ce8ed0
	v_cmp_ngt_f32_e32 vcc, s4, v3
	s_mov_b32 s4, 0x42b17218
	v_ldexp_f32 v6, v6, v7
	v_cndmask_b32_e32 v6, 0, v6, vcc
	v_mov_b32_e32 v7, 0x7f800000
	v_cmp_nlt_f32_e32 vcc, s4, v3
	s_mov_b32 s4, 0x3f2aaaab
	s_mov_b32 s5, 0x7f800000
	v_cndmask_b32_e32 v71, v7, v6, vcc
	v_add_f32_e32 v3, 1.0, v71
	v_add_f32_e32 v6, -1.0, v3
	v_sub_f32_e32 v7, v6, v3
	v_add_f32_e32 v7, 1.0, v7
	v_sub_f32_e32 v6, v71, v6
	v_add_f32_e32 v16, v6, v7
	v_frexp_mant_f32_e32 v17, v3
	v_cvt_f64_f32_e32 v[6:7], v3
	v_frexp_exp_i32_f64_e32 v6, v[6:7]
	v_cmp_gt_f32_e32 vcc, s4, v17
	s_mov_b32 s4, 0x3f317218
	s_nop 0
	v_subbrev_co_u32_e32 v22, vcc, 0, v6, vcc
	v_sub_u32_e32 v6, 0, v22
	v_ldexp_f32 v3, v3, v6
	v_ldexp_f32 v6, v16, v6
	v_add_f32_e32 v16, -1.0, v3
	v_add_f32_e32 v7, 1.0, v16
	v_sub_f32_e32 v7, v3, v7
	v_add_f32_e32 v17, v6, v7
	v_add_f32_e32 v7, 1.0, v3
	v_add_f32_e32 v18, -1.0, v7
	v_sub_f32_e32 v3, v3, v18
	v_add_f32_e32 v3, v6, v3
	v_add_f32_e32 v23, v7, v3
	v_rcp_f32_e32 v24, v23
	v_sub_f32_e32 v6, v7, v23
	v_add_f32_e32 v7, v16, v17
	v_add_f32_e32 v3, v3, v6
	v_mul_f32_e32 v26, v7, v24
	v_sub_f32_e32 v6, v16, v7
	v_mul_f32_e32 v16, v23, v26
	v_fma_f32 v18, v26, v23, -v16
	v_fmac_f32_e32 v18, v26, v3
	v_add_f32_e32 v25, v17, v6
	v_add_f32_e32 v6, v16, v18
	v_sub_f32_e32 v17, v7, v6
	v_pk_add_f32 v[20:21], v[6:7], v[16:17] neg_lo:[0,1] neg_hi:[0,1]
	v_mov_b32_e32 v19, v6
	v_pk_add_f32 v[6:7], v[20:21], v[18:19] neg_lo:[0,1] neg_hi:[0,1]
	v_cmp_eq_f32_e32 vcc, s5, v71
	v_add_f32_e32 v7, v25, v7
	v_add_f32_e32 v6, v6, v7
	;; [unrolled: 1-line block ×3, first 2 shown]
	v_mul_f32_e32 v25, v24, v7
	v_mul_f32_e32 v16, v23, v25
	v_fma_f32 v18, v25, v23, -v16
	v_fmac_f32_e32 v18, v25, v3
	v_sub_f32_e32 v3, v17, v7
	v_add_f32_e32 v3, v6, v3
	v_add_f32_e32 v6, v16, v18
	v_sub_f32_e32 v17, v7, v6
	v_pk_add_f32 v[20:21], v[6:7], v[16:17] neg_lo:[0,1] neg_hi:[0,1]
	v_mov_b32_e32 v19, v6
	v_pk_add_f32 v[6:7], v[20:21], v[18:19] neg_lo:[0,1] neg_hi:[0,1]
	v_cvt_f32_i32_e32 v16, v22
	v_add_f32_e32 v3, v3, v7
	v_add_f32_e32 v3, v6, v3
	;; [unrolled: 1-line block ×4, first 2 shown]
	v_sub_f32_e32 v7, v6, v26
	v_mul_f32_e32 v3, v24, v3
	v_sub_f32_e32 v7, v25, v7
	v_add_f32_e32 v3, v7, v3
	v_add_f32_e32 v17, v6, v3
	v_mul_f32_e32 v18, v17, v17
	v_mov_b32_e32 v7, 0x3ecc95a3
	v_fmac_f32_e32 v7, 0x3e9b6dac, v18
	v_sub_f32_e32 v6, v17, v6
	v_fmaak_f32 v7, v18, v7, 0x3f2aaada
	v_sub_f32_e32 v3, v3, v6
	v_ldexp_f32 v19, v17, 1
	v_mul_f32_e32 v17, v17, v18
	v_mov_b32_e32 v6, 0x3f317218
	v_pk_mul_f32 v[6:7], v[16:17], v[6:7]
	v_ldexp_f32 v3, v3, 1
	v_fma_f32 v17, v16, s4, -v6
	v_fmamk_f32 v18, v16, 0xb102e308, v17
	v_pk_add_f32 v[16:17], v[6:7], v[18:19]
	v_mov_b32_e32 v20, v6
	v_sub_f32_e32 v19, v17, v19
	v_sub_f32_e32 v19, v7, v19
	v_add_f32_e32 v21, v3, v19
	v_pk_add_f32 v[6:7], v[16:17], v[6:7] neg_lo:[0,1] neg_hi:[0,1]
	v_pk_add_f32 v[22:23], v[16:17], v[20:21]
	v_mov_b32_e32 v19, v16
	v_mov_b32_e32 v7, v23
	v_pk_add_f32 v[24:25], v[18:19], v[6:7] neg_lo:[0,1] neg_hi:[0,1]
	v_pk_add_f32 v[6:7], v[18:19], v[6:7]
	v_mov_b32_e32 v20, v21
	v_mov_b32_e32 v18, v7
	v_pk_add_f32 v[26:27], v[18:19], v[16:17] neg_lo:[0,1] neg_hi:[0,1]
	v_mov_b32_e32 v6, v23
	v_mov_b32_e32 v3, v26
	v_pk_add_f32 v[80:81], v[22:23], v[2:3] neg_lo:[0,1] neg_hi:[0,1]
	v_mov_b32_e32 v22, v17
	v_mov_b32_e32 v23, v26
	;; [unrolled: 1-line block ×3, first 2 shown]
	v_pk_add_f32 v[6:7], v[6:7], v[22:23] neg_lo:[0,1] neg_hi:[0,1]
	v_mov_b32_e32 v21, v16
	v_pk_add_f32 v[6:7], v[20:21], v[6:7] neg_lo:[0,1] neg_hi:[0,1]
	v_mov_b32_e32 v80, v24
	v_pk_add_f32 v[16:17], v[80:81], v[6:7]
	s_mov_b32 s4, 0x33800000
	v_mov_b32_e32 v20, v17
	v_pk_add_f32 v[20:21], v[16:17], v[20:21]
	v_cmp_lt_f32_e64 s[4:5], |v71|, s4
	v_pk_add_f32 v[18:19], v[18:19], v[20:21]
	v_mov_b32_e32 v7, v20
	v_mov_b32_e32 v17, v18
	v_pk_add_f32 v[22:23], v[16:17], v[24:25] neg_lo:[0,1] neg_hi:[0,1]
	s_or_b64 vcc, vcc, s[4:5]
	v_sub_f32_e32 v3, v16, v22
	v_pk_add_f32 v[6:7], v[6:7], v[22:23] neg_lo:[0,1] neg_hi:[0,1]
	v_sub_f32_e32 v3, v24, v3
	v_add_f32_e32 v3, v6, v3
	v_add_f32_e32 v3, v3, v7
	;; [unrolled: 1-line block ×3, first 2 shown]
	v_cndmask_b32_e32 v3, v3, v71, vcc
	v_add_f32_e32 v3, v2, v3
.LBB451_404:
	s_or_b64 exec, exec, s[2:3]
	v_bfe_u32 v2, v3, 16, 1
	s_movk_i32 s2, 0x7fff
	v_add3_u32 v2, v3, v2, s2
	v_lshrrev_b32_e32 v2, 16, v2
	v_mov_b32_e32 v6, 0x7fc0
	v_cmp_o_f32_e32 vcc, v3, v3
	s_movk_i32 s2, 0xff
	s_nop 0
	v_cndmask_b32_e32 v71, v6, v2, vcc
	v_cmp_eq_u32_e32 vcc, s2, v0
	s_and_saveexec_b64 s[2:3], vcc
	s_cbranch_execz .LBB451_406
; %bb.405:
	s_mov_b32 s4, 0x20000
	v_or_b32_sdwa v2, v71, s4 dst_sel:DWORD dst_unused:UNUSED_PAD src0_sel:WORD_0 src1_sel:DWORD
	flat_store_dword v[28:29], v2 offset:256 sc1
.LBB451_406:
	s_or_b64 exec, exec, s[2:3]
.LBB451_407:
	v_lshl_add_u64 v[2:3], v[12:13], 1, v[14:15]
	v_lshl_add_u64 v[2:3], s[58:59], 1, v[2:3]
	s_waitcnt lgkmcnt(0)
	s_barrier
	s_and_saveexec_b64 s[2:3], s[0:1]
	s_xor_b64 s[0:1], exec, s[2:3]
	s_cbranch_execz .LBB451_409
; %bb.408:
	s_mov_b32 s2, 0x5040100
	v_perm_b32 v7, v39, v37, s2
	v_perm_b32 v6, v36, v35, s2
	;; [unrolled: 1-line block ×4, first 2 shown]
	ds_write_b128 v1, v[4:7]
	v_perm_b32 v7, v55, v54, s2
	v_perm_b32 v6, v53, v52, s2
	;; [unrolled: 1-line block ×4, first 2 shown]
	ds_write_b128 v1, v[4:7] offset:16
	v_perm_b32 v7, v71, v70, s2
	v_perm_b32 v6, v69, v68, s2
	;; [unrolled: 1-line block ×4, first 2 shown]
	v_mov_b32_e32 v11, 0
	ds_write_b128 v1, v[4:7] offset:32
	s_waitcnt lgkmcnt(0)
	s_barrier
	ds_read_u16 v4, v10
	ds_read_u16 v5, v10 offset:512
	ds_read_u16 v6, v10 offset:1024
	;; [unrolled: 1-line block ×23, first 2 shown]
	v_lshl_add_u64 v[0:1], v[2:3], 0, v[10:11]
	s_movk_i32 s2, 0x1000
	v_add_co_u32_e32 v2, vcc, s2, v0
	s_waitcnt lgkmcnt(0)
	flat_store_short v[0:1], v4
	flat_store_short v[0:1], v5 offset:512
	flat_store_short v[0:1], v6 offset:1024
	;; [unrolled: 1-line block ×7, first 2 shown]
	v_addc_co_u32_e32 v3, vcc, 0, v1, vcc
	v_add_co_u32_e32 v0, vcc, 0x2000, v0
	flat_store_short v[2:3], v14
	flat_store_short v[2:3], v15 offset:512
	flat_store_short v[2:3], v16 offset:1024
	;; [unrolled: 1-line block ×7, first 2 shown]
	v_addc_co_u32_e32 v1, vcc, 0, v1, vcc
                                        ; implicit-def: $vgpr2_vgpr3_vgpr4_vgpr5
	flat_store_short v[0:1], v22
	flat_store_short v[0:1], v23 offset:512
	flat_store_short v[0:1], v24 offset:1024
	;; [unrolled: 1-line block ×7, first 2 shown]
                                        ; implicit-def: $vgpr6_vgpr7_vgpr8_vgpr9
                                        ; implicit-def: $vgpr0
                                        ; implicit-def: $vgpr30_vgpr31
                                        ; implicit-def: $vgpr1
                                        ; implicit-def: $vgpr11
                                        ; implicit-def: $vgpr32
                                        ; implicit-def: $vgpr33
                                        ; implicit-def: $vgpr34
                                        ; implicit-def: $vgpr35
                                        ; implicit-def: $vgpr36
                                        ; implicit-def: $vgpr37
                                        ; implicit-def: $vgpr39
                                        ; implicit-def: $vgpr38
                                        ; implicit-def: $vgpr50
                                        ; implicit-def: $vgpr49
                                        ; implicit-def: $vgpr51
                                        ; implicit-def: $vgpr52
                                        ; implicit-def: $vgpr53
                                        ; implicit-def: $vgpr54
                                        ; implicit-def: $vgpr55
                                        ; implicit-def: $vgpr64
                                        ; implicit-def: $vgpr65
                                        ; implicit-def: $vgpr66
                                        ; implicit-def: $vgpr67
                                        ; implicit-def: $vgpr68
                                        ; implicit-def: $vgpr69
                                        ; implicit-def: $vgpr70
                                        ; implicit-def: $vgpr71
                                        ; implicit-def: $vgpr2_vgpr3
                                        ; implicit-def: $vgpr48
                                        ; implicit-def: $vgpr10
.LBB451_409:
	s_andn2_saveexec_b64 s[2:3], s[0:1]
	s_cbranch_execz .LBB451_550
; %bb.410:
	s_mov_b32 s0, 0x5040100
	v_perm_b32 v15, v39, v37, s0
	v_perm_b32 v14, v36, v35, s0
	;; [unrolled: 1-line block ×4, first 2 shown]
	ds_write_b128 v1, v[12:15]
	v_perm_b32 v15, v55, v54, s0
	v_perm_b32 v14, v53, v52, s0
	;; [unrolled: 1-line block ×4, first 2 shown]
	ds_write_b128 v1, v[12:15] offset:16
	v_perm_b32 v15, v71, v70, s0
	v_perm_b32 v14, v69, v68, s0
	;; [unrolled: 1-line block ×4, first 2 shown]
	ds_write_b128 v1, v[12:15] offset:32
	s_waitcnt lgkmcnt(0)
	s_barrier
	ds_read_u16 v7, v10
	ds_read_u16 v6, v10 offset:512
	ds_read_u16 v13, v10 offset:1024
	;; [unrolled: 1-line block ×23, first 2 shown]
	v_mov_b32_e32 v11, 0
	v_lshl_add_u64 v[2:3], v[2:3], 0, v[10:11]
	v_cmp_lt_u32_e32 vcc, v0, v30
	s_and_saveexec_b64 s[0:1], vcc
	s_cbranch_execz .LBB451_412
; %bb.411:
	s_waitcnt lgkmcnt(0)
	flat_store_short v[2:3], v7
.LBB451_412:
	s_or_b64 exec, exec, s[0:1]
	v_add_u32_e32 v1, 0x100, v0
	v_cmp_lt_u32_e32 vcc, v1, v30
	s_and_saveexec_b64 s[0:1], vcc
	s_cbranch_execz .LBB451_414
; %bb.413:
	s_waitcnt lgkmcnt(0)
	flat_store_short v[2:3], v6 offset:512
.LBB451_414:
	s_or_b64 exec, exec, s[0:1]
	v_add_u32_e32 v1, 0x200, v0
	v_cmp_lt_u32_e32 vcc, v1, v30
	s_and_saveexec_b64 s[0:1], vcc
	s_cbranch_execz .LBB451_416
; %bb.415:
	s_waitcnt lgkmcnt(0)
	flat_store_short v[2:3], v13 offset:1024
.LBB451_416:
	;; [unrolled: 9-line block ×3, first 2 shown]
	s_or_b64 exec, exec, s[0:1]
	v_or_b32_e32 v1, 0x400, v0
	v_cmp_lt_u32_e32 vcc, v1, v30
	s_and_saveexec_b64 s[0:1], vcc
	s_cbranch_execz .LBB451_420
; %bb.419:
	s_waitcnt lgkmcnt(0)
	flat_store_short v[2:3], v12 offset:2048
.LBB451_420:
	s_or_b64 exec, exec, s[0:1]
	v_add_u32_e32 v1, 0x500, v0
	v_cmp_lt_u32_e32 vcc, v1, v30
	s_and_saveexec_b64 s[0:1], vcc
	s_cbranch_execz .LBB451_422
; %bb.421:
	s_waitcnt lgkmcnt(0)
	flat_store_short v[2:3], v15 offset:2560
.LBB451_422:
	s_or_b64 exec, exec, s[0:1]
	v_add_u32_e32 v1, 0x600, v0
	;; [unrolled: 9-line block ×3, first 2 shown]
	v_cmp_lt_u32_e32 vcc, v1, v30
	s_and_saveexec_b64 s[0:1], vcc
	s_cbranch_execz .LBB451_426
; %bb.425:
	s_waitcnt lgkmcnt(0)
	flat_store_short v[2:3], v21 offset:3584
.LBB451_426:
	s_or_b64 exec, exec, s[0:1]
	v_or_b32_e32 v1, 0x800, v0
	v_cmp_lt_u32_e32 vcc, v1, v30
	s_and_saveexec_b64 s[0:1], vcc
	s_cbranch_execz .LBB451_428
; %bb.427:
	v_add_co_u32_e32 v36, vcc, 0x1000, v2
	s_nop 1
	v_addc_co_u32_e32 v37, vcc, 0, v3, vcc
	s_waitcnt lgkmcnt(0)
	flat_store_short v[36:37], v22
.LBB451_428:
	s_or_b64 exec, exec, s[0:1]
	v_add_u32_e32 v1, 0x900, v0
	v_cmp_lt_u32_e32 vcc, v1, v30
	s_and_saveexec_b64 s[0:1], vcc
	s_cbranch_execz .LBB451_430
; %bb.429:
	v_add_co_u32_e32 v36, vcc, 0x1000, v2
	s_nop 1
	v_addc_co_u32_e32 v37, vcc, 0, v3, vcc
	s_waitcnt lgkmcnt(0)
	flat_store_short v[36:37], v29 offset:512
.LBB451_430:
	s_or_b64 exec, exec, s[0:1]
	v_add_u32_e32 v1, 0xa00, v0
	v_cmp_lt_u32_e32 vcc, v1, v30
	s_and_saveexec_b64 s[0:1], vcc
	s_cbranch_execz .LBB451_432
; %bb.431:
	v_add_co_u32_e32 v36, vcc, 0x1000, v2
	s_nop 1
	v_addc_co_u32_e32 v37, vcc, 0, v3, vcc
	s_waitcnt lgkmcnt(0)
	flat_store_short v[36:37], v26 offset:1024
.LBB451_432:
	;; [unrolled: 12-line block ×3, first 2 shown]
	s_or_b64 exec, exec, s[0:1]
	v_or_b32_e32 v1, 0xc00, v0
	v_cmp_lt_u32_e32 vcc, v1, v30
	s_and_saveexec_b64 s[0:1], vcc
	s_cbranch_execz .LBB451_436
; %bb.435:
	v_add_co_u32_e32 v36, vcc, 0x1000, v2
	s_nop 1
	v_addc_co_u32_e32 v37, vcc, 0, v3, vcc
	s_waitcnt lgkmcnt(0)
	flat_store_short v[36:37], v24 offset:2048
.LBB451_436:
	s_or_b64 exec, exec, s[0:1]
	v_add_u32_e32 v1, 0xd00, v0
	v_cmp_lt_u32_e32 vcc, v1, v30
	s_and_saveexec_b64 s[0:1], vcc
	s_cbranch_execz .LBB451_438
; %bb.437:
	v_add_co_u32_e32 v36, vcc, 0x1000, v2
	s_nop 1
	v_addc_co_u32_e32 v37, vcc, 0, v3, vcc
	s_waitcnt lgkmcnt(0)
	flat_store_short v[36:37], v19 offset:2560
.LBB451_438:
	s_or_b64 exec, exec, s[0:1]
	v_add_u32_e32 v1, 0xe00, v0
	v_cmp_lt_u32_e32 vcc, v1, v30
	s_and_saveexec_b64 s[0:1], vcc
	s_cbranch_execz .LBB451_440
; %bb.439:
	v_add_co_u32_e32 v36, vcc, 0x1000, v2
	s_nop 1
	v_addc_co_u32_e32 v37, vcc, 0, v3, vcc
	s_waitcnt lgkmcnt(0)
	flat_store_short v[36:37], v20 offset:3072
.LBB451_440:
	s_or_b64 exec, exec, s[0:1]
	v_add_u32_e32 v1, 0xf00, v0
	v_cmp_lt_u32_e32 vcc, v1, v30
	s_and_saveexec_b64 s[0:1], vcc
	s_cbranch_execz .LBB451_442
; %bb.441:
	v_add_co_u32_e32 v36, vcc, 0x1000, v2
	s_nop 1
	v_addc_co_u32_e32 v37, vcc, 0, v3, vcc
	s_waitcnt lgkmcnt(0)
	flat_store_short v[36:37], v16 offset:3584
.LBB451_442:
	s_or_b64 exec, exec, s[0:1]
	v_or_b32_e32 v1, 0x1000, v0
	v_cmp_lt_u32_e32 vcc, v1, v30
	s_and_saveexec_b64 s[0:1], vcc
	s_cbranch_execz .LBB451_444
; %bb.443:
	v_add_co_u32_e32 v36, vcc, 0x2000, v2
	s_nop 1
	v_addc_co_u32_e32 v37, vcc, 0, v3, vcc
	s_waitcnt lgkmcnt(0)
	flat_store_short v[36:37], v28
.LBB451_444:
	s_or_b64 exec, exec, s[0:1]
	v_add_u32_e32 v1, 0x1100, v0
	v_cmp_lt_u32_e32 vcc, v1, v30
	s_and_saveexec_b64 s[0:1], vcc
	s_cbranch_execz .LBB451_446
; %bb.445:
	v_add_co_u32_e32 v36, vcc, 0x2000, v2
	s_nop 1
	v_addc_co_u32_e32 v37, vcc, 0, v3, vcc
	s_waitcnt lgkmcnt(0)
	flat_store_short v[36:37], v34 offset:512
.LBB451_446:
	s_or_b64 exec, exec, s[0:1]
	v_add_u32_e32 v1, 0x1200, v0
	v_cmp_lt_u32_e32 vcc, v1, v30
	s_and_saveexec_b64 s[0:1], vcc
	s_cbranch_execz .LBB451_448
; %bb.447:
	v_add_co_u32_e32 v36, vcc, 0x2000, v2
	s_nop 1
	v_addc_co_u32_e32 v37, vcc, 0, v3, vcc
	s_waitcnt lgkmcnt(0)
	flat_store_short v[36:37], v32 offset:1024
.LBB451_448:
	s_or_b64 exec, exec, s[0:1]
	v_add_u32_e32 v1, 0x1300, v0
	v_cmp_lt_u32_e32 vcc, v1, v30
	s_and_saveexec_b64 s[0:1], vcc
	s_cbranch_execz .LBB451_450
; %bb.449:
	v_add_co_u32_e32 v36, vcc, 0x2000, v2
	s_nop 1
	v_addc_co_u32_e32 v37, vcc, 0, v3, vcc
	s_waitcnt lgkmcnt(0)
	flat_store_short v[36:37], v27 offset:1536
.LBB451_450:
	s_or_b64 exec, exec, s[0:1]
	v_or_b32_e32 v1, 0x1400, v0
	v_cmp_lt_u32_e32 vcc, v1, v30
	s_and_saveexec_b64 s[0:1], vcc
	s_cbranch_execz .LBB451_452
; %bb.451:
	v_add_co_u32_e32 v36, vcc, 0x2000, v2
	s_nop 1
	v_addc_co_u32_e32 v37, vcc, 0, v3, vcc
	s_waitcnt lgkmcnt(0)
	flat_store_short v[36:37], v18 offset:2048
.LBB451_452:
	s_or_b64 exec, exec, s[0:1]
	v_add_u32_e32 v1, 0x1500, v0
	v_cmp_lt_u32_e32 vcc, v1, v30
	s_and_saveexec_b64 s[0:1], vcc
	s_cbranch_execz .LBB451_454
; %bb.453:
	v_add_co_u32_e32 v36, vcc, 0x2000, v2
	s_nop 1
	v_addc_co_u32_e32 v37, vcc, 0, v3, vcc
	s_waitcnt lgkmcnt(0)
	flat_store_short v[36:37], v17 offset:2560
.LBB451_454:
	s_or_b64 exec, exec, s[0:1]
	v_add_u32_e32 v1, 0x1600, v0
	;; [unrolled: 12-line block ×3, first 2 shown]
	v_cmp_lt_u32_e32 vcc, v1, v30
	s_and_saveexec_b64 s[0:1], vcc
	s_cbranch_execz .LBB451_458
; %bb.457:
	v_add_co_u32_e32 v2, vcc, 0x2000, v2
	s_nop 1
	v_addc_co_u32_e32 v3, vcc, 0, v3, vcc
	s_waitcnt lgkmcnt(0)
	flat_store_short v[2:3], v35 offset:3584
.LBB451_458:
	s_or_b64 exec, exec, s[0:1]
	v_cmp_lt_u64_e32 vcc, 1, v[8:9]
	s_and_saveexec_b64 s[4:5], vcc
	s_cbranch_execz .LBB451_549
; %bb.459:
	s_add_u32 s0, 0, 0xaaaa0000
	s_addc_u32 s1, 0, 42
	s_add_i32 s1, s1, 0xaaaaa80
	s_mul_hi_u32 s9, s0, 0xffffffe8
	s_sub_i32 s9, s9, s0
	s_mul_i32 s10, s1, 0xffffffe8
	s_mul_i32 s6, s0, 0xffffffe8
	s_add_i32 s9, s9, s10
	s_mul_hi_u32 s7, s1, s6
	s_mul_i32 s8, s1, s6
	s_mul_i32 s11, s0, s9
	s_mul_hi_u32 s6, s0, s6
	s_mul_hi_u32 s10, s0, s9
	s_add_u32 s6, s6, s11
	s_addc_u32 s10, 0, s10
	s_add_u32 s6, s6, s8
	s_mul_hi_u32 s11, s1, s9
	s_addc_u32 s6, s10, s7
	s_addc_u32 s7, s11, 0
	s_mul_i32 s8, s1, s9
	s_add_u32 s6, s6, s8
	v_mov_b32_e32 v8, s6
	s_addc_u32 s7, 0, s7
	v_add_co_u32_e32 v36, vcc, s0, v8
	s_cmp_lg_u64 vcc, 0
	v_lshl_add_u64 v[2:3], v[30:31], 0, -1
	s_addc_u32 s6, s1, s7
	v_mov_b32_e32 v1, v11
	v_mad_u64_u32 v[8:9], s[0:1], v2, s6, 0
	v_mul_hi_u32 v10, v2, v36
	v_mov_b32_e32 v11, 0
	v_lshl_add_u64 v[8:9], v[10:11], 0, v[8:9]
	v_mad_u64_u32 v[36:37], s[0:1], v3, v36, 0
	v_add_co_u32_e32 v8, vcc, v8, v36
	v_mad_u64_u32 v[30:31], s[0:1], v3, s6, 0
	s_nop 0
	v_addc_co_u32_e32 v10, vcc, v9, v37, vcc
	s_nop 1
	v_addc_co_u32_e32 v31, vcc, 0, v31, vcc
	v_lshl_add_u64 v[8:9], v[10:11], 0, v[30:31]
	v_mad_u64_u32 v[10:11], s[0:1], v8, 24, 0
	v_mov_b32_e32 v30, v11
	v_mad_u64_u32 v[30:31], s[0:1], v9, 24, v[30:31]
	v_sub_co_u32_e32 v36, vcc, v2, v10
	v_cmp_lt_u32_e64 s[0:1], 23, v36
	s_nop 0
	v_subb_co_u32_e32 v37, vcc, v3, v30, vcc
	v_subrev_co_u32_e32 v10, vcc, 24, v36
	v_lshl_add_u64 v[30:31], v[8:9], 0, 1
	s_nop 0
	v_subbrev_co_u32_e32 v11, vcc, 0, v37, vcc
	v_cmp_lt_u32_e32 vcc, 23, v10
	s_nop 1
	v_cndmask_b32_e64 v10, 0, -1, vcc
	v_cmp_eq_u32_e32 vcc, 0, v11
	s_nop 1
	v_cndmask_b32_e32 v38, -1, v10, vcc
	v_lshl_add_u64 v[10:11], v[8:9], 0, 2
	v_cmp_ne_u32_e32 vcc, 0, v38
	s_nop 1
	v_cndmask_b32_e32 v11, v31, v11, vcc
	v_cndmask_b32_e64 v31, 0, -1, s[0:1]
	v_cmp_eq_u32_e64 s[0:1], 0, v37
	v_cndmask_b32_e32 v10, v30, v10, vcc
	s_nop 0
	v_cndmask_b32_e64 v31, -1, v31, s[0:1]
	v_cmp_ne_u32_e64 s[0:1], 0, v31
	s_nop 1
	v_cndmask_b32_e64 v9, v9, v11, s[0:1]
	v_cndmask_b32_e64 v8, v8, v10, s[0:1]
	v_cmp_eq_u64_e32 vcc, v[8:9], v[0:1]
	s_and_b64 exec, exec, vcc
	s_cbranch_execz .LBB451_549
; %bb.460:
	v_mul_hi_u32_u24_e32 v1, 24, v0
	v_sub_co_u32_e32 v0, vcc, v2, v48
	s_mov_b64 s[0:1], 0
	s_nop 0
	v_subb_co_u32_e32 v1, vcc, v3, v1, vcc
	v_cmp_lt_i64_e32 vcc, 11, v[0:1]
	s_mov_b64 s[12:13], 0
	s_mov_b64 s[10:11], 0
	s_mov_b64 s[8:9], 0
	s_and_saveexec_b64 s[6:7], vcc
	s_xor_b64 s[6:7], exec, s[6:7]
	s_cbranch_execnz .LBB451_466
; %bb.461:
	s_andn2_saveexec_b64 s[6:7], s[6:7]
	s_cbranch_execnz .LBB451_511
.LBB451_462:
	s_or_b64 exec, exec, s[6:7]
	s_and_saveexec_b64 s[6:7], s[12:13]
	s_cbranch_execnz .LBB451_528
.LBB451_463:
	s_or_b64 exec, exec, s[6:7]
	s_and_saveexec_b64 s[6:7], s[10:11]
	s_cbranch_execnz .LBB451_529
.LBB451_464:
	s_or_b64 exec, exec, s[6:7]
	s_and_saveexec_b64 s[6:7], s[8:9]
	s_xor_b64 s[6:7], exec, s[6:7]
	s_cbranch_execnz .LBB451_530
.LBB451_465:
	s_or_b64 exec, exec, s[6:7]
	s_and_b64 exec, exec, s[0:1]
	s_cbranch_execnz .LBB451_531
	s_branch .LBB451_549
.LBB451_466:
	v_cmp_lt_i64_e32 vcc, 17, v[0:1]
	s_and_saveexec_b64 s[14:15], vcc
	s_xor_b64 s[14:15], exec, s[14:15]
	s_cbranch_execz .LBB451_488
; %bb.467:
	v_cmp_lt_i64_e32 vcc, 20, v[0:1]
                                        ; implicit-def: $vgpr16
	s_and_saveexec_b64 s[16:17], vcc
	s_xor_b64 s[16:17], exec, s[16:17]
	s_cbranch_execz .LBB451_477
; %bb.468:
	v_cmp_lt_i64_e32 vcc, 21, v[0:1]
	s_mov_b64 s[18:19], 0
                                        ; implicit-def: $vgpr16
	s_and_saveexec_b64 s[8:9], vcc
	s_xor_b64 s[8:9], exec, s[8:9]
	s_cbranch_execz .LBB451_474
; %bb.469:
	v_cmp_lt_i64_e32 vcc, 22, v[0:1]
	s_and_saveexec_b64 s[18:19], vcc
	s_xor_b64 s[18:19], exec, s[18:19]
	s_cbranch_execz .LBB451_471
; %bb.470:
	s_waitcnt lgkmcnt(0)
	flat_store_short v[4:5], v35
                                        ; implicit-def: $vgpr33
.LBB451_471:
	s_or_saveexec_b64 s[18:19], s[18:19]
	s_mov_b64 s[20:21], 0
	s_xor_b64 exec, exec, s[18:19]
; %bb.472:
	s_mov_b64 s[20:21], exec
; %bb.473:
	s_or_b64 exec, exec, s[18:19]
	s_and_b64 s[18:19], s[20:21], exec
	s_waitcnt lgkmcnt(0)
	v_mov_b32_e32 v16, v33
                                        ; implicit-def: $vgpr17
.LBB451_474:
	s_andn2_saveexec_b64 s[8:9], s[8:9]
; %bb.475:
	s_mov_b64 s[10:11], exec
                                        ; implicit-def: $vgpr16
; %bb.476:
	s_or_b64 exec, exec, s[8:9]
	s_and_b64 s[8:9], s[18:19], exec
	s_and_b64 s[10:11], s[10:11], exec
                                        ; implicit-def: $vgpr32
                                        ; implicit-def: $vgpr18
                                        ; implicit-def: $vgpr27
.LBB451_477:
	s_andn2_saveexec_b64 s[16:17], s[16:17]
	s_cbranch_execz .LBB451_487
; %bb.478:
	v_cmp_lt_i64_e32 vcc, 18, v[0:1]
	s_mov_b64 s[18:19], 0
	s_and_saveexec_b64 s[12:13], vcc
	s_xor_b64 s[12:13], exec, s[12:13]
	s_cbranch_execz .LBB451_484
; %bb.479:
	v_cmp_lt_i64_e32 vcc, 19, v[0:1]
	s_and_saveexec_b64 s[20:21], vcc
	s_xor_b64 s[20:21], exec, s[20:21]
; %bb.480:
	s_mov_b64 s[18:19], exec
                                        ; implicit-def: $vgpr27
; %bb.481:
	s_andn2_saveexec_b64 s[20:21], s[20:21]
	s_cbranch_execz .LBB451_483
; %bb.482:
	s_waitcnt lgkmcnt(0)
	flat_store_short v[4:5], v27
                                        ; implicit-def: $vgpr18
.LBB451_483:
	s_or_b64 exec, exec, s[20:21]
	s_and_b64 s[18:19], s[18:19], exec
                                        ; implicit-def: $vgpr32
.LBB451_484:
	s_andn2_saveexec_b64 s[12:13], s[12:13]
	s_cbranch_execz .LBB451_486
; %bb.485:
	s_waitcnt lgkmcnt(0)
	flat_store_short v[4:5], v32
                                        ; implicit-def: $vgpr18
.LBB451_486:
	s_or_b64 exec, exec, s[12:13]
	s_and_b64 s[12:13], s[18:19], exec
                                        ; implicit-def: $vgpr16
                                        ; implicit-def: $vgpr17
.LBB451_487:
	s_or_b64 exec, exec, s[16:17]
	s_and_b64 s[8:9], s[8:9], exec
	s_and_b64 s[10:11], s[10:11], exec
	;; [unrolled: 1-line block ×3, first 2 shown]
                                        ; implicit-def: $vgpr24
                                        ; implicit-def: $vgpr19
                                        ; implicit-def: $vgpr20
                                        ; implicit-def: $vgpr28
                                        ; implicit-def: $vgpr34
.LBB451_488:
	s_andn2_saveexec_b64 s[14:15], s[14:15]
	s_cbranch_execz .LBB451_510
; %bb.489:
	v_cmp_lt_i64_e32 vcc, 14, v[0:1]
	s_mov_b64 s[16:17], s[8:9]
	s_and_saveexec_b64 s[18:19], vcc
	s_xor_b64 s[18:19], exec, s[18:19]
	s_cbranch_execz .LBB451_499
; %bb.490:
	v_cmp_lt_i64_e32 vcc, 15, v[0:1]
	s_and_saveexec_b64 s[16:17], vcc
	s_xor_b64 s[16:17], exec, s[16:17]
	s_cbranch_execz .LBB451_496
; %bb.491:
	v_cmp_lt_i64_e32 vcc, 16, v[0:1]
	s_and_saveexec_b64 s[20:21], vcc
	s_xor_b64 s[20:21], exec, s[20:21]
	s_cbranch_execz .LBB451_493
; %bb.492:
	s_waitcnt lgkmcnt(0)
	flat_store_short v[4:5], v34
                                        ; implicit-def: $vgpr28
.LBB451_493:
	s_andn2_saveexec_b64 s[20:21], s[20:21]
	s_cbranch_execz .LBB451_495
; %bb.494:
	s_waitcnt lgkmcnt(0)
	flat_store_short v[4:5], v28
.LBB451_495:
	s_or_b64 exec, exec, s[20:21]
                                        ; implicit-def: $vgpr16
.LBB451_496:
	s_or_saveexec_b64 s[16:17], s[16:17]
	s_mov_b64 s[20:21], s[8:9]
	s_xor_b64 exec, exec, s[16:17]
; %bb.497:
	s_or_b64 s[20:21], s[8:9], exec
; %bb.498:
	s_or_b64 exec, exec, s[16:17]
	s_andn2_b64 s[16:17], s[8:9], exec
	s_and_b64 s[20:21], s[20:21], exec
	s_or_b64 s[16:17], s[16:17], s[20:21]
                                        ; implicit-def: $vgpr24
                                        ; implicit-def: $vgpr19
                                        ; implicit-def: $vgpr20
.LBB451_499:
	s_or_saveexec_b64 s[18:19], s[18:19]
	s_mov_b64 s[20:21], s[10:11]
                                        ; implicit-def: $vgpr17
	s_xor_b64 exec, exec, s[18:19]
	s_cbranch_execz .LBB451_509
; %bb.500:
	v_cmp_lt_i64_e32 vcc, 12, v[0:1]
	s_mov_b64 s[22:23], s[10:11]
	s_mov_b64 s[24:25], s[16:17]
                                        ; implicit-def: $vgpr16
                                        ; implicit-def: $vgpr17
	s_and_saveexec_b64 s[20:21], vcc
	s_xor_b64 s[20:21], exec, s[20:21]
	s_cbranch_execz .LBB451_506
; %bb.501:
	v_cmp_lt_i64_e32 vcc, 13, v[0:1]
	s_mov_b64 s[22:23], s[16:17]
	s_and_saveexec_b64 s[24:25], vcc
	s_xor_b64 s[24:25], exec, s[24:25]
; %bb.502:
	s_or_b64 s[22:23], s[16:17], exec
                                        ; implicit-def: $vgpr19
; %bb.503:
	s_or_saveexec_b64 s[24:25], s[24:25]
	s_mov_b64 s[26:27], s[10:11]
	s_xor_b64 exec, exec, s[24:25]
; %bb.504:
	s_or_b64 s[26:27], s[10:11], exec
                                        ; implicit-def: $vgpr20
; %bb.505:
	s_or_b64 exec, exec, s[24:25]
	s_andn2_b64 s[24:25], s[16:17], exec
	s_and_b64 s[22:23], s[22:23], exec
	s_or_b64 s[24:25], s[24:25], s[22:23]
	s_andn2_b64 s[22:23], s[10:11], exec
	s_and_b64 s[26:27], s[26:27], exec
	s_or_b64 s[22:23], s[22:23], s[26:27]
	s_waitcnt lgkmcnt(0)
	v_mov_b32_e32 v16, v20
	v_mov_b32_e32 v17, v19
                                        ; implicit-def: $vgpr24
.LBB451_506:
	s_andn2_saveexec_b64 s[20:21], s[20:21]
	s_cbranch_execz .LBB451_508
; %bb.507:
	s_or_b64 s[22:23], s[22:23], exec
                                        ; implicit-def: $vgpr16
	s_waitcnt lgkmcnt(0)
	v_mov_b32_e32 v17, v24
.LBB451_508:
	s_or_b64 exec, exec, s[20:21]
	s_andn2_b64 s[16:17], s[16:17], exec
	s_and_b64 s[20:21], s[24:25], exec
	s_or_b64 s[16:17], s[16:17], s[20:21]
	s_andn2_b64 s[20:21], s[10:11], exec
	s_and_b64 s[22:23], s[22:23], exec
	s_or_b64 s[20:21], s[20:21], s[22:23]
.LBB451_509:
	s_or_b64 exec, exec, s[18:19]
	s_andn2_b64 s[8:9], s[8:9], exec
	s_and_b64 s[16:17], s[16:17], exec
	s_or_b64 s[8:9], s[8:9], s[16:17]
	s_andn2_b64 s[10:11], s[10:11], exec
	s_and_b64 s[16:17], s[20:21], exec
	s_or_b64 s[10:11], s[10:11], s[16:17]
                                        ; implicit-def: $vgpr18
.LBB451_510:
	s_or_b64 exec, exec, s[14:15]
	s_and_b64 s[8:9], s[8:9], exec
	s_and_b64 s[10:11], s[10:11], exec
	;; [unrolled: 1-line block ×3, first 2 shown]
                                        ; implicit-def: $vgpr23
                                        ; implicit-def: $vgpr21
                                        ; implicit-def: $vgpr22
                                        ; implicit-def: $vgpr29
                                        ; implicit-def: $vgpr26
                                        ; implicit-def: $vgpr25
	s_andn2_saveexec_b64 s[6:7], s[6:7]
	s_cbranch_execz .LBB451_462
.LBB451_511:
	v_cmp_lt_i64_e32 vcc, 5, v[0:1]
	s_mov_b64 s[16:17], -1
	s_mov_b64 s[14:15], s[12:13]
	s_mov_b64 s[18:19], s[10:11]
	s_mov_b64 s[20:21], s[8:9]
                                        ; implicit-def: $vgpr16
                                        ; implicit-def: $vgpr17
                                        ; implicit-def: $vgpr18
	s_and_saveexec_b64 s[0:1], vcc
	s_cbranch_execz .LBB451_527
; %bb.512:
	v_cmp_lt_i64_e32 vcc, 8, v[0:1]
	s_mov_b64 s[14:15], s[12:13]
                                        ; implicit-def: $vgpr18
	s_and_saveexec_b64 s[16:17], vcc
	s_xor_b64 s[16:17], exec, s[16:17]
	s_cbranch_execz .LBB451_522
; %bb.513:
	v_cmp_lt_i64_e32 vcc, 9, v[0:1]
	s_and_saveexec_b64 s[14:15], vcc
	s_xor_b64 s[14:15], exec, s[14:15]
	s_cbranch_execz .LBB451_519
; %bb.514:
	v_cmp_lt_i64_e32 vcc, 10, v[0:1]
	s_and_saveexec_b64 s[18:19], vcc
	s_xor_b64 s[18:19], exec, s[18:19]
; %bb.515:
                                        ; implicit-def: $vgpr26
; %bb.516:
	s_andn2_saveexec_b64 s[18:19], s[18:19]
	s_cbranch_execz .LBB451_518
; %bb.517:
	s_waitcnt lgkmcnt(0)
	v_mov_b32_e32 v25, v26
.LBB451_518:
	s_or_b64 exec, exec, s[18:19]
                                        ; implicit-def: $vgpr29
.LBB451_519:
	s_andn2_saveexec_b64 s[14:15], s[14:15]
	s_cbranch_execz .LBB451_521
; %bb.520:
	s_waitcnt lgkmcnt(0)
	v_mov_b32_e32 v25, v29
.LBB451_521:
	s_or_b64 exec, exec, s[14:15]
	s_or_b64 s[14:15], s[12:13], exec
	s_waitcnt lgkmcnt(0)
	v_mov_b32_e32 v18, v25
                                        ; implicit-def: $vgpr23
                                        ; implicit-def: $vgpr21
                                        ; implicit-def: $vgpr22
.LBB451_522:
	s_or_saveexec_b64 s[16:17], s[16:17]
	s_mov_b64 s[18:19], s[10:11]
	s_mov_b64 s[22:23], s[8:9]
                                        ; implicit-def: $vgpr16
                                        ; implicit-def: $vgpr17
	s_xor_b64 exec, exec, s[16:17]
	s_cbranch_execz .LBB451_526
; %bb.523:
	v_cmp_lt_i64_e32 vcc, 6, v[0:1]
	s_mov_b64 s[22:23], -1
	s_mov_b64 s[20:21], s[14:15]
	s_mov_b64 s[18:19], s[10:11]
	s_and_saveexec_b64 s[24:25], vcc
; %bb.524:
	v_cmp_lt_i64_e32 vcc, 7, v[0:1]
	s_andn2_b64 s[20:21], s[14:15], exec
	s_and_b64 s[26:27], vcc, exec
	s_xor_b64 s[22:23], exec, -1
	s_or_b64 s[18:19], s[10:11], exec
	s_or_b64 s[20:21], s[20:21], s[26:27]
                                        ; implicit-def: $vgpr23
; %bb.525:
	s_or_b64 exec, exec, s[24:25]
	s_andn2_b64 s[24:25], s[8:9], exec
	s_and_b64 s[22:23], s[22:23], exec
	s_or_b64 s[22:23], s[24:25], s[22:23]
	s_andn2_b64 s[24:25], s[10:11], exec
	s_and_b64 s[18:19], s[18:19], exec
	s_andn2_b64 s[14:15], s[14:15], exec
	s_and_b64 s[20:21], s[20:21], exec
	s_or_b64 s[18:19], s[24:25], s[18:19]
	s_or_b64 s[14:15], s[14:15], s[20:21]
	s_waitcnt lgkmcnt(0)
	v_mov_b32_e32 v16, v23
	v_mov_b32_e32 v17, v21
	;; [unrolled: 1-line block ×3, first 2 shown]
.LBB451_526:
	s_or_b64 exec, exec, s[16:17]
	s_andn2_b64 s[20:21], s[8:9], exec
	s_and_b64 s[22:23], s[22:23], exec
	s_or_b64 s[20:21], s[20:21], s[22:23]
	s_andn2_b64 s[22:23], s[10:11], exec
	s_and_b64 s[18:19], s[18:19], exec
	s_or_b64 s[18:19], s[22:23], s[18:19]
	s_andn2_b64 s[22:23], s[12:13], exec
	s_and_b64 s[14:15], s[14:15], exec
	s_xor_b64 s[16:17], exec, -1
	s_or_b64 s[14:15], s[22:23], s[14:15]
.LBB451_527:
	s_or_b64 exec, exec, s[0:1]
	s_and_b64 s[0:1], s[16:17], exec
	s_andn2_b64 s[8:9], s[8:9], exec
	s_and_b64 s[16:17], s[20:21], exec
	s_or_b64 s[8:9], s[8:9], s[16:17]
	s_andn2_b64 s[10:11], s[10:11], exec
	s_and_b64 s[16:17], s[18:19], exec
	s_andn2_b64 s[12:13], s[12:13], exec
	s_and_b64 s[14:15], s[14:15], exec
	s_or_b64 s[10:11], s[10:11], s[16:17]
	s_or_b64 s[12:13], s[12:13], s[14:15]
	s_or_b64 exec, exec, s[6:7]
	s_and_saveexec_b64 s[6:7], s[12:13]
	s_cbranch_execz .LBB451_463
.LBB451_528:
	s_andn2_b64 s[10:11], s[10:11], exec
	s_waitcnt lgkmcnt(0)
	flat_store_short v[4:5], v18
                                        ; implicit-def: $vgpr16
                                        ; implicit-def: $vgpr17
	s_or_b64 exec, exec, s[6:7]
	s_and_saveexec_b64 s[6:7], s[10:11]
	s_cbranch_execz .LBB451_464
.LBB451_529:
	s_waitcnt lgkmcnt(0)
	flat_store_short v[4:5], v17
                                        ; implicit-def: $vgpr16
	s_or_b64 exec, exec, s[6:7]
	s_and_saveexec_b64 s[6:7], s[8:9]
	s_xor_b64 s[6:7], exec, s[6:7]
	s_cbranch_execz .LBB451_465
.LBB451_530:
	s_waitcnt lgkmcnt(0)
	flat_store_short v[4:5], v16
	s_or_b64 exec, exec, s[6:7]
	s_and_b64 exec, exec, s[0:1]
	s_cbranch_execz .LBB451_549
.LBB451_531:
	v_cmp_lt_i64_e32 vcc, 2, v[0:1]
	s_and_saveexec_b64 s[0:1], vcc
	s_xor_b64 s[0:1], exec, s[0:1]
	s_cbranch_execz .LBB451_541
; %bb.532:
	v_cmp_lt_i64_e32 vcc, 3, v[0:1]
	s_and_saveexec_b64 s[6:7], vcc
	s_xor_b64 s[6:7], exec, s[6:7]
	s_cbranch_execz .LBB451_538
; %bb.533:
	;; [unrolled: 5-line block ×3, first 2 shown]
	s_waitcnt lgkmcnt(0)
	flat_store_short v[4:5], v15
                                        ; implicit-def: $vgpr4_vgpr5
                                        ; implicit-def: $vgpr12
.LBB451_535:
	s_andn2_saveexec_b64 s[8:9], s[8:9]
	s_cbranch_execz .LBB451_537
; %bb.536:
	s_waitcnt lgkmcnt(0)
	flat_store_short v[4:5], v12
.LBB451_537:
	s_or_b64 exec, exec, s[8:9]
                                        ; implicit-def: $vgpr4_vgpr5
                                        ; implicit-def: $vgpr14
.LBB451_538:
	s_andn2_saveexec_b64 s[6:7], s[6:7]
	s_cbranch_execz .LBB451_540
; %bb.539:
	s_waitcnt lgkmcnt(0)
	flat_store_short v[4:5], v14
.LBB451_540:
	s_or_b64 exec, exec, s[6:7]
                                        ; implicit-def: $vgpr0_vgpr1
                                        ; implicit-def: $vgpr4_vgpr5
                                        ; implicit-def: $vgpr13
                                        ; implicit-def: $vgpr6
                                        ; implicit-def: $vgpr7
.LBB451_541:
	s_andn2_saveexec_b64 s[0:1], s[0:1]
	s_cbranch_execz .LBB451_549
; %bb.542:
	v_cmp_lt_i64_e32 vcc, 1, v[0:1]
	s_and_saveexec_b64 s[0:1], vcc
	s_xor_b64 s[0:1], exec, s[0:1]
	s_cbranch_execz .LBB451_544
; %bb.543:
	s_waitcnt lgkmcnt(0)
	flat_store_short v[4:5], v13
                                        ; implicit-def: $vgpr4_vgpr5
                                        ; implicit-def: $vgpr6
                                        ; implicit-def: $vgpr0_vgpr1
                                        ; implicit-def: $vgpr7
.LBB451_544:
	s_andn2_saveexec_b64 s[0:1], s[0:1]
	s_cbranch_execz .LBB451_549
; %bb.545:
	v_cmp_ne_u64_e32 vcc, 1, v[0:1]
	s_and_saveexec_b64 s[0:1], vcc
	s_xor_b64 s[0:1], exec, s[0:1]
	s_cbranch_execz .LBB451_547
; %bb.546:
	s_waitcnt lgkmcnt(0)
	flat_store_short v[4:5], v7
                                        ; implicit-def: $vgpr4_vgpr5
                                        ; implicit-def: $vgpr6
.LBB451_547:
	s_andn2_saveexec_b64 s[0:1], s[0:1]
	s_cbranch_execz .LBB451_549
; %bb.548:
	s_waitcnt lgkmcnt(0)
	flat_store_short v[4:5], v6
.LBB451_549:
	s_or_b64 exec, exec, s[4:5]
.LBB451_550:
	s_or_b64 exec, exec, s[2:3]
	v_readlane_b32 s30, v40, 0
	v_readlane_b32 s31, v40, 1
	s_or_saveexec_b64 s[0:1], -1
	scratch_load_dword v40, off, s32        ; 4-byte Folded Reload
	s_mov_b64 exec, s[0:1]
	s_waitcnt vmcnt(0) lgkmcnt(0)
	s_setpc_b64 s[30:31]
.Lfunc_end451:
	.size	_ZZZN7rocprim17ROCPRIM_400000_NS6detail9scan_implILNS1_25lookback_scan_determinismE0ELb0ELb0ENS0_14default_configEPKN3c108BFloat16EPS6_S6_ZZZN2at6native31launch_logcumsumexp_cuda_kernelERKNSA_10TensorBaseESE_lENKUlvE_clEvENKUlvE4_clEvEUlS6_S6_E_S6_EEDaPvRmT3_T4_T5_mT6_P12ihipStream_tbENKUlT_T0_E_clISt17integral_constantIbLb0EESV_EEDaSQ_SR_ENKUlSQ_E_clINS1_13target_configIS4_NS1_20scan_config_selectorIS6_EENS1_11comp_targetILNS1_3genE5ELNS1_11target_archE942ELNS1_3gpuE9ELNS1_3repE0EEELNS0_4arch9wavefront6targetE1EEEEEDaSQ_, .Lfunc_end451-_ZZZN7rocprim17ROCPRIM_400000_NS6detail9scan_implILNS1_25lookback_scan_determinismE0ELb0ELb0ENS0_14default_configEPKN3c108BFloat16EPS6_S6_ZZZN2at6native31launch_logcumsumexp_cuda_kernelERKNSA_10TensorBaseESE_lENKUlvE_clEvENKUlvE4_clEvEUlS6_S6_E_S6_EEDaPvRmT3_T4_T5_mT6_P12ihipStream_tbENKUlT_T0_E_clISt17integral_constantIbLb0EESV_EEDaSQ_SR_ENKUlSQ_E_clINS1_13target_configIS4_NS1_20scan_config_selectorIS6_EENS1_11comp_targetILNS1_3genE5ELNS1_11target_archE942ELNS1_3gpuE9ELNS1_3repE0EEELNS0_4arch9wavefront6targetE1EEEEEDaSQ_
                                        ; -- End function
	.section	.AMDGPU.csdata,"",@progbits
; Function info:
; codeLenInByte = 120600
; NumSgprs: 80
; NumVgprs: 214
; NumAgprs: 0
; TotalNumVgprs: 214
; ScratchSize: 8
; MemoryBound: 0
	.section	.text._ZN7rocprim17ROCPRIM_400000_NS6detail17trampoline_kernelINS0_14default_configENS1_20scan_config_selectorIN3c108BFloat16EEEZZNS1_9scan_implILNS1_25lookback_scan_determinismE0ELb0ELb0ES3_PKS6_PS6_S6_ZZZN2at6native31launch_logcumsumexp_cuda_kernelERKNSD_10TensorBaseESH_lENKUlvE_clEvENKUlvE4_clEvEUlS6_S6_E_S6_EEDaPvRmT3_T4_T5_mT6_P12ihipStream_tbENKUlT_T0_E_clISt17integral_constantIbLb0EESY_EEDaST_SU_EUlST_E_NS1_11comp_targetILNS1_3genE5ELNS1_11target_archE942ELNS1_3gpuE9ELNS1_3repE0EEENS1_30default_config_static_selectorELNS0_4arch9wavefront6targetE1EEEvT1_,"axG",@progbits,_ZN7rocprim17ROCPRIM_400000_NS6detail17trampoline_kernelINS0_14default_configENS1_20scan_config_selectorIN3c108BFloat16EEEZZNS1_9scan_implILNS1_25lookback_scan_determinismE0ELb0ELb0ES3_PKS6_PS6_S6_ZZZN2at6native31launch_logcumsumexp_cuda_kernelERKNSD_10TensorBaseESH_lENKUlvE_clEvENKUlvE4_clEvEUlS6_S6_E_S6_EEDaPvRmT3_T4_T5_mT6_P12ihipStream_tbENKUlT_T0_E_clISt17integral_constantIbLb0EESY_EEDaST_SU_EUlST_E_NS1_11comp_targetILNS1_3genE5ELNS1_11target_archE942ELNS1_3gpuE9ELNS1_3repE0EEENS1_30default_config_static_selectorELNS0_4arch9wavefront6targetE1EEEvT1_,comdat
	.globl	_ZN7rocprim17ROCPRIM_400000_NS6detail17trampoline_kernelINS0_14default_configENS1_20scan_config_selectorIN3c108BFloat16EEEZZNS1_9scan_implILNS1_25lookback_scan_determinismE0ELb0ELb0ES3_PKS6_PS6_S6_ZZZN2at6native31launch_logcumsumexp_cuda_kernelERKNSD_10TensorBaseESH_lENKUlvE_clEvENKUlvE4_clEvEUlS6_S6_E_S6_EEDaPvRmT3_T4_T5_mT6_P12ihipStream_tbENKUlT_T0_E_clISt17integral_constantIbLb0EESY_EEDaST_SU_EUlST_E_NS1_11comp_targetILNS1_3genE5ELNS1_11target_archE942ELNS1_3gpuE9ELNS1_3repE0EEENS1_30default_config_static_selectorELNS0_4arch9wavefront6targetE1EEEvT1_ ; -- Begin function _ZN7rocprim17ROCPRIM_400000_NS6detail17trampoline_kernelINS0_14default_configENS1_20scan_config_selectorIN3c108BFloat16EEEZZNS1_9scan_implILNS1_25lookback_scan_determinismE0ELb0ELb0ES3_PKS6_PS6_S6_ZZZN2at6native31launch_logcumsumexp_cuda_kernelERKNSD_10TensorBaseESH_lENKUlvE_clEvENKUlvE4_clEvEUlS6_S6_E_S6_EEDaPvRmT3_T4_T5_mT6_P12ihipStream_tbENKUlT_T0_E_clISt17integral_constantIbLb0EESY_EEDaST_SU_EUlST_E_NS1_11comp_targetILNS1_3genE5ELNS1_11target_archE942ELNS1_3gpuE9ELNS1_3repE0EEENS1_30default_config_static_selectorELNS0_4arch9wavefront6targetE1EEEvT1_
	.p2align	8
	.type	_ZN7rocprim17ROCPRIM_400000_NS6detail17trampoline_kernelINS0_14default_configENS1_20scan_config_selectorIN3c108BFloat16EEEZZNS1_9scan_implILNS1_25lookback_scan_determinismE0ELb0ELb0ES3_PKS6_PS6_S6_ZZZN2at6native31launch_logcumsumexp_cuda_kernelERKNSD_10TensorBaseESH_lENKUlvE_clEvENKUlvE4_clEvEUlS6_S6_E_S6_EEDaPvRmT3_T4_T5_mT6_P12ihipStream_tbENKUlT_T0_E_clISt17integral_constantIbLb0EESY_EEDaST_SU_EUlST_E_NS1_11comp_targetILNS1_3genE5ELNS1_11target_archE942ELNS1_3gpuE9ELNS1_3repE0EEENS1_30default_config_static_selectorELNS0_4arch9wavefront6targetE1EEEvT1_,@function
_ZN7rocprim17ROCPRIM_400000_NS6detail17trampoline_kernelINS0_14default_configENS1_20scan_config_selectorIN3c108BFloat16EEEZZNS1_9scan_implILNS1_25lookback_scan_determinismE0ELb0ELb0ES3_PKS6_PS6_S6_ZZZN2at6native31launch_logcumsumexp_cuda_kernelERKNSD_10TensorBaseESH_lENKUlvE_clEvENKUlvE4_clEvEUlS6_S6_E_S6_EEDaPvRmT3_T4_T5_mT6_P12ihipStream_tbENKUlT_T0_E_clISt17integral_constantIbLb0EESY_EEDaST_SU_EUlST_E_NS1_11comp_targetILNS1_3genE5ELNS1_11target_archE942ELNS1_3gpuE9ELNS1_3repE0EEENS1_30default_config_static_selectorELNS0_4arch9wavefront6targetE1EEEvT1_: ; @_ZN7rocprim17ROCPRIM_400000_NS6detail17trampoline_kernelINS0_14default_configENS1_20scan_config_selectorIN3c108BFloat16EEEZZNS1_9scan_implILNS1_25lookback_scan_determinismE0ELb0ELb0ES3_PKS6_PS6_S6_ZZZN2at6native31launch_logcumsumexp_cuda_kernelERKNSD_10TensorBaseESH_lENKUlvE_clEvENKUlvE4_clEvEUlS6_S6_E_S6_EEDaPvRmT3_T4_T5_mT6_P12ihipStream_tbENKUlT_T0_E_clISt17integral_constantIbLb0EESY_EEDaST_SU_EUlST_E_NS1_11comp_targetILNS1_3genE5ELNS1_11target_archE942ELNS1_3gpuE9ELNS1_3repE0EEENS1_30default_config_static_selectorELNS0_4arch9wavefront6targetE1EEEvT1_
; %bb.0:
	s_load_dwordx8 s[4:11], s[0:1], 0x0
	s_load_dwordx8 s[12:19], s[0:1], 0x20
	s_mov_b64 s[20:21], src_private_base
	v_mov_b32_e32 v31, v0
	v_mov_b32_e32 v0, 0
	s_waitcnt lgkmcnt(0)
	v_mov_b64_e32 v[2:3], s[4:5]
	v_mov_b64_e32 v[4:5], s[6:7]
	scratch_store_dwordx4 off, v[2:5], off
	v_mov_b32_e32 v1, s21
	s_movk_i32 s32, 0x70
	v_mov_b64_e32 v[2:3], s[8:9]
	v_mov_b64_e32 v[4:5], s[10:11]
	s_load_dwordx8 s[4:11], s[0:1], 0x40
	scratch_store_dwordx4 off, v[2:5], off offset:16
	s_nop 1
	v_mov_b64_e32 v[2:3], s[12:13]
	v_mov_b64_e32 v[4:5], s[14:15]
	scratch_store_dwordx4 off, v[2:5], off offset:32
	s_mov_b32 s12, s2
	s_nop 0
	v_mov_b64_e32 v[2:3], s[16:17]
	v_mov_b64_e32 v[4:5], s[18:19]
	scratch_store_dwordx4 off, v[2:5], off offset:48
	s_waitcnt lgkmcnt(0)
	s_nop 0
	v_mov_b64_e32 v[2:3], s[4:5]
	v_mov_b64_e32 v[4:5], s[6:7]
	scratch_store_dwordx4 off, v[2:5], off offset:64
	s_nop 1
	v_mov_b64_e32 v[2:3], s[8:9]
	v_mov_b64_e32 v[4:5], s[10:11]
	s_add_u32 s8, s0, 0x60
	s_addc_u32 s9, s1, 0
	scratch_store_dwordx4 off, v[2:5], off offset:80
	s_getpc_b64 s[0:1]
	s_add_u32 s0, s0, _ZZZN7rocprim17ROCPRIM_400000_NS6detail9scan_implILNS1_25lookback_scan_determinismE0ELb0ELb0ENS0_14default_configEPKN3c108BFloat16EPS6_S6_ZZZN2at6native31launch_logcumsumexp_cuda_kernelERKNSA_10TensorBaseESE_lENKUlvE_clEvENKUlvE4_clEvEUlS6_S6_E_S6_EEDaPvRmT3_T4_T5_mT6_P12ihipStream_tbENKUlT_T0_E_clISt17integral_constantIbLb0EESV_EEDaSQ_SR_ENKUlSQ_E_clINS1_13target_configIS4_NS1_20scan_config_selectorIS6_EENS1_11comp_targetILNS1_3genE5ELNS1_11target_archE942ELNS1_3gpuE9ELNS1_3repE0EEELNS0_4arch9wavefront6targetE1EEEEEDaSQ_@rel32@lo+4
	s_addc_u32 s1, s1, _ZZZN7rocprim17ROCPRIM_400000_NS6detail9scan_implILNS1_25lookback_scan_determinismE0ELb0ELb0ENS0_14default_configEPKN3c108BFloat16EPS6_S6_ZZZN2at6native31launch_logcumsumexp_cuda_kernelERKNSA_10TensorBaseESE_lENKUlvE_clEvENKUlvE4_clEvEUlS6_S6_E_S6_EEDaPvRmT3_T4_T5_mT6_P12ihipStream_tbENKUlT_T0_E_clISt17integral_constantIbLb0EESV_EEDaSQ_SR_ENKUlSQ_E_clINS1_13target_configIS4_NS1_20scan_config_selectorIS6_EENS1_11comp_targetILNS1_3genE5ELNS1_11target_archE942ELNS1_3gpuE9ELNS1_3repE0EEELNS0_4arch9wavefront6targetE1EEEEEDaSQ_@rel32@hi+12
	s_swappc_b64 s[30:31], s[0:1]
	s_endpgm
	.section	.rodata,"a",@progbits
	.p2align	6, 0x0
	.amdhsa_kernel _ZN7rocprim17ROCPRIM_400000_NS6detail17trampoline_kernelINS0_14default_configENS1_20scan_config_selectorIN3c108BFloat16EEEZZNS1_9scan_implILNS1_25lookback_scan_determinismE0ELb0ELb0ES3_PKS6_PS6_S6_ZZZN2at6native31launch_logcumsumexp_cuda_kernelERKNSD_10TensorBaseESH_lENKUlvE_clEvENKUlvE4_clEvEUlS6_S6_E_S6_EEDaPvRmT3_T4_T5_mT6_P12ihipStream_tbENKUlT_T0_E_clISt17integral_constantIbLb0EESY_EEDaST_SU_EUlST_E_NS1_11comp_targetILNS1_3genE5ELNS1_11target_archE942ELNS1_3gpuE9ELNS1_3repE0EEENS1_30default_config_static_selectorELNS0_4arch9wavefront6targetE1EEEvT1_
		.amdhsa_group_segment_fixed_size 12288
		.amdhsa_private_segment_fixed_size 120
		.amdhsa_kernarg_size 352
		.amdhsa_user_sgpr_count 2
		.amdhsa_user_sgpr_dispatch_ptr 0
		.amdhsa_user_sgpr_queue_ptr 0
		.amdhsa_user_sgpr_kernarg_segment_ptr 1
		.amdhsa_user_sgpr_dispatch_id 0
		.amdhsa_user_sgpr_kernarg_preload_length 0
		.amdhsa_user_sgpr_kernarg_preload_offset 0
		.amdhsa_user_sgpr_private_segment_size 0
		.amdhsa_uses_dynamic_stack 0
		.amdhsa_enable_private_segment 1
		.amdhsa_system_sgpr_workgroup_id_x 1
		.amdhsa_system_sgpr_workgroup_id_y 0
		.amdhsa_system_sgpr_workgroup_id_z 0
		.amdhsa_system_sgpr_workgroup_info 0
		.amdhsa_system_vgpr_workitem_id 0
		.amdhsa_next_free_vgpr 214
		.amdhsa_next_free_sgpr 74
		.amdhsa_accum_offset 216
		.amdhsa_reserve_vcc 1
		.amdhsa_float_round_mode_32 0
		.amdhsa_float_round_mode_16_64 0
		.amdhsa_float_denorm_mode_32 3
		.amdhsa_float_denorm_mode_16_64 3
		.amdhsa_dx10_clamp 1
		.amdhsa_ieee_mode 1
		.amdhsa_fp16_overflow 0
		.amdhsa_tg_split 0
		.amdhsa_exception_fp_ieee_invalid_op 0
		.amdhsa_exception_fp_denorm_src 0
		.amdhsa_exception_fp_ieee_div_zero 0
		.amdhsa_exception_fp_ieee_overflow 0
		.amdhsa_exception_fp_ieee_underflow 0
		.amdhsa_exception_fp_ieee_inexact 0
		.amdhsa_exception_int_div_zero 0
	.end_amdhsa_kernel
	.section	.text._ZN7rocprim17ROCPRIM_400000_NS6detail17trampoline_kernelINS0_14default_configENS1_20scan_config_selectorIN3c108BFloat16EEEZZNS1_9scan_implILNS1_25lookback_scan_determinismE0ELb0ELb0ES3_PKS6_PS6_S6_ZZZN2at6native31launch_logcumsumexp_cuda_kernelERKNSD_10TensorBaseESH_lENKUlvE_clEvENKUlvE4_clEvEUlS6_S6_E_S6_EEDaPvRmT3_T4_T5_mT6_P12ihipStream_tbENKUlT_T0_E_clISt17integral_constantIbLb0EESY_EEDaST_SU_EUlST_E_NS1_11comp_targetILNS1_3genE5ELNS1_11target_archE942ELNS1_3gpuE9ELNS1_3repE0EEENS1_30default_config_static_selectorELNS0_4arch9wavefront6targetE1EEEvT1_,"axG",@progbits,_ZN7rocprim17ROCPRIM_400000_NS6detail17trampoline_kernelINS0_14default_configENS1_20scan_config_selectorIN3c108BFloat16EEEZZNS1_9scan_implILNS1_25lookback_scan_determinismE0ELb0ELb0ES3_PKS6_PS6_S6_ZZZN2at6native31launch_logcumsumexp_cuda_kernelERKNSD_10TensorBaseESH_lENKUlvE_clEvENKUlvE4_clEvEUlS6_S6_E_S6_EEDaPvRmT3_T4_T5_mT6_P12ihipStream_tbENKUlT_T0_E_clISt17integral_constantIbLb0EESY_EEDaST_SU_EUlST_E_NS1_11comp_targetILNS1_3genE5ELNS1_11target_archE942ELNS1_3gpuE9ELNS1_3repE0EEENS1_30default_config_static_selectorELNS0_4arch9wavefront6targetE1EEEvT1_,comdat
.Lfunc_end452:
	.size	_ZN7rocprim17ROCPRIM_400000_NS6detail17trampoline_kernelINS0_14default_configENS1_20scan_config_selectorIN3c108BFloat16EEEZZNS1_9scan_implILNS1_25lookback_scan_determinismE0ELb0ELb0ES3_PKS6_PS6_S6_ZZZN2at6native31launch_logcumsumexp_cuda_kernelERKNSD_10TensorBaseESH_lENKUlvE_clEvENKUlvE4_clEvEUlS6_S6_E_S6_EEDaPvRmT3_T4_T5_mT6_P12ihipStream_tbENKUlT_T0_E_clISt17integral_constantIbLb0EESY_EEDaST_SU_EUlST_E_NS1_11comp_targetILNS1_3genE5ELNS1_11target_archE942ELNS1_3gpuE9ELNS1_3repE0EEENS1_30default_config_static_selectorELNS0_4arch9wavefront6targetE1EEEvT1_, .Lfunc_end452-_ZN7rocprim17ROCPRIM_400000_NS6detail17trampoline_kernelINS0_14default_configENS1_20scan_config_selectorIN3c108BFloat16EEEZZNS1_9scan_implILNS1_25lookback_scan_determinismE0ELb0ELb0ES3_PKS6_PS6_S6_ZZZN2at6native31launch_logcumsumexp_cuda_kernelERKNSD_10TensorBaseESH_lENKUlvE_clEvENKUlvE4_clEvEUlS6_S6_E_S6_EEDaPvRmT3_T4_T5_mT6_P12ihipStream_tbENKUlT_T0_E_clISt17integral_constantIbLb0EESY_EEDaST_SU_EUlST_E_NS1_11comp_targetILNS1_3genE5ELNS1_11target_archE942ELNS1_3gpuE9ELNS1_3repE0EEENS1_30default_config_static_selectorELNS0_4arch9wavefront6targetE1EEEvT1_
                                        ; -- End function
	.section	.AMDGPU.csdata,"",@progbits
; Kernel info:
; codeLenInByte = 208
; NumSgprs: 80
; NumVgprs: 214
; NumAgprs: 0
; TotalNumVgprs: 214
; ScratchSize: 120
; MemoryBound: 0
; FloatMode: 240
; IeeeMode: 1
; LDSByteSize: 12288 bytes/workgroup (compile time only)
; SGPRBlocks: 9
; VGPRBlocks: 26
; NumSGPRsForWavesPerEU: 80
; NumVGPRsForWavesPerEU: 214
; AccumOffset: 216
; Occupancy: 2
; WaveLimiterHint : 1
; COMPUTE_PGM_RSRC2:SCRATCH_EN: 1
; COMPUTE_PGM_RSRC2:USER_SGPR: 2
; COMPUTE_PGM_RSRC2:TRAP_HANDLER: 0
; COMPUTE_PGM_RSRC2:TGID_X_EN: 1
; COMPUTE_PGM_RSRC2:TGID_Y_EN: 0
; COMPUTE_PGM_RSRC2:TGID_Z_EN: 0
; COMPUTE_PGM_RSRC2:TIDIG_COMP_CNT: 0
; COMPUTE_PGM_RSRC3_GFX90A:ACCUM_OFFSET: 53
; COMPUTE_PGM_RSRC3_GFX90A:TG_SPLIT: 0
	.section	.text._ZN7rocprim17ROCPRIM_400000_NS6detail17trampoline_kernelINS0_14default_configENS1_20scan_config_selectorIN3c108BFloat16EEEZZNS1_9scan_implILNS1_25lookback_scan_determinismE0ELb0ELb0ES3_PKS6_PS6_S6_ZZZN2at6native31launch_logcumsumexp_cuda_kernelERKNSD_10TensorBaseESH_lENKUlvE_clEvENKUlvE4_clEvEUlS6_S6_E_S6_EEDaPvRmT3_T4_T5_mT6_P12ihipStream_tbENKUlT_T0_E_clISt17integral_constantIbLb0EESY_EEDaST_SU_EUlST_E_NS1_11comp_targetILNS1_3genE4ELNS1_11target_archE910ELNS1_3gpuE8ELNS1_3repE0EEENS1_30default_config_static_selectorELNS0_4arch9wavefront6targetE1EEEvT1_,"axG",@progbits,_ZN7rocprim17ROCPRIM_400000_NS6detail17trampoline_kernelINS0_14default_configENS1_20scan_config_selectorIN3c108BFloat16EEEZZNS1_9scan_implILNS1_25lookback_scan_determinismE0ELb0ELb0ES3_PKS6_PS6_S6_ZZZN2at6native31launch_logcumsumexp_cuda_kernelERKNSD_10TensorBaseESH_lENKUlvE_clEvENKUlvE4_clEvEUlS6_S6_E_S6_EEDaPvRmT3_T4_T5_mT6_P12ihipStream_tbENKUlT_T0_E_clISt17integral_constantIbLb0EESY_EEDaST_SU_EUlST_E_NS1_11comp_targetILNS1_3genE4ELNS1_11target_archE910ELNS1_3gpuE8ELNS1_3repE0EEENS1_30default_config_static_selectorELNS0_4arch9wavefront6targetE1EEEvT1_,comdat
	.globl	_ZN7rocprim17ROCPRIM_400000_NS6detail17trampoline_kernelINS0_14default_configENS1_20scan_config_selectorIN3c108BFloat16EEEZZNS1_9scan_implILNS1_25lookback_scan_determinismE0ELb0ELb0ES3_PKS6_PS6_S6_ZZZN2at6native31launch_logcumsumexp_cuda_kernelERKNSD_10TensorBaseESH_lENKUlvE_clEvENKUlvE4_clEvEUlS6_S6_E_S6_EEDaPvRmT3_T4_T5_mT6_P12ihipStream_tbENKUlT_T0_E_clISt17integral_constantIbLb0EESY_EEDaST_SU_EUlST_E_NS1_11comp_targetILNS1_3genE4ELNS1_11target_archE910ELNS1_3gpuE8ELNS1_3repE0EEENS1_30default_config_static_selectorELNS0_4arch9wavefront6targetE1EEEvT1_ ; -- Begin function _ZN7rocprim17ROCPRIM_400000_NS6detail17trampoline_kernelINS0_14default_configENS1_20scan_config_selectorIN3c108BFloat16EEEZZNS1_9scan_implILNS1_25lookback_scan_determinismE0ELb0ELb0ES3_PKS6_PS6_S6_ZZZN2at6native31launch_logcumsumexp_cuda_kernelERKNSD_10TensorBaseESH_lENKUlvE_clEvENKUlvE4_clEvEUlS6_S6_E_S6_EEDaPvRmT3_T4_T5_mT6_P12ihipStream_tbENKUlT_T0_E_clISt17integral_constantIbLb0EESY_EEDaST_SU_EUlST_E_NS1_11comp_targetILNS1_3genE4ELNS1_11target_archE910ELNS1_3gpuE8ELNS1_3repE0EEENS1_30default_config_static_selectorELNS0_4arch9wavefront6targetE1EEEvT1_
	.p2align	8
	.type	_ZN7rocprim17ROCPRIM_400000_NS6detail17trampoline_kernelINS0_14default_configENS1_20scan_config_selectorIN3c108BFloat16EEEZZNS1_9scan_implILNS1_25lookback_scan_determinismE0ELb0ELb0ES3_PKS6_PS6_S6_ZZZN2at6native31launch_logcumsumexp_cuda_kernelERKNSD_10TensorBaseESH_lENKUlvE_clEvENKUlvE4_clEvEUlS6_S6_E_S6_EEDaPvRmT3_T4_T5_mT6_P12ihipStream_tbENKUlT_T0_E_clISt17integral_constantIbLb0EESY_EEDaST_SU_EUlST_E_NS1_11comp_targetILNS1_3genE4ELNS1_11target_archE910ELNS1_3gpuE8ELNS1_3repE0EEENS1_30default_config_static_selectorELNS0_4arch9wavefront6targetE1EEEvT1_,@function
_ZN7rocprim17ROCPRIM_400000_NS6detail17trampoline_kernelINS0_14default_configENS1_20scan_config_selectorIN3c108BFloat16EEEZZNS1_9scan_implILNS1_25lookback_scan_determinismE0ELb0ELb0ES3_PKS6_PS6_S6_ZZZN2at6native31launch_logcumsumexp_cuda_kernelERKNSD_10TensorBaseESH_lENKUlvE_clEvENKUlvE4_clEvEUlS6_S6_E_S6_EEDaPvRmT3_T4_T5_mT6_P12ihipStream_tbENKUlT_T0_E_clISt17integral_constantIbLb0EESY_EEDaST_SU_EUlST_E_NS1_11comp_targetILNS1_3genE4ELNS1_11target_archE910ELNS1_3gpuE8ELNS1_3repE0EEENS1_30default_config_static_selectorELNS0_4arch9wavefront6targetE1EEEvT1_: ; @_ZN7rocprim17ROCPRIM_400000_NS6detail17trampoline_kernelINS0_14default_configENS1_20scan_config_selectorIN3c108BFloat16EEEZZNS1_9scan_implILNS1_25lookback_scan_determinismE0ELb0ELb0ES3_PKS6_PS6_S6_ZZZN2at6native31launch_logcumsumexp_cuda_kernelERKNSD_10TensorBaseESH_lENKUlvE_clEvENKUlvE4_clEvEUlS6_S6_E_S6_EEDaPvRmT3_T4_T5_mT6_P12ihipStream_tbENKUlT_T0_E_clISt17integral_constantIbLb0EESY_EEDaST_SU_EUlST_E_NS1_11comp_targetILNS1_3genE4ELNS1_11target_archE910ELNS1_3gpuE8ELNS1_3repE0EEENS1_30default_config_static_selectorELNS0_4arch9wavefront6targetE1EEEvT1_
; %bb.0:
	.section	.rodata,"a",@progbits
	.p2align	6, 0x0
	.amdhsa_kernel _ZN7rocprim17ROCPRIM_400000_NS6detail17trampoline_kernelINS0_14default_configENS1_20scan_config_selectorIN3c108BFloat16EEEZZNS1_9scan_implILNS1_25lookback_scan_determinismE0ELb0ELb0ES3_PKS6_PS6_S6_ZZZN2at6native31launch_logcumsumexp_cuda_kernelERKNSD_10TensorBaseESH_lENKUlvE_clEvENKUlvE4_clEvEUlS6_S6_E_S6_EEDaPvRmT3_T4_T5_mT6_P12ihipStream_tbENKUlT_T0_E_clISt17integral_constantIbLb0EESY_EEDaST_SU_EUlST_E_NS1_11comp_targetILNS1_3genE4ELNS1_11target_archE910ELNS1_3gpuE8ELNS1_3repE0EEENS1_30default_config_static_selectorELNS0_4arch9wavefront6targetE1EEEvT1_
		.amdhsa_group_segment_fixed_size 0
		.amdhsa_private_segment_fixed_size 0
		.amdhsa_kernarg_size 96
		.amdhsa_user_sgpr_count 2
		.amdhsa_user_sgpr_dispatch_ptr 0
		.amdhsa_user_sgpr_queue_ptr 0
		.amdhsa_user_sgpr_kernarg_segment_ptr 1
		.amdhsa_user_sgpr_dispatch_id 0
		.amdhsa_user_sgpr_kernarg_preload_length 0
		.amdhsa_user_sgpr_kernarg_preload_offset 0
		.amdhsa_user_sgpr_private_segment_size 0
		.amdhsa_uses_dynamic_stack 0
		.amdhsa_enable_private_segment 0
		.amdhsa_system_sgpr_workgroup_id_x 1
		.amdhsa_system_sgpr_workgroup_id_y 0
		.amdhsa_system_sgpr_workgroup_id_z 0
		.amdhsa_system_sgpr_workgroup_info 0
		.amdhsa_system_vgpr_workitem_id 0
		.amdhsa_next_free_vgpr 1
		.amdhsa_next_free_sgpr 0
		.amdhsa_accum_offset 4
		.amdhsa_reserve_vcc 0
		.amdhsa_float_round_mode_32 0
		.amdhsa_float_round_mode_16_64 0
		.amdhsa_float_denorm_mode_32 3
		.amdhsa_float_denorm_mode_16_64 3
		.amdhsa_dx10_clamp 1
		.amdhsa_ieee_mode 1
		.amdhsa_fp16_overflow 0
		.amdhsa_tg_split 0
		.amdhsa_exception_fp_ieee_invalid_op 0
		.amdhsa_exception_fp_denorm_src 0
		.amdhsa_exception_fp_ieee_div_zero 0
		.amdhsa_exception_fp_ieee_overflow 0
		.amdhsa_exception_fp_ieee_underflow 0
		.amdhsa_exception_fp_ieee_inexact 0
		.amdhsa_exception_int_div_zero 0
	.end_amdhsa_kernel
	.section	.text._ZN7rocprim17ROCPRIM_400000_NS6detail17trampoline_kernelINS0_14default_configENS1_20scan_config_selectorIN3c108BFloat16EEEZZNS1_9scan_implILNS1_25lookback_scan_determinismE0ELb0ELb0ES3_PKS6_PS6_S6_ZZZN2at6native31launch_logcumsumexp_cuda_kernelERKNSD_10TensorBaseESH_lENKUlvE_clEvENKUlvE4_clEvEUlS6_S6_E_S6_EEDaPvRmT3_T4_T5_mT6_P12ihipStream_tbENKUlT_T0_E_clISt17integral_constantIbLb0EESY_EEDaST_SU_EUlST_E_NS1_11comp_targetILNS1_3genE4ELNS1_11target_archE910ELNS1_3gpuE8ELNS1_3repE0EEENS1_30default_config_static_selectorELNS0_4arch9wavefront6targetE1EEEvT1_,"axG",@progbits,_ZN7rocprim17ROCPRIM_400000_NS6detail17trampoline_kernelINS0_14default_configENS1_20scan_config_selectorIN3c108BFloat16EEEZZNS1_9scan_implILNS1_25lookback_scan_determinismE0ELb0ELb0ES3_PKS6_PS6_S6_ZZZN2at6native31launch_logcumsumexp_cuda_kernelERKNSD_10TensorBaseESH_lENKUlvE_clEvENKUlvE4_clEvEUlS6_S6_E_S6_EEDaPvRmT3_T4_T5_mT6_P12ihipStream_tbENKUlT_T0_E_clISt17integral_constantIbLb0EESY_EEDaST_SU_EUlST_E_NS1_11comp_targetILNS1_3genE4ELNS1_11target_archE910ELNS1_3gpuE8ELNS1_3repE0EEENS1_30default_config_static_selectorELNS0_4arch9wavefront6targetE1EEEvT1_,comdat
.Lfunc_end453:
	.size	_ZN7rocprim17ROCPRIM_400000_NS6detail17trampoline_kernelINS0_14default_configENS1_20scan_config_selectorIN3c108BFloat16EEEZZNS1_9scan_implILNS1_25lookback_scan_determinismE0ELb0ELb0ES3_PKS6_PS6_S6_ZZZN2at6native31launch_logcumsumexp_cuda_kernelERKNSD_10TensorBaseESH_lENKUlvE_clEvENKUlvE4_clEvEUlS6_S6_E_S6_EEDaPvRmT3_T4_T5_mT6_P12ihipStream_tbENKUlT_T0_E_clISt17integral_constantIbLb0EESY_EEDaST_SU_EUlST_E_NS1_11comp_targetILNS1_3genE4ELNS1_11target_archE910ELNS1_3gpuE8ELNS1_3repE0EEENS1_30default_config_static_selectorELNS0_4arch9wavefront6targetE1EEEvT1_, .Lfunc_end453-_ZN7rocprim17ROCPRIM_400000_NS6detail17trampoline_kernelINS0_14default_configENS1_20scan_config_selectorIN3c108BFloat16EEEZZNS1_9scan_implILNS1_25lookback_scan_determinismE0ELb0ELb0ES3_PKS6_PS6_S6_ZZZN2at6native31launch_logcumsumexp_cuda_kernelERKNSD_10TensorBaseESH_lENKUlvE_clEvENKUlvE4_clEvEUlS6_S6_E_S6_EEDaPvRmT3_T4_T5_mT6_P12ihipStream_tbENKUlT_T0_E_clISt17integral_constantIbLb0EESY_EEDaST_SU_EUlST_E_NS1_11comp_targetILNS1_3genE4ELNS1_11target_archE910ELNS1_3gpuE8ELNS1_3repE0EEENS1_30default_config_static_selectorELNS0_4arch9wavefront6targetE1EEEvT1_
                                        ; -- End function
	.section	.AMDGPU.csdata,"",@progbits
; Kernel info:
; codeLenInByte = 0
; NumSgprs: 6
; NumVgprs: 0
; NumAgprs: 0
; TotalNumVgprs: 0
; ScratchSize: 0
; MemoryBound: 0
; FloatMode: 240
; IeeeMode: 1
; LDSByteSize: 0 bytes/workgroup (compile time only)
; SGPRBlocks: 0
; VGPRBlocks: 0
; NumSGPRsForWavesPerEU: 6
; NumVGPRsForWavesPerEU: 1
; AccumOffset: 4
; Occupancy: 8
; WaveLimiterHint : 0
; COMPUTE_PGM_RSRC2:SCRATCH_EN: 0
; COMPUTE_PGM_RSRC2:USER_SGPR: 2
; COMPUTE_PGM_RSRC2:TRAP_HANDLER: 0
; COMPUTE_PGM_RSRC2:TGID_X_EN: 1
; COMPUTE_PGM_RSRC2:TGID_Y_EN: 0
; COMPUTE_PGM_RSRC2:TGID_Z_EN: 0
; COMPUTE_PGM_RSRC2:TIDIG_COMP_CNT: 0
; COMPUTE_PGM_RSRC3_GFX90A:ACCUM_OFFSET: 0
; COMPUTE_PGM_RSRC3_GFX90A:TG_SPLIT: 0
	.section	.text._ZN7rocprim17ROCPRIM_400000_NS6detail17trampoline_kernelINS0_14default_configENS1_20scan_config_selectorIN3c108BFloat16EEEZZNS1_9scan_implILNS1_25lookback_scan_determinismE0ELb0ELb0ES3_PKS6_PS6_S6_ZZZN2at6native31launch_logcumsumexp_cuda_kernelERKNSD_10TensorBaseESH_lENKUlvE_clEvENKUlvE4_clEvEUlS6_S6_E_S6_EEDaPvRmT3_T4_T5_mT6_P12ihipStream_tbENKUlT_T0_E_clISt17integral_constantIbLb0EESY_EEDaST_SU_EUlST_E_NS1_11comp_targetILNS1_3genE3ELNS1_11target_archE908ELNS1_3gpuE7ELNS1_3repE0EEENS1_30default_config_static_selectorELNS0_4arch9wavefront6targetE1EEEvT1_,"axG",@progbits,_ZN7rocprim17ROCPRIM_400000_NS6detail17trampoline_kernelINS0_14default_configENS1_20scan_config_selectorIN3c108BFloat16EEEZZNS1_9scan_implILNS1_25lookback_scan_determinismE0ELb0ELb0ES3_PKS6_PS6_S6_ZZZN2at6native31launch_logcumsumexp_cuda_kernelERKNSD_10TensorBaseESH_lENKUlvE_clEvENKUlvE4_clEvEUlS6_S6_E_S6_EEDaPvRmT3_T4_T5_mT6_P12ihipStream_tbENKUlT_T0_E_clISt17integral_constantIbLb0EESY_EEDaST_SU_EUlST_E_NS1_11comp_targetILNS1_3genE3ELNS1_11target_archE908ELNS1_3gpuE7ELNS1_3repE0EEENS1_30default_config_static_selectorELNS0_4arch9wavefront6targetE1EEEvT1_,comdat
	.globl	_ZN7rocprim17ROCPRIM_400000_NS6detail17trampoline_kernelINS0_14default_configENS1_20scan_config_selectorIN3c108BFloat16EEEZZNS1_9scan_implILNS1_25lookback_scan_determinismE0ELb0ELb0ES3_PKS6_PS6_S6_ZZZN2at6native31launch_logcumsumexp_cuda_kernelERKNSD_10TensorBaseESH_lENKUlvE_clEvENKUlvE4_clEvEUlS6_S6_E_S6_EEDaPvRmT3_T4_T5_mT6_P12ihipStream_tbENKUlT_T0_E_clISt17integral_constantIbLb0EESY_EEDaST_SU_EUlST_E_NS1_11comp_targetILNS1_3genE3ELNS1_11target_archE908ELNS1_3gpuE7ELNS1_3repE0EEENS1_30default_config_static_selectorELNS0_4arch9wavefront6targetE1EEEvT1_ ; -- Begin function _ZN7rocprim17ROCPRIM_400000_NS6detail17trampoline_kernelINS0_14default_configENS1_20scan_config_selectorIN3c108BFloat16EEEZZNS1_9scan_implILNS1_25lookback_scan_determinismE0ELb0ELb0ES3_PKS6_PS6_S6_ZZZN2at6native31launch_logcumsumexp_cuda_kernelERKNSD_10TensorBaseESH_lENKUlvE_clEvENKUlvE4_clEvEUlS6_S6_E_S6_EEDaPvRmT3_T4_T5_mT6_P12ihipStream_tbENKUlT_T0_E_clISt17integral_constantIbLb0EESY_EEDaST_SU_EUlST_E_NS1_11comp_targetILNS1_3genE3ELNS1_11target_archE908ELNS1_3gpuE7ELNS1_3repE0EEENS1_30default_config_static_selectorELNS0_4arch9wavefront6targetE1EEEvT1_
	.p2align	8
	.type	_ZN7rocprim17ROCPRIM_400000_NS6detail17trampoline_kernelINS0_14default_configENS1_20scan_config_selectorIN3c108BFloat16EEEZZNS1_9scan_implILNS1_25lookback_scan_determinismE0ELb0ELb0ES3_PKS6_PS6_S6_ZZZN2at6native31launch_logcumsumexp_cuda_kernelERKNSD_10TensorBaseESH_lENKUlvE_clEvENKUlvE4_clEvEUlS6_S6_E_S6_EEDaPvRmT3_T4_T5_mT6_P12ihipStream_tbENKUlT_T0_E_clISt17integral_constantIbLb0EESY_EEDaST_SU_EUlST_E_NS1_11comp_targetILNS1_3genE3ELNS1_11target_archE908ELNS1_3gpuE7ELNS1_3repE0EEENS1_30default_config_static_selectorELNS0_4arch9wavefront6targetE1EEEvT1_,@function
_ZN7rocprim17ROCPRIM_400000_NS6detail17trampoline_kernelINS0_14default_configENS1_20scan_config_selectorIN3c108BFloat16EEEZZNS1_9scan_implILNS1_25lookback_scan_determinismE0ELb0ELb0ES3_PKS6_PS6_S6_ZZZN2at6native31launch_logcumsumexp_cuda_kernelERKNSD_10TensorBaseESH_lENKUlvE_clEvENKUlvE4_clEvEUlS6_S6_E_S6_EEDaPvRmT3_T4_T5_mT6_P12ihipStream_tbENKUlT_T0_E_clISt17integral_constantIbLb0EESY_EEDaST_SU_EUlST_E_NS1_11comp_targetILNS1_3genE3ELNS1_11target_archE908ELNS1_3gpuE7ELNS1_3repE0EEENS1_30default_config_static_selectorELNS0_4arch9wavefront6targetE1EEEvT1_: ; @_ZN7rocprim17ROCPRIM_400000_NS6detail17trampoline_kernelINS0_14default_configENS1_20scan_config_selectorIN3c108BFloat16EEEZZNS1_9scan_implILNS1_25lookback_scan_determinismE0ELb0ELb0ES3_PKS6_PS6_S6_ZZZN2at6native31launch_logcumsumexp_cuda_kernelERKNSD_10TensorBaseESH_lENKUlvE_clEvENKUlvE4_clEvEUlS6_S6_E_S6_EEDaPvRmT3_T4_T5_mT6_P12ihipStream_tbENKUlT_T0_E_clISt17integral_constantIbLb0EESY_EEDaST_SU_EUlST_E_NS1_11comp_targetILNS1_3genE3ELNS1_11target_archE908ELNS1_3gpuE7ELNS1_3repE0EEENS1_30default_config_static_selectorELNS0_4arch9wavefront6targetE1EEEvT1_
; %bb.0:
	.section	.rodata,"a",@progbits
	.p2align	6, 0x0
	.amdhsa_kernel _ZN7rocprim17ROCPRIM_400000_NS6detail17trampoline_kernelINS0_14default_configENS1_20scan_config_selectorIN3c108BFloat16EEEZZNS1_9scan_implILNS1_25lookback_scan_determinismE0ELb0ELb0ES3_PKS6_PS6_S6_ZZZN2at6native31launch_logcumsumexp_cuda_kernelERKNSD_10TensorBaseESH_lENKUlvE_clEvENKUlvE4_clEvEUlS6_S6_E_S6_EEDaPvRmT3_T4_T5_mT6_P12ihipStream_tbENKUlT_T0_E_clISt17integral_constantIbLb0EESY_EEDaST_SU_EUlST_E_NS1_11comp_targetILNS1_3genE3ELNS1_11target_archE908ELNS1_3gpuE7ELNS1_3repE0EEENS1_30default_config_static_selectorELNS0_4arch9wavefront6targetE1EEEvT1_
		.amdhsa_group_segment_fixed_size 0
		.amdhsa_private_segment_fixed_size 0
		.amdhsa_kernarg_size 96
		.amdhsa_user_sgpr_count 2
		.amdhsa_user_sgpr_dispatch_ptr 0
		.amdhsa_user_sgpr_queue_ptr 0
		.amdhsa_user_sgpr_kernarg_segment_ptr 1
		.amdhsa_user_sgpr_dispatch_id 0
		.amdhsa_user_sgpr_kernarg_preload_length 0
		.amdhsa_user_sgpr_kernarg_preload_offset 0
		.amdhsa_user_sgpr_private_segment_size 0
		.amdhsa_uses_dynamic_stack 0
		.amdhsa_enable_private_segment 0
		.amdhsa_system_sgpr_workgroup_id_x 1
		.amdhsa_system_sgpr_workgroup_id_y 0
		.amdhsa_system_sgpr_workgroup_id_z 0
		.amdhsa_system_sgpr_workgroup_info 0
		.amdhsa_system_vgpr_workitem_id 0
		.amdhsa_next_free_vgpr 1
		.amdhsa_next_free_sgpr 0
		.amdhsa_accum_offset 4
		.amdhsa_reserve_vcc 0
		.amdhsa_float_round_mode_32 0
		.amdhsa_float_round_mode_16_64 0
		.amdhsa_float_denorm_mode_32 3
		.amdhsa_float_denorm_mode_16_64 3
		.amdhsa_dx10_clamp 1
		.amdhsa_ieee_mode 1
		.amdhsa_fp16_overflow 0
		.amdhsa_tg_split 0
		.amdhsa_exception_fp_ieee_invalid_op 0
		.amdhsa_exception_fp_denorm_src 0
		.amdhsa_exception_fp_ieee_div_zero 0
		.amdhsa_exception_fp_ieee_overflow 0
		.amdhsa_exception_fp_ieee_underflow 0
		.amdhsa_exception_fp_ieee_inexact 0
		.amdhsa_exception_int_div_zero 0
	.end_amdhsa_kernel
	.section	.text._ZN7rocprim17ROCPRIM_400000_NS6detail17trampoline_kernelINS0_14default_configENS1_20scan_config_selectorIN3c108BFloat16EEEZZNS1_9scan_implILNS1_25lookback_scan_determinismE0ELb0ELb0ES3_PKS6_PS6_S6_ZZZN2at6native31launch_logcumsumexp_cuda_kernelERKNSD_10TensorBaseESH_lENKUlvE_clEvENKUlvE4_clEvEUlS6_S6_E_S6_EEDaPvRmT3_T4_T5_mT6_P12ihipStream_tbENKUlT_T0_E_clISt17integral_constantIbLb0EESY_EEDaST_SU_EUlST_E_NS1_11comp_targetILNS1_3genE3ELNS1_11target_archE908ELNS1_3gpuE7ELNS1_3repE0EEENS1_30default_config_static_selectorELNS0_4arch9wavefront6targetE1EEEvT1_,"axG",@progbits,_ZN7rocprim17ROCPRIM_400000_NS6detail17trampoline_kernelINS0_14default_configENS1_20scan_config_selectorIN3c108BFloat16EEEZZNS1_9scan_implILNS1_25lookback_scan_determinismE0ELb0ELb0ES3_PKS6_PS6_S6_ZZZN2at6native31launch_logcumsumexp_cuda_kernelERKNSD_10TensorBaseESH_lENKUlvE_clEvENKUlvE4_clEvEUlS6_S6_E_S6_EEDaPvRmT3_T4_T5_mT6_P12ihipStream_tbENKUlT_T0_E_clISt17integral_constantIbLb0EESY_EEDaST_SU_EUlST_E_NS1_11comp_targetILNS1_3genE3ELNS1_11target_archE908ELNS1_3gpuE7ELNS1_3repE0EEENS1_30default_config_static_selectorELNS0_4arch9wavefront6targetE1EEEvT1_,comdat
.Lfunc_end454:
	.size	_ZN7rocprim17ROCPRIM_400000_NS6detail17trampoline_kernelINS0_14default_configENS1_20scan_config_selectorIN3c108BFloat16EEEZZNS1_9scan_implILNS1_25lookback_scan_determinismE0ELb0ELb0ES3_PKS6_PS6_S6_ZZZN2at6native31launch_logcumsumexp_cuda_kernelERKNSD_10TensorBaseESH_lENKUlvE_clEvENKUlvE4_clEvEUlS6_S6_E_S6_EEDaPvRmT3_T4_T5_mT6_P12ihipStream_tbENKUlT_T0_E_clISt17integral_constantIbLb0EESY_EEDaST_SU_EUlST_E_NS1_11comp_targetILNS1_3genE3ELNS1_11target_archE908ELNS1_3gpuE7ELNS1_3repE0EEENS1_30default_config_static_selectorELNS0_4arch9wavefront6targetE1EEEvT1_, .Lfunc_end454-_ZN7rocprim17ROCPRIM_400000_NS6detail17trampoline_kernelINS0_14default_configENS1_20scan_config_selectorIN3c108BFloat16EEEZZNS1_9scan_implILNS1_25lookback_scan_determinismE0ELb0ELb0ES3_PKS6_PS6_S6_ZZZN2at6native31launch_logcumsumexp_cuda_kernelERKNSD_10TensorBaseESH_lENKUlvE_clEvENKUlvE4_clEvEUlS6_S6_E_S6_EEDaPvRmT3_T4_T5_mT6_P12ihipStream_tbENKUlT_T0_E_clISt17integral_constantIbLb0EESY_EEDaST_SU_EUlST_E_NS1_11comp_targetILNS1_3genE3ELNS1_11target_archE908ELNS1_3gpuE7ELNS1_3repE0EEENS1_30default_config_static_selectorELNS0_4arch9wavefront6targetE1EEEvT1_
                                        ; -- End function
	.section	.AMDGPU.csdata,"",@progbits
; Kernel info:
; codeLenInByte = 0
; NumSgprs: 6
; NumVgprs: 0
; NumAgprs: 0
; TotalNumVgprs: 0
; ScratchSize: 0
; MemoryBound: 0
; FloatMode: 240
; IeeeMode: 1
; LDSByteSize: 0 bytes/workgroup (compile time only)
; SGPRBlocks: 0
; VGPRBlocks: 0
; NumSGPRsForWavesPerEU: 6
; NumVGPRsForWavesPerEU: 1
; AccumOffset: 4
; Occupancy: 8
; WaveLimiterHint : 0
; COMPUTE_PGM_RSRC2:SCRATCH_EN: 0
; COMPUTE_PGM_RSRC2:USER_SGPR: 2
; COMPUTE_PGM_RSRC2:TRAP_HANDLER: 0
; COMPUTE_PGM_RSRC2:TGID_X_EN: 1
; COMPUTE_PGM_RSRC2:TGID_Y_EN: 0
; COMPUTE_PGM_RSRC2:TGID_Z_EN: 0
; COMPUTE_PGM_RSRC2:TIDIG_COMP_CNT: 0
; COMPUTE_PGM_RSRC3_GFX90A:ACCUM_OFFSET: 0
; COMPUTE_PGM_RSRC3_GFX90A:TG_SPLIT: 0
	.section	.text._ZN7rocprim17ROCPRIM_400000_NS6detail17trampoline_kernelINS0_14default_configENS1_20scan_config_selectorIN3c108BFloat16EEEZZNS1_9scan_implILNS1_25lookback_scan_determinismE0ELb0ELb0ES3_PKS6_PS6_S6_ZZZN2at6native31launch_logcumsumexp_cuda_kernelERKNSD_10TensorBaseESH_lENKUlvE_clEvENKUlvE4_clEvEUlS6_S6_E_S6_EEDaPvRmT3_T4_T5_mT6_P12ihipStream_tbENKUlT_T0_E_clISt17integral_constantIbLb0EESY_EEDaST_SU_EUlST_E_NS1_11comp_targetILNS1_3genE2ELNS1_11target_archE906ELNS1_3gpuE6ELNS1_3repE0EEENS1_30default_config_static_selectorELNS0_4arch9wavefront6targetE1EEEvT1_,"axG",@progbits,_ZN7rocprim17ROCPRIM_400000_NS6detail17trampoline_kernelINS0_14default_configENS1_20scan_config_selectorIN3c108BFloat16EEEZZNS1_9scan_implILNS1_25lookback_scan_determinismE0ELb0ELb0ES3_PKS6_PS6_S6_ZZZN2at6native31launch_logcumsumexp_cuda_kernelERKNSD_10TensorBaseESH_lENKUlvE_clEvENKUlvE4_clEvEUlS6_S6_E_S6_EEDaPvRmT3_T4_T5_mT6_P12ihipStream_tbENKUlT_T0_E_clISt17integral_constantIbLb0EESY_EEDaST_SU_EUlST_E_NS1_11comp_targetILNS1_3genE2ELNS1_11target_archE906ELNS1_3gpuE6ELNS1_3repE0EEENS1_30default_config_static_selectorELNS0_4arch9wavefront6targetE1EEEvT1_,comdat
	.globl	_ZN7rocprim17ROCPRIM_400000_NS6detail17trampoline_kernelINS0_14default_configENS1_20scan_config_selectorIN3c108BFloat16EEEZZNS1_9scan_implILNS1_25lookback_scan_determinismE0ELb0ELb0ES3_PKS6_PS6_S6_ZZZN2at6native31launch_logcumsumexp_cuda_kernelERKNSD_10TensorBaseESH_lENKUlvE_clEvENKUlvE4_clEvEUlS6_S6_E_S6_EEDaPvRmT3_T4_T5_mT6_P12ihipStream_tbENKUlT_T0_E_clISt17integral_constantIbLb0EESY_EEDaST_SU_EUlST_E_NS1_11comp_targetILNS1_3genE2ELNS1_11target_archE906ELNS1_3gpuE6ELNS1_3repE0EEENS1_30default_config_static_selectorELNS0_4arch9wavefront6targetE1EEEvT1_ ; -- Begin function _ZN7rocprim17ROCPRIM_400000_NS6detail17trampoline_kernelINS0_14default_configENS1_20scan_config_selectorIN3c108BFloat16EEEZZNS1_9scan_implILNS1_25lookback_scan_determinismE0ELb0ELb0ES3_PKS6_PS6_S6_ZZZN2at6native31launch_logcumsumexp_cuda_kernelERKNSD_10TensorBaseESH_lENKUlvE_clEvENKUlvE4_clEvEUlS6_S6_E_S6_EEDaPvRmT3_T4_T5_mT6_P12ihipStream_tbENKUlT_T0_E_clISt17integral_constantIbLb0EESY_EEDaST_SU_EUlST_E_NS1_11comp_targetILNS1_3genE2ELNS1_11target_archE906ELNS1_3gpuE6ELNS1_3repE0EEENS1_30default_config_static_selectorELNS0_4arch9wavefront6targetE1EEEvT1_
	.p2align	8
	.type	_ZN7rocprim17ROCPRIM_400000_NS6detail17trampoline_kernelINS0_14default_configENS1_20scan_config_selectorIN3c108BFloat16EEEZZNS1_9scan_implILNS1_25lookback_scan_determinismE0ELb0ELb0ES3_PKS6_PS6_S6_ZZZN2at6native31launch_logcumsumexp_cuda_kernelERKNSD_10TensorBaseESH_lENKUlvE_clEvENKUlvE4_clEvEUlS6_S6_E_S6_EEDaPvRmT3_T4_T5_mT6_P12ihipStream_tbENKUlT_T0_E_clISt17integral_constantIbLb0EESY_EEDaST_SU_EUlST_E_NS1_11comp_targetILNS1_3genE2ELNS1_11target_archE906ELNS1_3gpuE6ELNS1_3repE0EEENS1_30default_config_static_selectorELNS0_4arch9wavefront6targetE1EEEvT1_,@function
_ZN7rocprim17ROCPRIM_400000_NS6detail17trampoline_kernelINS0_14default_configENS1_20scan_config_selectorIN3c108BFloat16EEEZZNS1_9scan_implILNS1_25lookback_scan_determinismE0ELb0ELb0ES3_PKS6_PS6_S6_ZZZN2at6native31launch_logcumsumexp_cuda_kernelERKNSD_10TensorBaseESH_lENKUlvE_clEvENKUlvE4_clEvEUlS6_S6_E_S6_EEDaPvRmT3_T4_T5_mT6_P12ihipStream_tbENKUlT_T0_E_clISt17integral_constantIbLb0EESY_EEDaST_SU_EUlST_E_NS1_11comp_targetILNS1_3genE2ELNS1_11target_archE906ELNS1_3gpuE6ELNS1_3repE0EEENS1_30default_config_static_selectorELNS0_4arch9wavefront6targetE1EEEvT1_: ; @_ZN7rocprim17ROCPRIM_400000_NS6detail17trampoline_kernelINS0_14default_configENS1_20scan_config_selectorIN3c108BFloat16EEEZZNS1_9scan_implILNS1_25lookback_scan_determinismE0ELb0ELb0ES3_PKS6_PS6_S6_ZZZN2at6native31launch_logcumsumexp_cuda_kernelERKNSD_10TensorBaseESH_lENKUlvE_clEvENKUlvE4_clEvEUlS6_S6_E_S6_EEDaPvRmT3_T4_T5_mT6_P12ihipStream_tbENKUlT_T0_E_clISt17integral_constantIbLb0EESY_EEDaST_SU_EUlST_E_NS1_11comp_targetILNS1_3genE2ELNS1_11target_archE906ELNS1_3gpuE6ELNS1_3repE0EEENS1_30default_config_static_selectorELNS0_4arch9wavefront6targetE1EEEvT1_
; %bb.0:
	.section	.rodata,"a",@progbits
	.p2align	6, 0x0
	.amdhsa_kernel _ZN7rocprim17ROCPRIM_400000_NS6detail17trampoline_kernelINS0_14default_configENS1_20scan_config_selectorIN3c108BFloat16EEEZZNS1_9scan_implILNS1_25lookback_scan_determinismE0ELb0ELb0ES3_PKS6_PS6_S6_ZZZN2at6native31launch_logcumsumexp_cuda_kernelERKNSD_10TensorBaseESH_lENKUlvE_clEvENKUlvE4_clEvEUlS6_S6_E_S6_EEDaPvRmT3_T4_T5_mT6_P12ihipStream_tbENKUlT_T0_E_clISt17integral_constantIbLb0EESY_EEDaST_SU_EUlST_E_NS1_11comp_targetILNS1_3genE2ELNS1_11target_archE906ELNS1_3gpuE6ELNS1_3repE0EEENS1_30default_config_static_selectorELNS0_4arch9wavefront6targetE1EEEvT1_
		.amdhsa_group_segment_fixed_size 0
		.amdhsa_private_segment_fixed_size 0
		.amdhsa_kernarg_size 96
		.amdhsa_user_sgpr_count 2
		.amdhsa_user_sgpr_dispatch_ptr 0
		.amdhsa_user_sgpr_queue_ptr 0
		.amdhsa_user_sgpr_kernarg_segment_ptr 1
		.amdhsa_user_sgpr_dispatch_id 0
		.amdhsa_user_sgpr_kernarg_preload_length 0
		.amdhsa_user_sgpr_kernarg_preload_offset 0
		.amdhsa_user_sgpr_private_segment_size 0
		.amdhsa_uses_dynamic_stack 0
		.amdhsa_enable_private_segment 0
		.amdhsa_system_sgpr_workgroup_id_x 1
		.amdhsa_system_sgpr_workgroup_id_y 0
		.amdhsa_system_sgpr_workgroup_id_z 0
		.amdhsa_system_sgpr_workgroup_info 0
		.amdhsa_system_vgpr_workitem_id 0
		.amdhsa_next_free_vgpr 1
		.amdhsa_next_free_sgpr 0
		.amdhsa_accum_offset 4
		.amdhsa_reserve_vcc 0
		.amdhsa_float_round_mode_32 0
		.amdhsa_float_round_mode_16_64 0
		.amdhsa_float_denorm_mode_32 3
		.amdhsa_float_denorm_mode_16_64 3
		.amdhsa_dx10_clamp 1
		.amdhsa_ieee_mode 1
		.amdhsa_fp16_overflow 0
		.amdhsa_tg_split 0
		.amdhsa_exception_fp_ieee_invalid_op 0
		.amdhsa_exception_fp_denorm_src 0
		.amdhsa_exception_fp_ieee_div_zero 0
		.amdhsa_exception_fp_ieee_overflow 0
		.amdhsa_exception_fp_ieee_underflow 0
		.amdhsa_exception_fp_ieee_inexact 0
		.amdhsa_exception_int_div_zero 0
	.end_amdhsa_kernel
	.section	.text._ZN7rocprim17ROCPRIM_400000_NS6detail17trampoline_kernelINS0_14default_configENS1_20scan_config_selectorIN3c108BFloat16EEEZZNS1_9scan_implILNS1_25lookback_scan_determinismE0ELb0ELb0ES3_PKS6_PS6_S6_ZZZN2at6native31launch_logcumsumexp_cuda_kernelERKNSD_10TensorBaseESH_lENKUlvE_clEvENKUlvE4_clEvEUlS6_S6_E_S6_EEDaPvRmT3_T4_T5_mT6_P12ihipStream_tbENKUlT_T0_E_clISt17integral_constantIbLb0EESY_EEDaST_SU_EUlST_E_NS1_11comp_targetILNS1_3genE2ELNS1_11target_archE906ELNS1_3gpuE6ELNS1_3repE0EEENS1_30default_config_static_selectorELNS0_4arch9wavefront6targetE1EEEvT1_,"axG",@progbits,_ZN7rocprim17ROCPRIM_400000_NS6detail17trampoline_kernelINS0_14default_configENS1_20scan_config_selectorIN3c108BFloat16EEEZZNS1_9scan_implILNS1_25lookback_scan_determinismE0ELb0ELb0ES3_PKS6_PS6_S6_ZZZN2at6native31launch_logcumsumexp_cuda_kernelERKNSD_10TensorBaseESH_lENKUlvE_clEvENKUlvE4_clEvEUlS6_S6_E_S6_EEDaPvRmT3_T4_T5_mT6_P12ihipStream_tbENKUlT_T0_E_clISt17integral_constantIbLb0EESY_EEDaST_SU_EUlST_E_NS1_11comp_targetILNS1_3genE2ELNS1_11target_archE906ELNS1_3gpuE6ELNS1_3repE0EEENS1_30default_config_static_selectorELNS0_4arch9wavefront6targetE1EEEvT1_,comdat
.Lfunc_end455:
	.size	_ZN7rocprim17ROCPRIM_400000_NS6detail17trampoline_kernelINS0_14default_configENS1_20scan_config_selectorIN3c108BFloat16EEEZZNS1_9scan_implILNS1_25lookback_scan_determinismE0ELb0ELb0ES3_PKS6_PS6_S6_ZZZN2at6native31launch_logcumsumexp_cuda_kernelERKNSD_10TensorBaseESH_lENKUlvE_clEvENKUlvE4_clEvEUlS6_S6_E_S6_EEDaPvRmT3_T4_T5_mT6_P12ihipStream_tbENKUlT_T0_E_clISt17integral_constantIbLb0EESY_EEDaST_SU_EUlST_E_NS1_11comp_targetILNS1_3genE2ELNS1_11target_archE906ELNS1_3gpuE6ELNS1_3repE0EEENS1_30default_config_static_selectorELNS0_4arch9wavefront6targetE1EEEvT1_, .Lfunc_end455-_ZN7rocprim17ROCPRIM_400000_NS6detail17trampoline_kernelINS0_14default_configENS1_20scan_config_selectorIN3c108BFloat16EEEZZNS1_9scan_implILNS1_25lookback_scan_determinismE0ELb0ELb0ES3_PKS6_PS6_S6_ZZZN2at6native31launch_logcumsumexp_cuda_kernelERKNSD_10TensorBaseESH_lENKUlvE_clEvENKUlvE4_clEvEUlS6_S6_E_S6_EEDaPvRmT3_T4_T5_mT6_P12ihipStream_tbENKUlT_T0_E_clISt17integral_constantIbLb0EESY_EEDaST_SU_EUlST_E_NS1_11comp_targetILNS1_3genE2ELNS1_11target_archE906ELNS1_3gpuE6ELNS1_3repE0EEENS1_30default_config_static_selectorELNS0_4arch9wavefront6targetE1EEEvT1_
                                        ; -- End function
	.section	.AMDGPU.csdata,"",@progbits
; Kernel info:
; codeLenInByte = 0
; NumSgprs: 6
; NumVgprs: 0
; NumAgprs: 0
; TotalNumVgprs: 0
; ScratchSize: 0
; MemoryBound: 0
; FloatMode: 240
; IeeeMode: 1
; LDSByteSize: 0 bytes/workgroup (compile time only)
; SGPRBlocks: 0
; VGPRBlocks: 0
; NumSGPRsForWavesPerEU: 6
; NumVGPRsForWavesPerEU: 1
; AccumOffset: 4
; Occupancy: 8
; WaveLimiterHint : 0
; COMPUTE_PGM_RSRC2:SCRATCH_EN: 0
; COMPUTE_PGM_RSRC2:USER_SGPR: 2
; COMPUTE_PGM_RSRC2:TRAP_HANDLER: 0
; COMPUTE_PGM_RSRC2:TGID_X_EN: 1
; COMPUTE_PGM_RSRC2:TGID_Y_EN: 0
; COMPUTE_PGM_RSRC2:TGID_Z_EN: 0
; COMPUTE_PGM_RSRC2:TIDIG_COMP_CNT: 0
; COMPUTE_PGM_RSRC3_GFX90A:ACCUM_OFFSET: 0
; COMPUTE_PGM_RSRC3_GFX90A:TG_SPLIT: 0
	.section	.text._ZN7rocprim17ROCPRIM_400000_NS6detail17trampoline_kernelINS0_14default_configENS1_20scan_config_selectorIN3c108BFloat16EEEZZNS1_9scan_implILNS1_25lookback_scan_determinismE0ELb0ELb0ES3_PKS6_PS6_S6_ZZZN2at6native31launch_logcumsumexp_cuda_kernelERKNSD_10TensorBaseESH_lENKUlvE_clEvENKUlvE4_clEvEUlS6_S6_E_S6_EEDaPvRmT3_T4_T5_mT6_P12ihipStream_tbENKUlT_T0_E_clISt17integral_constantIbLb0EESY_EEDaST_SU_EUlST_E_NS1_11comp_targetILNS1_3genE10ELNS1_11target_archE1201ELNS1_3gpuE5ELNS1_3repE0EEENS1_30default_config_static_selectorELNS0_4arch9wavefront6targetE1EEEvT1_,"axG",@progbits,_ZN7rocprim17ROCPRIM_400000_NS6detail17trampoline_kernelINS0_14default_configENS1_20scan_config_selectorIN3c108BFloat16EEEZZNS1_9scan_implILNS1_25lookback_scan_determinismE0ELb0ELb0ES3_PKS6_PS6_S6_ZZZN2at6native31launch_logcumsumexp_cuda_kernelERKNSD_10TensorBaseESH_lENKUlvE_clEvENKUlvE4_clEvEUlS6_S6_E_S6_EEDaPvRmT3_T4_T5_mT6_P12ihipStream_tbENKUlT_T0_E_clISt17integral_constantIbLb0EESY_EEDaST_SU_EUlST_E_NS1_11comp_targetILNS1_3genE10ELNS1_11target_archE1201ELNS1_3gpuE5ELNS1_3repE0EEENS1_30default_config_static_selectorELNS0_4arch9wavefront6targetE1EEEvT1_,comdat
	.globl	_ZN7rocprim17ROCPRIM_400000_NS6detail17trampoline_kernelINS0_14default_configENS1_20scan_config_selectorIN3c108BFloat16EEEZZNS1_9scan_implILNS1_25lookback_scan_determinismE0ELb0ELb0ES3_PKS6_PS6_S6_ZZZN2at6native31launch_logcumsumexp_cuda_kernelERKNSD_10TensorBaseESH_lENKUlvE_clEvENKUlvE4_clEvEUlS6_S6_E_S6_EEDaPvRmT3_T4_T5_mT6_P12ihipStream_tbENKUlT_T0_E_clISt17integral_constantIbLb0EESY_EEDaST_SU_EUlST_E_NS1_11comp_targetILNS1_3genE10ELNS1_11target_archE1201ELNS1_3gpuE5ELNS1_3repE0EEENS1_30default_config_static_selectorELNS0_4arch9wavefront6targetE1EEEvT1_ ; -- Begin function _ZN7rocprim17ROCPRIM_400000_NS6detail17trampoline_kernelINS0_14default_configENS1_20scan_config_selectorIN3c108BFloat16EEEZZNS1_9scan_implILNS1_25lookback_scan_determinismE0ELb0ELb0ES3_PKS6_PS6_S6_ZZZN2at6native31launch_logcumsumexp_cuda_kernelERKNSD_10TensorBaseESH_lENKUlvE_clEvENKUlvE4_clEvEUlS6_S6_E_S6_EEDaPvRmT3_T4_T5_mT6_P12ihipStream_tbENKUlT_T0_E_clISt17integral_constantIbLb0EESY_EEDaST_SU_EUlST_E_NS1_11comp_targetILNS1_3genE10ELNS1_11target_archE1201ELNS1_3gpuE5ELNS1_3repE0EEENS1_30default_config_static_selectorELNS0_4arch9wavefront6targetE1EEEvT1_
	.p2align	8
	.type	_ZN7rocprim17ROCPRIM_400000_NS6detail17trampoline_kernelINS0_14default_configENS1_20scan_config_selectorIN3c108BFloat16EEEZZNS1_9scan_implILNS1_25lookback_scan_determinismE0ELb0ELb0ES3_PKS6_PS6_S6_ZZZN2at6native31launch_logcumsumexp_cuda_kernelERKNSD_10TensorBaseESH_lENKUlvE_clEvENKUlvE4_clEvEUlS6_S6_E_S6_EEDaPvRmT3_T4_T5_mT6_P12ihipStream_tbENKUlT_T0_E_clISt17integral_constantIbLb0EESY_EEDaST_SU_EUlST_E_NS1_11comp_targetILNS1_3genE10ELNS1_11target_archE1201ELNS1_3gpuE5ELNS1_3repE0EEENS1_30default_config_static_selectorELNS0_4arch9wavefront6targetE1EEEvT1_,@function
_ZN7rocprim17ROCPRIM_400000_NS6detail17trampoline_kernelINS0_14default_configENS1_20scan_config_selectorIN3c108BFloat16EEEZZNS1_9scan_implILNS1_25lookback_scan_determinismE0ELb0ELb0ES3_PKS6_PS6_S6_ZZZN2at6native31launch_logcumsumexp_cuda_kernelERKNSD_10TensorBaseESH_lENKUlvE_clEvENKUlvE4_clEvEUlS6_S6_E_S6_EEDaPvRmT3_T4_T5_mT6_P12ihipStream_tbENKUlT_T0_E_clISt17integral_constantIbLb0EESY_EEDaST_SU_EUlST_E_NS1_11comp_targetILNS1_3genE10ELNS1_11target_archE1201ELNS1_3gpuE5ELNS1_3repE0EEENS1_30default_config_static_selectorELNS0_4arch9wavefront6targetE1EEEvT1_: ; @_ZN7rocprim17ROCPRIM_400000_NS6detail17trampoline_kernelINS0_14default_configENS1_20scan_config_selectorIN3c108BFloat16EEEZZNS1_9scan_implILNS1_25lookback_scan_determinismE0ELb0ELb0ES3_PKS6_PS6_S6_ZZZN2at6native31launch_logcumsumexp_cuda_kernelERKNSD_10TensorBaseESH_lENKUlvE_clEvENKUlvE4_clEvEUlS6_S6_E_S6_EEDaPvRmT3_T4_T5_mT6_P12ihipStream_tbENKUlT_T0_E_clISt17integral_constantIbLb0EESY_EEDaST_SU_EUlST_E_NS1_11comp_targetILNS1_3genE10ELNS1_11target_archE1201ELNS1_3gpuE5ELNS1_3repE0EEENS1_30default_config_static_selectorELNS0_4arch9wavefront6targetE1EEEvT1_
; %bb.0:
	.section	.rodata,"a",@progbits
	.p2align	6, 0x0
	.amdhsa_kernel _ZN7rocprim17ROCPRIM_400000_NS6detail17trampoline_kernelINS0_14default_configENS1_20scan_config_selectorIN3c108BFloat16EEEZZNS1_9scan_implILNS1_25lookback_scan_determinismE0ELb0ELb0ES3_PKS6_PS6_S6_ZZZN2at6native31launch_logcumsumexp_cuda_kernelERKNSD_10TensorBaseESH_lENKUlvE_clEvENKUlvE4_clEvEUlS6_S6_E_S6_EEDaPvRmT3_T4_T5_mT6_P12ihipStream_tbENKUlT_T0_E_clISt17integral_constantIbLb0EESY_EEDaST_SU_EUlST_E_NS1_11comp_targetILNS1_3genE10ELNS1_11target_archE1201ELNS1_3gpuE5ELNS1_3repE0EEENS1_30default_config_static_selectorELNS0_4arch9wavefront6targetE1EEEvT1_
		.amdhsa_group_segment_fixed_size 0
		.amdhsa_private_segment_fixed_size 0
		.amdhsa_kernarg_size 96
		.amdhsa_user_sgpr_count 2
		.amdhsa_user_sgpr_dispatch_ptr 0
		.amdhsa_user_sgpr_queue_ptr 0
		.amdhsa_user_sgpr_kernarg_segment_ptr 1
		.amdhsa_user_sgpr_dispatch_id 0
		.amdhsa_user_sgpr_kernarg_preload_length 0
		.amdhsa_user_sgpr_kernarg_preload_offset 0
		.amdhsa_user_sgpr_private_segment_size 0
		.amdhsa_uses_dynamic_stack 0
		.amdhsa_enable_private_segment 0
		.amdhsa_system_sgpr_workgroup_id_x 1
		.amdhsa_system_sgpr_workgroup_id_y 0
		.amdhsa_system_sgpr_workgroup_id_z 0
		.amdhsa_system_sgpr_workgroup_info 0
		.amdhsa_system_vgpr_workitem_id 0
		.amdhsa_next_free_vgpr 1
		.amdhsa_next_free_sgpr 0
		.amdhsa_accum_offset 4
		.amdhsa_reserve_vcc 0
		.amdhsa_float_round_mode_32 0
		.amdhsa_float_round_mode_16_64 0
		.amdhsa_float_denorm_mode_32 3
		.amdhsa_float_denorm_mode_16_64 3
		.amdhsa_dx10_clamp 1
		.amdhsa_ieee_mode 1
		.amdhsa_fp16_overflow 0
		.amdhsa_tg_split 0
		.amdhsa_exception_fp_ieee_invalid_op 0
		.amdhsa_exception_fp_denorm_src 0
		.amdhsa_exception_fp_ieee_div_zero 0
		.amdhsa_exception_fp_ieee_overflow 0
		.amdhsa_exception_fp_ieee_underflow 0
		.amdhsa_exception_fp_ieee_inexact 0
		.amdhsa_exception_int_div_zero 0
	.end_amdhsa_kernel
	.section	.text._ZN7rocprim17ROCPRIM_400000_NS6detail17trampoline_kernelINS0_14default_configENS1_20scan_config_selectorIN3c108BFloat16EEEZZNS1_9scan_implILNS1_25lookback_scan_determinismE0ELb0ELb0ES3_PKS6_PS6_S6_ZZZN2at6native31launch_logcumsumexp_cuda_kernelERKNSD_10TensorBaseESH_lENKUlvE_clEvENKUlvE4_clEvEUlS6_S6_E_S6_EEDaPvRmT3_T4_T5_mT6_P12ihipStream_tbENKUlT_T0_E_clISt17integral_constantIbLb0EESY_EEDaST_SU_EUlST_E_NS1_11comp_targetILNS1_3genE10ELNS1_11target_archE1201ELNS1_3gpuE5ELNS1_3repE0EEENS1_30default_config_static_selectorELNS0_4arch9wavefront6targetE1EEEvT1_,"axG",@progbits,_ZN7rocprim17ROCPRIM_400000_NS6detail17trampoline_kernelINS0_14default_configENS1_20scan_config_selectorIN3c108BFloat16EEEZZNS1_9scan_implILNS1_25lookback_scan_determinismE0ELb0ELb0ES3_PKS6_PS6_S6_ZZZN2at6native31launch_logcumsumexp_cuda_kernelERKNSD_10TensorBaseESH_lENKUlvE_clEvENKUlvE4_clEvEUlS6_S6_E_S6_EEDaPvRmT3_T4_T5_mT6_P12ihipStream_tbENKUlT_T0_E_clISt17integral_constantIbLb0EESY_EEDaST_SU_EUlST_E_NS1_11comp_targetILNS1_3genE10ELNS1_11target_archE1201ELNS1_3gpuE5ELNS1_3repE0EEENS1_30default_config_static_selectorELNS0_4arch9wavefront6targetE1EEEvT1_,comdat
.Lfunc_end456:
	.size	_ZN7rocprim17ROCPRIM_400000_NS6detail17trampoline_kernelINS0_14default_configENS1_20scan_config_selectorIN3c108BFloat16EEEZZNS1_9scan_implILNS1_25lookback_scan_determinismE0ELb0ELb0ES3_PKS6_PS6_S6_ZZZN2at6native31launch_logcumsumexp_cuda_kernelERKNSD_10TensorBaseESH_lENKUlvE_clEvENKUlvE4_clEvEUlS6_S6_E_S6_EEDaPvRmT3_T4_T5_mT6_P12ihipStream_tbENKUlT_T0_E_clISt17integral_constantIbLb0EESY_EEDaST_SU_EUlST_E_NS1_11comp_targetILNS1_3genE10ELNS1_11target_archE1201ELNS1_3gpuE5ELNS1_3repE0EEENS1_30default_config_static_selectorELNS0_4arch9wavefront6targetE1EEEvT1_, .Lfunc_end456-_ZN7rocprim17ROCPRIM_400000_NS6detail17trampoline_kernelINS0_14default_configENS1_20scan_config_selectorIN3c108BFloat16EEEZZNS1_9scan_implILNS1_25lookback_scan_determinismE0ELb0ELb0ES3_PKS6_PS6_S6_ZZZN2at6native31launch_logcumsumexp_cuda_kernelERKNSD_10TensorBaseESH_lENKUlvE_clEvENKUlvE4_clEvEUlS6_S6_E_S6_EEDaPvRmT3_T4_T5_mT6_P12ihipStream_tbENKUlT_T0_E_clISt17integral_constantIbLb0EESY_EEDaST_SU_EUlST_E_NS1_11comp_targetILNS1_3genE10ELNS1_11target_archE1201ELNS1_3gpuE5ELNS1_3repE0EEENS1_30default_config_static_selectorELNS0_4arch9wavefront6targetE1EEEvT1_
                                        ; -- End function
	.section	.AMDGPU.csdata,"",@progbits
; Kernel info:
; codeLenInByte = 0
; NumSgprs: 6
; NumVgprs: 0
; NumAgprs: 0
; TotalNumVgprs: 0
; ScratchSize: 0
; MemoryBound: 0
; FloatMode: 240
; IeeeMode: 1
; LDSByteSize: 0 bytes/workgroup (compile time only)
; SGPRBlocks: 0
; VGPRBlocks: 0
; NumSGPRsForWavesPerEU: 6
; NumVGPRsForWavesPerEU: 1
; AccumOffset: 4
; Occupancy: 8
; WaveLimiterHint : 0
; COMPUTE_PGM_RSRC2:SCRATCH_EN: 0
; COMPUTE_PGM_RSRC2:USER_SGPR: 2
; COMPUTE_PGM_RSRC2:TRAP_HANDLER: 0
; COMPUTE_PGM_RSRC2:TGID_X_EN: 1
; COMPUTE_PGM_RSRC2:TGID_Y_EN: 0
; COMPUTE_PGM_RSRC2:TGID_Z_EN: 0
; COMPUTE_PGM_RSRC2:TIDIG_COMP_CNT: 0
; COMPUTE_PGM_RSRC3_GFX90A:ACCUM_OFFSET: 0
; COMPUTE_PGM_RSRC3_GFX90A:TG_SPLIT: 0
	.section	.text._ZN7rocprim17ROCPRIM_400000_NS6detail17trampoline_kernelINS0_14default_configENS1_20scan_config_selectorIN3c108BFloat16EEEZZNS1_9scan_implILNS1_25lookback_scan_determinismE0ELb0ELb0ES3_PKS6_PS6_S6_ZZZN2at6native31launch_logcumsumexp_cuda_kernelERKNSD_10TensorBaseESH_lENKUlvE_clEvENKUlvE4_clEvEUlS6_S6_E_S6_EEDaPvRmT3_T4_T5_mT6_P12ihipStream_tbENKUlT_T0_E_clISt17integral_constantIbLb0EESY_EEDaST_SU_EUlST_E_NS1_11comp_targetILNS1_3genE10ELNS1_11target_archE1200ELNS1_3gpuE4ELNS1_3repE0EEENS1_30default_config_static_selectorELNS0_4arch9wavefront6targetE1EEEvT1_,"axG",@progbits,_ZN7rocprim17ROCPRIM_400000_NS6detail17trampoline_kernelINS0_14default_configENS1_20scan_config_selectorIN3c108BFloat16EEEZZNS1_9scan_implILNS1_25lookback_scan_determinismE0ELb0ELb0ES3_PKS6_PS6_S6_ZZZN2at6native31launch_logcumsumexp_cuda_kernelERKNSD_10TensorBaseESH_lENKUlvE_clEvENKUlvE4_clEvEUlS6_S6_E_S6_EEDaPvRmT3_T4_T5_mT6_P12ihipStream_tbENKUlT_T0_E_clISt17integral_constantIbLb0EESY_EEDaST_SU_EUlST_E_NS1_11comp_targetILNS1_3genE10ELNS1_11target_archE1200ELNS1_3gpuE4ELNS1_3repE0EEENS1_30default_config_static_selectorELNS0_4arch9wavefront6targetE1EEEvT1_,comdat
	.globl	_ZN7rocprim17ROCPRIM_400000_NS6detail17trampoline_kernelINS0_14default_configENS1_20scan_config_selectorIN3c108BFloat16EEEZZNS1_9scan_implILNS1_25lookback_scan_determinismE0ELb0ELb0ES3_PKS6_PS6_S6_ZZZN2at6native31launch_logcumsumexp_cuda_kernelERKNSD_10TensorBaseESH_lENKUlvE_clEvENKUlvE4_clEvEUlS6_S6_E_S6_EEDaPvRmT3_T4_T5_mT6_P12ihipStream_tbENKUlT_T0_E_clISt17integral_constantIbLb0EESY_EEDaST_SU_EUlST_E_NS1_11comp_targetILNS1_3genE10ELNS1_11target_archE1200ELNS1_3gpuE4ELNS1_3repE0EEENS1_30default_config_static_selectorELNS0_4arch9wavefront6targetE1EEEvT1_ ; -- Begin function _ZN7rocprim17ROCPRIM_400000_NS6detail17trampoline_kernelINS0_14default_configENS1_20scan_config_selectorIN3c108BFloat16EEEZZNS1_9scan_implILNS1_25lookback_scan_determinismE0ELb0ELb0ES3_PKS6_PS6_S6_ZZZN2at6native31launch_logcumsumexp_cuda_kernelERKNSD_10TensorBaseESH_lENKUlvE_clEvENKUlvE4_clEvEUlS6_S6_E_S6_EEDaPvRmT3_T4_T5_mT6_P12ihipStream_tbENKUlT_T0_E_clISt17integral_constantIbLb0EESY_EEDaST_SU_EUlST_E_NS1_11comp_targetILNS1_3genE10ELNS1_11target_archE1200ELNS1_3gpuE4ELNS1_3repE0EEENS1_30default_config_static_selectorELNS0_4arch9wavefront6targetE1EEEvT1_
	.p2align	8
	.type	_ZN7rocprim17ROCPRIM_400000_NS6detail17trampoline_kernelINS0_14default_configENS1_20scan_config_selectorIN3c108BFloat16EEEZZNS1_9scan_implILNS1_25lookback_scan_determinismE0ELb0ELb0ES3_PKS6_PS6_S6_ZZZN2at6native31launch_logcumsumexp_cuda_kernelERKNSD_10TensorBaseESH_lENKUlvE_clEvENKUlvE4_clEvEUlS6_S6_E_S6_EEDaPvRmT3_T4_T5_mT6_P12ihipStream_tbENKUlT_T0_E_clISt17integral_constantIbLb0EESY_EEDaST_SU_EUlST_E_NS1_11comp_targetILNS1_3genE10ELNS1_11target_archE1200ELNS1_3gpuE4ELNS1_3repE0EEENS1_30default_config_static_selectorELNS0_4arch9wavefront6targetE1EEEvT1_,@function
_ZN7rocprim17ROCPRIM_400000_NS6detail17trampoline_kernelINS0_14default_configENS1_20scan_config_selectorIN3c108BFloat16EEEZZNS1_9scan_implILNS1_25lookback_scan_determinismE0ELb0ELb0ES3_PKS6_PS6_S6_ZZZN2at6native31launch_logcumsumexp_cuda_kernelERKNSD_10TensorBaseESH_lENKUlvE_clEvENKUlvE4_clEvEUlS6_S6_E_S6_EEDaPvRmT3_T4_T5_mT6_P12ihipStream_tbENKUlT_T0_E_clISt17integral_constantIbLb0EESY_EEDaST_SU_EUlST_E_NS1_11comp_targetILNS1_3genE10ELNS1_11target_archE1200ELNS1_3gpuE4ELNS1_3repE0EEENS1_30default_config_static_selectorELNS0_4arch9wavefront6targetE1EEEvT1_: ; @_ZN7rocprim17ROCPRIM_400000_NS6detail17trampoline_kernelINS0_14default_configENS1_20scan_config_selectorIN3c108BFloat16EEEZZNS1_9scan_implILNS1_25lookback_scan_determinismE0ELb0ELb0ES3_PKS6_PS6_S6_ZZZN2at6native31launch_logcumsumexp_cuda_kernelERKNSD_10TensorBaseESH_lENKUlvE_clEvENKUlvE4_clEvEUlS6_S6_E_S6_EEDaPvRmT3_T4_T5_mT6_P12ihipStream_tbENKUlT_T0_E_clISt17integral_constantIbLb0EESY_EEDaST_SU_EUlST_E_NS1_11comp_targetILNS1_3genE10ELNS1_11target_archE1200ELNS1_3gpuE4ELNS1_3repE0EEENS1_30default_config_static_selectorELNS0_4arch9wavefront6targetE1EEEvT1_
; %bb.0:
	.section	.rodata,"a",@progbits
	.p2align	6, 0x0
	.amdhsa_kernel _ZN7rocprim17ROCPRIM_400000_NS6detail17trampoline_kernelINS0_14default_configENS1_20scan_config_selectorIN3c108BFloat16EEEZZNS1_9scan_implILNS1_25lookback_scan_determinismE0ELb0ELb0ES3_PKS6_PS6_S6_ZZZN2at6native31launch_logcumsumexp_cuda_kernelERKNSD_10TensorBaseESH_lENKUlvE_clEvENKUlvE4_clEvEUlS6_S6_E_S6_EEDaPvRmT3_T4_T5_mT6_P12ihipStream_tbENKUlT_T0_E_clISt17integral_constantIbLb0EESY_EEDaST_SU_EUlST_E_NS1_11comp_targetILNS1_3genE10ELNS1_11target_archE1200ELNS1_3gpuE4ELNS1_3repE0EEENS1_30default_config_static_selectorELNS0_4arch9wavefront6targetE1EEEvT1_
		.amdhsa_group_segment_fixed_size 0
		.amdhsa_private_segment_fixed_size 0
		.amdhsa_kernarg_size 96
		.amdhsa_user_sgpr_count 2
		.amdhsa_user_sgpr_dispatch_ptr 0
		.amdhsa_user_sgpr_queue_ptr 0
		.amdhsa_user_sgpr_kernarg_segment_ptr 1
		.amdhsa_user_sgpr_dispatch_id 0
		.amdhsa_user_sgpr_kernarg_preload_length 0
		.amdhsa_user_sgpr_kernarg_preload_offset 0
		.amdhsa_user_sgpr_private_segment_size 0
		.amdhsa_uses_dynamic_stack 0
		.amdhsa_enable_private_segment 0
		.amdhsa_system_sgpr_workgroup_id_x 1
		.amdhsa_system_sgpr_workgroup_id_y 0
		.amdhsa_system_sgpr_workgroup_id_z 0
		.amdhsa_system_sgpr_workgroup_info 0
		.amdhsa_system_vgpr_workitem_id 0
		.amdhsa_next_free_vgpr 1
		.amdhsa_next_free_sgpr 0
		.amdhsa_accum_offset 4
		.amdhsa_reserve_vcc 0
		.amdhsa_float_round_mode_32 0
		.amdhsa_float_round_mode_16_64 0
		.amdhsa_float_denorm_mode_32 3
		.amdhsa_float_denorm_mode_16_64 3
		.amdhsa_dx10_clamp 1
		.amdhsa_ieee_mode 1
		.amdhsa_fp16_overflow 0
		.amdhsa_tg_split 0
		.amdhsa_exception_fp_ieee_invalid_op 0
		.amdhsa_exception_fp_denorm_src 0
		.amdhsa_exception_fp_ieee_div_zero 0
		.amdhsa_exception_fp_ieee_overflow 0
		.amdhsa_exception_fp_ieee_underflow 0
		.amdhsa_exception_fp_ieee_inexact 0
		.amdhsa_exception_int_div_zero 0
	.end_amdhsa_kernel
	.section	.text._ZN7rocprim17ROCPRIM_400000_NS6detail17trampoline_kernelINS0_14default_configENS1_20scan_config_selectorIN3c108BFloat16EEEZZNS1_9scan_implILNS1_25lookback_scan_determinismE0ELb0ELb0ES3_PKS6_PS6_S6_ZZZN2at6native31launch_logcumsumexp_cuda_kernelERKNSD_10TensorBaseESH_lENKUlvE_clEvENKUlvE4_clEvEUlS6_S6_E_S6_EEDaPvRmT3_T4_T5_mT6_P12ihipStream_tbENKUlT_T0_E_clISt17integral_constantIbLb0EESY_EEDaST_SU_EUlST_E_NS1_11comp_targetILNS1_3genE10ELNS1_11target_archE1200ELNS1_3gpuE4ELNS1_3repE0EEENS1_30default_config_static_selectorELNS0_4arch9wavefront6targetE1EEEvT1_,"axG",@progbits,_ZN7rocprim17ROCPRIM_400000_NS6detail17trampoline_kernelINS0_14default_configENS1_20scan_config_selectorIN3c108BFloat16EEEZZNS1_9scan_implILNS1_25lookback_scan_determinismE0ELb0ELb0ES3_PKS6_PS6_S6_ZZZN2at6native31launch_logcumsumexp_cuda_kernelERKNSD_10TensorBaseESH_lENKUlvE_clEvENKUlvE4_clEvEUlS6_S6_E_S6_EEDaPvRmT3_T4_T5_mT6_P12ihipStream_tbENKUlT_T0_E_clISt17integral_constantIbLb0EESY_EEDaST_SU_EUlST_E_NS1_11comp_targetILNS1_3genE10ELNS1_11target_archE1200ELNS1_3gpuE4ELNS1_3repE0EEENS1_30default_config_static_selectorELNS0_4arch9wavefront6targetE1EEEvT1_,comdat
.Lfunc_end457:
	.size	_ZN7rocprim17ROCPRIM_400000_NS6detail17trampoline_kernelINS0_14default_configENS1_20scan_config_selectorIN3c108BFloat16EEEZZNS1_9scan_implILNS1_25lookback_scan_determinismE0ELb0ELb0ES3_PKS6_PS6_S6_ZZZN2at6native31launch_logcumsumexp_cuda_kernelERKNSD_10TensorBaseESH_lENKUlvE_clEvENKUlvE4_clEvEUlS6_S6_E_S6_EEDaPvRmT3_T4_T5_mT6_P12ihipStream_tbENKUlT_T0_E_clISt17integral_constantIbLb0EESY_EEDaST_SU_EUlST_E_NS1_11comp_targetILNS1_3genE10ELNS1_11target_archE1200ELNS1_3gpuE4ELNS1_3repE0EEENS1_30default_config_static_selectorELNS0_4arch9wavefront6targetE1EEEvT1_, .Lfunc_end457-_ZN7rocprim17ROCPRIM_400000_NS6detail17trampoline_kernelINS0_14default_configENS1_20scan_config_selectorIN3c108BFloat16EEEZZNS1_9scan_implILNS1_25lookback_scan_determinismE0ELb0ELb0ES3_PKS6_PS6_S6_ZZZN2at6native31launch_logcumsumexp_cuda_kernelERKNSD_10TensorBaseESH_lENKUlvE_clEvENKUlvE4_clEvEUlS6_S6_E_S6_EEDaPvRmT3_T4_T5_mT6_P12ihipStream_tbENKUlT_T0_E_clISt17integral_constantIbLb0EESY_EEDaST_SU_EUlST_E_NS1_11comp_targetILNS1_3genE10ELNS1_11target_archE1200ELNS1_3gpuE4ELNS1_3repE0EEENS1_30default_config_static_selectorELNS0_4arch9wavefront6targetE1EEEvT1_
                                        ; -- End function
	.section	.AMDGPU.csdata,"",@progbits
; Kernel info:
; codeLenInByte = 0
; NumSgprs: 6
; NumVgprs: 0
; NumAgprs: 0
; TotalNumVgprs: 0
; ScratchSize: 0
; MemoryBound: 0
; FloatMode: 240
; IeeeMode: 1
; LDSByteSize: 0 bytes/workgroup (compile time only)
; SGPRBlocks: 0
; VGPRBlocks: 0
; NumSGPRsForWavesPerEU: 6
; NumVGPRsForWavesPerEU: 1
; AccumOffset: 4
; Occupancy: 8
; WaveLimiterHint : 0
; COMPUTE_PGM_RSRC2:SCRATCH_EN: 0
; COMPUTE_PGM_RSRC2:USER_SGPR: 2
; COMPUTE_PGM_RSRC2:TRAP_HANDLER: 0
; COMPUTE_PGM_RSRC2:TGID_X_EN: 1
; COMPUTE_PGM_RSRC2:TGID_Y_EN: 0
; COMPUTE_PGM_RSRC2:TGID_Z_EN: 0
; COMPUTE_PGM_RSRC2:TIDIG_COMP_CNT: 0
; COMPUTE_PGM_RSRC3_GFX90A:ACCUM_OFFSET: 0
; COMPUTE_PGM_RSRC3_GFX90A:TG_SPLIT: 0
	.section	.text._ZN7rocprim17ROCPRIM_400000_NS6detail17trampoline_kernelINS0_14default_configENS1_20scan_config_selectorIN3c108BFloat16EEEZZNS1_9scan_implILNS1_25lookback_scan_determinismE0ELb0ELb0ES3_PKS6_PS6_S6_ZZZN2at6native31launch_logcumsumexp_cuda_kernelERKNSD_10TensorBaseESH_lENKUlvE_clEvENKUlvE4_clEvEUlS6_S6_E_S6_EEDaPvRmT3_T4_T5_mT6_P12ihipStream_tbENKUlT_T0_E_clISt17integral_constantIbLb0EESY_EEDaST_SU_EUlST_E_NS1_11comp_targetILNS1_3genE9ELNS1_11target_archE1100ELNS1_3gpuE3ELNS1_3repE0EEENS1_30default_config_static_selectorELNS0_4arch9wavefront6targetE1EEEvT1_,"axG",@progbits,_ZN7rocprim17ROCPRIM_400000_NS6detail17trampoline_kernelINS0_14default_configENS1_20scan_config_selectorIN3c108BFloat16EEEZZNS1_9scan_implILNS1_25lookback_scan_determinismE0ELb0ELb0ES3_PKS6_PS6_S6_ZZZN2at6native31launch_logcumsumexp_cuda_kernelERKNSD_10TensorBaseESH_lENKUlvE_clEvENKUlvE4_clEvEUlS6_S6_E_S6_EEDaPvRmT3_T4_T5_mT6_P12ihipStream_tbENKUlT_T0_E_clISt17integral_constantIbLb0EESY_EEDaST_SU_EUlST_E_NS1_11comp_targetILNS1_3genE9ELNS1_11target_archE1100ELNS1_3gpuE3ELNS1_3repE0EEENS1_30default_config_static_selectorELNS0_4arch9wavefront6targetE1EEEvT1_,comdat
	.globl	_ZN7rocprim17ROCPRIM_400000_NS6detail17trampoline_kernelINS0_14default_configENS1_20scan_config_selectorIN3c108BFloat16EEEZZNS1_9scan_implILNS1_25lookback_scan_determinismE0ELb0ELb0ES3_PKS6_PS6_S6_ZZZN2at6native31launch_logcumsumexp_cuda_kernelERKNSD_10TensorBaseESH_lENKUlvE_clEvENKUlvE4_clEvEUlS6_S6_E_S6_EEDaPvRmT3_T4_T5_mT6_P12ihipStream_tbENKUlT_T0_E_clISt17integral_constantIbLb0EESY_EEDaST_SU_EUlST_E_NS1_11comp_targetILNS1_3genE9ELNS1_11target_archE1100ELNS1_3gpuE3ELNS1_3repE0EEENS1_30default_config_static_selectorELNS0_4arch9wavefront6targetE1EEEvT1_ ; -- Begin function _ZN7rocprim17ROCPRIM_400000_NS6detail17trampoline_kernelINS0_14default_configENS1_20scan_config_selectorIN3c108BFloat16EEEZZNS1_9scan_implILNS1_25lookback_scan_determinismE0ELb0ELb0ES3_PKS6_PS6_S6_ZZZN2at6native31launch_logcumsumexp_cuda_kernelERKNSD_10TensorBaseESH_lENKUlvE_clEvENKUlvE4_clEvEUlS6_S6_E_S6_EEDaPvRmT3_T4_T5_mT6_P12ihipStream_tbENKUlT_T0_E_clISt17integral_constantIbLb0EESY_EEDaST_SU_EUlST_E_NS1_11comp_targetILNS1_3genE9ELNS1_11target_archE1100ELNS1_3gpuE3ELNS1_3repE0EEENS1_30default_config_static_selectorELNS0_4arch9wavefront6targetE1EEEvT1_
	.p2align	8
	.type	_ZN7rocprim17ROCPRIM_400000_NS6detail17trampoline_kernelINS0_14default_configENS1_20scan_config_selectorIN3c108BFloat16EEEZZNS1_9scan_implILNS1_25lookback_scan_determinismE0ELb0ELb0ES3_PKS6_PS6_S6_ZZZN2at6native31launch_logcumsumexp_cuda_kernelERKNSD_10TensorBaseESH_lENKUlvE_clEvENKUlvE4_clEvEUlS6_S6_E_S6_EEDaPvRmT3_T4_T5_mT6_P12ihipStream_tbENKUlT_T0_E_clISt17integral_constantIbLb0EESY_EEDaST_SU_EUlST_E_NS1_11comp_targetILNS1_3genE9ELNS1_11target_archE1100ELNS1_3gpuE3ELNS1_3repE0EEENS1_30default_config_static_selectorELNS0_4arch9wavefront6targetE1EEEvT1_,@function
_ZN7rocprim17ROCPRIM_400000_NS6detail17trampoline_kernelINS0_14default_configENS1_20scan_config_selectorIN3c108BFloat16EEEZZNS1_9scan_implILNS1_25lookback_scan_determinismE0ELb0ELb0ES3_PKS6_PS6_S6_ZZZN2at6native31launch_logcumsumexp_cuda_kernelERKNSD_10TensorBaseESH_lENKUlvE_clEvENKUlvE4_clEvEUlS6_S6_E_S6_EEDaPvRmT3_T4_T5_mT6_P12ihipStream_tbENKUlT_T0_E_clISt17integral_constantIbLb0EESY_EEDaST_SU_EUlST_E_NS1_11comp_targetILNS1_3genE9ELNS1_11target_archE1100ELNS1_3gpuE3ELNS1_3repE0EEENS1_30default_config_static_selectorELNS0_4arch9wavefront6targetE1EEEvT1_: ; @_ZN7rocprim17ROCPRIM_400000_NS6detail17trampoline_kernelINS0_14default_configENS1_20scan_config_selectorIN3c108BFloat16EEEZZNS1_9scan_implILNS1_25lookback_scan_determinismE0ELb0ELb0ES3_PKS6_PS6_S6_ZZZN2at6native31launch_logcumsumexp_cuda_kernelERKNSD_10TensorBaseESH_lENKUlvE_clEvENKUlvE4_clEvEUlS6_S6_E_S6_EEDaPvRmT3_T4_T5_mT6_P12ihipStream_tbENKUlT_T0_E_clISt17integral_constantIbLb0EESY_EEDaST_SU_EUlST_E_NS1_11comp_targetILNS1_3genE9ELNS1_11target_archE1100ELNS1_3gpuE3ELNS1_3repE0EEENS1_30default_config_static_selectorELNS0_4arch9wavefront6targetE1EEEvT1_
; %bb.0:
	.section	.rodata,"a",@progbits
	.p2align	6, 0x0
	.amdhsa_kernel _ZN7rocprim17ROCPRIM_400000_NS6detail17trampoline_kernelINS0_14default_configENS1_20scan_config_selectorIN3c108BFloat16EEEZZNS1_9scan_implILNS1_25lookback_scan_determinismE0ELb0ELb0ES3_PKS6_PS6_S6_ZZZN2at6native31launch_logcumsumexp_cuda_kernelERKNSD_10TensorBaseESH_lENKUlvE_clEvENKUlvE4_clEvEUlS6_S6_E_S6_EEDaPvRmT3_T4_T5_mT6_P12ihipStream_tbENKUlT_T0_E_clISt17integral_constantIbLb0EESY_EEDaST_SU_EUlST_E_NS1_11comp_targetILNS1_3genE9ELNS1_11target_archE1100ELNS1_3gpuE3ELNS1_3repE0EEENS1_30default_config_static_selectorELNS0_4arch9wavefront6targetE1EEEvT1_
		.amdhsa_group_segment_fixed_size 0
		.amdhsa_private_segment_fixed_size 0
		.amdhsa_kernarg_size 96
		.amdhsa_user_sgpr_count 2
		.amdhsa_user_sgpr_dispatch_ptr 0
		.amdhsa_user_sgpr_queue_ptr 0
		.amdhsa_user_sgpr_kernarg_segment_ptr 1
		.amdhsa_user_sgpr_dispatch_id 0
		.amdhsa_user_sgpr_kernarg_preload_length 0
		.amdhsa_user_sgpr_kernarg_preload_offset 0
		.amdhsa_user_sgpr_private_segment_size 0
		.amdhsa_uses_dynamic_stack 0
		.amdhsa_enable_private_segment 0
		.amdhsa_system_sgpr_workgroup_id_x 1
		.amdhsa_system_sgpr_workgroup_id_y 0
		.amdhsa_system_sgpr_workgroup_id_z 0
		.amdhsa_system_sgpr_workgroup_info 0
		.amdhsa_system_vgpr_workitem_id 0
		.amdhsa_next_free_vgpr 1
		.amdhsa_next_free_sgpr 0
		.amdhsa_accum_offset 4
		.amdhsa_reserve_vcc 0
		.amdhsa_float_round_mode_32 0
		.amdhsa_float_round_mode_16_64 0
		.amdhsa_float_denorm_mode_32 3
		.amdhsa_float_denorm_mode_16_64 3
		.amdhsa_dx10_clamp 1
		.amdhsa_ieee_mode 1
		.amdhsa_fp16_overflow 0
		.amdhsa_tg_split 0
		.amdhsa_exception_fp_ieee_invalid_op 0
		.amdhsa_exception_fp_denorm_src 0
		.amdhsa_exception_fp_ieee_div_zero 0
		.amdhsa_exception_fp_ieee_overflow 0
		.amdhsa_exception_fp_ieee_underflow 0
		.amdhsa_exception_fp_ieee_inexact 0
		.amdhsa_exception_int_div_zero 0
	.end_amdhsa_kernel
	.section	.text._ZN7rocprim17ROCPRIM_400000_NS6detail17trampoline_kernelINS0_14default_configENS1_20scan_config_selectorIN3c108BFloat16EEEZZNS1_9scan_implILNS1_25lookback_scan_determinismE0ELb0ELb0ES3_PKS6_PS6_S6_ZZZN2at6native31launch_logcumsumexp_cuda_kernelERKNSD_10TensorBaseESH_lENKUlvE_clEvENKUlvE4_clEvEUlS6_S6_E_S6_EEDaPvRmT3_T4_T5_mT6_P12ihipStream_tbENKUlT_T0_E_clISt17integral_constantIbLb0EESY_EEDaST_SU_EUlST_E_NS1_11comp_targetILNS1_3genE9ELNS1_11target_archE1100ELNS1_3gpuE3ELNS1_3repE0EEENS1_30default_config_static_selectorELNS0_4arch9wavefront6targetE1EEEvT1_,"axG",@progbits,_ZN7rocprim17ROCPRIM_400000_NS6detail17trampoline_kernelINS0_14default_configENS1_20scan_config_selectorIN3c108BFloat16EEEZZNS1_9scan_implILNS1_25lookback_scan_determinismE0ELb0ELb0ES3_PKS6_PS6_S6_ZZZN2at6native31launch_logcumsumexp_cuda_kernelERKNSD_10TensorBaseESH_lENKUlvE_clEvENKUlvE4_clEvEUlS6_S6_E_S6_EEDaPvRmT3_T4_T5_mT6_P12ihipStream_tbENKUlT_T0_E_clISt17integral_constantIbLb0EESY_EEDaST_SU_EUlST_E_NS1_11comp_targetILNS1_3genE9ELNS1_11target_archE1100ELNS1_3gpuE3ELNS1_3repE0EEENS1_30default_config_static_selectorELNS0_4arch9wavefront6targetE1EEEvT1_,comdat
.Lfunc_end458:
	.size	_ZN7rocprim17ROCPRIM_400000_NS6detail17trampoline_kernelINS0_14default_configENS1_20scan_config_selectorIN3c108BFloat16EEEZZNS1_9scan_implILNS1_25lookback_scan_determinismE0ELb0ELb0ES3_PKS6_PS6_S6_ZZZN2at6native31launch_logcumsumexp_cuda_kernelERKNSD_10TensorBaseESH_lENKUlvE_clEvENKUlvE4_clEvEUlS6_S6_E_S6_EEDaPvRmT3_T4_T5_mT6_P12ihipStream_tbENKUlT_T0_E_clISt17integral_constantIbLb0EESY_EEDaST_SU_EUlST_E_NS1_11comp_targetILNS1_3genE9ELNS1_11target_archE1100ELNS1_3gpuE3ELNS1_3repE0EEENS1_30default_config_static_selectorELNS0_4arch9wavefront6targetE1EEEvT1_, .Lfunc_end458-_ZN7rocprim17ROCPRIM_400000_NS6detail17trampoline_kernelINS0_14default_configENS1_20scan_config_selectorIN3c108BFloat16EEEZZNS1_9scan_implILNS1_25lookback_scan_determinismE0ELb0ELb0ES3_PKS6_PS6_S6_ZZZN2at6native31launch_logcumsumexp_cuda_kernelERKNSD_10TensorBaseESH_lENKUlvE_clEvENKUlvE4_clEvEUlS6_S6_E_S6_EEDaPvRmT3_T4_T5_mT6_P12ihipStream_tbENKUlT_T0_E_clISt17integral_constantIbLb0EESY_EEDaST_SU_EUlST_E_NS1_11comp_targetILNS1_3genE9ELNS1_11target_archE1100ELNS1_3gpuE3ELNS1_3repE0EEENS1_30default_config_static_selectorELNS0_4arch9wavefront6targetE1EEEvT1_
                                        ; -- End function
	.section	.AMDGPU.csdata,"",@progbits
; Kernel info:
; codeLenInByte = 0
; NumSgprs: 6
; NumVgprs: 0
; NumAgprs: 0
; TotalNumVgprs: 0
; ScratchSize: 0
; MemoryBound: 0
; FloatMode: 240
; IeeeMode: 1
; LDSByteSize: 0 bytes/workgroup (compile time only)
; SGPRBlocks: 0
; VGPRBlocks: 0
; NumSGPRsForWavesPerEU: 6
; NumVGPRsForWavesPerEU: 1
; AccumOffset: 4
; Occupancy: 8
; WaveLimiterHint : 0
; COMPUTE_PGM_RSRC2:SCRATCH_EN: 0
; COMPUTE_PGM_RSRC2:USER_SGPR: 2
; COMPUTE_PGM_RSRC2:TRAP_HANDLER: 0
; COMPUTE_PGM_RSRC2:TGID_X_EN: 1
; COMPUTE_PGM_RSRC2:TGID_Y_EN: 0
; COMPUTE_PGM_RSRC2:TGID_Z_EN: 0
; COMPUTE_PGM_RSRC2:TIDIG_COMP_CNT: 0
; COMPUTE_PGM_RSRC3_GFX90A:ACCUM_OFFSET: 0
; COMPUTE_PGM_RSRC3_GFX90A:TG_SPLIT: 0
	.section	.text._ZN7rocprim17ROCPRIM_400000_NS6detail17trampoline_kernelINS0_14default_configENS1_20scan_config_selectorIN3c108BFloat16EEEZZNS1_9scan_implILNS1_25lookback_scan_determinismE0ELb0ELb0ES3_PKS6_PS6_S6_ZZZN2at6native31launch_logcumsumexp_cuda_kernelERKNSD_10TensorBaseESH_lENKUlvE_clEvENKUlvE4_clEvEUlS6_S6_E_S6_EEDaPvRmT3_T4_T5_mT6_P12ihipStream_tbENKUlT_T0_E_clISt17integral_constantIbLb0EESY_EEDaST_SU_EUlST_E_NS1_11comp_targetILNS1_3genE8ELNS1_11target_archE1030ELNS1_3gpuE2ELNS1_3repE0EEENS1_30default_config_static_selectorELNS0_4arch9wavefront6targetE1EEEvT1_,"axG",@progbits,_ZN7rocprim17ROCPRIM_400000_NS6detail17trampoline_kernelINS0_14default_configENS1_20scan_config_selectorIN3c108BFloat16EEEZZNS1_9scan_implILNS1_25lookback_scan_determinismE0ELb0ELb0ES3_PKS6_PS6_S6_ZZZN2at6native31launch_logcumsumexp_cuda_kernelERKNSD_10TensorBaseESH_lENKUlvE_clEvENKUlvE4_clEvEUlS6_S6_E_S6_EEDaPvRmT3_T4_T5_mT6_P12ihipStream_tbENKUlT_T0_E_clISt17integral_constantIbLb0EESY_EEDaST_SU_EUlST_E_NS1_11comp_targetILNS1_3genE8ELNS1_11target_archE1030ELNS1_3gpuE2ELNS1_3repE0EEENS1_30default_config_static_selectorELNS0_4arch9wavefront6targetE1EEEvT1_,comdat
	.globl	_ZN7rocprim17ROCPRIM_400000_NS6detail17trampoline_kernelINS0_14default_configENS1_20scan_config_selectorIN3c108BFloat16EEEZZNS1_9scan_implILNS1_25lookback_scan_determinismE0ELb0ELb0ES3_PKS6_PS6_S6_ZZZN2at6native31launch_logcumsumexp_cuda_kernelERKNSD_10TensorBaseESH_lENKUlvE_clEvENKUlvE4_clEvEUlS6_S6_E_S6_EEDaPvRmT3_T4_T5_mT6_P12ihipStream_tbENKUlT_T0_E_clISt17integral_constantIbLb0EESY_EEDaST_SU_EUlST_E_NS1_11comp_targetILNS1_3genE8ELNS1_11target_archE1030ELNS1_3gpuE2ELNS1_3repE0EEENS1_30default_config_static_selectorELNS0_4arch9wavefront6targetE1EEEvT1_ ; -- Begin function _ZN7rocprim17ROCPRIM_400000_NS6detail17trampoline_kernelINS0_14default_configENS1_20scan_config_selectorIN3c108BFloat16EEEZZNS1_9scan_implILNS1_25lookback_scan_determinismE0ELb0ELb0ES3_PKS6_PS6_S6_ZZZN2at6native31launch_logcumsumexp_cuda_kernelERKNSD_10TensorBaseESH_lENKUlvE_clEvENKUlvE4_clEvEUlS6_S6_E_S6_EEDaPvRmT3_T4_T5_mT6_P12ihipStream_tbENKUlT_T0_E_clISt17integral_constantIbLb0EESY_EEDaST_SU_EUlST_E_NS1_11comp_targetILNS1_3genE8ELNS1_11target_archE1030ELNS1_3gpuE2ELNS1_3repE0EEENS1_30default_config_static_selectorELNS0_4arch9wavefront6targetE1EEEvT1_
	.p2align	8
	.type	_ZN7rocprim17ROCPRIM_400000_NS6detail17trampoline_kernelINS0_14default_configENS1_20scan_config_selectorIN3c108BFloat16EEEZZNS1_9scan_implILNS1_25lookback_scan_determinismE0ELb0ELb0ES3_PKS6_PS6_S6_ZZZN2at6native31launch_logcumsumexp_cuda_kernelERKNSD_10TensorBaseESH_lENKUlvE_clEvENKUlvE4_clEvEUlS6_S6_E_S6_EEDaPvRmT3_T4_T5_mT6_P12ihipStream_tbENKUlT_T0_E_clISt17integral_constantIbLb0EESY_EEDaST_SU_EUlST_E_NS1_11comp_targetILNS1_3genE8ELNS1_11target_archE1030ELNS1_3gpuE2ELNS1_3repE0EEENS1_30default_config_static_selectorELNS0_4arch9wavefront6targetE1EEEvT1_,@function
_ZN7rocprim17ROCPRIM_400000_NS6detail17trampoline_kernelINS0_14default_configENS1_20scan_config_selectorIN3c108BFloat16EEEZZNS1_9scan_implILNS1_25lookback_scan_determinismE0ELb0ELb0ES3_PKS6_PS6_S6_ZZZN2at6native31launch_logcumsumexp_cuda_kernelERKNSD_10TensorBaseESH_lENKUlvE_clEvENKUlvE4_clEvEUlS6_S6_E_S6_EEDaPvRmT3_T4_T5_mT6_P12ihipStream_tbENKUlT_T0_E_clISt17integral_constantIbLb0EESY_EEDaST_SU_EUlST_E_NS1_11comp_targetILNS1_3genE8ELNS1_11target_archE1030ELNS1_3gpuE2ELNS1_3repE0EEENS1_30default_config_static_selectorELNS0_4arch9wavefront6targetE1EEEvT1_: ; @_ZN7rocprim17ROCPRIM_400000_NS6detail17trampoline_kernelINS0_14default_configENS1_20scan_config_selectorIN3c108BFloat16EEEZZNS1_9scan_implILNS1_25lookback_scan_determinismE0ELb0ELb0ES3_PKS6_PS6_S6_ZZZN2at6native31launch_logcumsumexp_cuda_kernelERKNSD_10TensorBaseESH_lENKUlvE_clEvENKUlvE4_clEvEUlS6_S6_E_S6_EEDaPvRmT3_T4_T5_mT6_P12ihipStream_tbENKUlT_T0_E_clISt17integral_constantIbLb0EESY_EEDaST_SU_EUlST_E_NS1_11comp_targetILNS1_3genE8ELNS1_11target_archE1030ELNS1_3gpuE2ELNS1_3repE0EEENS1_30default_config_static_selectorELNS0_4arch9wavefront6targetE1EEEvT1_
; %bb.0:
	.section	.rodata,"a",@progbits
	.p2align	6, 0x0
	.amdhsa_kernel _ZN7rocprim17ROCPRIM_400000_NS6detail17trampoline_kernelINS0_14default_configENS1_20scan_config_selectorIN3c108BFloat16EEEZZNS1_9scan_implILNS1_25lookback_scan_determinismE0ELb0ELb0ES3_PKS6_PS6_S6_ZZZN2at6native31launch_logcumsumexp_cuda_kernelERKNSD_10TensorBaseESH_lENKUlvE_clEvENKUlvE4_clEvEUlS6_S6_E_S6_EEDaPvRmT3_T4_T5_mT6_P12ihipStream_tbENKUlT_T0_E_clISt17integral_constantIbLb0EESY_EEDaST_SU_EUlST_E_NS1_11comp_targetILNS1_3genE8ELNS1_11target_archE1030ELNS1_3gpuE2ELNS1_3repE0EEENS1_30default_config_static_selectorELNS0_4arch9wavefront6targetE1EEEvT1_
		.amdhsa_group_segment_fixed_size 0
		.amdhsa_private_segment_fixed_size 0
		.amdhsa_kernarg_size 96
		.amdhsa_user_sgpr_count 2
		.amdhsa_user_sgpr_dispatch_ptr 0
		.amdhsa_user_sgpr_queue_ptr 0
		.amdhsa_user_sgpr_kernarg_segment_ptr 1
		.amdhsa_user_sgpr_dispatch_id 0
		.amdhsa_user_sgpr_kernarg_preload_length 0
		.amdhsa_user_sgpr_kernarg_preload_offset 0
		.amdhsa_user_sgpr_private_segment_size 0
		.amdhsa_uses_dynamic_stack 0
		.amdhsa_enable_private_segment 0
		.amdhsa_system_sgpr_workgroup_id_x 1
		.amdhsa_system_sgpr_workgroup_id_y 0
		.amdhsa_system_sgpr_workgroup_id_z 0
		.amdhsa_system_sgpr_workgroup_info 0
		.amdhsa_system_vgpr_workitem_id 0
		.amdhsa_next_free_vgpr 1
		.amdhsa_next_free_sgpr 0
		.amdhsa_accum_offset 4
		.amdhsa_reserve_vcc 0
		.amdhsa_float_round_mode_32 0
		.amdhsa_float_round_mode_16_64 0
		.amdhsa_float_denorm_mode_32 3
		.amdhsa_float_denorm_mode_16_64 3
		.amdhsa_dx10_clamp 1
		.amdhsa_ieee_mode 1
		.amdhsa_fp16_overflow 0
		.amdhsa_tg_split 0
		.amdhsa_exception_fp_ieee_invalid_op 0
		.amdhsa_exception_fp_denorm_src 0
		.amdhsa_exception_fp_ieee_div_zero 0
		.amdhsa_exception_fp_ieee_overflow 0
		.amdhsa_exception_fp_ieee_underflow 0
		.amdhsa_exception_fp_ieee_inexact 0
		.amdhsa_exception_int_div_zero 0
	.end_amdhsa_kernel
	.section	.text._ZN7rocprim17ROCPRIM_400000_NS6detail17trampoline_kernelINS0_14default_configENS1_20scan_config_selectorIN3c108BFloat16EEEZZNS1_9scan_implILNS1_25lookback_scan_determinismE0ELb0ELb0ES3_PKS6_PS6_S6_ZZZN2at6native31launch_logcumsumexp_cuda_kernelERKNSD_10TensorBaseESH_lENKUlvE_clEvENKUlvE4_clEvEUlS6_S6_E_S6_EEDaPvRmT3_T4_T5_mT6_P12ihipStream_tbENKUlT_T0_E_clISt17integral_constantIbLb0EESY_EEDaST_SU_EUlST_E_NS1_11comp_targetILNS1_3genE8ELNS1_11target_archE1030ELNS1_3gpuE2ELNS1_3repE0EEENS1_30default_config_static_selectorELNS0_4arch9wavefront6targetE1EEEvT1_,"axG",@progbits,_ZN7rocprim17ROCPRIM_400000_NS6detail17trampoline_kernelINS0_14default_configENS1_20scan_config_selectorIN3c108BFloat16EEEZZNS1_9scan_implILNS1_25lookback_scan_determinismE0ELb0ELb0ES3_PKS6_PS6_S6_ZZZN2at6native31launch_logcumsumexp_cuda_kernelERKNSD_10TensorBaseESH_lENKUlvE_clEvENKUlvE4_clEvEUlS6_S6_E_S6_EEDaPvRmT3_T4_T5_mT6_P12ihipStream_tbENKUlT_T0_E_clISt17integral_constantIbLb0EESY_EEDaST_SU_EUlST_E_NS1_11comp_targetILNS1_3genE8ELNS1_11target_archE1030ELNS1_3gpuE2ELNS1_3repE0EEENS1_30default_config_static_selectorELNS0_4arch9wavefront6targetE1EEEvT1_,comdat
.Lfunc_end459:
	.size	_ZN7rocprim17ROCPRIM_400000_NS6detail17trampoline_kernelINS0_14default_configENS1_20scan_config_selectorIN3c108BFloat16EEEZZNS1_9scan_implILNS1_25lookback_scan_determinismE0ELb0ELb0ES3_PKS6_PS6_S6_ZZZN2at6native31launch_logcumsumexp_cuda_kernelERKNSD_10TensorBaseESH_lENKUlvE_clEvENKUlvE4_clEvEUlS6_S6_E_S6_EEDaPvRmT3_T4_T5_mT6_P12ihipStream_tbENKUlT_T0_E_clISt17integral_constantIbLb0EESY_EEDaST_SU_EUlST_E_NS1_11comp_targetILNS1_3genE8ELNS1_11target_archE1030ELNS1_3gpuE2ELNS1_3repE0EEENS1_30default_config_static_selectorELNS0_4arch9wavefront6targetE1EEEvT1_, .Lfunc_end459-_ZN7rocprim17ROCPRIM_400000_NS6detail17trampoline_kernelINS0_14default_configENS1_20scan_config_selectorIN3c108BFloat16EEEZZNS1_9scan_implILNS1_25lookback_scan_determinismE0ELb0ELb0ES3_PKS6_PS6_S6_ZZZN2at6native31launch_logcumsumexp_cuda_kernelERKNSD_10TensorBaseESH_lENKUlvE_clEvENKUlvE4_clEvEUlS6_S6_E_S6_EEDaPvRmT3_T4_T5_mT6_P12ihipStream_tbENKUlT_T0_E_clISt17integral_constantIbLb0EESY_EEDaST_SU_EUlST_E_NS1_11comp_targetILNS1_3genE8ELNS1_11target_archE1030ELNS1_3gpuE2ELNS1_3repE0EEENS1_30default_config_static_selectorELNS0_4arch9wavefront6targetE1EEEvT1_
                                        ; -- End function
	.section	.AMDGPU.csdata,"",@progbits
; Kernel info:
; codeLenInByte = 0
; NumSgprs: 6
; NumVgprs: 0
; NumAgprs: 0
; TotalNumVgprs: 0
; ScratchSize: 0
; MemoryBound: 0
; FloatMode: 240
; IeeeMode: 1
; LDSByteSize: 0 bytes/workgroup (compile time only)
; SGPRBlocks: 0
; VGPRBlocks: 0
; NumSGPRsForWavesPerEU: 6
; NumVGPRsForWavesPerEU: 1
; AccumOffset: 4
; Occupancy: 8
; WaveLimiterHint : 0
; COMPUTE_PGM_RSRC2:SCRATCH_EN: 0
; COMPUTE_PGM_RSRC2:USER_SGPR: 2
; COMPUTE_PGM_RSRC2:TRAP_HANDLER: 0
; COMPUTE_PGM_RSRC2:TGID_X_EN: 1
; COMPUTE_PGM_RSRC2:TGID_Y_EN: 0
; COMPUTE_PGM_RSRC2:TGID_Z_EN: 0
; COMPUTE_PGM_RSRC2:TIDIG_COMP_CNT: 0
; COMPUTE_PGM_RSRC3_GFX90A:ACCUM_OFFSET: 0
; COMPUTE_PGM_RSRC3_GFX90A:TG_SPLIT: 0
	.section	.text._ZN7rocprim17ROCPRIM_400000_NS6detail17trampoline_kernelINS0_14default_configENS1_25transform_config_selectorIN3c108BFloat16ELb1EEEZNS1_14transform_implILb1ES3_S7_PS6_S9_NS0_8identityIS6_EEEE10hipError_tT2_T3_mT4_P12ihipStream_tbEUlT_E_NS1_11comp_targetILNS1_3genE0ELNS1_11target_archE4294967295ELNS1_3gpuE0ELNS1_3repE0EEENS1_30default_config_static_selectorELNS0_4arch9wavefront6targetE1EEEvT1_,"axG",@progbits,_ZN7rocprim17ROCPRIM_400000_NS6detail17trampoline_kernelINS0_14default_configENS1_25transform_config_selectorIN3c108BFloat16ELb1EEEZNS1_14transform_implILb1ES3_S7_PS6_S9_NS0_8identityIS6_EEEE10hipError_tT2_T3_mT4_P12ihipStream_tbEUlT_E_NS1_11comp_targetILNS1_3genE0ELNS1_11target_archE4294967295ELNS1_3gpuE0ELNS1_3repE0EEENS1_30default_config_static_selectorELNS0_4arch9wavefront6targetE1EEEvT1_,comdat
	.protected	_ZN7rocprim17ROCPRIM_400000_NS6detail17trampoline_kernelINS0_14default_configENS1_25transform_config_selectorIN3c108BFloat16ELb1EEEZNS1_14transform_implILb1ES3_S7_PS6_S9_NS0_8identityIS6_EEEE10hipError_tT2_T3_mT4_P12ihipStream_tbEUlT_E_NS1_11comp_targetILNS1_3genE0ELNS1_11target_archE4294967295ELNS1_3gpuE0ELNS1_3repE0EEENS1_30default_config_static_selectorELNS0_4arch9wavefront6targetE1EEEvT1_ ; -- Begin function _ZN7rocprim17ROCPRIM_400000_NS6detail17trampoline_kernelINS0_14default_configENS1_25transform_config_selectorIN3c108BFloat16ELb1EEEZNS1_14transform_implILb1ES3_S7_PS6_S9_NS0_8identityIS6_EEEE10hipError_tT2_T3_mT4_P12ihipStream_tbEUlT_E_NS1_11comp_targetILNS1_3genE0ELNS1_11target_archE4294967295ELNS1_3gpuE0ELNS1_3repE0EEENS1_30default_config_static_selectorELNS0_4arch9wavefront6targetE1EEEvT1_
	.globl	_ZN7rocprim17ROCPRIM_400000_NS6detail17trampoline_kernelINS0_14default_configENS1_25transform_config_selectorIN3c108BFloat16ELb1EEEZNS1_14transform_implILb1ES3_S7_PS6_S9_NS0_8identityIS6_EEEE10hipError_tT2_T3_mT4_P12ihipStream_tbEUlT_E_NS1_11comp_targetILNS1_3genE0ELNS1_11target_archE4294967295ELNS1_3gpuE0ELNS1_3repE0EEENS1_30default_config_static_selectorELNS0_4arch9wavefront6targetE1EEEvT1_
	.p2align	8
	.type	_ZN7rocprim17ROCPRIM_400000_NS6detail17trampoline_kernelINS0_14default_configENS1_25transform_config_selectorIN3c108BFloat16ELb1EEEZNS1_14transform_implILb1ES3_S7_PS6_S9_NS0_8identityIS6_EEEE10hipError_tT2_T3_mT4_P12ihipStream_tbEUlT_E_NS1_11comp_targetILNS1_3genE0ELNS1_11target_archE4294967295ELNS1_3gpuE0ELNS1_3repE0EEENS1_30default_config_static_selectorELNS0_4arch9wavefront6targetE1EEEvT1_,@function
_ZN7rocprim17ROCPRIM_400000_NS6detail17trampoline_kernelINS0_14default_configENS1_25transform_config_selectorIN3c108BFloat16ELb1EEEZNS1_14transform_implILb1ES3_S7_PS6_S9_NS0_8identityIS6_EEEE10hipError_tT2_T3_mT4_P12ihipStream_tbEUlT_E_NS1_11comp_targetILNS1_3genE0ELNS1_11target_archE4294967295ELNS1_3gpuE0ELNS1_3repE0EEENS1_30default_config_static_selectorELNS0_4arch9wavefront6targetE1EEEvT1_: ; @_ZN7rocprim17ROCPRIM_400000_NS6detail17trampoline_kernelINS0_14default_configENS1_25transform_config_selectorIN3c108BFloat16ELb1EEEZNS1_14transform_implILb1ES3_S7_PS6_S9_NS0_8identityIS6_EEEE10hipError_tT2_T3_mT4_P12ihipStream_tbEUlT_E_NS1_11comp_targetILNS1_3genE0ELNS1_11target_archE4294967295ELNS1_3gpuE0ELNS1_3repE0EEENS1_30default_config_static_selectorELNS0_4arch9wavefront6targetE1EEEvT1_
; %bb.0:
	.section	.rodata,"a",@progbits
	.p2align	6, 0x0
	.amdhsa_kernel _ZN7rocprim17ROCPRIM_400000_NS6detail17trampoline_kernelINS0_14default_configENS1_25transform_config_selectorIN3c108BFloat16ELb1EEEZNS1_14transform_implILb1ES3_S7_PS6_S9_NS0_8identityIS6_EEEE10hipError_tT2_T3_mT4_P12ihipStream_tbEUlT_E_NS1_11comp_targetILNS1_3genE0ELNS1_11target_archE4294967295ELNS1_3gpuE0ELNS1_3repE0EEENS1_30default_config_static_selectorELNS0_4arch9wavefront6targetE1EEEvT1_
		.amdhsa_group_segment_fixed_size 0
		.amdhsa_private_segment_fixed_size 0
		.amdhsa_kernarg_size 40
		.amdhsa_user_sgpr_count 2
		.amdhsa_user_sgpr_dispatch_ptr 0
		.amdhsa_user_sgpr_queue_ptr 0
		.amdhsa_user_sgpr_kernarg_segment_ptr 1
		.amdhsa_user_sgpr_dispatch_id 0
		.amdhsa_user_sgpr_kernarg_preload_length 0
		.amdhsa_user_sgpr_kernarg_preload_offset 0
		.amdhsa_user_sgpr_private_segment_size 0
		.amdhsa_uses_dynamic_stack 0
		.amdhsa_enable_private_segment 0
		.amdhsa_system_sgpr_workgroup_id_x 1
		.amdhsa_system_sgpr_workgroup_id_y 0
		.amdhsa_system_sgpr_workgroup_id_z 0
		.amdhsa_system_sgpr_workgroup_info 0
		.amdhsa_system_vgpr_workitem_id 0
		.amdhsa_next_free_vgpr 1
		.amdhsa_next_free_sgpr 0
		.amdhsa_accum_offset 4
		.amdhsa_reserve_vcc 0
		.amdhsa_float_round_mode_32 0
		.amdhsa_float_round_mode_16_64 0
		.amdhsa_float_denorm_mode_32 3
		.amdhsa_float_denorm_mode_16_64 3
		.amdhsa_dx10_clamp 1
		.amdhsa_ieee_mode 1
		.amdhsa_fp16_overflow 0
		.amdhsa_tg_split 0
		.amdhsa_exception_fp_ieee_invalid_op 0
		.amdhsa_exception_fp_denorm_src 0
		.amdhsa_exception_fp_ieee_div_zero 0
		.amdhsa_exception_fp_ieee_overflow 0
		.amdhsa_exception_fp_ieee_underflow 0
		.amdhsa_exception_fp_ieee_inexact 0
		.amdhsa_exception_int_div_zero 0
	.end_amdhsa_kernel
	.section	.text._ZN7rocprim17ROCPRIM_400000_NS6detail17trampoline_kernelINS0_14default_configENS1_25transform_config_selectorIN3c108BFloat16ELb1EEEZNS1_14transform_implILb1ES3_S7_PS6_S9_NS0_8identityIS6_EEEE10hipError_tT2_T3_mT4_P12ihipStream_tbEUlT_E_NS1_11comp_targetILNS1_3genE0ELNS1_11target_archE4294967295ELNS1_3gpuE0ELNS1_3repE0EEENS1_30default_config_static_selectorELNS0_4arch9wavefront6targetE1EEEvT1_,"axG",@progbits,_ZN7rocprim17ROCPRIM_400000_NS6detail17trampoline_kernelINS0_14default_configENS1_25transform_config_selectorIN3c108BFloat16ELb1EEEZNS1_14transform_implILb1ES3_S7_PS6_S9_NS0_8identityIS6_EEEE10hipError_tT2_T3_mT4_P12ihipStream_tbEUlT_E_NS1_11comp_targetILNS1_3genE0ELNS1_11target_archE4294967295ELNS1_3gpuE0ELNS1_3repE0EEENS1_30default_config_static_selectorELNS0_4arch9wavefront6targetE1EEEvT1_,comdat
.Lfunc_end460:
	.size	_ZN7rocprim17ROCPRIM_400000_NS6detail17trampoline_kernelINS0_14default_configENS1_25transform_config_selectorIN3c108BFloat16ELb1EEEZNS1_14transform_implILb1ES3_S7_PS6_S9_NS0_8identityIS6_EEEE10hipError_tT2_T3_mT4_P12ihipStream_tbEUlT_E_NS1_11comp_targetILNS1_3genE0ELNS1_11target_archE4294967295ELNS1_3gpuE0ELNS1_3repE0EEENS1_30default_config_static_selectorELNS0_4arch9wavefront6targetE1EEEvT1_, .Lfunc_end460-_ZN7rocprim17ROCPRIM_400000_NS6detail17trampoline_kernelINS0_14default_configENS1_25transform_config_selectorIN3c108BFloat16ELb1EEEZNS1_14transform_implILb1ES3_S7_PS6_S9_NS0_8identityIS6_EEEE10hipError_tT2_T3_mT4_P12ihipStream_tbEUlT_E_NS1_11comp_targetILNS1_3genE0ELNS1_11target_archE4294967295ELNS1_3gpuE0ELNS1_3repE0EEENS1_30default_config_static_selectorELNS0_4arch9wavefront6targetE1EEEvT1_
                                        ; -- End function
	.section	.AMDGPU.csdata,"",@progbits
; Kernel info:
; codeLenInByte = 0
; NumSgprs: 6
; NumVgprs: 0
; NumAgprs: 0
; TotalNumVgprs: 0
; ScratchSize: 0
; MemoryBound: 0
; FloatMode: 240
; IeeeMode: 1
; LDSByteSize: 0 bytes/workgroup (compile time only)
; SGPRBlocks: 0
; VGPRBlocks: 0
; NumSGPRsForWavesPerEU: 6
; NumVGPRsForWavesPerEU: 1
; AccumOffset: 4
; Occupancy: 8
; WaveLimiterHint : 0
; COMPUTE_PGM_RSRC2:SCRATCH_EN: 0
; COMPUTE_PGM_RSRC2:USER_SGPR: 2
; COMPUTE_PGM_RSRC2:TRAP_HANDLER: 0
; COMPUTE_PGM_RSRC2:TGID_X_EN: 1
; COMPUTE_PGM_RSRC2:TGID_Y_EN: 0
; COMPUTE_PGM_RSRC2:TGID_Z_EN: 0
; COMPUTE_PGM_RSRC2:TIDIG_COMP_CNT: 0
; COMPUTE_PGM_RSRC3_GFX90A:ACCUM_OFFSET: 0
; COMPUTE_PGM_RSRC3_GFX90A:TG_SPLIT: 0
	.section	.text._ZN7rocprim17ROCPRIM_400000_NS6detail17trampoline_kernelINS0_14default_configENS1_25transform_config_selectorIN3c108BFloat16ELb1EEEZNS1_14transform_implILb1ES3_S7_PS6_S9_NS0_8identityIS6_EEEE10hipError_tT2_T3_mT4_P12ihipStream_tbEUlT_E_NS1_11comp_targetILNS1_3genE10ELNS1_11target_archE1201ELNS1_3gpuE5ELNS1_3repE0EEENS1_30default_config_static_selectorELNS0_4arch9wavefront6targetE1EEEvT1_,"axG",@progbits,_ZN7rocprim17ROCPRIM_400000_NS6detail17trampoline_kernelINS0_14default_configENS1_25transform_config_selectorIN3c108BFloat16ELb1EEEZNS1_14transform_implILb1ES3_S7_PS6_S9_NS0_8identityIS6_EEEE10hipError_tT2_T3_mT4_P12ihipStream_tbEUlT_E_NS1_11comp_targetILNS1_3genE10ELNS1_11target_archE1201ELNS1_3gpuE5ELNS1_3repE0EEENS1_30default_config_static_selectorELNS0_4arch9wavefront6targetE1EEEvT1_,comdat
	.protected	_ZN7rocprim17ROCPRIM_400000_NS6detail17trampoline_kernelINS0_14default_configENS1_25transform_config_selectorIN3c108BFloat16ELb1EEEZNS1_14transform_implILb1ES3_S7_PS6_S9_NS0_8identityIS6_EEEE10hipError_tT2_T3_mT4_P12ihipStream_tbEUlT_E_NS1_11comp_targetILNS1_3genE10ELNS1_11target_archE1201ELNS1_3gpuE5ELNS1_3repE0EEENS1_30default_config_static_selectorELNS0_4arch9wavefront6targetE1EEEvT1_ ; -- Begin function _ZN7rocprim17ROCPRIM_400000_NS6detail17trampoline_kernelINS0_14default_configENS1_25transform_config_selectorIN3c108BFloat16ELb1EEEZNS1_14transform_implILb1ES3_S7_PS6_S9_NS0_8identityIS6_EEEE10hipError_tT2_T3_mT4_P12ihipStream_tbEUlT_E_NS1_11comp_targetILNS1_3genE10ELNS1_11target_archE1201ELNS1_3gpuE5ELNS1_3repE0EEENS1_30default_config_static_selectorELNS0_4arch9wavefront6targetE1EEEvT1_
	.globl	_ZN7rocprim17ROCPRIM_400000_NS6detail17trampoline_kernelINS0_14default_configENS1_25transform_config_selectorIN3c108BFloat16ELb1EEEZNS1_14transform_implILb1ES3_S7_PS6_S9_NS0_8identityIS6_EEEE10hipError_tT2_T3_mT4_P12ihipStream_tbEUlT_E_NS1_11comp_targetILNS1_3genE10ELNS1_11target_archE1201ELNS1_3gpuE5ELNS1_3repE0EEENS1_30default_config_static_selectorELNS0_4arch9wavefront6targetE1EEEvT1_
	.p2align	8
	.type	_ZN7rocprim17ROCPRIM_400000_NS6detail17trampoline_kernelINS0_14default_configENS1_25transform_config_selectorIN3c108BFloat16ELb1EEEZNS1_14transform_implILb1ES3_S7_PS6_S9_NS0_8identityIS6_EEEE10hipError_tT2_T3_mT4_P12ihipStream_tbEUlT_E_NS1_11comp_targetILNS1_3genE10ELNS1_11target_archE1201ELNS1_3gpuE5ELNS1_3repE0EEENS1_30default_config_static_selectorELNS0_4arch9wavefront6targetE1EEEvT1_,@function
_ZN7rocprim17ROCPRIM_400000_NS6detail17trampoline_kernelINS0_14default_configENS1_25transform_config_selectorIN3c108BFloat16ELb1EEEZNS1_14transform_implILb1ES3_S7_PS6_S9_NS0_8identityIS6_EEEE10hipError_tT2_T3_mT4_P12ihipStream_tbEUlT_E_NS1_11comp_targetILNS1_3genE10ELNS1_11target_archE1201ELNS1_3gpuE5ELNS1_3repE0EEENS1_30default_config_static_selectorELNS0_4arch9wavefront6targetE1EEEvT1_: ; @_ZN7rocprim17ROCPRIM_400000_NS6detail17trampoline_kernelINS0_14default_configENS1_25transform_config_selectorIN3c108BFloat16ELb1EEEZNS1_14transform_implILb1ES3_S7_PS6_S9_NS0_8identityIS6_EEEE10hipError_tT2_T3_mT4_P12ihipStream_tbEUlT_E_NS1_11comp_targetILNS1_3genE10ELNS1_11target_archE1201ELNS1_3gpuE5ELNS1_3repE0EEENS1_30default_config_static_selectorELNS0_4arch9wavefront6targetE1EEEvT1_
; %bb.0:
	.section	.rodata,"a",@progbits
	.p2align	6, 0x0
	.amdhsa_kernel _ZN7rocprim17ROCPRIM_400000_NS6detail17trampoline_kernelINS0_14default_configENS1_25transform_config_selectorIN3c108BFloat16ELb1EEEZNS1_14transform_implILb1ES3_S7_PS6_S9_NS0_8identityIS6_EEEE10hipError_tT2_T3_mT4_P12ihipStream_tbEUlT_E_NS1_11comp_targetILNS1_3genE10ELNS1_11target_archE1201ELNS1_3gpuE5ELNS1_3repE0EEENS1_30default_config_static_selectorELNS0_4arch9wavefront6targetE1EEEvT1_
		.amdhsa_group_segment_fixed_size 0
		.amdhsa_private_segment_fixed_size 0
		.amdhsa_kernarg_size 40
		.amdhsa_user_sgpr_count 2
		.amdhsa_user_sgpr_dispatch_ptr 0
		.amdhsa_user_sgpr_queue_ptr 0
		.amdhsa_user_sgpr_kernarg_segment_ptr 1
		.amdhsa_user_sgpr_dispatch_id 0
		.amdhsa_user_sgpr_kernarg_preload_length 0
		.amdhsa_user_sgpr_kernarg_preload_offset 0
		.amdhsa_user_sgpr_private_segment_size 0
		.amdhsa_uses_dynamic_stack 0
		.amdhsa_enable_private_segment 0
		.amdhsa_system_sgpr_workgroup_id_x 1
		.amdhsa_system_sgpr_workgroup_id_y 0
		.amdhsa_system_sgpr_workgroup_id_z 0
		.amdhsa_system_sgpr_workgroup_info 0
		.amdhsa_system_vgpr_workitem_id 0
		.amdhsa_next_free_vgpr 1
		.amdhsa_next_free_sgpr 0
		.amdhsa_accum_offset 4
		.amdhsa_reserve_vcc 0
		.amdhsa_float_round_mode_32 0
		.amdhsa_float_round_mode_16_64 0
		.amdhsa_float_denorm_mode_32 3
		.amdhsa_float_denorm_mode_16_64 3
		.amdhsa_dx10_clamp 1
		.amdhsa_ieee_mode 1
		.amdhsa_fp16_overflow 0
		.amdhsa_tg_split 0
		.amdhsa_exception_fp_ieee_invalid_op 0
		.amdhsa_exception_fp_denorm_src 0
		.amdhsa_exception_fp_ieee_div_zero 0
		.amdhsa_exception_fp_ieee_overflow 0
		.amdhsa_exception_fp_ieee_underflow 0
		.amdhsa_exception_fp_ieee_inexact 0
		.amdhsa_exception_int_div_zero 0
	.end_amdhsa_kernel
	.section	.text._ZN7rocprim17ROCPRIM_400000_NS6detail17trampoline_kernelINS0_14default_configENS1_25transform_config_selectorIN3c108BFloat16ELb1EEEZNS1_14transform_implILb1ES3_S7_PS6_S9_NS0_8identityIS6_EEEE10hipError_tT2_T3_mT4_P12ihipStream_tbEUlT_E_NS1_11comp_targetILNS1_3genE10ELNS1_11target_archE1201ELNS1_3gpuE5ELNS1_3repE0EEENS1_30default_config_static_selectorELNS0_4arch9wavefront6targetE1EEEvT1_,"axG",@progbits,_ZN7rocprim17ROCPRIM_400000_NS6detail17trampoline_kernelINS0_14default_configENS1_25transform_config_selectorIN3c108BFloat16ELb1EEEZNS1_14transform_implILb1ES3_S7_PS6_S9_NS0_8identityIS6_EEEE10hipError_tT2_T3_mT4_P12ihipStream_tbEUlT_E_NS1_11comp_targetILNS1_3genE10ELNS1_11target_archE1201ELNS1_3gpuE5ELNS1_3repE0EEENS1_30default_config_static_selectorELNS0_4arch9wavefront6targetE1EEEvT1_,comdat
.Lfunc_end461:
	.size	_ZN7rocprim17ROCPRIM_400000_NS6detail17trampoline_kernelINS0_14default_configENS1_25transform_config_selectorIN3c108BFloat16ELb1EEEZNS1_14transform_implILb1ES3_S7_PS6_S9_NS0_8identityIS6_EEEE10hipError_tT2_T3_mT4_P12ihipStream_tbEUlT_E_NS1_11comp_targetILNS1_3genE10ELNS1_11target_archE1201ELNS1_3gpuE5ELNS1_3repE0EEENS1_30default_config_static_selectorELNS0_4arch9wavefront6targetE1EEEvT1_, .Lfunc_end461-_ZN7rocprim17ROCPRIM_400000_NS6detail17trampoline_kernelINS0_14default_configENS1_25transform_config_selectorIN3c108BFloat16ELb1EEEZNS1_14transform_implILb1ES3_S7_PS6_S9_NS0_8identityIS6_EEEE10hipError_tT2_T3_mT4_P12ihipStream_tbEUlT_E_NS1_11comp_targetILNS1_3genE10ELNS1_11target_archE1201ELNS1_3gpuE5ELNS1_3repE0EEENS1_30default_config_static_selectorELNS0_4arch9wavefront6targetE1EEEvT1_
                                        ; -- End function
	.section	.AMDGPU.csdata,"",@progbits
; Kernel info:
; codeLenInByte = 0
; NumSgprs: 6
; NumVgprs: 0
; NumAgprs: 0
; TotalNumVgprs: 0
; ScratchSize: 0
; MemoryBound: 0
; FloatMode: 240
; IeeeMode: 1
; LDSByteSize: 0 bytes/workgroup (compile time only)
; SGPRBlocks: 0
; VGPRBlocks: 0
; NumSGPRsForWavesPerEU: 6
; NumVGPRsForWavesPerEU: 1
; AccumOffset: 4
; Occupancy: 8
; WaveLimiterHint : 0
; COMPUTE_PGM_RSRC2:SCRATCH_EN: 0
; COMPUTE_PGM_RSRC2:USER_SGPR: 2
; COMPUTE_PGM_RSRC2:TRAP_HANDLER: 0
; COMPUTE_PGM_RSRC2:TGID_X_EN: 1
; COMPUTE_PGM_RSRC2:TGID_Y_EN: 0
; COMPUTE_PGM_RSRC2:TGID_Z_EN: 0
; COMPUTE_PGM_RSRC2:TIDIG_COMP_CNT: 0
; COMPUTE_PGM_RSRC3_GFX90A:ACCUM_OFFSET: 0
; COMPUTE_PGM_RSRC3_GFX90A:TG_SPLIT: 0
	.section	.text._ZN7rocprim17ROCPRIM_400000_NS6detail17trampoline_kernelINS0_14default_configENS1_25transform_config_selectorIN3c108BFloat16ELb1EEEZNS1_14transform_implILb1ES3_S7_PS6_S9_NS0_8identityIS6_EEEE10hipError_tT2_T3_mT4_P12ihipStream_tbEUlT_E_NS1_11comp_targetILNS1_3genE5ELNS1_11target_archE942ELNS1_3gpuE9ELNS1_3repE0EEENS1_30default_config_static_selectorELNS0_4arch9wavefront6targetE1EEEvT1_,"axG",@progbits,_ZN7rocprim17ROCPRIM_400000_NS6detail17trampoline_kernelINS0_14default_configENS1_25transform_config_selectorIN3c108BFloat16ELb1EEEZNS1_14transform_implILb1ES3_S7_PS6_S9_NS0_8identityIS6_EEEE10hipError_tT2_T3_mT4_P12ihipStream_tbEUlT_E_NS1_11comp_targetILNS1_3genE5ELNS1_11target_archE942ELNS1_3gpuE9ELNS1_3repE0EEENS1_30default_config_static_selectorELNS0_4arch9wavefront6targetE1EEEvT1_,comdat
	.protected	_ZN7rocprim17ROCPRIM_400000_NS6detail17trampoline_kernelINS0_14default_configENS1_25transform_config_selectorIN3c108BFloat16ELb1EEEZNS1_14transform_implILb1ES3_S7_PS6_S9_NS0_8identityIS6_EEEE10hipError_tT2_T3_mT4_P12ihipStream_tbEUlT_E_NS1_11comp_targetILNS1_3genE5ELNS1_11target_archE942ELNS1_3gpuE9ELNS1_3repE0EEENS1_30default_config_static_selectorELNS0_4arch9wavefront6targetE1EEEvT1_ ; -- Begin function _ZN7rocprim17ROCPRIM_400000_NS6detail17trampoline_kernelINS0_14default_configENS1_25transform_config_selectorIN3c108BFloat16ELb1EEEZNS1_14transform_implILb1ES3_S7_PS6_S9_NS0_8identityIS6_EEEE10hipError_tT2_T3_mT4_P12ihipStream_tbEUlT_E_NS1_11comp_targetILNS1_3genE5ELNS1_11target_archE942ELNS1_3gpuE9ELNS1_3repE0EEENS1_30default_config_static_selectorELNS0_4arch9wavefront6targetE1EEEvT1_
	.globl	_ZN7rocprim17ROCPRIM_400000_NS6detail17trampoline_kernelINS0_14default_configENS1_25transform_config_selectorIN3c108BFloat16ELb1EEEZNS1_14transform_implILb1ES3_S7_PS6_S9_NS0_8identityIS6_EEEE10hipError_tT2_T3_mT4_P12ihipStream_tbEUlT_E_NS1_11comp_targetILNS1_3genE5ELNS1_11target_archE942ELNS1_3gpuE9ELNS1_3repE0EEENS1_30default_config_static_selectorELNS0_4arch9wavefront6targetE1EEEvT1_
	.p2align	8
	.type	_ZN7rocprim17ROCPRIM_400000_NS6detail17trampoline_kernelINS0_14default_configENS1_25transform_config_selectorIN3c108BFloat16ELb1EEEZNS1_14transform_implILb1ES3_S7_PS6_S9_NS0_8identityIS6_EEEE10hipError_tT2_T3_mT4_P12ihipStream_tbEUlT_E_NS1_11comp_targetILNS1_3genE5ELNS1_11target_archE942ELNS1_3gpuE9ELNS1_3repE0EEENS1_30default_config_static_selectorELNS0_4arch9wavefront6targetE1EEEvT1_,@function
_ZN7rocprim17ROCPRIM_400000_NS6detail17trampoline_kernelINS0_14default_configENS1_25transform_config_selectorIN3c108BFloat16ELb1EEEZNS1_14transform_implILb1ES3_S7_PS6_S9_NS0_8identityIS6_EEEE10hipError_tT2_T3_mT4_P12ihipStream_tbEUlT_E_NS1_11comp_targetILNS1_3genE5ELNS1_11target_archE942ELNS1_3gpuE9ELNS1_3repE0EEENS1_30default_config_static_selectorELNS0_4arch9wavefront6targetE1EEEvT1_: ; @_ZN7rocprim17ROCPRIM_400000_NS6detail17trampoline_kernelINS0_14default_configENS1_25transform_config_selectorIN3c108BFloat16ELb1EEEZNS1_14transform_implILb1ES3_S7_PS6_S9_NS0_8identityIS6_EEEE10hipError_tT2_T3_mT4_P12ihipStream_tbEUlT_E_NS1_11comp_targetILNS1_3genE5ELNS1_11target_archE942ELNS1_3gpuE9ELNS1_3repE0EEENS1_30default_config_static_selectorELNS0_4arch9wavefront6targetE1EEEvT1_
; %bb.0:
	s_load_dwordx8 s[4:11], s[0:1], 0x0
	s_load_dword s3, s[0:1], 0x28
	s_waitcnt lgkmcnt(0)
	s_lshl_b64 s[0:1], s[6:7], 1
	s_add_u32 s4, s4, s0
	s_addc_u32 s5, s5, s1
	s_add_u32 s20, s10, s0
	s_addc_u32 s21, s11, s1
	s_lshl_b32 s0, s2, 11
	s_mov_b32 s1, 0
	s_add_i32 s3, s3, -1
	s_lshl_b64 s[16:17], s[0:1], 1
	s_add_u32 s18, s4, s16
	s_addc_u32 s19, s5, s17
	s_cmp_lg_u32 s2, s3
	s_mov_b64 s[2:3], -1
	s_cbranch_scc0 .LBB462_2
; %bb.1:
	v_lshlrev_b32_e32 v1, 4, v0
	global_load_dwordx4 v[2:5], v1, s[18:19] nt
	s_add_u32 s2, s20, s16
	s_addc_u32 s3, s21, s17
	s_waitcnt vmcnt(0)
	global_store_dwordx4 v1, v[2:5], s[2:3]
	s_mov_b64 s[2:3], 0
.LBB462_2:
	s_andn2_b64 vcc, exec, s[2:3]
	s_cbranch_vccnz .LBB462_30
; %bb.3:
	s_sub_i32 s14, s8, s0
	v_cmp_gt_u32_e32 vcc, s14, v0
	v_lshlrev_b32_e32 v8, 1, v0
                                        ; implicit-def: $vgpr2
	s_and_saveexec_b64 s[0:1], vcc
	s_cbranch_execz .LBB462_5
; %bb.4:
	global_load_ushort v2, v8, s[18:19]
.LBB462_5:
	s_or_b64 exec, exec, s[0:1]
	v_or_b32_e32 v1, 0x100, v0
	v_cmp_gt_u32_e64 s[0:1], s14, v1
                                        ; implicit-def: $vgpr3
	s_and_saveexec_b64 s[2:3], s[0:1]
	s_cbranch_execz .LBB462_7
; %bb.6:
	global_load_ushort v3, v8, s[18:19] offset:512
.LBB462_7:
	s_or_b64 exec, exec, s[2:3]
	v_or_b32_e32 v1, 0x200, v0
	v_cmp_gt_u32_e64 s[2:3], s14, v1
                                        ; implicit-def: $vgpr4
	s_and_saveexec_b64 s[4:5], s[2:3]
	s_cbranch_execz .LBB462_9
; %bb.8:
	global_load_ushort v4, v8, s[18:19] offset:1024
.LBB462_9:
	s_or_b64 exec, exec, s[4:5]
	v_or_b32_e32 v1, 0x300, v0
	v_cmp_gt_u32_e64 s[4:5], s14, v1
                                        ; implicit-def: $vgpr5
	s_and_saveexec_b64 s[6:7], s[4:5]
	s_cbranch_execz .LBB462_11
; %bb.10:
	global_load_ushort v5, v8, s[18:19] offset:1536
.LBB462_11:
	s_or_b64 exec, exec, s[6:7]
	v_or_b32_e32 v1, 0x400, v0
	v_cmp_gt_u32_e64 s[6:7], s14, v1
                                        ; implicit-def: $vgpr6
	s_and_saveexec_b64 s[8:9], s[6:7]
	s_cbranch_execz .LBB462_13
; %bb.12:
	global_load_ushort v6, v8, s[18:19] offset:2048
.LBB462_13:
	s_or_b64 exec, exec, s[8:9]
	v_or_b32_e32 v1, 0x500, v0
	v_cmp_gt_u32_e64 s[8:9], s14, v1
                                        ; implicit-def: $vgpr7
	s_and_saveexec_b64 s[10:11], s[8:9]
	s_cbranch_execz .LBB462_15
; %bb.14:
	global_load_ushort v7, v8, s[18:19] offset:2560
.LBB462_15:
	s_or_b64 exec, exec, s[10:11]
	v_or_b32_e32 v1, 0x600, v0
	v_cmp_gt_u32_e64 s[10:11], s14, v1
                                        ; implicit-def: $vgpr9
	s_and_saveexec_b64 s[12:13], s[10:11]
	s_cbranch_execz .LBB462_17
; %bb.16:
	global_load_ushort v9, v8, s[18:19] offset:3072
.LBB462_17:
	s_or_b64 exec, exec, s[12:13]
	v_or_b32_e32 v1, 0x700, v0
	v_cmp_gt_u32_e64 s[12:13], s14, v1
	v_cmp_le_u32_e64 s[14:15], s14, v1
	s_and_saveexec_b64 s[22:23], s[14:15]
	s_xor_b64 s[14:15], exec, s[22:23]
; %bb.18:
	v_mov_b32_e32 v1, 0
                                        ; implicit-def: $vgpr8
; %bb.19:
	s_or_saveexec_b64 s[14:15], s[14:15]
                                        ; implicit-def: $vgpr10
	s_xor_b64 exec, exec, s[14:15]
	s_cbranch_execz .LBB462_21
; %bb.20:
	global_load_ushort v10, v8, s[18:19] offset:3584
	v_mov_b32_e32 v1, 0
.LBB462_21:
	s_or_b64 exec, exec, s[14:15]
	s_add_u32 s14, s20, s16
	s_addc_u32 s15, s21, s17
	v_lshl_add_u64 v[0:1], v[0:1], 1, s[14:15]
	s_and_saveexec_b64 s[14:15], vcc
	s_xor_b64 s[14:15], exec, s[14:15]
	s_cbranch_execnz .LBB462_31
; %bb.22:
	s_or_b64 exec, exec, s[14:15]
	s_and_saveexec_b64 s[14:15], s[0:1]
	s_cbranch_execnz .LBB462_32
.LBB462_23:
	s_or_b64 exec, exec, s[14:15]
	s_and_saveexec_b64 s[0:1], s[2:3]
	s_cbranch_execnz .LBB462_33
.LBB462_24:
	s_or_b64 exec, exec, s[0:1]
	s_and_saveexec_b64 s[0:1], s[4:5]
	s_cbranch_execnz .LBB462_34
.LBB462_25:
	s_or_b64 exec, exec, s[0:1]
	s_and_saveexec_b64 s[0:1], s[6:7]
	s_cbranch_execnz .LBB462_35
.LBB462_26:
	s_or_b64 exec, exec, s[0:1]
	s_and_saveexec_b64 s[0:1], s[8:9]
	s_cbranch_execnz .LBB462_36
.LBB462_27:
	s_or_b64 exec, exec, s[0:1]
	s_and_saveexec_b64 s[0:1], s[10:11]
	s_cbranch_execnz .LBB462_37
.LBB462_28:
	s_or_b64 exec, exec, s[0:1]
	s_and_saveexec_b64 s[0:1], s[12:13]
	s_cbranch_execz .LBB462_30
.LBB462_29:
	s_waitcnt vmcnt(0)
	global_store_short v[0:1], v10, off offset:3584
.LBB462_30:
	s_endpgm
.LBB462_31:
	s_waitcnt vmcnt(0)
	global_store_short v[0:1], v2, off
	s_or_b64 exec, exec, s[14:15]
	s_and_saveexec_b64 s[14:15], s[0:1]
	s_cbranch_execz .LBB462_23
.LBB462_32:
	s_waitcnt vmcnt(0)
	global_store_short v[0:1], v3, off offset:512
	s_or_b64 exec, exec, s[14:15]
	s_and_saveexec_b64 s[0:1], s[2:3]
	s_cbranch_execz .LBB462_24
.LBB462_33:
	s_waitcnt vmcnt(0)
	global_store_short v[0:1], v4, off offset:1024
	s_or_b64 exec, exec, s[0:1]
	s_and_saveexec_b64 s[0:1], s[4:5]
	s_cbranch_execz .LBB462_25
.LBB462_34:
	s_waitcnt vmcnt(0)
	global_store_short v[0:1], v5, off offset:1536
	s_or_b64 exec, exec, s[0:1]
	s_and_saveexec_b64 s[0:1], s[6:7]
	s_cbranch_execz .LBB462_26
.LBB462_35:
	s_waitcnt vmcnt(0)
	global_store_short v[0:1], v6, off offset:2048
	s_or_b64 exec, exec, s[0:1]
	s_and_saveexec_b64 s[0:1], s[8:9]
	s_cbranch_execz .LBB462_27
.LBB462_36:
	s_waitcnt vmcnt(0)
	global_store_short v[0:1], v7, off offset:2560
	s_or_b64 exec, exec, s[0:1]
	s_and_saveexec_b64 s[0:1], s[10:11]
	s_cbranch_execz .LBB462_28
.LBB462_37:
	s_waitcnt vmcnt(0)
	global_store_short v[0:1], v9, off offset:3072
	s_or_b64 exec, exec, s[0:1]
	s_and_saveexec_b64 s[0:1], s[12:13]
	s_cbranch_execnz .LBB462_29
	s_branch .LBB462_30
	.section	.rodata,"a",@progbits
	.p2align	6, 0x0
	.amdhsa_kernel _ZN7rocprim17ROCPRIM_400000_NS6detail17trampoline_kernelINS0_14default_configENS1_25transform_config_selectorIN3c108BFloat16ELb1EEEZNS1_14transform_implILb1ES3_S7_PS6_S9_NS0_8identityIS6_EEEE10hipError_tT2_T3_mT4_P12ihipStream_tbEUlT_E_NS1_11comp_targetILNS1_3genE5ELNS1_11target_archE942ELNS1_3gpuE9ELNS1_3repE0EEENS1_30default_config_static_selectorELNS0_4arch9wavefront6targetE1EEEvT1_
		.amdhsa_group_segment_fixed_size 0
		.amdhsa_private_segment_fixed_size 0
		.amdhsa_kernarg_size 296
		.amdhsa_user_sgpr_count 2
		.amdhsa_user_sgpr_dispatch_ptr 0
		.amdhsa_user_sgpr_queue_ptr 0
		.amdhsa_user_sgpr_kernarg_segment_ptr 1
		.amdhsa_user_sgpr_dispatch_id 0
		.amdhsa_user_sgpr_kernarg_preload_length 0
		.amdhsa_user_sgpr_kernarg_preload_offset 0
		.amdhsa_user_sgpr_private_segment_size 0
		.amdhsa_uses_dynamic_stack 0
		.amdhsa_enable_private_segment 0
		.amdhsa_system_sgpr_workgroup_id_x 1
		.amdhsa_system_sgpr_workgroup_id_y 0
		.amdhsa_system_sgpr_workgroup_id_z 0
		.amdhsa_system_sgpr_workgroup_info 0
		.amdhsa_system_vgpr_workitem_id 0
		.amdhsa_next_free_vgpr 11
		.amdhsa_next_free_sgpr 24
		.amdhsa_accum_offset 12
		.amdhsa_reserve_vcc 1
		.amdhsa_float_round_mode_32 0
		.amdhsa_float_round_mode_16_64 0
		.amdhsa_float_denorm_mode_32 3
		.amdhsa_float_denorm_mode_16_64 3
		.amdhsa_dx10_clamp 1
		.amdhsa_ieee_mode 1
		.amdhsa_fp16_overflow 0
		.amdhsa_tg_split 0
		.amdhsa_exception_fp_ieee_invalid_op 0
		.amdhsa_exception_fp_denorm_src 0
		.amdhsa_exception_fp_ieee_div_zero 0
		.amdhsa_exception_fp_ieee_overflow 0
		.amdhsa_exception_fp_ieee_underflow 0
		.amdhsa_exception_fp_ieee_inexact 0
		.amdhsa_exception_int_div_zero 0
	.end_amdhsa_kernel
	.section	.text._ZN7rocprim17ROCPRIM_400000_NS6detail17trampoline_kernelINS0_14default_configENS1_25transform_config_selectorIN3c108BFloat16ELb1EEEZNS1_14transform_implILb1ES3_S7_PS6_S9_NS0_8identityIS6_EEEE10hipError_tT2_T3_mT4_P12ihipStream_tbEUlT_E_NS1_11comp_targetILNS1_3genE5ELNS1_11target_archE942ELNS1_3gpuE9ELNS1_3repE0EEENS1_30default_config_static_selectorELNS0_4arch9wavefront6targetE1EEEvT1_,"axG",@progbits,_ZN7rocprim17ROCPRIM_400000_NS6detail17trampoline_kernelINS0_14default_configENS1_25transform_config_selectorIN3c108BFloat16ELb1EEEZNS1_14transform_implILb1ES3_S7_PS6_S9_NS0_8identityIS6_EEEE10hipError_tT2_T3_mT4_P12ihipStream_tbEUlT_E_NS1_11comp_targetILNS1_3genE5ELNS1_11target_archE942ELNS1_3gpuE9ELNS1_3repE0EEENS1_30default_config_static_selectorELNS0_4arch9wavefront6targetE1EEEvT1_,comdat
.Lfunc_end462:
	.size	_ZN7rocprim17ROCPRIM_400000_NS6detail17trampoline_kernelINS0_14default_configENS1_25transform_config_selectorIN3c108BFloat16ELb1EEEZNS1_14transform_implILb1ES3_S7_PS6_S9_NS0_8identityIS6_EEEE10hipError_tT2_T3_mT4_P12ihipStream_tbEUlT_E_NS1_11comp_targetILNS1_3genE5ELNS1_11target_archE942ELNS1_3gpuE9ELNS1_3repE0EEENS1_30default_config_static_selectorELNS0_4arch9wavefront6targetE1EEEvT1_, .Lfunc_end462-_ZN7rocprim17ROCPRIM_400000_NS6detail17trampoline_kernelINS0_14default_configENS1_25transform_config_selectorIN3c108BFloat16ELb1EEEZNS1_14transform_implILb1ES3_S7_PS6_S9_NS0_8identityIS6_EEEE10hipError_tT2_T3_mT4_P12ihipStream_tbEUlT_E_NS1_11comp_targetILNS1_3genE5ELNS1_11target_archE942ELNS1_3gpuE9ELNS1_3repE0EEENS1_30default_config_static_selectorELNS0_4arch9wavefront6targetE1EEEvT1_
                                        ; -- End function
	.section	.AMDGPU.csdata,"",@progbits
; Kernel info:
; codeLenInByte = 732
; NumSgprs: 30
; NumVgprs: 11
; NumAgprs: 0
; TotalNumVgprs: 11
; ScratchSize: 0
; MemoryBound: 1
; FloatMode: 240
; IeeeMode: 1
; LDSByteSize: 0 bytes/workgroup (compile time only)
; SGPRBlocks: 3
; VGPRBlocks: 1
; NumSGPRsForWavesPerEU: 30
; NumVGPRsForWavesPerEU: 11
; AccumOffset: 12
; Occupancy: 8
; WaveLimiterHint : 0
; COMPUTE_PGM_RSRC2:SCRATCH_EN: 0
; COMPUTE_PGM_RSRC2:USER_SGPR: 2
; COMPUTE_PGM_RSRC2:TRAP_HANDLER: 0
; COMPUTE_PGM_RSRC2:TGID_X_EN: 1
; COMPUTE_PGM_RSRC2:TGID_Y_EN: 0
; COMPUTE_PGM_RSRC2:TGID_Z_EN: 0
; COMPUTE_PGM_RSRC2:TIDIG_COMP_CNT: 0
; COMPUTE_PGM_RSRC3_GFX90A:ACCUM_OFFSET: 2
; COMPUTE_PGM_RSRC3_GFX90A:TG_SPLIT: 0
	.section	.text._ZN7rocprim17ROCPRIM_400000_NS6detail17trampoline_kernelINS0_14default_configENS1_25transform_config_selectorIN3c108BFloat16ELb1EEEZNS1_14transform_implILb1ES3_S7_PS6_S9_NS0_8identityIS6_EEEE10hipError_tT2_T3_mT4_P12ihipStream_tbEUlT_E_NS1_11comp_targetILNS1_3genE4ELNS1_11target_archE910ELNS1_3gpuE8ELNS1_3repE0EEENS1_30default_config_static_selectorELNS0_4arch9wavefront6targetE1EEEvT1_,"axG",@progbits,_ZN7rocprim17ROCPRIM_400000_NS6detail17trampoline_kernelINS0_14default_configENS1_25transform_config_selectorIN3c108BFloat16ELb1EEEZNS1_14transform_implILb1ES3_S7_PS6_S9_NS0_8identityIS6_EEEE10hipError_tT2_T3_mT4_P12ihipStream_tbEUlT_E_NS1_11comp_targetILNS1_3genE4ELNS1_11target_archE910ELNS1_3gpuE8ELNS1_3repE0EEENS1_30default_config_static_selectorELNS0_4arch9wavefront6targetE1EEEvT1_,comdat
	.protected	_ZN7rocprim17ROCPRIM_400000_NS6detail17trampoline_kernelINS0_14default_configENS1_25transform_config_selectorIN3c108BFloat16ELb1EEEZNS1_14transform_implILb1ES3_S7_PS6_S9_NS0_8identityIS6_EEEE10hipError_tT2_T3_mT4_P12ihipStream_tbEUlT_E_NS1_11comp_targetILNS1_3genE4ELNS1_11target_archE910ELNS1_3gpuE8ELNS1_3repE0EEENS1_30default_config_static_selectorELNS0_4arch9wavefront6targetE1EEEvT1_ ; -- Begin function _ZN7rocprim17ROCPRIM_400000_NS6detail17trampoline_kernelINS0_14default_configENS1_25transform_config_selectorIN3c108BFloat16ELb1EEEZNS1_14transform_implILb1ES3_S7_PS6_S9_NS0_8identityIS6_EEEE10hipError_tT2_T3_mT4_P12ihipStream_tbEUlT_E_NS1_11comp_targetILNS1_3genE4ELNS1_11target_archE910ELNS1_3gpuE8ELNS1_3repE0EEENS1_30default_config_static_selectorELNS0_4arch9wavefront6targetE1EEEvT1_
	.globl	_ZN7rocprim17ROCPRIM_400000_NS6detail17trampoline_kernelINS0_14default_configENS1_25transform_config_selectorIN3c108BFloat16ELb1EEEZNS1_14transform_implILb1ES3_S7_PS6_S9_NS0_8identityIS6_EEEE10hipError_tT2_T3_mT4_P12ihipStream_tbEUlT_E_NS1_11comp_targetILNS1_3genE4ELNS1_11target_archE910ELNS1_3gpuE8ELNS1_3repE0EEENS1_30default_config_static_selectorELNS0_4arch9wavefront6targetE1EEEvT1_
	.p2align	8
	.type	_ZN7rocprim17ROCPRIM_400000_NS6detail17trampoline_kernelINS0_14default_configENS1_25transform_config_selectorIN3c108BFloat16ELb1EEEZNS1_14transform_implILb1ES3_S7_PS6_S9_NS0_8identityIS6_EEEE10hipError_tT2_T3_mT4_P12ihipStream_tbEUlT_E_NS1_11comp_targetILNS1_3genE4ELNS1_11target_archE910ELNS1_3gpuE8ELNS1_3repE0EEENS1_30default_config_static_selectorELNS0_4arch9wavefront6targetE1EEEvT1_,@function
_ZN7rocprim17ROCPRIM_400000_NS6detail17trampoline_kernelINS0_14default_configENS1_25transform_config_selectorIN3c108BFloat16ELb1EEEZNS1_14transform_implILb1ES3_S7_PS6_S9_NS0_8identityIS6_EEEE10hipError_tT2_T3_mT4_P12ihipStream_tbEUlT_E_NS1_11comp_targetILNS1_3genE4ELNS1_11target_archE910ELNS1_3gpuE8ELNS1_3repE0EEENS1_30default_config_static_selectorELNS0_4arch9wavefront6targetE1EEEvT1_: ; @_ZN7rocprim17ROCPRIM_400000_NS6detail17trampoline_kernelINS0_14default_configENS1_25transform_config_selectorIN3c108BFloat16ELb1EEEZNS1_14transform_implILb1ES3_S7_PS6_S9_NS0_8identityIS6_EEEE10hipError_tT2_T3_mT4_P12ihipStream_tbEUlT_E_NS1_11comp_targetILNS1_3genE4ELNS1_11target_archE910ELNS1_3gpuE8ELNS1_3repE0EEENS1_30default_config_static_selectorELNS0_4arch9wavefront6targetE1EEEvT1_
; %bb.0:
	.section	.rodata,"a",@progbits
	.p2align	6, 0x0
	.amdhsa_kernel _ZN7rocprim17ROCPRIM_400000_NS6detail17trampoline_kernelINS0_14default_configENS1_25transform_config_selectorIN3c108BFloat16ELb1EEEZNS1_14transform_implILb1ES3_S7_PS6_S9_NS0_8identityIS6_EEEE10hipError_tT2_T3_mT4_P12ihipStream_tbEUlT_E_NS1_11comp_targetILNS1_3genE4ELNS1_11target_archE910ELNS1_3gpuE8ELNS1_3repE0EEENS1_30default_config_static_selectorELNS0_4arch9wavefront6targetE1EEEvT1_
		.amdhsa_group_segment_fixed_size 0
		.amdhsa_private_segment_fixed_size 0
		.amdhsa_kernarg_size 40
		.amdhsa_user_sgpr_count 2
		.amdhsa_user_sgpr_dispatch_ptr 0
		.amdhsa_user_sgpr_queue_ptr 0
		.amdhsa_user_sgpr_kernarg_segment_ptr 1
		.amdhsa_user_sgpr_dispatch_id 0
		.amdhsa_user_sgpr_kernarg_preload_length 0
		.amdhsa_user_sgpr_kernarg_preload_offset 0
		.amdhsa_user_sgpr_private_segment_size 0
		.amdhsa_uses_dynamic_stack 0
		.amdhsa_enable_private_segment 0
		.amdhsa_system_sgpr_workgroup_id_x 1
		.amdhsa_system_sgpr_workgroup_id_y 0
		.amdhsa_system_sgpr_workgroup_id_z 0
		.amdhsa_system_sgpr_workgroup_info 0
		.amdhsa_system_vgpr_workitem_id 0
		.amdhsa_next_free_vgpr 1
		.amdhsa_next_free_sgpr 0
		.amdhsa_accum_offset 4
		.amdhsa_reserve_vcc 0
		.amdhsa_float_round_mode_32 0
		.amdhsa_float_round_mode_16_64 0
		.amdhsa_float_denorm_mode_32 3
		.amdhsa_float_denorm_mode_16_64 3
		.amdhsa_dx10_clamp 1
		.amdhsa_ieee_mode 1
		.amdhsa_fp16_overflow 0
		.amdhsa_tg_split 0
		.amdhsa_exception_fp_ieee_invalid_op 0
		.amdhsa_exception_fp_denorm_src 0
		.amdhsa_exception_fp_ieee_div_zero 0
		.amdhsa_exception_fp_ieee_overflow 0
		.amdhsa_exception_fp_ieee_underflow 0
		.amdhsa_exception_fp_ieee_inexact 0
		.amdhsa_exception_int_div_zero 0
	.end_amdhsa_kernel
	.section	.text._ZN7rocprim17ROCPRIM_400000_NS6detail17trampoline_kernelINS0_14default_configENS1_25transform_config_selectorIN3c108BFloat16ELb1EEEZNS1_14transform_implILb1ES3_S7_PS6_S9_NS0_8identityIS6_EEEE10hipError_tT2_T3_mT4_P12ihipStream_tbEUlT_E_NS1_11comp_targetILNS1_3genE4ELNS1_11target_archE910ELNS1_3gpuE8ELNS1_3repE0EEENS1_30default_config_static_selectorELNS0_4arch9wavefront6targetE1EEEvT1_,"axG",@progbits,_ZN7rocprim17ROCPRIM_400000_NS6detail17trampoline_kernelINS0_14default_configENS1_25transform_config_selectorIN3c108BFloat16ELb1EEEZNS1_14transform_implILb1ES3_S7_PS6_S9_NS0_8identityIS6_EEEE10hipError_tT2_T3_mT4_P12ihipStream_tbEUlT_E_NS1_11comp_targetILNS1_3genE4ELNS1_11target_archE910ELNS1_3gpuE8ELNS1_3repE0EEENS1_30default_config_static_selectorELNS0_4arch9wavefront6targetE1EEEvT1_,comdat
.Lfunc_end463:
	.size	_ZN7rocprim17ROCPRIM_400000_NS6detail17trampoline_kernelINS0_14default_configENS1_25transform_config_selectorIN3c108BFloat16ELb1EEEZNS1_14transform_implILb1ES3_S7_PS6_S9_NS0_8identityIS6_EEEE10hipError_tT2_T3_mT4_P12ihipStream_tbEUlT_E_NS1_11comp_targetILNS1_3genE4ELNS1_11target_archE910ELNS1_3gpuE8ELNS1_3repE0EEENS1_30default_config_static_selectorELNS0_4arch9wavefront6targetE1EEEvT1_, .Lfunc_end463-_ZN7rocprim17ROCPRIM_400000_NS6detail17trampoline_kernelINS0_14default_configENS1_25transform_config_selectorIN3c108BFloat16ELb1EEEZNS1_14transform_implILb1ES3_S7_PS6_S9_NS0_8identityIS6_EEEE10hipError_tT2_T3_mT4_P12ihipStream_tbEUlT_E_NS1_11comp_targetILNS1_3genE4ELNS1_11target_archE910ELNS1_3gpuE8ELNS1_3repE0EEENS1_30default_config_static_selectorELNS0_4arch9wavefront6targetE1EEEvT1_
                                        ; -- End function
	.section	.AMDGPU.csdata,"",@progbits
; Kernel info:
; codeLenInByte = 0
; NumSgprs: 6
; NumVgprs: 0
; NumAgprs: 0
; TotalNumVgprs: 0
; ScratchSize: 0
; MemoryBound: 0
; FloatMode: 240
; IeeeMode: 1
; LDSByteSize: 0 bytes/workgroup (compile time only)
; SGPRBlocks: 0
; VGPRBlocks: 0
; NumSGPRsForWavesPerEU: 6
; NumVGPRsForWavesPerEU: 1
; AccumOffset: 4
; Occupancy: 8
; WaveLimiterHint : 0
; COMPUTE_PGM_RSRC2:SCRATCH_EN: 0
; COMPUTE_PGM_RSRC2:USER_SGPR: 2
; COMPUTE_PGM_RSRC2:TRAP_HANDLER: 0
; COMPUTE_PGM_RSRC2:TGID_X_EN: 1
; COMPUTE_PGM_RSRC2:TGID_Y_EN: 0
; COMPUTE_PGM_RSRC2:TGID_Z_EN: 0
; COMPUTE_PGM_RSRC2:TIDIG_COMP_CNT: 0
; COMPUTE_PGM_RSRC3_GFX90A:ACCUM_OFFSET: 0
; COMPUTE_PGM_RSRC3_GFX90A:TG_SPLIT: 0
	.section	.text._ZN7rocprim17ROCPRIM_400000_NS6detail17trampoline_kernelINS0_14default_configENS1_25transform_config_selectorIN3c108BFloat16ELb1EEEZNS1_14transform_implILb1ES3_S7_PS6_S9_NS0_8identityIS6_EEEE10hipError_tT2_T3_mT4_P12ihipStream_tbEUlT_E_NS1_11comp_targetILNS1_3genE3ELNS1_11target_archE908ELNS1_3gpuE7ELNS1_3repE0EEENS1_30default_config_static_selectorELNS0_4arch9wavefront6targetE1EEEvT1_,"axG",@progbits,_ZN7rocprim17ROCPRIM_400000_NS6detail17trampoline_kernelINS0_14default_configENS1_25transform_config_selectorIN3c108BFloat16ELb1EEEZNS1_14transform_implILb1ES3_S7_PS6_S9_NS0_8identityIS6_EEEE10hipError_tT2_T3_mT4_P12ihipStream_tbEUlT_E_NS1_11comp_targetILNS1_3genE3ELNS1_11target_archE908ELNS1_3gpuE7ELNS1_3repE0EEENS1_30default_config_static_selectorELNS0_4arch9wavefront6targetE1EEEvT1_,comdat
	.protected	_ZN7rocprim17ROCPRIM_400000_NS6detail17trampoline_kernelINS0_14default_configENS1_25transform_config_selectorIN3c108BFloat16ELb1EEEZNS1_14transform_implILb1ES3_S7_PS6_S9_NS0_8identityIS6_EEEE10hipError_tT2_T3_mT4_P12ihipStream_tbEUlT_E_NS1_11comp_targetILNS1_3genE3ELNS1_11target_archE908ELNS1_3gpuE7ELNS1_3repE0EEENS1_30default_config_static_selectorELNS0_4arch9wavefront6targetE1EEEvT1_ ; -- Begin function _ZN7rocprim17ROCPRIM_400000_NS6detail17trampoline_kernelINS0_14default_configENS1_25transform_config_selectorIN3c108BFloat16ELb1EEEZNS1_14transform_implILb1ES3_S7_PS6_S9_NS0_8identityIS6_EEEE10hipError_tT2_T3_mT4_P12ihipStream_tbEUlT_E_NS1_11comp_targetILNS1_3genE3ELNS1_11target_archE908ELNS1_3gpuE7ELNS1_3repE0EEENS1_30default_config_static_selectorELNS0_4arch9wavefront6targetE1EEEvT1_
	.globl	_ZN7rocprim17ROCPRIM_400000_NS6detail17trampoline_kernelINS0_14default_configENS1_25transform_config_selectorIN3c108BFloat16ELb1EEEZNS1_14transform_implILb1ES3_S7_PS6_S9_NS0_8identityIS6_EEEE10hipError_tT2_T3_mT4_P12ihipStream_tbEUlT_E_NS1_11comp_targetILNS1_3genE3ELNS1_11target_archE908ELNS1_3gpuE7ELNS1_3repE0EEENS1_30default_config_static_selectorELNS0_4arch9wavefront6targetE1EEEvT1_
	.p2align	8
	.type	_ZN7rocprim17ROCPRIM_400000_NS6detail17trampoline_kernelINS0_14default_configENS1_25transform_config_selectorIN3c108BFloat16ELb1EEEZNS1_14transform_implILb1ES3_S7_PS6_S9_NS0_8identityIS6_EEEE10hipError_tT2_T3_mT4_P12ihipStream_tbEUlT_E_NS1_11comp_targetILNS1_3genE3ELNS1_11target_archE908ELNS1_3gpuE7ELNS1_3repE0EEENS1_30default_config_static_selectorELNS0_4arch9wavefront6targetE1EEEvT1_,@function
_ZN7rocprim17ROCPRIM_400000_NS6detail17trampoline_kernelINS0_14default_configENS1_25transform_config_selectorIN3c108BFloat16ELb1EEEZNS1_14transform_implILb1ES3_S7_PS6_S9_NS0_8identityIS6_EEEE10hipError_tT2_T3_mT4_P12ihipStream_tbEUlT_E_NS1_11comp_targetILNS1_3genE3ELNS1_11target_archE908ELNS1_3gpuE7ELNS1_3repE0EEENS1_30default_config_static_selectorELNS0_4arch9wavefront6targetE1EEEvT1_: ; @_ZN7rocprim17ROCPRIM_400000_NS6detail17trampoline_kernelINS0_14default_configENS1_25transform_config_selectorIN3c108BFloat16ELb1EEEZNS1_14transform_implILb1ES3_S7_PS6_S9_NS0_8identityIS6_EEEE10hipError_tT2_T3_mT4_P12ihipStream_tbEUlT_E_NS1_11comp_targetILNS1_3genE3ELNS1_11target_archE908ELNS1_3gpuE7ELNS1_3repE0EEENS1_30default_config_static_selectorELNS0_4arch9wavefront6targetE1EEEvT1_
; %bb.0:
	.section	.rodata,"a",@progbits
	.p2align	6, 0x0
	.amdhsa_kernel _ZN7rocprim17ROCPRIM_400000_NS6detail17trampoline_kernelINS0_14default_configENS1_25transform_config_selectorIN3c108BFloat16ELb1EEEZNS1_14transform_implILb1ES3_S7_PS6_S9_NS0_8identityIS6_EEEE10hipError_tT2_T3_mT4_P12ihipStream_tbEUlT_E_NS1_11comp_targetILNS1_3genE3ELNS1_11target_archE908ELNS1_3gpuE7ELNS1_3repE0EEENS1_30default_config_static_selectorELNS0_4arch9wavefront6targetE1EEEvT1_
		.amdhsa_group_segment_fixed_size 0
		.amdhsa_private_segment_fixed_size 0
		.amdhsa_kernarg_size 40
		.amdhsa_user_sgpr_count 2
		.amdhsa_user_sgpr_dispatch_ptr 0
		.amdhsa_user_sgpr_queue_ptr 0
		.amdhsa_user_sgpr_kernarg_segment_ptr 1
		.amdhsa_user_sgpr_dispatch_id 0
		.amdhsa_user_sgpr_kernarg_preload_length 0
		.amdhsa_user_sgpr_kernarg_preload_offset 0
		.amdhsa_user_sgpr_private_segment_size 0
		.amdhsa_uses_dynamic_stack 0
		.amdhsa_enable_private_segment 0
		.amdhsa_system_sgpr_workgroup_id_x 1
		.amdhsa_system_sgpr_workgroup_id_y 0
		.amdhsa_system_sgpr_workgroup_id_z 0
		.amdhsa_system_sgpr_workgroup_info 0
		.amdhsa_system_vgpr_workitem_id 0
		.amdhsa_next_free_vgpr 1
		.amdhsa_next_free_sgpr 0
		.amdhsa_accum_offset 4
		.amdhsa_reserve_vcc 0
		.amdhsa_float_round_mode_32 0
		.amdhsa_float_round_mode_16_64 0
		.amdhsa_float_denorm_mode_32 3
		.amdhsa_float_denorm_mode_16_64 3
		.amdhsa_dx10_clamp 1
		.amdhsa_ieee_mode 1
		.amdhsa_fp16_overflow 0
		.amdhsa_tg_split 0
		.amdhsa_exception_fp_ieee_invalid_op 0
		.amdhsa_exception_fp_denorm_src 0
		.amdhsa_exception_fp_ieee_div_zero 0
		.amdhsa_exception_fp_ieee_overflow 0
		.amdhsa_exception_fp_ieee_underflow 0
		.amdhsa_exception_fp_ieee_inexact 0
		.amdhsa_exception_int_div_zero 0
	.end_amdhsa_kernel
	.section	.text._ZN7rocprim17ROCPRIM_400000_NS6detail17trampoline_kernelINS0_14default_configENS1_25transform_config_selectorIN3c108BFloat16ELb1EEEZNS1_14transform_implILb1ES3_S7_PS6_S9_NS0_8identityIS6_EEEE10hipError_tT2_T3_mT4_P12ihipStream_tbEUlT_E_NS1_11comp_targetILNS1_3genE3ELNS1_11target_archE908ELNS1_3gpuE7ELNS1_3repE0EEENS1_30default_config_static_selectorELNS0_4arch9wavefront6targetE1EEEvT1_,"axG",@progbits,_ZN7rocprim17ROCPRIM_400000_NS6detail17trampoline_kernelINS0_14default_configENS1_25transform_config_selectorIN3c108BFloat16ELb1EEEZNS1_14transform_implILb1ES3_S7_PS6_S9_NS0_8identityIS6_EEEE10hipError_tT2_T3_mT4_P12ihipStream_tbEUlT_E_NS1_11comp_targetILNS1_3genE3ELNS1_11target_archE908ELNS1_3gpuE7ELNS1_3repE0EEENS1_30default_config_static_selectorELNS0_4arch9wavefront6targetE1EEEvT1_,comdat
.Lfunc_end464:
	.size	_ZN7rocprim17ROCPRIM_400000_NS6detail17trampoline_kernelINS0_14default_configENS1_25transform_config_selectorIN3c108BFloat16ELb1EEEZNS1_14transform_implILb1ES3_S7_PS6_S9_NS0_8identityIS6_EEEE10hipError_tT2_T3_mT4_P12ihipStream_tbEUlT_E_NS1_11comp_targetILNS1_3genE3ELNS1_11target_archE908ELNS1_3gpuE7ELNS1_3repE0EEENS1_30default_config_static_selectorELNS0_4arch9wavefront6targetE1EEEvT1_, .Lfunc_end464-_ZN7rocprim17ROCPRIM_400000_NS6detail17trampoline_kernelINS0_14default_configENS1_25transform_config_selectorIN3c108BFloat16ELb1EEEZNS1_14transform_implILb1ES3_S7_PS6_S9_NS0_8identityIS6_EEEE10hipError_tT2_T3_mT4_P12ihipStream_tbEUlT_E_NS1_11comp_targetILNS1_3genE3ELNS1_11target_archE908ELNS1_3gpuE7ELNS1_3repE0EEENS1_30default_config_static_selectorELNS0_4arch9wavefront6targetE1EEEvT1_
                                        ; -- End function
	.section	.AMDGPU.csdata,"",@progbits
; Kernel info:
; codeLenInByte = 0
; NumSgprs: 6
; NumVgprs: 0
; NumAgprs: 0
; TotalNumVgprs: 0
; ScratchSize: 0
; MemoryBound: 0
; FloatMode: 240
; IeeeMode: 1
; LDSByteSize: 0 bytes/workgroup (compile time only)
; SGPRBlocks: 0
; VGPRBlocks: 0
; NumSGPRsForWavesPerEU: 6
; NumVGPRsForWavesPerEU: 1
; AccumOffset: 4
; Occupancy: 8
; WaveLimiterHint : 0
; COMPUTE_PGM_RSRC2:SCRATCH_EN: 0
; COMPUTE_PGM_RSRC2:USER_SGPR: 2
; COMPUTE_PGM_RSRC2:TRAP_HANDLER: 0
; COMPUTE_PGM_RSRC2:TGID_X_EN: 1
; COMPUTE_PGM_RSRC2:TGID_Y_EN: 0
; COMPUTE_PGM_RSRC2:TGID_Z_EN: 0
; COMPUTE_PGM_RSRC2:TIDIG_COMP_CNT: 0
; COMPUTE_PGM_RSRC3_GFX90A:ACCUM_OFFSET: 0
; COMPUTE_PGM_RSRC3_GFX90A:TG_SPLIT: 0
	.section	.text._ZN7rocprim17ROCPRIM_400000_NS6detail17trampoline_kernelINS0_14default_configENS1_25transform_config_selectorIN3c108BFloat16ELb1EEEZNS1_14transform_implILb1ES3_S7_PS6_S9_NS0_8identityIS6_EEEE10hipError_tT2_T3_mT4_P12ihipStream_tbEUlT_E_NS1_11comp_targetILNS1_3genE2ELNS1_11target_archE906ELNS1_3gpuE6ELNS1_3repE0EEENS1_30default_config_static_selectorELNS0_4arch9wavefront6targetE1EEEvT1_,"axG",@progbits,_ZN7rocprim17ROCPRIM_400000_NS6detail17trampoline_kernelINS0_14default_configENS1_25transform_config_selectorIN3c108BFloat16ELb1EEEZNS1_14transform_implILb1ES3_S7_PS6_S9_NS0_8identityIS6_EEEE10hipError_tT2_T3_mT4_P12ihipStream_tbEUlT_E_NS1_11comp_targetILNS1_3genE2ELNS1_11target_archE906ELNS1_3gpuE6ELNS1_3repE0EEENS1_30default_config_static_selectorELNS0_4arch9wavefront6targetE1EEEvT1_,comdat
	.protected	_ZN7rocprim17ROCPRIM_400000_NS6detail17trampoline_kernelINS0_14default_configENS1_25transform_config_selectorIN3c108BFloat16ELb1EEEZNS1_14transform_implILb1ES3_S7_PS6_S9_NS0_8identityIS6_EEEE10hipError_tT2_T3_mT4_P12ihipStream_tbEUlT_E_NS1_11comp_targetILNS1_3genE2ELNS1_11target_archE906ELNS1_3gpuE6ELNS1_3repE0EEENS1_30default_config_static_selectorELNS0_4arch9wavefront6targetE1EEEvT1_ ; -- Begin function _ZN7rocprim17ROCPRIM_400000_NS6detail17trampoline_kernelINS0_14default_configENS1_25transform_config_selectorIN3c108BFloat16ELb1EEEZNS1_14transform_implILb1ES3_S7_PS6_S9_NS0_8identityIS6_EEEE10hipError_tT2_T3_mT4_P12ihipStream_tbEUlT_E_NS1_11comp_targetILNS1_3genE2ELNS1_11target_archE906ELNS1_3gpuE6ELNS1_3repE0EEENS1_30default_config_static_selectorELNS0_4arch9wavefront6targetE1EEEvT1_
	.globl	_ZN7rocprim17ROCPRIM_400000_NS6detail17trampoline_kernelINS0_14default_configENS1_25transform_config_selectorIN3c108BFloat16ELb1EEEZNS1_14transform_implILb1ES3_S7_PS6_S9_NS0_8identityIS6_EEEE10hipError_tT2_T3_mT4_P12ihipStream_tbEUlT_E_NS1_11comp_targetILNS1_3genE2ELNS1_11target_archE906ELNS1_3gpuE6ELNS1_3repE0EEENS1_30default_config_static_selectorELNS0_4arch9wavefront6targetE1EEEvT1_
	.p2align	8
	.type	_ZN7rocprim17ROCPRIM_400000_NS6detail17trampoline_kernelINS0_14default_configENS1_25transform_config_selectorIN3c108BFloat16ELb1EEEZNS1_14transform_implILb1ES3_S7_PS6_S9_NS0_8identityIS6_EEEE10hipError_tT2_T3_mT4_P12ihipStream_tbEUlT_E_NS1_11comp_targetILNS1_3genE2ELNS1_11target_archE906ELNS1_3gpuE6ELNS1_3repE0EEENS1_30default_config_static_selectorELNS0_4arch9wavefront6targetE1EEEvT1_,@function
_ZN7rocprim17ROCPRIM_400000_NS6detail17trampoline_kernelINS0_14default_configENS1_25transform_config_selectorIN3c108BFloat16ELb1EEEZNS1_14transform_implILb1ES3_S7_PS6_S9_NS0_8identityIS6_EEEE10hipError_tT2_T3_mT4_P12ihipStream_tbEUlT_E_NS1_11comp_targetILNS1_3genE2ELNS1_11target_archE906ELNS1_3gpuE6ELNS1_3repE0EEENS1_30default_config_static_selectorELNS0_4arch9wavefront6targetE1EEEvT1_: ; @_ZN7rocprim17ROCPRIM_400000_NS6detail17trampoline_kernelINS0_14default_configENS1_25transform_config_selectorIN3c108BFloat16ELb1EEEZNS1_14transform_implILb1ES3_S7_PS6_S9_NS0_8identityIS6_EEEE10hipError_tT2_T3_mT4_P12ihipStream_tbEUlT_E_NS1_11comp_targetILNS1_3genE2ELNS1_11target_archE906ELNS1_3gpuE6ELNS1_3repE0EEENS1_30default_config_static_selectorELNS0_4arch9wavefront6targetE1EEEvT1_
; %bb.0:
	.section	.rodata,"a",@progbits
	.p2align	6, 0x0
	.amdhsa_kernel _ZN7rocprim17ROCPRIM_400000_NS6detail17trampoline_kernelINS0_14default_configENS1_25transform_config_selectorIN3c108BFloat16ELb1EEEZNS1_14transform_implILb1ES3_S7_PS6_S9_NS0_8identityIS6_EEEE10hipError_tT2_T3_mT4_P12ihipStream_tbEUlT_E_NS1_11comp_targetILNS1_3genE2ELNS1_11target_archE906ELNS1_3gpuE6ELNS1_3repE0EEENS1_30default_config_static_selectorELNS0_4arch9wavefront6targetE1EEEvT1_
		.amdhsa_group_segment_fixed_size 0
		.amdhsa_private_segment_fixed_size 0
		.amdhsa_kernarg_size 40
		.amdhsa_user_sgpr_count 2
		.amdhsa_user_sgpr_dispatch_ptr 0
		.amdhsa_user_sgpr_queue_ptr 0
		.amdhsa_user_sgpr_kernarg_segment_ptr 1
		.amdhsa_user_sgpr_dispatch_id 0
		.amdhsa_user_sgpr_kernarg_preload_length 0
		.amdhsa_user_sgpr_kernarg_preload_offset 0
		.amdhsa_user_sgpr_private_segment_size 0
		.amdhsa_uses_dynamic_stack 0
		.amdhsa_enable_private_segment 0
		.amdhsa_system_sgpr_workgroup_id_x 1
		.amdhsa_system_sgpr_workgroup_id_y 0
		.amdhsa_system_sgpr_workgroup_id_z 0
		.amdhsa_system_sgpr_workgroup_info 0
		.amdhsa_system_vgpr_workitem_id 0
		.amdhsa_next_free_vgpr 1
		.amdhsa_next_free_sgpr 0
		.amdhsa_accum_offset 4
		.amdhsa_reserve_vcc 0
		.amdhsa_float_round_mode_32 0
		.amdhsa_float_round_mode_16_64 0
		.amdhsa_float_denorm_mode_32 3
		.amdhsa_float_denorm_mode_16_64 3
		.amdhsa_dx10_clamp 1
		.amdhsa_ieee_mode 1
		.amdhsa_fp16_overflow 0
		.amdhsa_tg_split 0
		.amdhsa_exception_fp_ieee_invalid_op 0
		.amdhsa_exception_fp_denorm_src 0
		.amdhsa_exception_fp_ieee_div_zero 0
		.amdhsa_exception_fp_ieee_overflow 0
		.amdhsa_exception_fp_ieee_underflow 0
		.amdhsa_exception_fp_ieee_inexact 0
		.amdhsa_exception_int_div_zero 0
	.end_amdhsa_kernel
	.section	.text._ZN7rocprim17ROCPRIM_400000_NS6detail17trampoline_kernelINS0_14default_configENS1_25transform_config_selectorIN3c108BFloat16ELb1EEEZNS1_14transform_implILb1ES3_S7_PS6_S9_NS0_8identityIS6_EEEE10hipError_tT2_T3_mT4_P12ihipStream_tbEUlT_E_NS1_11comp_targetILNS1_3genE2ELNS1_11target_archE906ELNS1_3gpuE6ELNS1_3repE0EEENS1_30default_config_static_selectorELNS0_4arch9wavefront6targetE1EEEvT1_,"axG",@progbits,_ZN7rocprim17ROCPRIM_400000_NS6detail17trampoline_kernelINS0_14default_configENS1_25transform_config_selectorIN3c108BFloat16ELb1EEEZNS1_14transform_implILb1ES3_S7_PS6_S9_NS0_8identityIS6_EEEE10hipError_tT2_T3_mT4_P12ihipStream_tbEUlT_E_NS1_11comp_targetILNS1_3genE2ELNS1_11target_archE906ELNS1_3gpuE6ELNS1_3repE0EEENS1_30default_config_static_selectorELNS0_4arch9wavefront6targetE1EEEvT1_,comdat
.Lfunc_end465:
	.size	_ZN7rocprim17ROCPRIM_400000_NS6detail17trampoline_kernelINS0_14default_configENS1_25transform_config_selectorIN3c108BFloat16ELb1EEEZNS1_14transform_implILb1ES3_S7_PS6_S9_NS0_8identityIS6_EEEE10hipError_tT2_T3_mT4_P12ihipStream_tbEUlT_E_NS1_11comp_targetILNS1_3genE2ELNS1_11target_archE906ELNS1_3gpuE6ELNS1_3repE0EEENS1_30default_config_static_selectorELNS0_4arch9wavefront6targetE1EEEvT1_, .Lfunc_end465-_ZN7rocprim17ROCPRIM_400000_NS6detail17trampoline_kernelINS0_14default_configENS1_25transform_config_selectorIN3c108BFloat16ELb1EEEZNS1_14transform_implILb1ES3_S7_PS6_S9_NS0_8identityIS6_EEEE10hipError_tT2_T3_mT4_P12ihipStream_tbEUlT_E_NS1_11comp_targetILNS1_3genE2ELNS1_11target_archE906ELNS1_3gpuE6ELNS1_3repE0EEENS1_30default_config_static_selectorELNS0_4arch9wavefront6targetE1EEEvT1_
                                        ; -- End function
	.section	.AMDGPU.csdata,"",@progbits
; Kernel info:
; codeLenInByte = 0
; NumSgprs: 6
; NumVgprs: 0
; NumAgprs: 0
; TotalNumVgprs: 0
; ScratchSize: 0
; MemoryBound: 0
; FloatMode: 240
; IeeeMode: 1
; LDSByteSize: 0 bytes/workgroup (compile time only)
; SGPRBlocks: 0
; VGPRBlocks: 0
; NumSGPRsForWavesPerEU: 6
; NumVGPRsForWavesPerEU: 1
; AccumOffset: 4
; Occupancy: 8
; WaveLimiterHint : 0
; COMPUTE_PGM_RSRC2:SCRATCH_EN: 0
; COMPUTE_PGM_RSRC2:USER_SGPR: 2
; COMPUTE_PGM_RSRC2:TRAP_HANDLER: 0
; COMPUTE_PGM_RSRC2:TGID_X_EN: 1
; COMPUTE_PGM_RSRC2:TGID_Y_EN: 0
; COMPUTE_PGM_RSRC2:TGID_Z_EN: 0
; COMPUTE_PGM_RSRC2:TIDIG_COMP_CNT: 0
; COMPUTE_PGM_RSRC3_GFX90A:ACCUM_OFFSET: 0
; COMPUTE_PGM_RSRC3_GFX90A:TG_SPLIT: 0
	.section	.text._ZN7rocprim17ROCPRIM_400000_NS6detail17trampoline_kernelINS0_14default_configENS1_25transform_config_selectorIN3c108BFloat16ELb1EEEZNS1_14transform_implILb1ES3_S7_PS6_S9_NS0_8identityIS6_EEEE10hipError_tT2_T3_mT4_P12ihipStream_tbEUlT_E_NS1_11comp_targetILNS1_3genE9ELNS1_11target_archE1100ELNS1_3gpuE3ELNS1_3repE0EEENS1_30default_config_static_selectorELNS0_4arch9wavefront6targetE1EEEvT1_,"axG",@progbits,_ZN7rocprim17ROCPRIM_400000_NS6detail17trampoline_kernelINS0_14default_configENS1_25transform_config_selectorIN3c108BFloat16ELb1EEEZNS1_14transform_implILb1ES3_S7_PS6_S9_NS0_8identityIS6_EEEE10hipError_tT2_T3_mT4_P12ihipStream_tbEUlT_E_NS1_11comp_targetILNS1_3genE9ELNS1_11target_archE1100ELNS1_3gpuE3ELNS1_3repE0EEENS1_30default_config_static_selectorELNS0_4arch9wavefront6targetE1EEEvT1_,comdat
	.protected	_ZN7rocprim17ROCPRIM_400000_NS6detail17trampoline_kernelINS0_14default_configENS1_25transform_config_selectorIN3c108BFloat16ELb1EEEZNS1_14transform_implILb1ES3_S7_PS6_S9_NS0_8identityIS6_EEEE10hipError_tT2_T3_mT4_P12ihipStream_tbEUlT_E_NS1_11comp_targetILNS1_3genE9ELNS1_11target_archE1100ELNS1_3gpuE3ELNS1_3repE0EEENS1_30default_config_static_selectorELNS0_4arch9wavefront6targetE1EEEvT1_ ; -- Begin function _ZN7rocprim17ROCPRIM_400000_NS6detail17trampoline_kernelINS0_14default_configENS1_25transform_config_selectorIN3c108BFloat16ELb1EEEZNS1_14transform_implILb1ES3_S7_PS6_S9_NS0_8identityIS6_EEEE10hipError_tT2_T3_mT4_P12ihipStream_tbEUlT_E_NS1_11comp_targetILNS1_3genE9ELNS1_11target_archE1100ELNS1_3gpuE3ELNS1_3repE0EEENS1_30default_config_static_selectorELNS0_4arch9wavefront6targetE1EEEvT1_
	.globl	_ZN7rocprim17ROCPRIM_400000_NS6detail17trampoline_kernelINS0_14default_configENS1_25transform_config_selectorIN3c108BFloat16ELb1EEEZNS1_14transform_implILb1ES3_S7_PS6_S9_NS0_8identityIS6_EEEE10hipError_tT2_T3_mT4_P12ihipStream_tbEUlT_E_NS1_11comp_targetILNS1_3genE9ELNS1_11target_archE1100ELNS1_3gpuE3ELNS1_3repE0EEENS1_30default_config_static_selectorELNS0_4arch9wavefront6targetE1EEEvT1_
	.p2align	8
	.type	_ZN7rocprim17ROCPRIM_400000_NS6detail17trampoline_kernelINS0_14default_configENS1_25transform_config_selectorIN3c108BFloat16ELb1EEEZNS1_14transform_implILb1ES3_S7_PS6_S9_NS0_8identityIS6_EEEE10hipError_tT2_T3_mT4_P12ihipStream_tbEUlT_E_NS1_11comp_targetILNS1_3genE9ELNS1_11target_archE1100ELNS1_3gpuE3ELNS1_3repE0EEENS1_30default_config_static_selectorELNS0_4arch9wavefront6targetE1EEEvT1_,@function
_ZN7rocprim17ROCPRIM_400000_NS6detail17trampoline_kernelINS0_14default_configENS1_25transform_config_selectorIN3c108BFloat16ELb1EEEZNS1_14transform_implILb1ES3_S7_PS6_S9_NS0_8identityIS6_EEEE10hipError_tT2_T3_mT4_P12ihipStream_tbEUlT_E_NS1_11comp_targetILNS1_3genE9ELNS1_11target_archE1100ELNS1_3gpuE3ELNS1_3repE0EEENS1_30default_config_static_selectorELNS0_4arch9wavefront6targetE1EEEvT1_: ; @_ZN7rocprim17ROCPRIM_400000_NS6detail17trampoline_kernelINS0_14default_configENS1_25transform_config_selectorIN3c108BFloat16ELb1EEEZNS1_14transform_implILb1ES3_S7_PS6_S9_NS0_8identityIS6_EEEE10hipError_tT2_T3_mT4_P12ihipStream_tbEUlT_E_NS1_11comp_targetILNS1_3genE9ELNS1_11target_archE1100ELNS1_3gpuE3ELNS1_3repE0EEENS1_30default_config_static_selectorELNS0_4arch9wavefront6targetE1EEEvT1_
; %bb.0:
	.section	.rodata,"a",@progbits
	.p2align	6, 0x0
	.amdhsa_kernel _ZN7rocprim17ROCPRIM_400000_NS6detail17trampoline_kernelINS0_14default_configENS1_25transform_config_selectorIN3c108BFloat16ELb1EEEZNS1_14transform_implILb1ES3_S7_PS6_S9_NS0_8identityIS6_EEEE10hipError_tT2_T3_mT4_P12ihipStream_tbEUlT_E_NS1_11comp_targetILNS1_3genE9ELNS1_11target_archE1100ELNS1_3gpuE3ELNS1_3repE0EEENS1_30default_config_static_selectorELNS0_4arch9wavefront6targetE1EEEvT1_
		.amdhsa_group_segment_fixed_size 0
		.amdhsa_private_segment_fixed_size 0
		.amdhsa_kernarg_size 40
		.amdhsa_user_sgpr_count 2
		.amdhsa_user_sgpr_dispatch_ptr 0
		.amdhsa_user_sgpr_queue_ptr 0
		.amdhsa_user_sgpr_kernarg_segment_ptr 1
		.amdhsa_user_sgpr_dispatch_id 0
		.amdhsa_user_sgpr_kernarg_preload_length 0
		.amdhsa_user_sgpr_kernarg_preload_offset 0
		.amdhsa_user_sgpr_private_segment_size 0
		.amdhsa_uses_dynamic_stack 0
		.amdhsa_enable_private_segment 0
		.amdhsa_system_sgpr_workgroup_id_x 1
		.amdhsa_system_sgpr_workgroup_id_y 0
		.amdhsa_system_sgpr_workgroup_id_z 0
		.amdhsa_system_sgpr_workgroup_info 0
		.amdhsa_system_vgpr_workitem_id 0
		.amdhsa_next_free_vgpr 1
		.amdhsa_next_free_sgpr 0
		.amdhsa_accum_offset 4
		.amdhsa_reserve_vcc 0
		.amdhsa_float_round_mode_32 0
		.amdhsa_float_round_mode_16_64 0
		.amdhsa_float_denorm_mode_32 3
		.amdhsa_float_denorm_mode_16_64 3
		.amdhsa_dx10_clamp 1
		.amdhsa_ieee_mode 1
		.amdhsa_fp16_overflow 0
		.amdhsa_tg_split 0
		.amdhsa_exception_fp_ieee_invalid_op 0
		.amdhsa_exception_fp_denorm_src 0
		.amdhsa_exception_fp_ieee_div_zero 0
		.amdhsa_exception_fp_ieee_overflow 0
		.amdhsa_exception_fp_ieee_underflow 0
		.amdhsa_exception_fp_ieee_inexact 0
		.amdhsa_exception_int_div_zero 0
	.end_amdhsa_kernel
	.section	.text._ZN7rocprim17ROCPRIM_400000_NS6detail17trampoline_kernelINS0_14default_configENS1_25transform_config_selectorIN3c108BFloat16ELb1EEEZNS1_14transform_implILb1ES3_S7_PS6_S9_NS0_8identityIS6_EEEE10hipError_tT2_T3_mT4_P12ihipStream_tbEUlT_E_NS1_11comp_targetILNS1_3genE9ELNS1_11target_archE1100ELNS1_3gpuE3ELNS1_3repE0EEENS1_30default_config_static_selectorELNS0_4arch9wavefront6targetE1EEEvT1_,"axG",@progbits,_ZN7rocprim17ROCPRIM_400000_NS6detail17trampoline_kernelINS0_14default_configENS1_25transform_config_selectorIN3c108BFloat16ELb1EEEZNS1_14transform_implILb1ES3_S7_PS6_S9_NS0_8identityIS6_EEEE10hipError_tT2_T3_mT4_P12ihipStream_tbEUlT_E_NS1_11comp_targetILNS1_3genE9ELNS1_11target_archE1100ELNS1_3gpuE3ELNS1_3repE0EEENS1_30default_config_static_selectorELNS0_4arch9wavefront6targetE1EEEvT1_,comdat
.Lfunc_end466:
	.size	_ZN7rocprim17ROCPRIM_400000_NS6detail17trampoline_kernelINS0_14default_configENS1_25transform_config_selectorIN3c108BFloat16ELb1EEEZNS1_14transform_implILb1ES3_S7_PS6_S9_NS0_8identityIS6_EEEE10hipError_tT2_T3_mT4_P12ihipStream_tbEUlT_E_NS1_11comp_targetILNS1_3genE9ELNS1_11target_archE1100ELNS1_3gpuE3ELNS1_3repE0EEENS1_30default_config_static_selectorELNS0_4arch9wavefront6targetE1EEEvT1_, .Lfunc_end466-_ZN7rocprim17ROCPRIM_400000_NS6detail17trampoline_kernelINS0_14default_configENS1_25transform_config_selectorIN3c108BFloat16ELb1EEEZNS1_14transform_implILb1ES3_S7_PS6_S9_NS0_8identityIS6_EEEE10hipError_tT2_T3_mT4_P12ihipStream_tbEUlT_E_NS1_11comp_targetILNS1_3genE9ELNS1_11target_archE1100ELNS1_3gpuE3ELNS1_3repE0EEENS1_30default_config_static_selectorELNS0_4arch9wavefront6targetE1EEEvT1_
                                        ; -- End function
	.section	.AMDGPU.csdata,"",@progbits
; Kernel info:
; codeLenInByte = 0
; NumSgprs: 6
; NumVgprs: 0
; NumAgprs: 0
; TotalNumVgprs: 0
; ScratchSize: 0
; MemoryBound: 0
; FloatMode: 240
; IeeeMode: 1
; LDSByteSize: 0 bytes/workgroup (compile time only)
; SGPRBlocks: 0
; VGPRBlocks: 0
; NumSGPRsForWavesPerEU: 6
; NumVGPRsForWavesPerEU: 1
; AccumOffset: 4
; Occupancy: 8
; WaveLimiterHint : 0
; COMPUTE_PGM_RSRC2:SCRATCH_EN: 0
; COMPUTE_PGM_RSRC2:USER_SGPR: 2
; COMPUTE_PGM_RSRC2:TRAP_HANDLER: 0
; COMPUTE_PGM_RSRC2:TGID_X_EN: 1
; COMPUTE_PGM_RSRC2:TGID_Y_EN: 0
; COMPUTE_PGM_RSRC2:TGID_Z_EN: 0
; COMPUTE_PGM_RSRC2:TIDIG_COMP_CNT: 0
; COMPUTE_PGM_RSRC3_GFX90A:ACCUM_OFFSET: 0
; COMPUTE_PGM_RSRC3_GFX90A:TG_SPLIT: 0
	.section	.text._ZN7rocprim17ROCPRIM_400000_NS6detail17trampoline_kernelINS0_14default_configENS1_25transform_config_selectorIN3c108BFloat16ELb1EEEZNS1_14transform_implILb1ES3_S7_PS6_S9_NS0_8identityIS6_EEEE10hipError_tT2_T3_mT4_P12ihipStream_tbEUlT_E_NS1_11comp_targetILNS1_3genE8ELNS1_11target_archE1030ELNS1_3gpuE2ELNS1_3repE0EEENS1_30default_config_static_selectorELNS0_4arch9wavefront6targetE1EEEvT1_,"axG",@progbits,_ZN7rocprim17ROCPRIM_400000_NS6detail17trampoline_kernelINS0_14default_configENS1_25transform_config_selectorIN3c108BFloat16ELb1EEEZNS1_14transform_implILb1ES3_S7_PS6_S9_NS0_8identityIS6_EEEE10hipError_tT2_T3_mT4_P12ihipStream_tbEUlT_E_NS1_11comp_targetILNS1_3genE8ELNS1_11target_archE1030ELNS1_3gpuE2ELNS1_3repE0EEENS1_30default_config_static_selectorELNS0_4arch9wavefront6targetE1EEEvT1_,comdat
	.protected	_ZN7rocprim17ROCPRIM_400000_NS6detail17trampoline_kernelINS0_14default_configENS1_25transform_config_selectorIN3c108BFloat16ELb1EEEZNS1_14transform_implILb1ES3_S7_PS6_S9_NS0_8identityIS6_EEEE10hipError_tT2_T3_mT4_P12ihipStream_tbEUlT_E_NS1_11comp_targetILNS1_3genE8ELNS1_11target_archE1030ELNS1_3gpuE2ELNS1_3repE0EEENS1_30default_config_static_selectorELNS0_4arch9wavefront6targetE1EEEvT1_ ; -- Begin function _ZN7rocprim17ROCPRIM_400000_NS6detail17trampoline_kernelINS0_14default_configENS1_25transform_config_selectorIN3c108BFloat16ELb1EEEZNS1_14transform_implILb1ES3_S7_PS6_S9_NS0_8identityIS6_EEEE10hipError_tT2_T3_mT4_P12ihipStream_tbEUlT_E_NS1_11comp_targetILNS1_3genE8ELNS1_11target_archE1030ELNS1_3gpuE2ELNS1_3repE0EEENS1_30default_config_static_selectorELNS0_4arch9wavefront6targetE1EEEvT1_
	.globl	_ZN7rocprim17ROCPRIM_400000_NS6detail17trampoline_kernelINS0_14default_configENS1_25transform_config_selectorIN3c108BFloat16ELb1EEEZNS1_14transform_implILb1ES3_S7_PS6_S9_NS0_8identityIS6_EEEE10hipError_tT2_T3_mT4_P12ihipStream_tbEUlT_E_NS1_11comp_targetILNS1_3genE8ELNS1_11target_archE1030ELNS1_3gpuE2ELNS1_3repE0EEENS1_30default_config_static_selectorELNS0_4arch9wavefront6targetE1EEEvT1_
	.p2align	8
	.type	_ZN7rocprim17ROCPRIM_400000_NS6detail17trampoline_kernelINS0_14default_configENS1_25transform_config_selectorIN3c108BFloat16ELb1EEEZNS1_14transform_implILb1ES3_S7_PS6_S9_NS0_8identityIS6_EEEE10hipError_tT2_T3_mT4_P12ihipStream_tbEUlT_E_NS1_11comp_targetILNS1_3genE8ELNS1_11target_archE1030ELNS1_3gpuE2ELNS1_3repE0EEENS1_30default_config_static_selectorELNS0_4arch9wavefront6targetE1EEEvT1_,@function
_ZN7rocprim17ROCPRIM_400000_NS6detail17trampoline_kernelINS0_14default_configENS1_25transform_config_selectorIN3c108BFloat16ELb1EEEZNS1_14transform_implILb1ES3_S7_PS6_S9_NS0_8identityIS6_EEEE10hipError_tT2_T3_mT4_P12ihipStream_tbEUlT_E_NS1_11comp_targetILNS1_3genE8ELNS1_11target_archE1030ELNS1_3gpuE2ELNS1_3repE0EEENS1_30default_config_static_selectorELNS0_4arch9wavefront6targetE1EEEvT1_: ; @_ZN7rocprim17ROCPRIM_400000_NS6detail17trampoline_kernelINS0_14default_configENS1_25transform_config_selectorIN3c108BFloat16ELb1EEEZNS1_14transform_implILb1ES3_S7_PS6_S9_NS0_8identityIS6_EEEE10hipError_tT2_T3_mT4_P12ihipStream_tbEUlT_E_NS1_11comp_targetILNS1_3genE8ELNS1_11target_archE1030ELNS1_3gpuE2ELNS1_3repE0EEENS1_30default_config_static_selectorELNS0_4arch9wavefront6targetE1EEEvT1_
; %bb.0:
	.section	.rodata,"a",@progbits
	.p2align	6, 0x0
	.amdhsa_kernel _ZN7rocprim17ROCPRIM_400000_NS6detail17trampoline_kernelINS0_14default_configENS1_25transform_config_selectorIN3c108BFloat16ELb1EEEZNS1_14transform_implILb1ES3_S7_PS6_S9_NS0_8identityIS6_EEEE10hipError_tT2_T3_mT4_P12ihipStream_tbEUlT_E_NS1_11comp_targetILNS1_3genE8ELNS1_11target_archE1030ELNS1_3gpuE2ELNS1_3repE0EEENS1_30default_config_static_selectorELNS0_4arch9wavefront6targetE1EEEvT1_
		.amdhsa_group_segment_fixed_size 0
		.amdhsa_private_segment_fixed_size 0
		.amdhsa_kernarg_size 40
		.amdhsa_user_sgpr_count 2
		.amdhsa_user_sgpr_dispatch_ptr 0
		.amdhsa_user_sgpr_queue_ptr 0
		.amdhsa_user_sgpr_kernarg_segment_ptr 1
		.amdhsa_user_sgpr_dispatch_id 0
		.amdhsa_user_sgpr_kernarg_preload_length 0
		.amdhsa_user_sgpr_kernarg_preload_offset 0
		.amdhsa_user_sgpr_private_segment_size 0
		.amdhsa_uses_dynamic_stack 0
		.amdhsa_enable_private_segment 0
		.amdhsa_system_sgpr_workgroup_id_x 1
		.amdhsa_system_sgpr_workgroup_id_y 0
		.amdhsa_system_sgpr_workgroup_id_z 0
		.amdhsa_system_sgpr_workgroup_info 0
		.amdhsa_system_vgpr_workitem_id 0
		.amdhsa_next_free_vgpr 1
		.amdhsa_next_free_sgpr 0
		.amdhsa_accum_offset 4
		.amdhsa_reserve_vcc 0
		.amdhsa_float_round_mode_32 0
		.amdhsa_float_round_mode_16_64 0
		.amdhsa_float_denorm_mode_32 3
		.amdhsa_float_denorm_mode_16_64 3
		.amdhsa_dx10_clamp 1
		.amdhsa_ieee_mode 1
		.amdhsa_fp16_overflow 0
		.amdhsa_tg_split 0
		.amdhsa_exception_fp_ieee_invalid_op 0
		.amdhsa_exception_fp_denorm_src 0
		.amdhsa_exception_fp_ieee_div_zero 0
		.amdhsa_exception_fp_ieee_overflow 0
		.amdhsa_exception_fp_ieee_underflow 0
		.amdhsa_exception_fp_ieee_inexact 0
		.amdhsa_exception_int_div_zero 0
	.end_amdhsa_kernel
	.section	.text._ZN7rocprim17ROCPRIM_400000_NS6detail17trampoline_kernelINS0_14default_configENS1_25transform_config_selectorIN3c108BFloat16ELb1EEEZNS1_14transform_implILb1ES3_S7_PS6_S9_NS0_8identityIS6_EEEE10hipError_tT2_T3_mT4_P12ihipStream_tbEUlT_E_NS1_11comp_targetILNS1_3genE8ELNS1_11target_archE1030ELNS1_3gpuE2ELNS1_3repE0EEENS1_30default_config_static_selectorELNS0_4arch9wavefront6targetE1EEEvT1_,"axG",@progbits,_ZN7rocprim17ROCPRIM_400000_NS6detail17trampoline_kernelINS0_14default_configENS1_25transform_config_selectorIN3c108BFloat16ELb1EEEZNS1_14transform_implILb1ES3_S7_PS6_S9_NS0_8identityIS6_EEEE10hipError_tT2_T3_mT4_P12ihipStream_tbEUlT_E_NS1_11comp_targetILNS1_3genE8ELNS1_11target_archE1030ELNS1_3gpuE2ELNS1_3repE0EEENS1_30default_config_static_selectorELNS0_4arch9wavefront6targetE1EEEvT1_,comdat
.Lfunc_end467:
	.size	_ZN7rocprim17ROCPRIM_400000_NS6detail17trampoline_kernelINS0_14default_configENS1_25transform_config_selectorIN3c108BFloat16ELb1EEEZNS1_14transform_implILb1ES3_S7_PS6_S9_NS0_8identityIS6_EEEE10hipError_tT2_T3_mT4_P12ihipStream_tbEUlT_E_NS1_11comp_targetILNS1_3genE8ELNS1_11target_archE1030ELNS1_3gpuE2ELNS1_3repE0EEENS1_30default_config_static_selectorELNS0_4arch9wavefront6targetE1EEEvT1_, .Lfunc_end467-_ZN7rocprim17ROCPRIM_400000_NS6detail17trampoline_kernelINS0_14default_configENS1_25transform_config_selectorIN3c108BFloat16ELb1EEEZNS1_14transform_implILb1ES3_S7_PS6_S9_NS0_8identityIS6_EEEE10hipError_tT2_T3_mT4_P12ihipStream_tbEUlT_E_NS1_11comp_targetILNS1_3genE8ELNS1_11target_archE1030ELNS1_3gpuE2ELNS1_3repE0EEENS1_30default_config_static_selectorELNS0_4arch9wavefront6targetE1EEEvT1_
                                        ; -- End function
	.section	.AMDGPU.csdata,"",@progbits
; Kernel info:
; codeLenInByte = 0
; NumSgprs: 6
; NumVgprs: 0
; NumAgprs: 0
; TotalNumVgprs: 0
; ScratchSize: 0
; MemoryBound: 0
; FloatMode: 240
; IeeeMode: 1
; LDSByteSize: 0 bytes/workgroup (compile time only)
; SGPRBlocks: 0
; VGPRBlocks: 0
; NumSGPRsForWavesPerEU: 6
; NumVGPRsForWavesPerEU: 1
; AccumOffset: 4
; Occupancy: 8
; WaveLimiterHint : 0
; COMPUTE_PGM_RSRC2:SCRATCH_EN: 0
; COMPUTE_PGM_RSRC2:USER_SGPR: 2
; COMPUTE_PGM_RSRC2:TRAP_HANDLER: 0
; COMPUTE_PGM_RSRC2:TGID_X_EN: 1
; COMPUTE_PGM_RSRC2:TGID_Y_EN: 0
; COMPUTE_PGM_RSRC2:TGID_Z_EN: 0
; COMPUTE_PGM_RSRC2:TIDIG_COMP_CNT: 0
; COMPUTE_PGM_RSRC3_GFX90A:ACCUM_OFFSET: 0
; COMPUTE_PGM_RSRC3_GFX90A:TG_SPLIT: 0
	.section	.text._ZN7rocprim17ROCPRIM_400000_NS6detail17trampoline_kernelINS0_14default_configENS1_20scan_config_selectorIN3c108BFloat16EEEZZNS1_9scan_implILNS1_25lookback_scan_determinismE0ELb0ELb0ES3_PKS6_PS6_S6_ZZZN2at6native31launch_logcumsumexp_cuda_kernelERKNSD_10TensorBaseESH_lENKUlvE_clEvENKUlvE4_clEvEUlS6_S6_E_S6_EEDaPvRmT3_T4_T5_mT6_P12ihipStream_tbENKUlT_T0_E_clISt17integral_constantIbLb0EESY_EEDaST_SU_EUlST_E0_NS1_11comp_targetILNS1_3genE0ELNS1_11target_archE4294967295ELNS1_3gpuE0ELNS1_3repE0EEENS1_30default_config_static_selectorELNS0_4arch9wavefront6targetE1EEEvT1_,"axG",@progbits,_ZN7rocprim17ROCPRIM_400000_NS6detail17trampoline_kernelINS0_14default_configENS1_20scan_config_selectorIN3c108BFloat16EEEZZNS1_9scan_implILNS1_25lookback_scan_determinismE0ELb0ELb0ES3_PKS6_PS6_S6_ZZZN2at6native31launch_logcumsumexp_cuda_kernelERKNSD_10TensorBaseESH_lENKUlvE_clEvENKUlvE4_clEvEUlS6_S6_E_S6_EEDaPvRmT3_T4_T5_mT6_P12ihipStream_tbENKUlT_T0_E_clISt17integral_constantIbLb0EESY_EEDaST_SU_EUlST_E0_NS1_11comp_targetILNS1_3genE0ELNS1_11target_archE4294967295ELNS1_3gpuE0ELNS1_3repE0EEENS1_30default_config_static_selectorELNS0_4arch9wavefront6targetE1EEEvT1_,comdat
	.globl	_ZN7rocprim17ROCPRIM_400000_NS6detail17trampoline_kernelINS0_14default_configENS1_20scan_config_selectorIN3c108BFloat16EEEZZNS1_9scan_implILNS1_25lookback_scan_determinismE0ELb0ELb0ES3_PKS6_PS6_S6_ZZZN2at6native31launch_logcumsumexp_cuda_kernelERKNSD_10TensorBaseESH_lENKUlvE_clEvENKUlvE4_clEvEUlS6_S6_E_S6_EEDaPvRmT3_T4_T5_mT6_P12ihipStream_tbENKUlT_T0_E_clISt17integral_constantIbLb0EESY_EEDaST_SU_EUlST_E0_NS1_11comp_targetILNS1_3genE0ELNS1_11target_archE4294967295ELNS1_3gpuE0ELNS1_3repE0EEENS1_30default_config_static_selectorELNS0_4arch9wavefront6targetE1EEEvT1_ ; -- Begin function _ZN7rocprim17ROCPRIM_400000_NS6detail17trampoline_kernelINS0_14default_configENS1_20scan_config_selectorIN3c108BFloat16EEEZZNS1_9scan_implILNS1_25lookback_scan_determinismE0ELb0ELb0ES3_PKS6_PS6_S6_ZZZN2at6native31launch_logcumsumexp_cuda_kernelERKNSD_10TensorBaseESH_lENKUlvE_clEvENKUlvE4_clEvEUlS6_S6_E_S6_EEDaPvRmT3_T4_T5_mT6_P12ihipStream_tbENKUlT_T0_E_clISt17integral_constantIbLb0EESY_EEDaST_SU_EUlST_E0_NS1_11comp_targetILNS1_3genE0ELNS1_11target_archE4294967295ELNS1_3gpuE0ELNS1_3repE0EEENS1_30default_config_static_selectorELNS0_4arch9wavefront6targetE1EEEvT1_
	.p2align	8
	.type	_ZN7rocprim17ROCPRIM_400000_NS6detail17trampoline_kernelINS0_14default_configENS1_20scan_config_selectorIN3c108BFloat16EEEZZNS1_9scan_implILNS1_25lookback_scan_determinismE0ELb0ELb0ES3_PKS6_PS6_S6_ZZZN2at6native31launch_logcumsumexp_cuda_kernelERKNSD_10TensorBaseESH_lENKUlvE_clEvENKUlvE4_clEvEUlS6_S6_E_S6_EEDaPvRmT3_T4_T5_mT6_P12ihipStream_tbENKUlT_T0_E_clISt17integral_constantIbLb0EESY_EEDaST_SU_EUlST_E0_NS1_11comp_targetILNS1_3genE0ELNS1_11target_archE4294967295ELNS1_3gpuE0ELNS1_3repE0EEENS1_30default_config_static_selectorELNS0_4arch9wavefront6targetE1EEEvT1_,@function
_ZN7rocprim17ROCPRIM_400000_NS6detail17trampoline_kernelINS0_14default_configENS1_20scan_config_selectorIN3c108BFloat16EEEZZNS1_9scan_implILNS1_25lookback_scan_determinismE0ELb0ELb0ES3_PKS6_PS6_S6_ZZZN2at6native31launch_logcumsumexp_cuda_kernelERKNSD_10TensorBaseESH_lENKUlvE_clEvENKUlvE4_clEvEUlS6_S6_E_S6_EEDaPvRmT3_T4_T5_mT6_P12ihipStream_tbENKUlT_T0_E_clISt17integral_constantIbLb0EESY_EEDaST_SU_EUlST_E0_NS1_11comp_targetILNS1_3genE0ELNS1_11target_archE4294967295ELNS1_3gpuE0ELNS1_3repE0EEENS1_30default_config_static_selectorELNS0_4arch9wavefront6targetE1EEEvT1_: ; @_ZN7rocprim17ROCPRIM_400000_NS6detail17trampoline_kernelINS0_14default_configENS1_20scan_config_selectorIN3c108BFloat16EEEZZNS1_9scan_implILNS1_25lookback_scan_determinismE0ELb0ELb0ES3_PKS6_PS6_S6_ZZZN2at6native31launch_logcumsumexp_cuda_kernelERKNSD_10TensorBaseESH_lENKUlvE_clEvENKUlvE4_clEvEUlS6_S6_E_S6_EEDaPvRmT3_T4_T5_mT6_P12ihipStream_tbENKUlT_T0_E_clISt17integral_constantIbLb0EESY_EEDaST_SU_EUlST_E0_NS1_11comp_targetILNS1_3genE0ELNS1_11target_archE4294967295ELNS1_3gpuE0ELNS1_3repE0EEENS1_30default_config_static_selectorELNS0_4arch9wavefront6targetE1EEEvT1_
; %bb.0:
	.section	.rodata,"a",@progbits
	.p2align	6, 0x0
	.amdhsa_kernel _ZN7rocprim17ROCPRIM_400000_NS6detail17trampoline_kernelINS0_14default_configENS1_20scan_config_selectorIN3c108BFloat16EEEZZNS1_9scan_implILNS1_25lookback_scan_determinismE0ELb0ELb0ES3_PKS6_PS6_S6_ZZZN2at6native31launch_logcumsumexp_cuda_kernelERKNSD_10TensorBaseESH_lENKUlvE_clEvENKUlvE4_clEvEUlS6_S6_E_S6_EEDaPvRmT3_T4_T5_mT6_P12ihipStream_tbENKUlT_T0_E_clISt17integral_constantIbLb0EESY_EEDaST_SU_EUlST_E0_NS1_11comp_targetILNS1_3genE0ELNS1_11target_archE4294967295ELNS1_3gpuE0ELNS1_3repE0EEENS1_30default_config_static_selectorELNS0_4arch9wavefront6targetE1EEEvT1_
		.amdhsa_group_segment_fixed_size 0
		.amdhsa_private_segment_fixed_size 0
		.amdhsa_kernarg_size 32
		.amdhsa_user_sgpr_count 2
		.amdhsa_user_sgpr_dispatch_ptr 0
		.amdhsa_user_sgpr_queue_ptr 0
		.amdhsa_user_sgpr_kernarg_segment_ptr 1
		.amdhsa_user_sgpr_dispatch_id 0
		.amdhsa_user_sgpr_kernarg_preload_length 0
		.amdhsa_user_sgpr_kernarg_preload_offset 0
		.amdhsa_user_sgpr_private_segment_size 0
		.amdhsa_uses_dynamic_stack 0
		.amdhsa_enable_private_segment 0
		.amdhsa_system_sgpr_workgroup_id_x 1
		.amdhsa_system_sgpr_workgroup_id_y 0
		.amdhsa_system_sgpr_workgroup_id_z 0
		.amdhsa_system_sgpr_workgroup_info 0
		.amdhsa_system_vgpr_workitem_id 0
		.amdhsa_next_free_vgpr 1
		.amdhsa_next_free_sgpr 0
		.amdhsa_accum_offset 4
		.amdhsa_reserve_vcc 0
		.amdhsa_float_round_mode_32 0
		.amdhsa_float_round_mode_16_64 0
		.amdhsa_float_denorm_mode_32 3
		.amdhsa_float_denorm_mode_16_64 3
		.amdhsa_dx10_clamp 1
		.amdhsa_ieee_mode 1
		.amdhsa_fp16_overflow 0
		.amdhsa_tg_split 0
		.amdhsa_exception_fp_ieee_invalid_op 0
		.amdhsa_exception_fp_denorm_src 0
		.amdhsa_exception_fp_ieee_div_zero 0
		.amdhsa_exception_fp_ieee_overflow 0
		.amdhsa_exception_fp_ieee_underflow 0
		.amdhsa_exception_fp_ieee_inexact 0
		.amdhsa_exception_int_div_zero 0
	.end_amdhsa_kernel
	.section	.text._ZN7rocprim17ROCPRIM_400000_NS6detail17trampoline_kernelINS0_14default_configENS1_20scan_config_selectorIN3c108BFloat16EEEZZNS1_9scan_implILNS1_25lookback_scan_determinismE0ELb0ELb0ES3_PKS6_PS6_S6_ZZZN2at6native31launch_logcumsumexp_cuda_kernelERKNSD_10TensorBaseESH_lENKUlvE_clEvENKUlvE4_clEvEUlS6_S6_E_S6_EEDaPvRmT3_T4_T5_mT6_P12ihipStream_tbENKUlT_T0_E_clISt17integral_constantIbLb0EESY_EEDaST_SU_EUlST_E0_NS1_11comp_targetILNS1_3genE0ELNS1_11target_archE4294967295ELNS1_3gpuE0ELNS1_3repE0EEENS1_30default_config_static_selectorELNS0_4arch9wavefront6targetE1EEEvT1_,"axG",@progbits,_ZN7rocprim17ROCPRIM_400000_NS6detail17trampoline_kernelINS0_14default_configENS1_20scan_config_selectorIN3c108BFloat16EEEZZNS1_9scan_implILNS1_25lookback_scan_determinismE0ELb0ELb0ES3_PKS6_PS6_S6_ZZZN2at6native31launch_logcumsumexp_cuda_kernelERKNSD_10TensorBaseESH_lENKUlvE_clEvENKUlvE4_clEvEUlS6_S6_E_S6_EEDaPvRmT3_T4_T5_mT6_P12ihipStream_tbENKUlT_T0_E_clISt17integral_constantIbLb0EESY_EEDaST_SU_EUlST_E0_NS1_11comp_targetILNS1_3genE0ELNS1_11target_archE4294967295ELNS1_3gpuE0ELNS1_3repE0EEENS1_30default_config_static_selectorELNS0_4arch9wavefront6targetE1EEEvT1_,comdat
.Lfunc_end468:
	.size	_ZN7rocprim17ROCPRIM_400000_NS6detail17trampoline_kernelINS0_14default_configENS1_20scan_config_selectorIN3c108BFloat16EEEZZNS1_9scan_implILNS1_25lookback_scan_determinismE0ELb0ELb0ES3_PKS6_PS6_S6_ZZZN2at6native31launch_logcumsumexp_cuda_kernelERKNSD_10TensorBaseESH_lENKUlvE_clEvENKUlvE4_clEvEUlS6_S6_E_S6_EEDaPvRmT3_T4_T5_mT6_P12ihipStream_tbENKUlT_T0_E_clISt17integral_constantIbLb0EESY_EEDaST_SU_EUlST_E0_NS1_11comp_targetILNS1_3genE0ELNS1_11target_archE4294967295ELNS1_3gpuE0ELNS1_3repE0EEENS1_30default_config_static_selectorELNS0_4arch9wavefront6targetE1EEEvT1_, .Lfunc_end468-_ZN7rocprim17ROCPRIM_400000_NS6detail17trampoline_kernelINS0_14default_configENS1_20scan_config_selectorIN3c108BFloat16EEEZZNS1_9scan_implILNS1_25lookback_scan_determinismE0ELb0ELb0ES3_PKS6_PS6_S6_ZZZN2at6native31launch_logcumsumexp_cuda_kernelERKNSD_10TensorBaseESH_lENKUlvE_clEvENKUlvE4_clEvEUlS6_S6_E_S6_EEDaPvRmT3_T4_T5_mT6_P12ihipStream_tbENKUlT_T0_E_clISt17integral_constantIbLb0EESY_EEDaST_SU_EUlST_E0_NS1_11comp_targetILNS1_3genE0ELNS1_11target_archE4294967295ELNS1_3gpuE0ELNS1_3repE0EEENS1_30default_config_static_selectorELNS0_4arch9wavefront6targetE1EEEvT1_
                                        ; -- End function
	.section	.AMDGPU.csdata,"",@progbits
; Kernel info:
; codeLenInByte = 0
; NumSgprs: 6
; NumVgprs: 0
; NumAgprs: 0
; TotalNumVgprs: 0
; ScratchSize: 0
; MemoryBound: 0
; FloatMode: 240
; IeeeMode: 1
; LDSByteSize: 0 bytes/workgroup (compile time only)
; SGPRBlocks: 0
; VGPRBlocks: 0
; NumSGPRsForWavesPerEU: 6
; NumVGPRsForWavesPerEU: 1
; AccumOffset: 4
; Occupancy: 8
; WaveLimiterHint : 0
; COMPUTE_PGM_RSRC2:SCRATCH_EN: 0
; COMPUTE_PGM_RSRC2:USER_SGPR: 2
; COMPUTE_PGM_RSRC2:TRAP_HANDLER: 0
; COMPUTE_PGM_RSRC2:TGID_X_EN: 1
; COMPUTE_PGM_RSRC2:TGID_Y_EN: 0
; COMPUTE_PGM_RSRC2:TGID_Z_EN: 0
; COMPUTE_PGM_RSRC2:TIDIG_COMP_CNT: 0
; COMPUTE_PGM_RSRC3_GFX90A:ACCUM_OFFSET: 0
; COMPUTE_PGM_RSRC3_GFX90A:TG_SPLIT: 0
	.section	.text._ZN7rocprim17ROCPRIM_400000_NS6detail17trampoline_kernelINS0_14default_configENS1_20scan_config_selectorIN3c108BFloat16EEEZZNS1_9scan_implILNS1_25lookback_scan_determinismE0ELb0ELb0ES3_PKS6_PS6_S6_ZZZN2at6native31launch_logcumsumexp_cuda_kernelERKNSD_10TensorBaseESH_lENKUlvE_clEvENKUlvE4_clEvEUlS6_S6_E_S6_EEDaPvRmT3_T4_T5_mT6_P12ihipStream_tbENKUlT_T0_E_clISt17integral_constantIbLb0EESY_EEDaST_SU_EUlST_E0_NS1_11comp_targetILNS1_3genE5ELNS1_11target_archE942ELNS1_3gpuE9ELNS1_3repE0EEENS1_30default_config_static_selectorELNS0_4arch9wavefront6targetE1EEEvT1_,"axG",@progbits,_ZN7rocprim17ROCPRIM_400000_NS6detail17trampoline_kernelINS0_14default_configENS1_20scan_config_selectorIN3c108BFloat16EEEZZNS1_9scan_implILNS1_25lookback_scan_determinismE0ELb0ELb0ES3_PKS6_PS6_S6_ZZZN2at6native31launch_logcumsumexp_cuda_kernelERKNSD_10TensorBaseESH_lENKUlvE_clEvENKUlvE4_clEvEUlS6_S6_E_S6_EEDaPvRmT3_T4_T5_mT6_P12ihipStream_tbENKUlT_T0_E_clISt17integral_constantIbLb0EESY_EEDaST_SU_EUlST_E0_NS1_11comp_targetILNS1_3genE5ELNS1_11target_archE942ELNS1_3gpuE9ELNS1_3repE0EEENS1_30default_config_static_selectorELNS0_4arch9wavefront6targetE1EEEvT1_,comdat
	.globl	_ZN7rocprim17ROCPRIM_400000_NS6detail17trampoline_kernelINS0_14default_configENS1_20scan_config_selectorIN3c108BFloat16EEEZZNS1_9scan_implILNS1_25lookback_scan_determinismE0ELb0ELb0ES3_PKS6_PS6_S6_ZZZN2at6native31launch_logcumsumexp_cuda_kernelERKNSD_10TensorBaseESH_lENKUlvE_clEvENKUlvE4_clEvEUlS6_S6_E_S6_EEDaPvRmT3_T4_T5_mT6_P12ihipStream_tbENKUlT_T0_E_clISt17integral_constantIbLb0EESY_EEDaST_SU_EUlST_E0_NS1_11comp_targetILNS1_3genE5ELNS1_11target_archE942ELNS1_3gpuE9ELNS1_3repE0EEENS1_30default_config_static_selectorELNS0_4arch9wavefront6targetE1EEEvT1_ ; -- Begin function _ZN7rocprim17ROCPRIM_400000_NS6detail17trampoline_kernelINS0_14default_configENS1_20scan_config_selectorIN3c108BFloat16EEEZZNS1_9scan_implILNS1_25lookback_scan_determinismE0ELb0ELb0ES3_PKS6_PS6_S6_ZZZN2at6native31launch_logcumsumexp_cuda_kernelERKNSD_10TensorBaseESH_lENKUlvE_clEvENKUlvE4_clEvEUlS6_S6_E_S6_EEDaPvRmT3_T4_T5_mT6_P12ihipStream_tbENKUlT_T0_E_clISt17integral_constantIbLb0EESY_EEDaST_SU_EUlST_E0_NS1_11comp_targetILNS1_3genE5ELNS1_11target_archE942ELNS1_3gpuE9ELNS1_3repE0EEENS1_30default_config_static_selectorELNS0_4arch9wavefront6targetE1EEEvT1_
	.p2align	8
	.type	_ZN7rocprim17ROCPRIM_400000_NS6detail17trampoline_kernelINS0_14default_configENS1_20scan_config_selectorIN3c108BFloat16EEEZZNS1_9scan_implILNS1_25lookback_scan_determinismE0ELb0ELb0ES3_PKS6_PS6_S6_ZZZN2at6native31launch_logcumsumexp_cuda_kernelERKNSD_10TensorBaseESH_lENKUlvE_clEvENKUlvE4_clEvEUlS6_S6_E_S6_EEDaPvRmT3_T4_T5_mT6_P12ihipStream_tbENKUlT_T0_E_clISt17integral_constantIbLb0EESY_EEDaST_SU_EUlST_E0_NS1_11comp_targetILNS1_3genE5ELNS1_11target_archE942ELNS1_3gpuE9ELNS1_3repE0EEENS1_30default_config_static_selectorELNS0_4arch9wavefront6targetE1EEEvT1_,@function
_ZN7rocprim17ROCPRIM_400000_NS6detail17trampoline_kernelINS0_14default_configENS1_20scan_config_selectorIN3c108BFloat16EEEZZNS1_9scan_implILNS1_25lookback_scan_determinismE0ELb0ELb0ES3_PKS6_PS6_S6_ZZZN2at6native31launch_logcumsumexp_cuda_kernelERKNSD_10TensorBaseESH_lENKUlvE_clEvENKUlvE4_clEvEUlS6_S6_E_S6_EEDaPvRmT3_T4_T5_mT6_P12ihipStream_tbENKUlT_T0_E_clISt17integral_constantIbLb0EESY_EEDaST_SU_EUlST_E0_NS1_11comp_targetILNS1_3genE5ELNS1_11target_archE942ELNS1_3gpuE9ELNS1_3repE0EEENS1_30default_config_static_selectorELNS0_4arch9wavefront6targetE1EEEvT1_: ; @_ZN7rocprim17ROCPRIM_400000_NS6detail17trampoline_kernelINS0_14default_configENS1_20scan_config_selectorIN3c108BFloat16EEEZZNS1_9scan_implILNS1_25lookback_scan_determinismE0ELb0ELb0ES3_PKS6_PS6_S6_ZZZN2at6native31launch_logcumsumexp_cuda_kernelERKNSD_10TensorBaseESH_lENKUlvE_clEvENKUlvE4_clEvEUlS6_S6_E_S6_EEDaPvRmT3_T4_T5_mT6_P12ihipStream_tbENKUlT_T0_E_clISt17integral_constantIbLb0EESY_EEDaST_SU_EUlST_E0_NS1_11comp_targetILNS1_3genE5ELNS1_11target_archE942ELNS1_3gpuE9ELNS1_3repE0EEENS1_30default_config_static_selectorELNS0_4arch9wavefront6targetE1EEEvT1_
; %bb.0:
	s_load_dwordx4 s[48:51], s[0:1], 0x0
	v_mov_b32_e32 v1, 0
	v_lshlrev_b32_e32 v14, 1, v0
	s_waitcnt lgkmcnt(0)
	global_load_ushort v1, v1, s[48:49]
	v_cmp_gt_u32_e64 s[4:5], s50, v0
	s_waitcnt vmcnt(0)
	v_mov_b32_e32 v2, v1
	s_mov_b64 s[2:3], exec
                                        ; implicit-def: $vgpr77 : SGPR spill to VGPR lane
	v_writelane_b32 v77, s4, 0
	s_nop 1
	v_writelane_b32 v77, s5, 1
	s_and_b64 s[4:5], s[2:3], s[4:5]
	s_mov_b64 exec, s[4:5]
	s_cbranch_execz .LBB469_2
; %bb.1:
	global_load_ushort v2, v14, s[48:49]
.LBB469_2:
	s_or_b64 exec, exec, s[2:3]
	v_or_b32_e32 v3, 0x100, v0
	v_cmp_gt_u32_e64 s[4:5], s50, v3
	v_mov_b32_e32 v3, v1
	s_mov_b64 s[2:3], exec
	v_writelane_b32 v77, s4, 2
	s_nop 1
	v_writelane_b32 v77, s5, 3
	s_and_b64 s[4:5], s[2:3], s[4:5]
	s_mov_b64 exec, s[4:5]
	s_cbranch_execz .LBB469_4
; %bb.3:
	global_load_ushort v3, v14, s[48:49] offset:512
.LBB469_4:
	s_or_b64 exec, exec, s[2:3]
	v_or_b32_e32 v4, 0x200, v0
	v_cmp_gt_u32_e64 s[2:3], s50, v4
	v_mov_b32_e32 v4, v1
	s_nop 0
	v_writelane_b32 v77, s2, 4
	s_nop 1
	v_writelane_b32 v77, s3, 5
	s_and_saveexec_b64 s[4:5], s[2:3]
	s_cbranch_execz .LBB469_6
; %bb.5:
	global_load_ushort v4, v14, s[48:49] offset:1024
.LBB469_6:
	s_or_b64 exec, exec, s[4:5]
	v_or_b32_e32 v5, 0x300, v0
	v_cmp_gt_u32_e64 s[4:5], s50, v5
	v_mov_b32_e32 v5, v1
	s_and_saveexec_b64 s[6:7], s[4:5]
	s_cbranch_execz .LBB469_8
; %bb.7:
	global_load_ushort v5, v14, s[48:49] offset:1536
.LBB469_8:
	s_or_b64 exec, exec, s[6:7]
	v_or_b32_e32 v6, 0x400, v0
	v_cmp_gt_u32_e64 s[6:7], s50, v6
	v_mov_b32_e32 v6, v1
	s_and_saveexec_b64 s[8:9], s[6:7]
	s_cbranch_execz .LBB469_10
; %bb.9:
	global_load_ushort v6, v14, s[48:49] offset:2048
.LBB469_10:
	s_or_b64 exec, exec, s[8:9]
	v_or_b32_e32 v7, 0x500, v0
	v_cmp_gt_u32_e64 s[8:9], s50, v7
	v_mov_b32_e32 v7, v1
	s_and_saveexec_b64 s[10:11], s[8:9]
	s_cbranch_execz .LBB469_12
; %bb.11:
	global_load_ushort v7, v14, s[48:49] offset:2560
.LBB469_12:
	s_or_b64 exec, exec, s[10:11]
	v_or_b32_e32 v8, 0x600, v0
	v_cmp_gt_u32_e64 s[10:11], s50, v8
	v_mov_b32_e32 v8, v1
	s_and_saveexec_b64 s[12:13], s[10:11]
	s_cbranch_execz .LBB469_14
; %bb.13:
	global_load_ushort v8, v14, s[48:49] offset:3072
.LBB469_14:
	s_or_b64 exec, exec, s[12:13]
	v_or_b32_e32 v9, 0x700, v0
	v_cmp_gt_u32_e64 s[12:13], s50, v9
	v_mov_b32_e32 v9, v1
	s_and_saveexec_b64 s[14:15], s[12:13]
	s_cbranch_execz .LBB469_16
; %bb.15:
	global_load_ushort v9, v14, s[48:49] offset:3584
.LBB469_16:
	s_or_b64 exec, exec, s[14:15]
	v_or_b32_e32 v11, 0x800, v0
	v_cmp_gt_u32_e64 s[14:15], s50, v11
	v_mov_b32_e32 v10, v1
	s_and_saveexec_b64 s[16:17], s[14:15]
	s_cbranch_execz .LBB469_18
; %bb.17:
	v_lshlrev_b32_e32 v10, 1, v11
	global_load_ushort v10, v10, s[48:49]
.LBB469_18:
	s_or_b64 exec, exec, s[16:17]
	v_or_b32_e32 v12, 0x900, v0
	v_cmp_gt_u32_e64 s[16:17], s50, v12
	v_mov_b32_e32 v11, v1
	s_and_saveexec_b64 s[18:19], s[16:17]
	s_cbranch_execz .LBB469_20
; %bb.19:
	v_lshlrev_b32_e32 v11, 1, v12
	global_load_ushort v11, v11, s[48:49]
.LBB469_20:
	s_or_b64 exec, exec, s[18:19]
	v_or_b32_e32 v13, 0xa00, v0
	v_cmp_gt_u32_e64 s[18:19], s50, v13
	v_mov_b32_e32 v12, v1
	;; [unrolled: 10-line block ×14, first 2 shown]
	s_and_saveexec_b64 s[46:47], s[44:45]
	s_cbranch_execz .LBB469_46
; %bb.45:
	v_lshlrev_b32_e32 v25, 1, v26
	global_load_ushort v25, v25, s[48:49]
.LBB469_46:
	s_or_b64 exec, exec, s[46:47]
	v_or_b32_e32 v26, 0x1700, v0
	v_cmp_gt_u32_e64 s[46:47], s50, v26
	s_and_saveexec_b64 s[50:51], s[46:47]
	s_cbranch_execz .LBB469_48
; %bb.47:
	v_lshlrev_b32_e32 v1, 1, v26
	global_load_ushort v1, v1, s[48:49]
.LBB469_48:
	s_or_b64 exec, exec, s[50:51]
	s_waitcnt vmcnt(0)
	ds_write_b16 v14, v2
	ds_write_b16 v14, v3 offset:512
	ds_write_b16 v14, v4 offset:1024
	;; [unrolled: 1-line block ×23, first 2 shown]
	v_mad_u32_u24 v1, v0, 46, v14
	s_waitcnt lgkmcnt(0)
	s_barrier
	ds_read_b128 v[2:5], v1
	ds_read_b128 v[10:13], v1 offset:16
	ds_read_b128 v[6:9], v1 offset:32
	s_movk_i32 s33, 0x1f8
	s_waitcnt lgkmcnt(0)
	v_lshlrev_b32_e32 v49, 16, v2
	v_and_b32_e32 v1, 0xffff0000, v2
	v_max_f32_e32 v24, v1, v1
	v_max_f32_e32 v51, v49, v49
	v_min_f32_e32 v50, v51, v24
	v_cmp_u_f32_e64 s[94:95], v49, v49
	v_cmp_u_f32_e64 s[48:49], v1, v1
	v_max_f32_e32 v52, v51, v24
	v_cndmask_b32_e64 v15, v50, v49, s[94:95]
	v_cndmask_b32_e64 v16, v15, v1, s[48:49]
	;; [unrolled: 1-line block ×4, first 2 shown]
	v_cmp_neq_f32_e64 s[50:51], v16, v15
	v_cmp_class_f32_e64 s[52:53], v16, s33
	s_or_b64 s[50:51], s[50:51], s[52:53]
	v_mov_b32_e32 v17, v49
	s_barrier
	s_and_saveexec_b64 s[52:53], s[50:51]
	s_cbranch_execz .LBB469_50
; %bb.49:
	v_sub_f32_e32 v16, v16, v15
	s_mov_b32 s2, 0x3fb8aa3b
	v_mul_f32_e32 v17, 0x3fb8aa3b, v16
	v_fma_f32 v18, v16, s2, -v17
	v_rndne_f32_e32 v19, v17
	v_fmamk_f32 v18, v16, 0x32a5705f, v18
	v_sub_f32_e32 v17, v17, v19
	v_add_f32_e32 v17, v17, v18
	v_exp_f32_e32 v17, v17
	v_cvt_i32_f32_e32 v18, v19
	s_mov_b32 s2, 0xc2ce8ed0
	v_cmp_ngt_f32_e64 s[50:51], s2, v16
	s_mov_b32 s2, 0x42b17218
	v_ldexp_f32 v17, v17, v18
	v_cndmask_b32_e64 v17, 0, v17, s[50:51]
	v_mov_b32_e32 v18, 0x7f800000
	v_cmp_nlt_f32_e64 s[50:51], s2, v16
	s_mov_b32 s2, 0x3f2aaaab
	s_mov_b32 s3, 0x7f800000
	v_cndmask_b32_e64 v25, v18, v17, s[50:51]
	v_add_f32_e32 v18, 1.0, v25
	v_add_f32_e32 v16, -1.0, v18
	v_sub_f32_e32 v17, v16, v18
	v_add_f32_e32 v17, 1.0, v17
	v_sub_f32_e32 v16, v25, v16
	v_add_f32_e32 v19, v16, v17
	v_frexp_mant_f32_e32 v20, v18
	v_cvt_f64_f32_e32 v[16:17], v18
	v_frexp_exp_i32_f64_e32 v16, v[16:17]
	v_cmp_gt_f32_e64 s[50:51], s2, v20
	s_mov_b32 s2, 0x3f317218
	s_nop 0
	v_subbrev_co_u32_e64 v26, s[50:51], 0, v16, s[50:51]
	v_sub_u32_e32 v16, 0, v26
	v_ldexp_f32 v17, v18, v16
	v_add_f32_e32 v18, -1.0, v17
	v_add_f32_e32 v20, 1.0, v17
	v_ldexp_f32 v16, v19, v16
	v_add_f32_e32 v19, 1.0, v18
	v_add_f32_e32 v21, -1.0, v20
	v_sub_f32_e32 v19, v17, v19
	v_sub_f32_e32 v17, v17, v21
	v_add_f32_e32 v19, v16, v19
	v_add_f32_e32 v16, v16, v17
	;; [unrolled: 1-line block ×3, first 2 shown]
	v_rcp_f32_e32 v29, v27
	v_sub_f32_e32 v17, v20, v27
	v_add_f32_e32 v28, v16, v17
	v_add_f32_e32 v17, v18, v19
	v_mul_f32_e32 v31, v17, v29
	v_sub_f32_e32 v16, v18, v17
	v_mul_f32_e32 v18, v27, v31
	v_fma_f32 v20, v31, v27, -v18
	v_fmac_f32_e32 v20, v31, v28
	v_add_f32_e32 v30, v19, v16
	v_add_f32_e32 v16, v18, v20
	v_sub_f32_e32 v19, v17, v16
	v_pk_add_f32 v[22:23], v[16:17], v[18:19] neg_lo:[0,1] neg_hi:[0,1]
	v_mov_b32_e32 v21, v16
	v_pk_add_f32 v[16:17], v[22:23], v[20:21] neg_lo:[0,1] neg_hi:[0,1]
	v_cmp_eq_f32_e64 s[50:51], s3, v25
	v_add_f32_e32 v17, v30, v17
	v_add_f32_e32 v16, v16, v17
	;; [unrolled: 1-line block ×3, first 2 shown]
	v_mul_f32_e32 v30, v29, v17
	v_mul_f32_e32 v18, v27, v30
	v_fma_f32 v20, v30, v27, -v18
	v_fmac_f32_e32 v20, v30, v28
	v_sub_f32_e32 v19, v19, v17
	v_add_f32_e32 v27, v16, v19
	v_add_f32_e32 v16, v18, v20
	v_sub_f32_e32 v19, v17, v16
	v_pk_add_f32 v[22:23], v[16:17], v[18:19] neg_lo:[0,1] neg_hi:[0,1]
	v_mov_b32_e32 v21, v16
	v_pk_add_f32 v[16:17], v[22:23], v[20:21] neg_lo:[0,1] neg_hi:[0,1]
	v_cvt_f32_i32_e32 v18, v26
	v_add_f32_e32 v17, v27, v17
	v_add_f32_e32 v16, v16, v17
	;; [unrolled: 1-line block ×4, first 2 shown]
	v_sub_f32_e32 v17, v19, v31
	v_mul_f32_e32 v16, v29, v16
	v_sub_f32_e32 v17, v30, v17
	v_add_f32_e32 v16, v17, v16
	v_add_f32_e32 v20, v19, v16
	v_mul_f32_e32 v22, v20, v20
	v_mov_b32_e32 v17, 0x3ecc95a3
	v_sub_f32_e32 v19, v20, v19
	v_fmac_f32_e32 v17, 0x3e9b6dac, v22
	v_sub_f32_e32 v16, v16, v19
	v_fmaak_f32 v17, v22, v17, 0x3f2aaada
	v_ldexp_f32 v23, v16, 1
	v_mul_f32_e32 v19, v20, v22
	v_mov_b32_e32 v16, 0x3f317218
	v_pk_mul_f32 v[16:17], v[18:19], v[16:17]
	v_ldexp_f32 v21, v20, 1
	v_fma_f32 v19, v18, s2, -v16
	v_fmamk_f32 v20, v18, 0xb102e308, v19
	v_pk_add_f32 v[18:19], v[16:17], v[20:21]
	v_mov_b32_e32 v22, v16
	v_sub_f32_e32 v21, v19, v21
	v_sub_f32_e32 v21, v17, v21
	v_add_f32_e32 v23, v23, v21
	v_pk_add_f32 v[16:17], v[18:19], v[16:17] neg_lo:[0,1] neg_hi:[0,1]
	v_pk_add_f32 v[26:27], v[18:19], v[22:23]
	v_mov_b32_e32 v21, v18
	v_mov_b32_e32 v17, v27
	v_pk_add_f32 v[28:29], v[20:21], v[16:17] neg_lo:[0,1] neg_hi:[0,1]
	v_pk_add_f32 v[16:17], v[20:21], v[16:17]
	v_mov_b32_e32 v22, v23
	v_mov_b32_e32 v20, v17
	v_pk_add_f32 v[30:31], v[20:21], v[18:19] neg_lo:[0,1] neg_hi:[0,1]
	v_mov_b32_e32 v16, v27
	v_mov_b32_e32 v21, v30
	v_pk_add_f32 v[32:33], v[26:27], v[20:21] neg_lo:[0,1] neg_hi:[0,1]
	v_mov_b32_e32 v26, v19
	v_mov_b32_e32 v27, v30
	;; [unrolled: 1-line block ×3, first 2 shown]
	v_pk_add_f32 v[16:17], v[16:17], v[26:27] neg_lo:[0,1] neg_hi:[0,1]
	v_mov_b32_e32 v23, v18
	v_pk_add_f32 v[16:17], v[22:23], v[16:17] neg_lo:[0,1] neg_hi:[0,1]
	v_mov_b32_e32 v32, v28
	v_pk_add_f32 v[18:19], v[32:33], v[16:17]
	s_mov_b32 s2, 0x33800000
	v_mov_b32_e32 v22, v19
	v_pk_add_f32 v[22:23], v[18:19], v[22:23]
	v_cmp_lt_f32_e64 s[54:55], |v25|, s2
	v_pk_add_f32 v[20:21], v[20:21], v[22:23]
	v_mov_b32_e32 v17, v22
	v_mov_b32_e32 v19, v20
	v_pk_add_f32 v[26:27], v[18:19], v[28:29] neg_lo:[0,1] neg_hi:[0,1]
	s_or_b64 s[50:51], s[50:51], s[54:55]
	v_sub_f32_e32 v18, v18, v26
	v_pk_add_f32 v[16:17], v[16:17], v[26:27] neg_lo:[0,1] neg_hi:[0,1]
	v_sub_f32_e32 v18, v28, v18
	v_add_f32_e32 v16, v16, v18
	v_add_f32_e32 v16, v16, v17
	;; [unrolled: 1-line block ×3, first 2 shown]
	v_cndmask_b32_e64 v16, v16, v25, s[50:51]
	v_add_f32_e32 v17, v15, v16
.LBB469_50:
	s_or_b64 exec, exec, s[52:53]
	v_bfe_u32 v15, v17, 16, 1
	s_movk_i32 s56, 0x7fff
	v_add3_u32 v15, v17, v15, s56
	v_and_b32_e32 v15, 0xffff0000, v15
	v_mov_b32_e32 v16, 0x7fc00000
	v_cmp_o_f32_e64 s[50:51], v17, v17
	s_nop 1
	v_cndmask_b32_e64 v19, v16, v15, s[50:51]
	v_lshlrev_b32_e32 v15, 16, v3
	v_max_f32_e32 v18, v19, v19
	v_max_f32_e32 v17, v15, v15
	v_min_f32_e32 v20, v18, v17
	v_cmp_u_f32_e64 s[52:53], v19, v19
	v_max_f32_e32 v18, v18, v17
	v_cmp_u_f32_e64 s[50:51], v15, v15
	v_cndmask_b32_e64 v20, v20, v19, s[52:53]
	v_cndmask_b32_e64 v18, v18, v19, s[52:53]
	;; [unrolled: 1-line block ×4, first 2 shown]
	v_cmp_neq_f32_e64 s[52:53], v20, v18
	v_cmp_class_f32_e64 s[54:55], v20, s33
	s_or_b64 s[52:53], s[52:53], s[54:55]
	s_and_saveexec_b64 s[54:55], s[52:53]
	s_cbranch_execz .LBB469_52
; %bb.51:
	v_sub_f32_e32 v19, v20, v18
	s_mov_b32 s2, 0x3fb8aa3b
	v_mul_f32_e32 v20, 0x3fb8aa3b, v19
	v_fma_f32 v21, v19, s2, -v20
	v_rndne_f32_e32 v22, v20
	v_fmamk_f32 v21, v19, 0x32a5705f, v21
	v_sub_f32_e32 v20, v20, v22
	v_add_f32_e32 v20, v20, v21
	v_exp_f32_e32 v20, v20
	v_cvt_i32_f32_e32 v21, v22
	s_mov_b32 s2, 0xc2ce8ed0
	v_cmp_ngt_f32_e64 s[52:53], s2, v19
	s_mov_b32 s2, 0x42b17218
	v_ldexp_f32 v20, v20, v21
	v_cndmask_b32_e64 v20, 0, v20, s[52:53]
	v_mov_b32_e32 v21, 0x7f800000
	v_cmp_nlt_f32_e64 s[52:53], s2, v19
	s_mov_b32 s2, 0x3f2aaaab
	s_mov_b32 s3, 0x7f800000
	v_cndmask_b32_e64 v25, v21, v20, s[52:53]
	v_add_f32_e32 v19, 1.0, v25
	v_add_f32_e32 v20, -1.0, v19
	v_sub_f32_e32 v21, v20, v19
	v_add_f32_e32 v21, 1.0, v21
	v_sub_f32_e32 v20, v25, v20
	v_add_f32_e32 v22, v20, v21
	v_frexp_mant_f32_e32 v23, v19
	v_cvt_f64_f32_e32 v[20:21], v19
	v_frexp_exp_i32_f64_e32 v20, v[20:21]
	v_cmp_gt_f32_e64 s[52:53], s2, v23
	s_mov_b32 s2, 0x3f317218
	s_nop 0
	v_subbrev_co_u32_e64 v30, s[52:53], 0, v20, s[52:53]
	v_sub_u32_e32 v20, 0, v30
	v_ldexp_f32 v19, v19, v20
	v_ldexp_f32 v20, v22, v20
	v_add_f32_e32 v22, -1.0, v19
	v_add_f32_e32 v21, 1.0, v22
	v_sub_f32_e32 v21, v19, v21
	v_add_f32_e32 v23, v20, v21
	v_add_f32_e32 v21, 1.0, v19
	v_add_f32_e32 v26, -1.0, v21
	v_sub_f32_e32 v19, v19, v26
	v_add_f32_e32 v19, v20, v19
	v_add_f32_e32 v31, v21, v19
	v_rcp_f32_e32 v32, v31
	v_sub_f32_e32 v20, v21, v31
	v_add_f32_e32 v21, v22, v23
	v_add_f32_e32 v19, v19, v20
	v_mul_f32_e32 v34, v21, v32
	v_sub_f32_e32 v20, v22, v21
	v_mul_f32_e32 v22, v31, v34
	v_fma_f32 v26, v34, v31, -v22
	v_fmac_f32_e32 v26, v34, v19
	v_add_f32_e32 v33, v23, v20
	v_add_f32_e32 v20, v22, v26
	v_sub_f32_e32 v23, v21, v20
	v_pk_add_f32 v[28:29], v[20:21], v[22:23] neg_lo:[0,1] neg_hi:[0,1]
	v_mov_b32_e32 v27, v20
	v_pk_add_f32 v[20:21], v[28:29], v[26:27] neg_lo:[0,1] neg_hi:[0,1]
	v_cmp_eq_f32_e64 s[52:53], s3, v25
	v_add_f32_e32 v21, v33, v21
	v_add_f32_e32 v20, v20, v21
	;; [unrolled: 1-line block ×3, first 2 shown]
	v_mul_f32_e32 v33, v32, v21
	v_mul_f32_e32 v22, v31, v33
	v_fma_f32 v26, v33, v31, -v22
	v_fmac_f32_e32 v26, v33, v19
	v_sub_f32_e32 v19, v23, v21
	v_add_f32_e32 v19, v20, v19
	v_add_f32_e32 v20, v22, v26
	v_sub_f32_e32 v23, v21, v20
	v_pk_add_f32 v[28:29], v[20:21], v[22:23] neg_lo:[0,1] neg_hi:[0,1]
	v_mov_b32_e32 v27, v20
	v_pk_add_f32 v[20:21], v[28:29], v[26:27] neg_lo:[0,1] neg_hi:[0,1]
	v_cvt_f32_i32_e32 v22, v30
	v_add_f32_e32 v19, v19, v21
	v_add_f32_e32 v19, v20, v19
	;; [unrolled: 1-line block ×4, first 2 shown]
	v_sub_f32_e32 v21, v20, v34
	v_mul_f32_e32 v19, v32, v19
	v_sub_f32_e32 v21, v33, v21
	v_add_f32_e32 v19, v21, v19
	v_add_f32_e32 v23, v20, v19
	v_mul_f32_e32 v26, v23, v23
	v_mov_b32_e32 v21, 0x3ecc95a3
	v_fmac_f32_e32 v21, 0x3e9b6dac, v26
	v_sub_f32_e32 v20, v23, v20
	v_fmaak_f32 v21, v26, v21, 0x3f2aaada
	v_sub_f32_e32 v19, v19, v20
	v_ldexp_f32 v27, v23, 1
	v_mul_f32_e32 v23, v23, v26
	v_mov_b32_e32 v20, 0x3f317218
	v_pk_mul_f32 v[20:21], v[22:23], v[20:21]
	v_ldexp_f32 v19, v19, 1
	v_fma_f32 v23, v22, s2, -v20
	v_fmamk_f32 v26, v22, 0xb102e308, v23
	v_pk_add_f32 v[22:23], v[20:21], v[26:27]
	v_mov_b32_e32 v28, v20
	v_sub_f32_e32 v27, v23, v27
	v_sub_f32_e32 v27, v21, v27
	v_add_f32_e32 v29, v19, v27
	v_pk_add_f32 v[20:21], v[22:23], v[20:21] neg_lo:[0,1] neg_hi:[0,1]
	v_pk_add_f32 v[30:31], v[22:23], v[28:29]
	v_mov_b32_e32 v27, v22
	v_mov_b32_e32 v21, v31
	v_pk_add_f32 v[32:33], v[26:27], v[20:21] neg_lo:[0,1] neg_hi:[0,1]
	v_pk_add_f32 v[20:21], v[26:27], v[20:21]
	v_mov_b32_e32 v28, v29
	v_mov_b32_e32 v26, v21
	v_pk_add_f32 v[34:35], v[26:27], v[22:23] neg_lo:[0,1] neg_hi:[0,1]
	v_mov_b32_e32 v20, v31
	v_mov_b32_e32 v19, v34
	v_pk_add_f32 v[36:37], v[30:31], v[18:19] neg_lo:[0,1] neg_hi:[0,1]
	v_mov_b32_e32 v30, v23
	v_mov_b32_e32 v31, v34
	;; [unrolled: 1-line block ×3, first 2 shown]
	v_pk_add_f32 v[20:21], v[20:21], v[30:31] neg_lo:[0,1] neg_hi:[0,1]
	v_mov_b32_e32 v29, v22
	v_pk_add_f32 v[20:21], v[28:29], v[20:21] neg_lo:[0,1] neg_hi:[0,1]
	v_mov_b32_e32 v36, v32
	v_pk_add_f32 v[22:23], v[36:37], v[20:21]
	s_mov_b32 s2, 0x33800000
	v_mov_b32_e32 v28, v23
	v_pk_add_f32 v[28:29], v[22:23], v[28:29]
	v_cmp_lt_f32_e64 s[58:59], |v25|, s2
	v_pk_add_f32 v[26:27], v[26:27], v[28:29]
	v_mov_b32_e32 v21, v28
	v_mov_b32_e32 v23, v26
	v_pk_add_f32 v[30:31], v[22:23], v[32:33] neg_lo:[0,1] neg_hi:[0,1]
	s_or_b64 s[52:53], s[52:53], s[58:59]
	v_sub_f32_e32 v19, v22, v30
	v_pk_add_f32 v[20:21], v[20:21], v[30:31] neg_lo:[0,1] neg_hi:[0,1]
	v_sub_f32_e32 v19, v32, v19
	v_add_f32_e32 v19, v20, v19
	v_add_f32_e32 v19, v19, v21
	v_add_f32_e32 v19, v26, v19
	v_cndmask_b32_e64 v19, v19, v25, s[52:53]
	v_add_f32_e32 v19, v18, v19
.LBB469_52:
	s_or_b64 exec, exec, s[54:55]
	v_bfe_u32 v18, v19, 16, 1
	v_add3_u32 v18, v19, v18, s56
	v_and_b32_e32 v18, 0xffff0000, v18
	v_cmp_o_f32_e64 s[52:53], v19, v19
	v_and_b32_e32 v3, 0xffff0000, v3
	s_nop 0
	v_cndmask_b32_e64 v20, v16, v18, s[52:53]
	v_max_f32_e32 v16, v20, v20
	v_max_f32_e32 v18, v3, v3
	v_min_f32_e32 v19, v16, v18
	v_cmp_u_f32_e64 s[54:55], v20, v20
	v_max_f32_e32 v16, v16, v18
	v_cmp_u_f32_e64 s[52:53], v3, v3
	v_cndmask_b32_e64 v19, v19, v20, s[54:55]
	v_cndmask_b32_e64 v16, v16, v20, s[54:55]
	v_cndmask_b32_e64 v19, v19, v3, s[52:53]
	v_cndmask_b32_e64 v16, v16, v3, s[52:53]
	v_cmp_neq_f32_e64 s[54:55], v19, v16
	v_cmp_class_f32_e64 s[56:57], v19, s33
	s_or_b64 s[54:55], s[54:55], s[56:57]
	s_and_saveexec_b64 s[56:57], s[54:55]
	s_cbranch_execz .LBB469_54
; %bb.53:
	v_sub_f32_e32 v19, v19, v16
	s_mov_b32 s2, 0x3fb8aa3b
	v_mul_f32_e32 v20, 0x3fb8aa3b, v19
	v_fma_f32 v21, v19, s2, -v20
	v_rndne_f32_e32 v22, v20
	v_fmamk_f32 v21, v19, 0x32a5705f, v21
	v_sub_f32_e32 v20, v20, v22
	v_add_f32_e32 v20, v20, v21
	v_exp_f32_e32 v20, v20
	v_cvt_i32_f32_e32 v21, v22
	s_mov_b32 s2, 0xc2ce8ed0
	v_cmp_ngt_f32_e64 s[54:55], s2, v19
	s_mov_b32 s2, 0x42b17218
	v_ldexp_f32 v20, v20, v21
	v_cndmask_b32_e64 v20, 0, v20, s[54:55]
	v_mov_b32_e32 v21, 0x7f800000
	v_cmp_nlt_f32_e64 s[54:55], s2, v19
	s_mov_b32 s2, 0x3f2aaaab
	s_mov_b32 s3, 0x7f800000
	v_cndmask_b32_e64 v25, v21, v20, s[54:55]
	v_add_f32_e32 v19, 1.0, v25
	v_add_f32_e32 v20, -1.0, v19
	v_sub_f32_e32 v21, v20, v19
	v_add_f32_e32 v21, 1.0, v21
	v_sub_f32_e32 v20, v25, v20
	v_add_f32_e32 v22, v20, v21
	v_frexp_mant_f32_e32 v23, v19
	v_cvt_f64_f32_e32 v[20:21], v19
	v_frexp_exp_i32_f64_e32 v20, v[20:21]
	v_cmp_gt_f32_e64 s[54:55], s2, v23
	s_mov_b32 s2, 0x3f317218
	s_nop 0
	v_subbrev_co_u32_e64 v30, s[54:55], 0, v20, s[54:55]
	v_sub_u32_e32 v20, 0, v30
	v_ldexp_f32 v19, v19, v20
	v_ldexp_f32 v20, v22, v20
	v_add_f32_e32 v22, -1.0, v19
	v_add_f32_e32 v21, 1.0, v22
	v_sub_f32_e32 v21, v19, v21
	v_add_f32_e32 v23, v20, v21
	v_add_f32_e32 v21, 1.0, v19
	v_add_f32_e32 v26, -1.0, v21
	v_sub_f32_e32 v19, v19, v26
	v_add_f32_e32 v19, v20, v19
	v_add_f32_e32 v31, v21, v19
	v_rcp_f32_e32 v32, v31
	v_sub_f32_e32 v20, v21, v31
	v_add_f32_e32 v21, v22, v23
	v_add_f32_e32 v19, v19, v20
	v_mul_f32_e32 v34, v21, v32
	v_sub_f32_e32 v20, v22, v21
	v_mul_f32_e32 v22, v31, v34
	v_fma_f32 v26, v34, v31, -v22
	v_fmac_f32_e32 v26, v34, v19
	v_add_f32_e32 v33, v23, v20
	v_add_f32_e32 v20, v22, v26
	v_sub_f32_e32 v23, v21, v20
	v_pk_add_f32 v[28:29], v[20:21], v[22:23] neg_lo:[0,1] neg_hi:[0,1]
	v_mov_b32_e32 v27, v20
	v_pk_add_f32 v[20:21], v[28:29], v[26:27] neg_lo:[0,1] neg_hi:[0,1]
	v_cmp_eq_f32_e64 s[54:55], s3, v25
	v_add_f32_e32 v21, v33, v21
	v_add_f32_e32 v20, v20, v21
	;; [unrolled: 1-line block ×3, first 2 shown]
	v_mul_f32_e32 v33, v32, v21
	v_mul_f32_e32 v22, v31, v33
	v_fma_f32 v26, v33, v31, -v22
	v_fmac_f32_e32 v26, v33, v19
	v_sub_f32_e32 v19, v23, v21
	v_add_f32_e32 v19, v20, v19
	v_add_f32_e32 v20, v22, v26
	v_sub_f32_e32 v23, v21, v20
	v_pk_add_f32 v[28:29], v[20:21], v[22:23] neg_lo:[0,1] neg_hi:[0,1]
	v_mov_b32_e32 v27, v20
	v_pk_add_f32 v[20:21], v[28:29], v[26:27] neg_lo:[0,1] neg_hi:[0,1]
	v_cvt_f32_i32_e32 v22, v30
	v_add_f32_e32 v19, v19, v21
	v_add_f32_e32 v19, v20, v19
	;; [unrolled: 1-line block ×4, first 2 shown]
	v_sub_f32_e32 v21, v20, v34
	v_mul_f32_e32 v19, v32, v19
	v_sub_f32_e32 v21, v33, v21
	v_add_f32_e32 v19, v21, v19
	v_add_f32_e32 v23, v20, v19
	v_mul_f32_e32 v26, v23, v23
	v_mov_b32_e32 v21, 0x3ecc95a3
	v_fmac_f32_e32 v21, 0x3e9b6dac, v26
	v_sub_f32_e32 v20, v23, v20
	v_fmaak_f32 v21, v26, v21, 0x3f2aaada
	v_sub_f32_e32 v19, v19, v20
	v_ldexp_f32 v27, v23, 1
	v_mul_f32_e32 v23, v23, v26
	v_mov_b32_e32 v20, 0x3f317218
	v_pk_mul_f32 v[20:21], v[22:23], v[20:21]
	v_ldexp_f32 v19, v19, 1
	v_fma_f32 v23, v22, s2, -v20
	v_fmamk_f32 v26, v22, 0xb102e308, v23
	v_pk_add_f32 v[22:23], v[20:21], v[26:27]
	v_mov_b32_e32 v28, v20
	v_sub_f32_e32 v27, v23, v27
	v_sub_f32_e32 v27, v21, v27
	v_add_f32_e32 v29, v19, v27
	v_pk_add_f32 v[20:21], v[22:23], v[20:21] neg_lo:[0,1] neg_hi:[0,1]
	v_pk_add_f32 v[30:31], v[22:23], v[28:29]
	v_mov_b32_e32 v27, v22
	v_mov_b32_e32 v21, v31
	v_pk_add_f32 v[32:33], v[26:27], v[20:21] neg_lo:[0,1] neg_hi:[0,1]
	v_pk_add_f32 v[20:21], v[26:27], v[20:21]
	v_mov_b32_e32 v28, v29
	v_mov_b32_e32 v26, v21
	v_pk_add_f32 v[34:35], v[26:27], v[22:23] neg_lo:[0,1] neg_hi:[0,1]
	v_mov_b32_e32 v20, v31
	v_mov_b32_e32 v19, v34
	v_pk_add_f32 v[36:37], v[30:31], v[18:19] neg_lo:[0,1] neg_hi:[0,1]
	v_mov_b32_e32 v30, v23
	v_mov_b32_e32 v31, v34
	;; [unrolled: 1-line block ×3, first 2 shown]
	v_pk_add_f32 v[20:21], v[20:21], v[30:31] neg_lo:[0,1] neg_hi:[0,1]
	v_mov_b32_e32 v29, v22
	v_pk_add_f32 v[20:21], v[28:29], v[20:21] neg_lo:[0,1] neg_hi:[0,1]
	v_mov_b32_e32 v36, v32
	v_pk_add_f32 v[22:23], v[36:37], v[20:21]
	s_mov_b32 s2, 0x33800000
	v_mov_b32_e32 v28, v23
	v_pk_add_f32 v[28:29], v[22:23], v[28:29]
	v_cmp_lt_f32_e64 s[58:59], |v25|, s2
	v_pk_add_f32 v[26:27], v[26:27], v[28:29]
	v_mov_b32_e32 v21, v28
	v_mov_b32_e32 v23, v26
	v_pk_add_f32 v[30:31], v[22:23], v[32:33] neg_lo:[0,1] neg_hi:[0,1]
	s_or_b64 s[54:55], s[54:55], s[58:59]
	v_sub_f32_e32 v19, v22, v30
	v_pk_add_f32 v[20:21], v[20:21], v[30:31] neg_lo:[0,1] neg_hi:[0,1]
	v_sub_f32_e32 v19, v32, v19
	v_add_f32_e32 v19, v20, v19
	v_add_f32_e32 v19, v19, v21
	;; [unrolled: 1-line block ×3, first 2 shown]
	v_cndmask_b32_e64 v19, v19, v25, s[54:55]
	v_add_f32_e32 v20, v16, v19
.LBB469_54:
	s_or_b64 exec, exec, s[56:57]
	v_bfe_u32 v16, v20, 16, 1
	s_movk_i32 s60, 0x7fff
	v_add3_u32 v16, v20, v16, s60
	v_and_b32_e32 v16, 0xffff0000, v16
	v_mov_b32_e32 v19, 0x7fc00000
	v_cmp_o_f32_e64 s[54:55], v20, v20
	s_nop 1
	v_cndmask_b32_e64 v22, v19, v16, s[54:55]
	v_lshlrev_b32_e32 v16, 16, v4
	v_max_f32_e32 v21, v22, v22
	v_max_f32_e32 v20, v16, v16
	v_min_f32_e32 v23, v21, v20
	v_cmp_u_f32_e64 s[56:57], v22, v22
	v_max_f32_e32 v21, v21, v20
	v_cmp_u_f32_e64 s[54:55], v16, v16
	v_cndmask_b32_e64 v23, v23, v22, s[56:57]
	v_cndmask_b32_e64 v21, v21, v22, s[56:57]
	;; [unrolled: 1-line block ×4, first 2 shown]
	v_cmp_neq_f32_e64 s[56:57], v23, v21
	v_cmp_class_f32_e64 s[58:59], v23, s33
	s_or_b64 s[56:57], s[56:57], s[58:59]
	s_and_saveexec_b64 s[58:59], s[56:57]
	s_cbranch_execz .LBB469_56
; %bb.55:
	v_sub_f32_e32 v22, v23, v21
	s_mov_b32 s2, 0x3fb8aa3b
	v_mul_f32_e32 v23, 0x3fb8aa3b, v22
	v_fma_f32 v25, v22, s2, -v23
	v_rndne_f32_e32 v26, v23
	v_fmamk_f32 v25, v22, 0x32a5705f, v25
	v_sub_f32_e32 v23, v23, v26
	v_add_f32_e32 v23, v23, v25
	v_exp_f32_e32 v23, v23
	v_cvt_i32_f32_e32 v25, v26
	s_mov_b32 s2, 0xc2ce8ed0
	v_cmp_ngt_f32_e64 s[56:57], s2, v22
	s_mov_b32 s2, 0x42b17218
	v_ldexp_f32 v23, v23, v25
	v_cndmask_b32_e64 v23, 0, v23, s[56:57]
	v_mov_b32_e32 v25, 0x7f800000
	v_cmp_nlt_f32_e64 s[56:57], s2, v22
	s_mov_b32 s2, 0x3f2aaaab
	s_mov_b32 s3, 0x7f800000
	v_cndmask_b32_e64 v40, v25, v23, s[56:57]
	v_add_f32_e32 v25, 1.0, v40
	v_add_f32_e32 v22, -1.0, v25
	v_sub_f32_e32 v23, v22, v25
	v_add_f32_e32 v23, 1.0, v23
	v_sub_f32_e32 v22, v40, v22
	v_add_f32_e32 v26, v22, v23
	v_frexp_mant_f32_e32 v27, v25
	v_cvt_f64_f32_e32 v[22:23], v25
	v_frexp_exp_i32_f64_e32 v22, v[22:23]
	v_cmp_gt_f32_e64 s[56:57], s2, v27
	s_mov_b32 s2, 0x3f317218
	s_nop 0
	v_subbrev_co_u32_e64 v32, s[56:57], 0, v22, s[56:57]
	v_sub_u32_e32 v22, 0, v32
	v_ldexp_f32 v23, v25, v22
	v_add_f32_e32 v25, -1.0, v23
	v_add_f32_e32 v27, 1.0, v23
	v_ldexp_f32 v22, v26, v22
	v_add_f32_e32 v26, 1.0, v25
	v_add_f32_e32 v28, -1.0, v27
	v_sub_f32_e32 v26, v23, v26
	v_sub_f32_e32 v23, v23, v28
	v_add_f32_e32 v26, v22, v26
	v_add_f32_e32 v22, v22, v23
	;; [unrolled: 1-line block ×3, first 2 shown]
	v_rcp_f32_e32 v35, v33
	v_sub_f32_e32 v23, v27, v33
	v_add_f32_e32 v34, v22, v23
	v_add_f32_e32 v23, v25, v26
	v_sub_f32_e32 v22, v25, v23
	v_mul_f32_e32 v36, v23, v35
	v_add_f32_e32 v25, v26, v22
	v_mul_f32_e32 v26, v33, v36
	v_fma_f32 v28, v36, v33, -v26
	v_fmac_f32_e32 v28, v36, v34
	v_add_f32_e32 v22, v26, v28
	v_sub_f32_e32 v27, v23, v22
	v_pk_add_f32 v[30:31], v[22:23], v[26:27] neg_lo:[0,1] neg_hi:[0,1]
	v_mov_b32_e32 v29, v22
	v_pk_add_f32 v[22:23], v[30:31], v[28:29] neg_lo:[0,1] neg_hi:[0,1]
	v_cmp_eq_f32_e64 s[56:57], s3, v40
	v_add_f32_e32 v23, v25, v23
	v_add_f32_e32 v22, v22, v23
	;; [unrolled: 1-line block ×3, first 2 shown]
	v_mul_f32_e32 v25, v35, v23
	v_mul_f32_e32 v26, v33, v25
	v_fma_f32 v28, v25, v33, -v26
	v_fmac_f32_e32 v28, v25, v34
	v_sub_f32_e32 v27, v27, v23
	v_add_f32_e32 v33, v22, v27
	v_add_f32_e32 v22, v26, v28
	v_sub_f32_e32 v27, v23, v22
	v_pk_add_f32 v[30:31], v[22:23], v[26:27] neg_lo:[0,1] neg_hi:[0,1]
	v_mov_b32_e32 v29, v22
	v_pk_add_f32 v[22:23], v[30:31], v[28:29] neg_lo:[0,1] neg_hi:[0,1]
	v_cvt_f32_i32_e32 v26, v32
	v_add_f32_e32 v23, v33, v23
	v_add_f32_e32 v22, v22, v23
	;; [unrolled: 1-line block ×4, first 2 shown]
	v_sub_f32_e32 v23, v27, v36
	v_mul_f32_e32 v22, v35, v22
	v_sub_f32_e32 v23, v25, v23
	v_add_f32_e32 v22, v23, v22
	v_add_f32_e32 v25, v27, v22
	v_mul_f32_e32 v28, v25, v25
	v_mov_b32_e32 v23, 0x3ecc95a3
	v_sub_f32_e32 v27, v25, v27
	v_fmac_f32_e32 v23, 0x3e9b6dac, v28
	v_sub_f32_e32 v22, v22, v27
	v_fmaak_f32 v23, v28, v23, 0x3f2aaada
	v_ldexp_f32 v30, v22, 1
	v_mul_f32_e32 v27, v25, v28
	v_mov_b32_e32 v22, 0x3f317218
	v_pk_mul_f32 v[22:23], v[26:27], v[22:23]
	v_ldexp_f32 v29, v25, 1
	v_fma_f32 v25, v26, s2, -v22
	v_fmamk_f32 v28, v26, 0xb102e308, v25
	v_pk_add_f32 v[26:27], v[22:23], v[28:29]
	s_mov_b32 s2, 0x33800000
	v_sub_f32_e32 v25, v27, v29
	v_sub_f32_e32 v25, v23, v25
	v_add_f32_e32 v31, v30, v25
	v_mov_b32_e32 v30, v22
	v_pk_add_f32 v[22:23], v[26:27], v[22:23] neg_lo:[0,1] neg_hi:[0,1]
	v_pk_add_f32 v[32:33], v[26:27], v[30:31]
	v_mov_b32_e32 v29, v26
	v_mov_b32_e32 v23, v33
	v_pk_add_f32 v[34:35], v[28:29], v[22:23] neg_lo:[0,1] neg_hi:[0,1]
	v_pk_add_f32 v[22:23], v[28:29], v[22:23]
	v_mov_b32_e32 v30, v31
	v_mov_b32_e32 v28, v23
	v_pk_add_f32 v[36:37], v[28:29], v[26:27] neg_lo:[0,1] neg_hi:[0,1]
	v_mov_b32_e32 v22, v33
	v_mov_b32_e32 v25, v36
	v_pk_add_f32 v[38:39], v[32:33], v[24:25] neg_lo:[0,1] neg_hi:[0,1]
	v_mov_b32_e32 v32, v27
	v_mov_b32_e32 v33, v36
	;; [unrolled: 1-line block ×3, first 2 shown]
	v_pk_add_f32 v[22:23], v[22:23], v[32:33] neg_lo:[0,1] neg_hi:[0,1]
	v_mov_b32_e32 v31, v26
	v_pk_add_f32 v[22:23], v[30:31], v[22:23] neg_lo:[0,1] neg_hi:[0,1]
	v_mov_b32_e32 v38, v34
	v_pk_add_f32 v[26:27], v[38:39], v[22:23]
	v_cmp_lt_f32_e64 s[62:63], |v40|, s2
	v_mov_b32_e32 v30, v27
	v_pk_add_f32 v[30:31], v[26:27], v[30:31]
	s_or_b64 s[56:57], s[56:57], s[62:63]
	v_pk_add_f32 v[28:29], v[28:29], v[30:31]
	v_mov_b32_e32 v23, v30
	v_mov_b32_e32 v27, v28
	v_pk_add_f32 v[32:33], v[26:27], v[34:35] neg_lo:[0,1] neg_hi:[0,1]
	s_nop 0
	v_sub_f32_e32 v25, v26, v32
	v_pk_add_f32 v[22:23], v[22:23], v[32:33] neg_lo:[0,1] neg_hi:[0,1]
	v_sub_f32_e32 v25, v34, v25
	v_add_f32_e32 v22, v22, v25
	v_add_f32_e32 v22, v22, v23
	;; [unrolled: 1-line block ×3, first 2 shown]
	v_cndmask_b32_e64 v22, v22, v40, s[56:57]
	v_add_f32_e32 v22, v21, v22
.LBB469_56:
	s_or_b64 exec, exec, s[58:59]
	v_bfe_u32 v21, v22, 16, 1
	v_add3_u32 v21, v22, v21, s60
	v_and_b32_e32 v21, 0xffff0000, v21
	v_cmp_o_f32_e64 s[56:57], v22, v22
	v_and_b32_e32 v4, 0xffff0000, v4
	s_nop 0
	v_cndmask_b32_e64 v23, v19, v21, s[56:57]
	v_max_f32_e32 v19, v23, v23
	v_max_f32_e32 v21, v4, v4
	v_min_f32_e32 v22, v19, v21
	v_cmp_u_f32_e64 s[58:59], v23, v23
	v_max_f32_e32 v19, v19, v21
	v_cmp_u_f32_e64 s[56:57], v4, v4
	v_cndmask_b32_e64 v22, v22, v23, s[58:59]
	v_cndmask_b32_e64 v19, v19, v23, s[58:59]
	;; [unrolled: 1-line block ×4, first 2 shown]
	v_cmp_neq_f32_e64 s[58:59], v22, v19
	v_cmp_class_f32_e64 s[60:61], v22, s33
	s_or_b64 s[58:59], s[58:59], s[60:61]
	s_and_saveexec_b64 s[60:61], s[58:59]
	s_cbranch_execz .LBB469_58
; %bb.57:
	v_sub_f32_e32 v22, v22, v19
	s_mov_b32 s2, 0x3fb8aa3b
	v_mul_f32_e32 v23, 0x3fb8aa3b, v22
	v_fma_f32 v25, v22, s2, -v23
	v_rndne_f32_e32 v26, v23
	v_fmamk_f32 v25, v22, 0x32a5705f, v25
	v_sub_f32_e32 v23, v23, v26
	v_add_f32_e32 v23, v23, v25
	v_exp_f32_e32 v23, v23
	v_cvt_i32_f32_e32 v25, v26
	s_mov_b32 s2, 0xc2ce8ed0
	v_cmp_ngt_f32_e64 s[58:59], s2, v22
	s_mov_b32 s2, 0x42b17218
	v_ldexp_f32 v23, v23, v25
	v_cndmask_b32_e64 v23, 0, v23, s[58:59]
	v_mov_b32_e32 v25, 0x7f800000
	v_cmp_nlt_f32_e64 s[58:59], s2, v22
	s_mov_b32 s2, 0x3f2aaaab
	s_mov_b32 s3, 0x7f800000
	v_cndmask_b32_e64 v40, v25, v23, s[58:59]
	v_add_f32_e32 v25, 1.0, v40
	v_add_f32_e32 v22, -1.0, v25
	v_sub_f32_e32 v23, v22, v25
	v_add_f32_e32 v23, 1.0, v23
	v_sub_f32_e32 v22, v40, v22
	v_add_f32_e32 v26, v22, v23
	v_frexp_mant_f32_e32 v27, v25
	v_cvt_f64_f32_e32 v[22:23], v25
	v_frexp_exp_i32_f64_e32 v22, v[22:23]
	v_cmp_gt_f32_e64 s[58:59], s2, v27
	s_mov_b32 s2, 0x3f317218
	s_nop 0
	v_subbrev_co_u32_e64 v32, s[58:59], 0, v22, s[58:59]
	v_sub_u32_e32 v22, 0, v32
	v_ldexp_f32 v23, v25, v22
	v_add_f32_e32 v25, -1.0, v23
	v_add_f32_e32 v27, 1.0, v23
	v_ldexp_f32 v22, v26, v22
	v_add_f32_e32 v26, 1.0, v25
	v_add_f32_e32 v28, -1.0, v27
	v_sub_f32_e32 v26, v23, v26
	v_sub_f32_e32 v23, v23, v28
	v_add_f32_e32 v26, v22, v26
	v_add_f32_e32 v22, v22, v23
	;; [unrolled: 1-line block ×3, first 2 shown]
	v_rcp_f32_e32 v35, v33
	v_sub_f32_e32 v23, v27, v33
	v_add_f32_e32 v34, v22, v23
	v_add_f32_e32 v23, v25, v26
	v_sub_f32_e32 v22, v25, v23
	v_mul_f32_e32 v36, v23, v35
	v_add_f32_e32 v25, v26, v22
	v_mul_f32_e32 v26, v33, v36
	v_fma_f32 v28, v36, v33, -v26
	v_fmac_f32_e32 v28, v36, v34
	v_add_f32_e32 v22, v26, v28
	v_sub_f32_e32 v27, v23, v22
	v_pk_add_f32 v[30:31], v[22:23], v[26:27] neg_lo:[0,1] neg_hi:[0,1]
	v_mov_b32_e32 v29, v22
	v_pk_add_f32 v[22:23], v[30:31], v[28:29] neg_lo:[0,1] neg_hi:[0,1]
	v_cmp_eq_f32_e64 s[58:59], s3, v40
	v_add_f32_e32 v23, v25, v23
	v_add_f32_e32 v22, v22, v23
	v_add_f32_e32 v23, v27, v22
	v_mul_f32_e32 v25, v35, v23
	v_mul_f32_e32 v26, v33, v25
	v_fma_f32 v28, v25, v33, -v26
	v_fmac_f32_e32 v28, v25, v34
	v_sub_f32_e32 v27, v27, v23
	v_add_f32_e32 v33, v22, v27
	v_add_f32_e32 v22, v26, v28
	v_sub_f32_e32 v27, v23, v22
	v_pk_add_f32 v[30:31], v[22:23], v[26:27] neg_lo:[0,1] neg_hi:[0,1]
	v_mov_b32_e32 v29, v22
	v_pk_add_f32 v[22:23], v[30:31], v[28:29] neg_lo:[0,1] neg_hi:[0,1]
	v_cvt_f32_i32_e32 v26, v32
	v_add_f32_e32 v23, v33, v23
	v_add_f32_e32 v22, v22, v23
	;; [unrolled: 1-line block ×4, first 2 shown]
	v_sub_f32_e32 v23, v27, v36
	v_mul_f32_e32 v22, v35, v22
	v_sub_f32_e32 v23, v25, v23
	v_add_f32_e32 v22, v23, v22
	v_add_f32_e32 v25, v27, v22
	v_mul_f32_e32 v28, v25, v25
	v_mov_b32_e32 v23, 0x3ecc95a3
	v_sub_f32_e32 v27, v25, v27
	v_fmac_f32_e32 v23, 0x3e9b6dac, v28
	v_sub_f32_e32 v22, v22, v27
	v_fmaak_f32 v23, v28, v23, 0x3f2aaada
	v_ldexp_f32 v30, v22, 1
	v_mul_f32_e32 v27, v25, v28
	v_mov_b32_e32 v22, 0x3f317218
	v_pk_mul_f32 v[22:23], v[26:27], v[22:23]
	v_ldexp_f32 v29, v25, 1
	v_fma_f32 v25, v26, s2, -v22
	v_fmamk_f32 v28, v26, 0xb102e308, v25
	v_pk_add_f32 v[26:27], v[22:23], v[28:29]
	s_mov_b32 s2, 0x33800000
	v_sub_f32_e32 v25, v27, v29
	v_sub_f32_e32 v25, v23, v25
	v_add_f32_e32 v31, v30, v25
	v_mov_b32_e32 v30, v22
	v_pk_add_f32 v[22:23], v[26:27], v[22:23] neg_lo:[0,1] neg_hi:[0,1]
	v_pk_add_f32 v[32:33], v[26:27], v[30:31]
	v_mov_b32_e32 v29, v26
	v_mov_b32_e32 v23, v33
	v_pk_add_f32 v[34:35], v[28:29], v[22:23] neg_lo:[0,1] neg_hi:[0,1]
	v_pk_add_f32 v[22:23], v[28:29], v[22:23]
	v_mov_b32_e32 v30, v31
	v_mov_b32_e32 v28, v23
	v_pk_add_f32 v[36:37], v[28:29], v[26:27] neg_lo:[0,1] neg_hi:[0,1]
	v_mov_b32_e32 v22, v33
	v_mov_b32_e32 v25, v36
	v_pk_add_f32 v[38:39], v[32:33], v[24:25] neg_lo:[0,1] neg_hi:[0,1]
	v_mov_b32_e32 v32, v27
	v_mov_b32_e32 v33, v36
	;; [unrolled: 1-line block ×3, first 2 shown]
	v_pk_add_f32 v[22:23], v[22:23], v[32:33] neg_lo:[0,1] neg_hi:[0,1]
	v_mov_b32_e32 v31, v26
	v_pk_add_f32 v[22:23], v[30:31], v[22:23] neg_lo:[0,1] neg_hi:[0,1]
	v_mov_b32_e32 v38, v34
	v_pk_add_f32 v[26:27], v[38:39], v[22:23]
	v_cmp_lt_f32_e64 s[62:63], |v40|, s2
	v_mov_b32_e32 v30, v27
	v_pk_add_f32 v[30:31], v[26:27], v[30:31]
	s_or_b64 s[58:59], s[58:59], s[62:63]
	v_pk_add_f32 v[28:29], v[28:29], v[30:31]
	v_mov_b32_e32 v23, v30
	v_mov_b32_e32 v27, v28
	v_pk_add_f32 v[32:33], v[26:27], v[34:35] neg_lo:[0,1] neg_hi:[0,1]
	s_nop 0
	v_sub_f32_e32 v25, v26, v32
	v_pk_add_f32 v[22:23], v[22:23], v[32:33] neg_lo:[0,1] neg_hi:[0,1]
	v_sub_f32_e32 v25, v34, v25
	v_add_f32_e32 v22, v22, v25
	v_add_f32_e32 v22, v22, v23
	;; [unrolled: 1-line block ×3, first 2 shown]
	v_cndmask_b32_e64 v22, v22, v40, s[58:59]
	v_add_f32_e32 v23, v19, v22
.LBB469_58:
	s_or_b64 exec, exec, s[60:61]
	v_bfe_u32 v19, v23, 16, 1
	s_movk_i32 s64, 0x7fff
	v_add3_u32 v19, v23, v19, s64
	v_and_b32_e32 v19, 0xffff0000, v19
	v_mov_b32_e32 v22, 0x7fc00000
	v_cmp_o_f32_e64 s[58:59], v23, v23
	s_nop 1
	v_cndmask_b32_e64 v26, v22, v19, s[58:59]
	v_lshlrev_b32_e32 v19, 16, v5
	v_max_f32_e32 v25, v26, v26
	v_max_f32_e32 v23, v19, v19
	v_min_f32_e32 v27, v25, v23
	v_cmp_u_f32_e64 s[60:61], v26, v26
	v_max_f32_e32 v25, v25, v23
	v_cmp_u_f32_e64 s[58:59], v19, v19
	v_cndmask_b32_e64 v27, v27, v26, s[60:61]
	v_cndmask_b32_e64 v25, v25, v26, s[60:61]
	;; [unrolled: 1-line block ×4, first 2 shown]
	v_cmp_neq_f32_e64 s[60:61], v27, v25
	v_cmp_class_f32_e64 s[62:63], v27, s33
	s_or_b64 s[60:61], s[60:61], s[62:63]
	s_and_saveexec_b64 s[62:63], s[60:61]
	s_cbranch_execz .LBB469_60
; %bb.59:
	v_sub_f32_e32 v26, v27, v25
	s_mov_b32 s2, 0x3fb8aa3b
	v_mul_f32_e32 v27, 0x3fb8aa3b, v26
	v_fma_f32 v28, v26, s2, -v27
	v_rndne_f32_e32 v29, v27
	v_fmamk_f32 v28, v26, 0x32a5705f, v28
	v_sub_f32_e32 v27, v27, v29
	v_add_f32_e32 v27, v27, v28
	v_exp_f32_e32 v27, v27
	v_cvt_i32_f32_e32 v28, v29
	s_mov_b32 s2, 0xc2ce8ed0
	v_cmp_ngt_f32_e64 s[60:61], s2, v26
	s_mov_b32 s2, 0x42b17218
	v_ldexp_f32 v27, v27, v28
	v_cndmask_b32_e64 v27, 0, v27, s[60:61]
	v_mov_b32_e32 v28, 0x7f800000
	v_cmp_nlt_f32_e64 s[60:61], s2, v26
	s_mov_b32 s2, 0x3f2aaaab
	s_mov_b32 s3, 0x7f800000
	v_cndmask_b32_e64 v42, v28, v27, s[60:61]
	v_add_f32_e32 v28, 1.0, v42
	v_add_f32_e32 v26, -1.0, v28
	v_sub_f32_e32 v27, v26, v28
	v_add_f32_e32 v27, 1.0, v27
	v_sub_f32_e32 v26, v42, v26
	v_add_f32_e32 v29, v26, v27
	v_frexp_mant_f32_e32 v30, v28
	v_cvt_f64_f32_e32 v[26:27], v28
	v_frexp_exp_i32_f64_e32 v26, v[26:27]
	v_cmp_gt_f32_e64 s[60:61], s2, v30
	s_mov_b32 s2, 0x3f317218
	s_nop 0
	v_subbrev_co_u32_e64 v34, s[60:61], 0, v26, s[60:61]
	v_sub_u32_e32 v26, 0, v34
	v_ldexp_f32 v27, v28, v26
	v_add_f32_e32 v28, -1.0, v27
	v_add_f32_e32 v30, 1.0, v27
	v_ldexp_f32 v26, v29, v26
	v_add_f32_e32 v29, 1.0, v28
	v_add_f32_e32 v31, -1.0, v30
	v_sub_f32_e32 v29, v27, v29
	v_sub_f32_e32 v27, v27, v31
	v_add_f32_e32 v29, v26, v29
	v_add_f32_e32 v26, v26, v27
	;; [unrolled: 1-line block ×3, first 2 shown]
	v_rcp_f32_e32 v37, v35
	v_sub_f32_e32 v27, v30, v35
	v_add_f32_e32 v36, v26, v27
	v_add_f32_e32 v27, v28, v29
	v_mul_f32_e32 v39, v27, v37
	v_sub_f32_e32 v26, v28, v27
	v_mul_f32_e32 v28, v35, v39
	v_fma_f32 v30, v39, v35, -v28
	v_fmac_f32_e32 v30, v39, v36
	v_add_f32_e32 v38, v29, v26
	v_add_f32_e32 v26, v28, v30
	v_sub_f32_e32 v29, v27, v26
	v_pk_add_f32 v[32:33], v[26:27], v[28:29] neg_lo:[0,1] neg_hi:[0,1]
	v_mov_b32_e32 v31, v26
	v_pk_add_f32 v[26:27], v[32:33], v[30:31] neg_lo:[0,1] neg_hi:[0,1]
	v_cmp_eq_f32_e64 s[60:61], s3, v42
	v_add_f32_e32 v27, v38, v27
	v_add_f32_e32 v26, v26, v27
	;; [unrolled: 1-line block ×3, first 2 shown]
	v_mul_f32_e32 v38, v37, v27
	v_mul_f32_e32 v28, v35, v38
	v_fma_f32 v30, v38, v35, -v28
	v_fmac_f32_e32 v30, v38, v36
	v_sub_f32_e32 v29, v29, v27
	v_add_f32_e32 v35, v26, v29
	v_add_f32_e32 v26, v28, v30
	v_sub_f32_e32 v29, v27, v26
	v_pk_add_f32 v[32:33], v[26:27], v[28:29] neg_lo:[0,1] neg_hi:[0,1]
	v_mov_b32_e32 v31, v26
	v_pk_add_f32 v[26:27], v[32:33], v[30:31] neg_lo:[0,1] neg_hi:[0,1]
	v_cvt_f32_i32_e32 v28, v34
	v_add_f32_e32 v27, v35, v27
	v_add_f32_e32 v26, v26, v27
	;; [unrolled: 1-line block ×4, first 2 shown]
	v_sub_f32_e32 v27, v29, v39
	v_mul_f32_e32 v26, v37, v26
	v_sub_f32_e32 v27, v38, v27
	v_add_f32_e32 v26, v27, v26
	v_add_f32_e32 v30, v29, v26
	v_mul_f32_e32 v32, v30, v30
	v_mov_b32_e32 v27, 0x3ecc95a3
	v_sub_f32_e32 v29, v30, v29
	v_fmac_f32_e32 v27, 0x3e9b6dac, v32
	v_sub_f32_e32 v26, v26, v29
	v_fmaak_f32 v27, v32, v27, 0x3f2aaada
	v_ldexp_f32 v33, v26, 1
	v_mul_f32_e32 v29, v30, v32
	v_mov_b32_e32 v26, 0x3f317218
	v_pk_mul_f32 v[26:27], v[28:29], v[26:27]
	v_ldexp_f32 v31, v30, 1
	v_fma_f32 v29, v28, s2, -v26
	v_fmamk_f32 v30, v28, 0xb102e308, v29
	v_pk_add_f32 v[28:29], v[26:27], v[30:31]
	v_mov_b32_e32 v32, v26
	v_sub_f32_e32 v31, v29, v31
	v_sub_f32_e32 v31, v27, v31
	v_add_f32_e32 v33, v33, v31
	v_pk_add_f32 v[26:27], v[28:29], v[26:27] neg_lo:[0,1] neg_hi:[0,1]
	v_pk_add_f32 v[34:35], v[28:29], v[32:33]
	v_mov_b32_e32 v31, v28
	v_mov_b32_e32 v27, v35
	v_pk_add_f32 v[36:37], v[30:31], v[26:27] neg_lo:[0,1] neg_hi:[0,1]
	v_pk_add_f32 v[26:27], v[30:31], v[26:27]
	v_mov_b32_e32 v32, v33
	v_mov_b32_e32 v30, v27
	v_pk_add_f32 v[38:39], v[30:31], v[28:29] neg_lo:[0,1] neg_hi:[0,1]
	v_mov_b32_e32 v26, v35
	v_mov_b32_e32 v31, v38
	v_pk_add_f32 v[40:41], v[34:35], v[30:31] neg_lo:[0,1] neg_hi:[0,1]
	v_mov_b32_e32 v34, v29
	v_mov_b32_e32 v35, v38
	;; [unrolled: 1-line block ×3, first 2 shown]
	v_pk_add_f32 v[26:27], v[26:27], v[34:35] neg_lo:[0,1] neg_hi:[0,1]
	v_mov_b32_e32 v33, v28
	v_pk_add_f32 v[26:27], v[32:33], v[26:27] neg_lo:[0,1] neg_hi:[0,1]
	v_mov_b32_e32 v40, v36
	v_pk_add_f32 v[28:29], v[40:41], v[26:27]
	s_mov_b32 s2, 0x33800000
	v_mov_b32_e32 v32, v29
	v_pk_add_f32 v[32:33], v[28:29], v[32:33]
	v_cmp_lt_f32_e64 s[66:67], |v42|, s2
	v_pk_add_f32 v[30:31], v[30:31], v[32:33]
	v_mov_b32_e32 v27, v32
	v_mov_b32_e32 v29, v30
	v_pk_add_f32 v[34:35], v[28:29], v[36:37] neg_lo:[0,1] neg_hi:[0,1]
	s_or_b64 s[60:61], s[60:61], s[66:67]
	v_sub_f32_e32 v28, v28, v34
	v_pk_add_f32 v[26:27], v[26:27], v[34:35] neg_lo:[0,1] neg_hi:[0,1]
	v_sub_f32_e32 v28, v36, v28
	v_add_f32_e32 v26, v26, v28
	v_add_f32_e32 v26, v26, v27
	;; [unrolled: 1-line block ×3, first 2 shown]
	v_cndmask_b32_e64 v26, v26, v42, s[60:61]
	v_add_f32_e32 v26, v25, v26
.LBB469_60:
	s_or_b64 exec, exec, s[62:63]
	v_bfe_u32 v25, v26, 16, 1
	v_add3_u32 v25, v26, v25, s64
	v_and_b32_e32 v25, 0xffff0000, v25
	v_cmp_o_f32_e64 s[60:61], v26, v26
	v_and_b32_e32 v5, 0xffff0000, v5
	s_nop 0
	v_cndmask_b32_e64 v27, v22, v25, s[60:61]
	v_max_f32_e32 v22, v27, v27
	v_max_f32_e32 v25, v5, v5
	v_min_f32_e32 v26, v22, v25
	v_cmp_u_f32_e64 s[62:63], v27, v27
	v_max_f32_e32 v22, v22, v25
	v_cmp_u_f32_e64 s[60:61], v5, v5
	v_cndmask_b32_e64 v26, v26, v27, s[62:63]
	v_cndmask_b32_e64 v22, v22, v27, s[62:63]
	;; [unrolled: 1-line block ×4, first 2 shown]
	v_cmp_neq_f32_e64 s[62:63], v26, v22
	v_cmp_class_f32_e64 s[64:65], v26, s33
	s_or_b64 s[62:63], s[62:63], s[64:65]
	s_and_saveexec_b64 s[64:65], s[62:63]
	s_cbranch_execz .LBB469_62
; %bb.61:
	v_sub_f32_e32 v26, v26, v22
	s_mov_b32 s2, 0x3fb8aa3b
	v_mul_f32_e32 v27, 0x3fb8aa3b, v26
	v_fma_f32 v28, v26, s2, -v27
	v_rndne_f32_e32 v29, v27
	v_fmamk_f32 v28, v26, 0x32a5705f, v28
	v_sub_f32_e32 v27, v27, v29
	v_add_f32_e32 v27, v27, v28
	v_exp_f32_e32 v27, v27
	v_cvt_i32_f32_e32 v28, v29
	s_mov_b32 s2, 0xc2ce8ed0
	v_cmp_ngt_f32_e64 s[62:63], s2, v26
	s_mov_b32 s2, 0x42b17218
	v_ldexp_f32 v27, v27, v28
	v_cndmask_b32_e64 v27, 0, v27, s[62:63]
	v_mov_b32_e32 v28, 0x7f800000
	v_cmp_nlt_f32_e64 s[62:63], s2, v26
	s_mov_b32 s2, 0x3f2aaaab
	s_mov_b32 s3, 0x7f800000
	v_cndmask_b32_e64 v42, v28, v27, s[62:63]
	v_add_f32_e32 v28, 1.0, v42
	v_add_f32_e32 v26, -1.0, v28
	v_sub_f32_e32 v27, v26, v28
	v_add_f32_e32 v27, 1.0, v27
	v_sub_f32_e32 v26, v42, v26
	v_add_f32_e32 v29, v26, v27
	v_frexp_mant_f32_e32 v30, v28
	v_cvt_f64_f32_e32 v[26:27], v28
	v_frexp_exp_i32_f64_e32 v26, v[26:27]
	v_cmp_gt_f32_e64 s[62:63], s2, v30
	s_mov_b32 s2, 0x3f317218
	s_nop 0
	v_subbrev_co_u32_e64 v34, s[62:63], 0, v26, s[62:63]
	v_sub_u32_e32 v26, 0, v34
	v_ldexp_f32 v27, v28, v26
	v_add_f32_e32 v28, -1.0, v27
	v_add_f32_e32 v30, 1.0, v27
	v_ldexp_f32 v26, v29, v26
	v_add_f32_e32 v29, 1.0, v28
	v_add_f32_e32 v31, -1.0, v30
	v_sub_f32_e32 v29, v27, v29
	v_sub_f32_e32 v27, v27, v31
	v_add_f32_e32 v29, v26, v29
	v_add_f32_e32 v26, v26, v27
	v_add_f32_e32 v35, v30, v26
	v_rcp_f32_e32 v37, v35
	v_sub_f32_e32 v27, v30, v35
	v_add_f32_e32 v36, v26, v27
	v_add_f32_e32 v27, v28, v29
	v_mul_f32_e32 v39, v27, v37
	v_sub_f32_e32 v26, v28, v27
	v_mul_f32_e32 v28, v35, v39
	v_fma_f32 v30, v39, v35, -v28
	v_fmac_f32_e32 v30, v39, v36
	v_add_f32_e32 v38, v29, v26
	v_add_f32_e32 v26, v28, v30
	v_sub_f32_e32 v29, v27, v26
	v_pk_add_f32 v[32:33], v[26:27], v[28:29] neg_lo:[0,1] neg_hi:[0,1]
	v_mov_b32_e32 v31, v26
	v_pk_add_f32 v[26:27], v[32:33], v[30:31] neg_lo:[0,1] neg_hi:[0,1]
	v_cmp_eq_f32_e64 s[62:63], s3, v42
	v_add_f32_e32 v27, v38, v27
	v_add_f32_e32 v26, v26, v27
	;; [unrolled: 1-line block ×3, first 2 shown]
	v_mul_f32_e32 v38, v37, v27
	v_mul_f32_e32 v28, v35, v38
	v_fma_f32 v30, v38, v35, -v28
	v_fmac_f32_e32 v30, v38, v36
	v_sub_f32_e32 v29, v29, v27
	v_add_f32_e32 v35, v26, v29
	v_add_f32_e32 v26, v28, v30
	v_sub_f32_e32 v29, v27, v26
	v_pk_add_f32 v[32:33], v[26:27], v[28:29] neg_lo:[0,1] neg_hi:[0,1]
	v_mov_b32_e32 v31, v26
	v_pk_add_f32 v[26:27], v[32:33], v[30:31] neg_lo:[0,1] neg_hi:[0,1]
	v_cvt_f32_i32_e32 v28, v34
	v_add_f32_e32 v27, v35, v27
	v_add_f32_e32 v26, v26, v27
	;; [unrolled: 1-line block ×4, first 2 shown]
	v_sub_f32_e32 v27, v29, v39
	v_mul_f32_e32 v26, v37, v26
	v_sub_f32_e32 v27, v38, v27
	v_add_f32_e32 v26, v27, v26
	v_add_f32_e32 v30, v29, v26
	v_mul_f32_e32 v32, v30, v30
	v_mov_b32_e32 v27, 0x3ecc95a3
	v_sub_f32_e32 v29, v30, v29
	v_fmac_f32_e32 v27, 0x3e9b6dac, v32
	v_sub_f32_e32 v26, v26, v29
	v_fmaak_f32 v27, v32, v27, 0x3f2aaada
	v_ldexp_f32 v33, v26, 1
	v_mul_f32_e32 v29, v30, v32
	v_mov_b32_e32 v26, 0x3f317218
	v_pk_mul_f32 v[26:27], v[28:29], v[26:27]
	v_ldexp_f32 v31, v30, 1
	v_fma_f32 v29, v28, s2, -v26
	v_fmamk_f32 v30, v28, 0xb102e308, v29
	v_pk_add_f32 v[28:29], v[26:27], v[30:31]
	v_mov_b32_e32 v32, v26
	v_sub_f32_e32 v31, v29, v31
	v_sub_f32_e32 v31, v27, v31
	v_add_f32_e32 v33, v33, v31
	v_pk_add_f32 v[26:27], v[28:29], v[26:27] neg_lo:[0,1] neg_hi:[0,1]
	v_pk_add_f32 v[34:35], v[28:29], v[32:33]
	v_mov_b32_e32 v31, v28
	v_mov_b32_e32 v27, v35
	v_pk_add_f32 v[36:37], v[30:31], v[26:27] neg_lo:[0,1] neg_hi:[0,1]
	v_pk_add_f32 v[26:27], v[30:31], v[26:27]
	v_mov_b32_e32 v32, v33
	v_mov_b32_e32 v30, v27
	v_pk_add_f32 v[38:39], v[30:31], v[28:29] neg_lo:[0,1] neg_hi:[0,1]
	v_mov_b32_e32 v26, v35
	v_mov_b32_e32 v31, v38
	v_pk_add_f32 v[40:41], v[34:35], v[30:31] neg_lo:[0,1] neg_hi:[0,1]
	v_mov_b32_e32 v34, v29
	v_mov_b32_e32 v35, v38
	;; [unrolled: 1-line block ×3, first 2 shown]
	v_pk_add_f32 v[26:27], v[26:27], v[34:35] neg_lo:[0,1] neg_hi:[0,1]
	v_mov_b32_e32 v33, v28
	v_pk_add_f32 v[26:27], v[32:33], v[26:27] neg_lo:[0,1] neg_hi:[0,1]
	v_mov_b32_e32 v40, v36
	v_pk_add_f32 v[28:29], v[40:41], v[26:27]
	s_mov_b32 s2, 0x33800000
	v_mov_b32_e32 v32, v29
	v_pk_add_f32 v[32:33], v[28:29], v[32:33]
	v_cmp_lt_f32_e64 s[66:67], |v42|, s2
	v_pk_add_f32 v[30:31], v[30:31], v[32:33]
	v_mov_b32_e32 v27, v32
	v_mov_b32_e32 v29, v30
	v_pk_add_f32 v[34:35], v[28:29], v[36:37] neg_lo:[0,1] neg_hi:[0,1]
	s_or_b64 s[62:63], s[62:63], s[66:67]
	v_sub_f32_e32 v28, v28, v34
	v_pk_add_f32 v[26:27], v[26:27], v[34:35] neg_lo:[0,1] neg_hi:[0,1]
	v_sub_f32_e32 v28, v36, v28
	v_add_f32_e32 v26, v26, v28
	v_add_f32_e32 v26, v26, v27
	;; [unrolled: 1-line block ×3, first 2 shown]
	v_cndmask_b32_e64 v26, v26, v42, s[62:63]
	v_add_f32_e32 v27, v22, v26
.LBB469_62:
	s_or_b64 exec, exec, s[64:65]
	v_bfe_u32 v22, v27, 16, 1
	s_movk_i32 s68, 0x7fff
	v_add3_u32 v22, v27, v22, s68
	v_and_b32_e32 v22, 0xffff0000, v22
	v_mov_b32_e32 v26, 0x7fc00000
	v_cmp_o_f32_e64 s[62:63], v27, v27
	s_nop 1
	v_cndmask_b32_e64 v29, v26, v22, s[62:63]
	v_lshlrev_b32_e32 v22, 16, v10
	v_max_f32_e32 v28, v29, v29
	v_max_f32_e32 v27, v22, v22
	v_min_f32_e32 v30, v28, v27
	v_cmp_u_f32_e64 s[64:65], v29, v29
	v_max_f32_e32 v28, v28, v27
	v_cmp_u_f32_e64 s[62:63], v22, v22
	v_cndmask_b32_e64 v30, v30, v29, s[64:65]
	v_cndmask_b32_e64 v28, v28, v29, s[64:65]
	;; [unrolled: 1-line block ×4, first 2 shown]
	v_cmp_neq_f32_e64 s[64:65], v30, v28
	v_cmp_class_f32_e64 s[66:67], v30, s33
	s_or_b64 s[64:65], s[64:65], s[66:67]
	s_and_saveexec_b64 s[66:67], s[64:65]
	s_cbranch_execz .LBB469_64
; %bb.63:
	v_sub_f32_e32 v29, v30, v28
	s_mov_b32 s2, 0x3fb8aa3b
	v_mul_f32_e32 v30, 0x3fb8aa3b, v29
	v_fma_f32 v31, v29, s2, -v30
	v_rndne_f32_e32 v32, v30
	v_fmamk_f32 v31, v29, 0x32a5705f, v31
	v_sub_f32_e32 v30, v30, v32
	v_add_f32_e32 v30, v30, v31
	v_exp_f32_e32 v30, v30
	v_cvt_i32_f32_e32 v31, v32
	s_mov_b32 s2, 0xc2ce8ed0
	v_cmp_ngt_f32_e64 s[64:65], s2, v29
	s_mov_b32 s2, 0x42b17218
	v_ldexp_f32 v30, v30, v31
	v_cndmask_b32_e64 v30, 0, v30, s[64:65]
	v_mov_b32_e32 v31, 0x7f800000
	v_cmp_nlt_f32_e64 s[64:65], s2, v29
	s_mov_b32 s2, 0x3f2aaaab
	s_mov_b32 s3, 0x7f800000
	v_cndmask_b32_e64 v46, v31, v30, s[64:65]
	v_add_f32_e32 v29, 1.0, v46
	v_add_f32_e32 v30, -1.0, v29
	v_sub_f32_e32 v31, v30, v29
	v_add_f32_e32 v31, 1.0, v31
	v_sub_f32_e32 v30, v46, v30
	v_add_f32_e32 v32, v30, v31
	v_frexp_mant_f32_e32 v33, v29
	v_cvt_f64_f32_e32 v[30:31], v29
	v_frexp_exp_i32_f64_e32 v30, v[30:31]
	v_cmp_gt_f32_e64 s[64:65], s2, v33
	s_mov_b32 s2, 0x3f317218
	s_nop 0
	v_subbrev_co_u32_e64 v38, s[64:65], 0, v30, s[64:65]
	v_sub_u32_e32 v30, 0, v38
	v_ldexp_f32 v29, v29, v30
	v_ldexp_f32 v30, v32, v30
	v_add_f32_e32 v32, -1.0, v29
	v_add_f32_e32 v31, 1.0, v32
	v_sub_f32_e32 v31, v29, v31
	v_add_f32_e32 v33, v30, v31
	v_add_f32_e32 v31, 1.0, v29
	v_add_f32_e32 v34, -1.0, v31
	v_sub_f32_e32 v29, v29, v34
	v_add_f32_e32 v29, v30, v29
	v_add_f32_e32 v39, v31, v29
	v_rcp_f32_e32 v40, v39
	v_sub_f32_e32 v30, v31, v39
	v_add_f32_e32 v31, v32, v33
	v_add_f32_e32 v29, v29, v30
	v_mul_f32_e32 v42, v31, v40
	v_sub_f32_e32 v30, v32, v31
	v_mul_f32_e32 v32, v39, v42
	v_fma_f32 v34, v42, v39, -v32
	v_fmac_f32_e32 v34, v42, v29
	v_add_f32_e32 v41, v33, v30
	v_add_f32_e32 v30, v32, v34
	v_sub_f32_e32 v33, v31, v30
	v_pk_add_f32 v[36:37], v[30:31], v[32:33] neg_lo:[0,1] neg_hi:[0,1]
	v_mov_b32_e32 v35, v30
	v_pk_add_f32 v[30:31], v[36:37], v[34:35] neg_lo:[0,1] neg_hi:[0,1]
	v_cmp_eq_f32_e64 s[64:65], s3, v46
	v_add_f32_e32 v31, v41, v31
	v_add_f32_e32 v30, v30, v31
	;; [unrolled: 1-line block ×3, first 2 shown]
	v_mul_f32_e32 v41, v40, v31
	v_mul_f32_e32 v32, v39, v41
	v_fma_f32 v34, v41, v39, -v32
	v_fmac_f32_e32 v34, v41, v29
	v_sub_f32_e32 v29, v33, v31
	v_add_f32_e32 v29, v30, v29
	v_add_f32_e32 v30, v32, v34
	v_sub_f32_e32 v33, v31, v30
	v_pk_add_f32 v[36:37], v[30:31], v[32:33] neg_lo:[0,1] neg_hi:[0,1]
	v_mov_b32_e32 v35, v30
	v_pk_add_f32 v[30:31], v[36:37], v[34:35] neg_lo:[0,1] neg_hi:[0,1]
	v_cvt_f32_i32_e32 v32, v38
	v_add_f32_e32 v29, v29, v31
	v_add_f32_e32 v29, v30, v29
	v_add_f32_e32 v30, v42, v41
	v_add_f32_e32 v29, v33, v29
	v_sub_f32_e32 v31, v30, v42
	v_mul_f32_e32 v29, v40, v29
	v_sub_f32_e32 v31, v41, v31
	v_add_f32_e32 v29, v31, v29
	v_add_f32_e32 v33, v30, v29
	v_mul_f32_e32 v34, v33, v33
	v_mov_b32_e32 v31, 0x3ecc95a3
	v_fmac_f32_e32 v31, 0x3e9b6dac, v34
	v_sub_f32_e32 v30, v33, v30
	v_fmaak_f32 v31, v34, v31, 0x3f2aaada
	v_sub_f32_e32 v29, v29, v30
	v_ldexp_f32 v35, v33, 1
	v_mul_f32_e32 v33, v33, v34
	v_mov_b32_e32 v30, 0x3f317218
	v_pk_mul_f32 v[30:31], v[32:33], v[30:31]
	v_ldexp_f32 v29, v29, 1
	v_fma_f32 v33, v32, s2, -v30
	v_fmamk_f32 v34, v32, 0xb102e308, v33
	v_pk_add_f32 v[32:33], v[30:31], v[34:35]
	v_mov_b32_e32 v36, v30
	v_sub_f32_e32 v35, v33, v35
	v_sub_f32_e32 v35, v31, v35
	v_add_f32_e32 v37, v29, v35
	v_pk_add_f32 v[30:31], v[32:33], v[30:31] neg_lo:[0,1] neg_hi:[0,1]
	v_pk_add_f32 v[38:39], v[32:33], v[36:37]
	v_mov_b32_e32 v35, v32
	v_mov_b32_e32 v31, v39
	v_pk_add_f32 v[40:41], v[34:35], v[30:31] neg_lo:[0,1] neg_hi:[0,1]
	v_pk_add_f32 v[30:31], v[34:35], v[30:31]
	v_mov_b32_e32 v36, v37
	v_mov_b32_e32 v34, v31
	v_pk_add_f32 v[42:43], v[34:35], v[32:33] neg_lo:[0,1] neg_hi:[0,1]
	v_mov_b32_e32 v30, v39
	v_mov_b32_e32 v29, v42
	v_pk_add_f32 v[44:45], v[38:39], v[28:29] neg_lo:[0,1] neg_hi:[0,1]
	v_mov_b32_e32 v38, v33
	v_mov_b32_e32 v39, v42
	;; [unrolled: 1-line block ×3, first 2 shown]
	v_pk_add_f32 v[30:31], v[30:31], v[38:39] neg_lo:[0,1] neg_hi:[0,1]
	v_mov_b32_e32 v37, v32
	v_pk_add_f32 v[30:31], v[36:37], v[30:31] neg_lo:[0,1] neg_hi:[0,1]
	v_mov_b32_e32 v44, v40
	v_pk_add_f32 v[32:33], v[44:45], v[30:31]
	s_mov_b32 s2, 0x33800000
	v_mov_b32_e32 v36, v33
	v_pk_add_f32 v[36:37], v[32:33], v[36:37]
	v_cmp_lt_f32_e64 s[70:71], |v46|, s2
	v_pk_add_f32 v[34:35], v[34:35], v[36:37]
	v_mov_b32_e32 v31, v36
	v_mov_b32_e32 v33, v34
	v_pk_add_f32 v[38:39], v[32:33], v[40:41] neg_lo:[0,1] neg_hi:[0,1]
	s_or_b64 s[64:65], s[64:65], s[70:71]
	v_sub_f32_e32 v29, v32, v38
	v_pk_add_f32 v[30:31], v[30:31], v[38:39] neg_lo:[0,1] neg_hi:[0,1]
	v_sub_f32_e32 v29, v40, v29
	v_add_f32_e32 v29, v30, v29
	v_add_f32_e32 v29, v29, v31
	;; [unrolled: 1-line block ×3, first 2 shown]
	v_cndmask_b32_e64 v29, v29, v46, s[64:65]
	v_add_f32_e32 v29, v28, v29
.LBB469_64:
	s_or_b64 exec, exec, s[66:67]
	v_bfe_u32 v28, v29, 16, 1
	v_add3_u32 v28, v29, v28, s68
	v_and_b32_e32 v28, 0xffff0000, v28
	v_cmp_o_f32_e64 s[64:65], v29, v29
	v_and_b32_e32 v10, 0xffff0000, v10
	s_nop 0
	v_cndmask_b32_e64 v30, v26, v28, s[64:65]
	v_max_f32_e32 v26, v30, v30
	v_max_f32_e32 v28, v10, v10
	v_min_f32_e32 v29, v26, v28
	v_cmp_u_f32_e64 s[66:67], v30, v30
	v_max_f32_e32 v26, v26, v28
	v_cmp_u_f32_e64 s[64:65], v10, v10
	v_cndmask_b32_e64 v29, v29, v30, s[66:67]
	v_cndmask_b32_e64 v26, v26, v30, s[66:67]
	;; [unrolled: 1-line block ×4, first 2 shown]
	v_cmp_neq_f32_e64 s[66:67], v29, v26
	v_cmp_class_f32_e64 s[68:69], v29, s33
	s_or_b64 s[66:67], s[66:67], s[68:69]
	s_and_saveexec_b64 s[68:69], s[66:67]
	s_cbranch_execz .LBB469_66
; %bb.65:
	v_sub_f32_e32 v29, v29, v26
	s_mov_b32 s2, 0x3fb8aa3b
	v_mul_f32_e32 v30, 0x3fb8aa3b, v29
	v_fma_f32 v31, v29, s2, -v30
	v_rndne_f32_e32 v32, v30
	v_fmamk_f32 v31, v29, 0x32a5705f, v31
	v_sub_f32_e32 v30, v30, v32
	v_add_f32_e32 v30, v30, v31
	v_exp_f32_e32 v30, v30
	v_cvt_i32_f32_e32 v31, v32
	s_mov_b32 s2, 0xc2ce8ed0
	v_cmp_ngt_f32_e64 s[66:67], s2, v29
	s_mov_b32 s2, 0x42b17218
	v_ldexp_f32 v30, v30, v31
	v_cndmask_b32_e64 v30, 0, v30, s[66:67]
	v_mov_b32_e32 v31, 0x7f800000
	v_cmp_nlt_f32_e64 s[66:67], s2, v29
	s_mov_b32 s2, 0x3f2aaaab
	s_mov_b32 s3, 0x7f800000
	v_cndmask_b32_e64 v46, v31, v30, s[66:67]
	v_add_f32_e32 v29, 1.0, v46
	v_add_f32_e32 v30, -1.0, v29
	v_sub_f32_e32 v31, v30, v29
	v_add_f32_e32 v31, 1.0, v31
	v_sub_f32_e32 v30, v46, v30
	v_add_f32_e32 v32, v30, v31
	v_frexp_mant_f32_e32 v33, v29
	v_cvt_f64_f32_e32 v[30:31], v29
	v_frexp_exp_i32_f64_e32 v30, v[30:31]
	v_cmp_gt_f32_e64 s[66:67], s2, v33
	s_mov_b32 s2, 0x3f317218
	s_nop 0
	v_subbrev_co_u32_e64 v38, s[66:67], 0, v30, s[66:67]
	v_sub_u32_e32 v30, 0, v38
	v_ldexp_f32 v29, v29, v30
	v_ldexp_f32 v30, v32, v30
	v_add_f32_e32 v32, -1.0, v29
	v_add_f32_e32 v31, 1.0, v32
	v_sub_f32_e32 v31, v29, v31
	v_add_f32_e32 v33, v30, v31
	v_add_f32_e32 v31, 1.0, v29
	v_add_f32_e32 v34, -1.0, v31
	v_sub_f32_e32 v29, v29, v34
	v_add_f32_e32 v29, v30, v29
	v_add_f32_e32 v39, v31, v29
	v_rcp_f32_e32 v40, v39
	v_sub_f32_e32 v30, v31, v39
	v_add_f32_e32 v31, v32, v33
	v_add_f32_e32 v29, v29, v30
	v_mul_f32_e32 v42, v31, v40
	v_sub_f32_e32 v30, v32, v31
	v_mul_f32_e32 v32, v39, v42
	v_fma_f32 v34, v42, v39, -v32
	v_fmac_f32_e32 v34, v42, v29
	v_add_f32_e32 v41, v33, v30
	v_add_f32_e32 v30, v32, v34
	v_sub_f32_e32 v33, v31, v30
	v_pk_add_f32 v[36:37], v[30:31], v[32:33] neg_lo:[0,1] neg_hi:[0,1]
	v_mov_b32_e32 v35, v30
	v_pk_add_f32 v[30:31], v[36:37], v[34:35] neg_lo:[0,1] neg_hi:[0,1]
	v_cmp_eq_f32_e64 s[66:67], s3, v46
	v_add_f32_e32 v31, v41, v31
	v_add_f32_e32 v30, v30, v31
	;; [unrolled: 1-line block ×3, first 2 shown]
	v_mul_f32_e32 v41, v40, v31
	v_mul_f32_e32 v32, v39, v41
	v_fma_f32 v34, v41, v39, -v32
	v_fmac_f32_e32 v34, v41, v29
	v_sub_f32_e32 v29, v33, v31
	v_add_f32_e32 v29, v30, v29
	v_add_f32_e32 v30, v32, v34
	v_sub_f32_e32 v33, v31, v30
	v_pk_add_f32 v[36:37], v[30:31], v[32:33] neg_lo:[0,1] neg_hi:[0,1]
	v_mov_b32_e32 v35, v30
	v_pk_add_f32 v[30:31], v[36:37], v[34:35] neg_lo:[0,1] neg_hi:[0,1]
	v_cvt_f32_i32_e32 v32, v38
	v_add_f32_e32 v29, v29, v31
	v_add_f32_e32 v29, v30, v29
	;; [unrolled: 1-line block ×4, first 2 shown]
	v_sub_f32_e32 v31, v30, v42
	v_mul_f32_e32 v29, v40, v29
	v_sub_f32_e32 v31, v41, v31
	v_add_f32_e32 v29, v31, v29
	v_add_f32_e32 v33, v30, v29
	v_mul_f32_e32 v34, v33, v33
	v_mov_b32_e32 v31, 0x3ecc95a3
	v_fmac_f32_e32 v31, 0x3e9b6dac, v34
	v_sub_f32_e32 v30, v33, v30
	v_fmaak_f32 v31, v34, v31, 0x3f2aaada
	v_sub_f32_e32 v29, v29, v30
	v_ldexp_f32 v35, v33, 1
	v_mul_f32_e32 v33, v33, v34
	v_mov_b32_e32 v30, 0x3f317218
	v_pk_mul_f32 v[30:31], v[32:33], v[30:31]
	v_ldexp_f32 v29, v29, 1
	v_fma_f32 v33, v32, s2, -v30
	v_fmamk_f32 v34, v32, 0xb102e308, v33
	v_pk_add_f32 v[32:33], v[30:31], v[34:35]
	v_mov_b32_e32 v36, v30
	v_sub_f32_e32 v35, v33, v35
	v_sub_f32_e32 v35, v31, v35
	v_add_f32_e32 v37, v29, v35
	v_pk_add_f32 v[30:31], v[32:33], v[30:31] neg_lo:[0,1] neg_hi:[0,1]
	v_pk_add_f32 v[38:39], v[32:33], v[36:37]
	v_mov_b32_e32 v35, v32
	v_mov_b32_e32 v31, v39
	v_pk_add_f32 v[40:41], v[34:35], v[30:31] neg_lo:[0,1] neg_hi:[0,1]
	v_pk_add_f32 v[30:31], v[34:35], v[30:31]
	v_mov_b32_e32 v36, v37
	v_mov_b32_e32 v34, v31
	v_pk_add_f32 v[42:43], v[34:35], v[32:33] neg_lo:[0,1] neg_hi:[0,1]
	v_mov_b32_e32 v30, v39
	v_mov_b32_e32 v29, v42
	v_pk_add_f32 v[44:45], v[38:39], v[28:29] neg_lo:[0,1] neg_hi:[0,1]
	v_mov_b32_e32 v38, v33
	v_mov_b32_e32 v39, v42
	;; [unrolled: 1-line block ×3, first 2 shown]
	v_pk_add_f32 v[30:31], v[30:31], v[38:39] neg_lo:[0,1] neg_hi:[0,1]
	v_mov_b32_e32 v37, v32
	v_pk_add_f32 v[30:31], v[36:37], v[30:31] neg_lo:[0,1] neg_hi:[0,1]
	v_mov_b32_e32 v44, v40
	v_pk_add_f32 v[32:33], v[44:45], v[30:31]
	s_mov_b32 s2, 0x33800000
	v_mov_b32_e32 v36, v33
	v_pk_add_f32 v[36:37], v[32:33], v[36:37]
	v_cmp_lt_f32_e64 s[70:71], |v46|, s2
	v_pk_add_f32 v[34:35], v[34:35], v[36:37]
	v_mov_b32_e32 v31, v36
	v_mov_b32_e32 v33, v34
	v_pk_add_f32 v[38:39], v[32:33], v[40:41] neg_lo:[0,1] neg_hi:[0,1]
	s_or_b64 s[66:67], s[66:67], s[70:71]
	v_sub_f32_e32 v29, v32, v38
	v_pk_add_f32 v[30:31], v[30:31], v[38:39] neg_lo:[0,1] neg_hi:[0,1]
	v_sub_f32_e32 v29, v40, v29
	v_add_f32_e32 v29, v30, v29
	v_add_f32_e32 v29, v29, v31
	;; [unrolled: 1-line block ×3, first 2 shown]
	v_cndmask_b32_e64 v29, v29, v46, s[66:67]
	v_add_f32_e32 v30, v26, v29
.LBB469_66:
	s_or_b64 exec, exec, s[68:69]
	v_bfe_u32 v26, v30, 16, 1
	s_movk_i32 s72, 0x7fff
	v_add3_u32 v26, v30, v26, s72
	v_and_b32_e32 v26, 0xffff0000, v26
	v_mov_b32_e32 v29, 0x7fc00000
	v_cmp_o_f32_e64 s[66:67], v30, v30
	s_nop 1
	v_cndmask_b32_e64 v32, v29, v26, s[66:67]
	v_lshlrev_b32_e32 v26, 16, v11
	v_max_f32_e32 v31, v32, v32
	v_max_f32_e32 v30, v26, v26
	v_min_f32_e32 v33, v31, v30
	v_cmp_u_f32_e64 s[68:69], v32, v32
	v_max_f32_e32 v31, v31, v30
	v_cmp_u_f32_e64 s[66:67], v26, v26
	v_cndmask_b32_e64 v33, v33, v32, s[68:69]
	v_cndmask_b32_e64 v31, v31, v32, s[68:69]
	v_cndmask_b32_e64 v33, v33, v26, s[66:67]
	v_cndmask_b32_e64 v31, v31, v26, s[66:67]
	v_cmp_neq_f32_e64 s[68:69], v33, v31
	v_cmp_class_f32_e64 s[70:71], v33, s33
	s_or_b64 s[68:69], s[68:69], s[70:71]
	s_and_saveexec_b64 s[70:71], s[68:69]
	s_cbranch_execz .LBB469_68
; %bb.67:
	v_sub_f32_e32 v32, v33, v31
	s_mov_b32 s2, 0x3fb8aa3b
	v_mul_f32_e32 v33, 0x3fb8aa3b, v32
	v_fma_f32 v34, v32, s2, -v33
	v_rndne_f32_e32 v35, v33
	v_fmamk_f32 v34, v32, 0x32a5705f, v34
	v_sub_f32_e32 v33, v33, v35
	v_add_f32_e32 v33, v33, v34
	v_exp_f32_e32 v33, v33
	v_cvt_i32_f32_e32 v34, v35
	s_mov_b32 s2, 0xc2ce8ed0
	v_cmp_ngt_f32_e64 s[68:69], s2, v32
	s_mov_b32 s2, 0x42b17218
	v_ldexp_f32 v33, v33, v34
	v_cndmask_b32_e64 v33, 0, v33, s[68:69]
	v_mov_b32_e32 v34, 0x7f800000
	v_cmp_nlt_f32_e64 s[68:69], s2, v32
	s_mov_b32 s2, 0x3f2aaaab
	s_mov_b32 s3, 0x7f800000
	v_cndmask_b32_e64 v48, v34, v33, s[68:69]
	v_add_f32_e32 v34, 1.0, v48
	v_add_f32_e32 v32, -1.0, v34
	v_sub_f32_e32 v33, v32, v34
	v_add_f32_e32 v33, 1.0, v33
	v_sub_f32_e32 v32, v48, v32
	v_add_f32_e32 v35, v32, v33
	v_frexp_mant_f32_e32 v36, v34
	v_cvt_f64_f32_e32 v[32:33], v34
	v_frexp_exp_i32_f64_e32 v32, v[32:33]
	v_cmp_gt_f32_e64 s[68:69], s2, v36
	s_mov_b32 s2, 0x3f317218
	s_nop 0
	v_subbrev_co_u32_e64 v40, s[68:69], 0, v32, s[68:69]
	v_sub_u32_e32 v32, 0, v40
	v_ldexp_f32 v33, v34, v32
	v_add_f32_e32 v34, -1.0, v33
	v_add_f32_e32 v36, 1.0, v33
	v_ldexp_f32 v32, v35, v32
	v_add_f32_e32 v35, 1.0, v34
	v_add_f32_e32 v37, -1.0, v36
	v_sub_f32_e32 v35, v33, v35
	v_sub_f32_e32 v33, v33, v37
	v_add_f32_e32 v35, v32, v35
	v_add_f32_e32 v32, v32, v33
	v_add_f32_e32 v41, v36, v32
	v_rcp_f32_e32 v43, v41
	v_sub_f32_e32 v33, v36, v41
	v_add_f32_e32 v42, v32, v33
	v_add_f32_e32 v33, v34, v35
	v_mul_f32_e32 v45, v33, v43
	v_sub_f32_e32 v32, v34, v33
	v_mul_f32_e32 v34, v41, v45
	v_fma_f32 v36, v45, v41, -v34
	v_fmac_f32_e32 v36, v45, v42
	v_add_f32_e32 v44, v35, v32
	v_add_f32_e32 v32, v34, v36
	v_sub_f32_e32 v35, v33, v32
	v_pk_add_f32 v[38:39], v[32:33], v[34:35] neg_lo:[0,1] neg_hi:[0,1]
	v_mov_b32_e32 v37, v32
	v_pk_add_f32 v[32:33], v[38:39], v[36:37] neg_lo:[0,1] neg_hi:[0,1]
	v_cmp_eq_f32_e64 s[68:69], s3, v48
	v_add_f32_e32 v33, v44, v33
	v_add_f32_e32 v32, v32, v33
	;; [unrolled: 1-line block ×3, first 2 shown]
	v_mul_f32_e32 v44, v43, v33
	v_mul_f32_e32 v34, v41, v44
	v_fma_f32 v36, v44, v41, -v34
	v_fmac_f32_e32 v36, v44, v42
	v_sub_f32_e32 v35, v35, v33
	v_add_f32_e32 v41, v32, v35
	v_add_f32_e32 v32, v34, v36
	v_sub_f32_e32 v35, v33, v32
	v_pk_add_f32 v[38:39], v[32:33], v[34:35] neg_lo:[0,1] neg_hi:[0,1]
	v_mov_b32_e32 v37, v32
	v_pk_add_f32 v[32:33], v[38:39], v[36:37] neg_lo:[0,1] neg_hi:[0,1]
	v_cvt_f32_i32_e32 v34, v40
	v_add_f32_e32 v33, v41, v33
	v_add_f32_e32 v32, v32, v33
	;; [unrolled: 1-line block ×4, first 2 shown]
	v_sub_f32_e32 v33, v35, v45
	v_mul_f32_e32 v32, v43, v32
	v_sub_f32_e32 v33, v44, v33
	v_add_f32_e32 v32, v33, v32
	v_add_f32_e32 v36, v35, v32
	v_mul_f32_e32 v38, v36, v36
	v_mov_b32_e32 v33, 0x3ecc95a3
	v_sub_f32_e32 v35, v36, v35
	v_fmac_f32_e32 v33, 0x3e9b6dac, v38
	v_sub_f32_e32 v32, v32, v35
	v_fmaak_f32 v33, v38, v33, 0x3f2aaada
	v_ldexp_f32 v39, v32, 1
	v_mul_f32_e32 v35, v36, v38
	v_mov_b32_e32 v32, 0x3f317218
	v_pk_mul_f32 v[32:33], v[34:35], v[32:33]
	v_ldexp_f32 v37, v36, 1
	v_fma_f32 v35, v34, s2, -v32
	v_fmamk_f32 v36, v34, 0xb102e308, v35
	v_pk_add_f32 v[34:35], v[32:33], v[36:37]
	v_mov_b32_e32 v38, v32
	v_sub_f32_e32 v37, v35, v37
	v_sub_f32_e32 v37, v33, v37
	v_add_f32_e32 v39, v39, v37
	v_pk_add_f32 v[32:33], v[34:35], v[32:33] neg_lo:[0,1] neg_hi:[0,1]
	v_pk_add_f32 v[40:41], v[34:35], v[38:39]
	v_mov_b32_e32 v37, v34
	v_mov_b32_e32 v33, v41
	v_pk_add_f32 v[42:43], v[36:37], v[32:33] neg_lo:[0,1] neg_hi:[0,1]
	v_pk_add_f32 v[32:33], v[36:37], v[32:33]
	v_mov_b32_e32 v38, v39
	v_mov_b32_e32 v36, v33
	v_pk_add_f32 v[44:45], v[36:37], v[34:35] neg_lo:[0,1] neg_hi:[0,1]
	v_mov_b32_e32 v32, v41
	v_mov_b32_e32 v37, v44
	v_pk_add_f32 v[46:47], v[40:41], v[36:37] neg_lo:[0,1] neg_hi:[0,1]
	v_mov_b32_e32 v40, v35
	v_mov_b32_e32 v41, v44
	;; [unrolled: 1-line block ×3, first 2 shown]
	v_pk_add_f32 v[32:33], v[32:33], v[40:41] neg_lo:[0,1] neg_hi:[0,1]
	v_mov_b32_e32 v39, v34
	v_pk_add_f32 v[32:33], v[38:39], v[32:33] neg_lo:[0,1] neg_hi:[0,1]
	v_mov_b32_e32 v46, v42
	v_pk_add_f32 v[34:35], v[46:47], v[32:33]
	s_mov_b32 s2, 0x33800000
	v_mov_b32_e32 v38, v35
	v_pk_add_f32 v[38:39], v[34:35], v[38:39]
	v_cmp_lt_f32_e64 s[74:75], |v48|, s2
	v_pk_add_f32 v[36:37], v[36:37], v[38:39]
	v_mov_b32_e32 v33, v38
	v_mov_b32_e32 v35, v36
	v_pk_add_f32 v[40:41], v[34:35], v[42:43] neg_lo:[0,1] neg_hi:[0,1]
	s_or_b64 s[68:69], s[68:69], s[74:75]
	v_sub_f32_e32 v34, v34, v40
	v_pk_add_f32 v[32:33], v[32:33], v[40:41] neg_lo:[0,1] neg_hi:[0,1]
	v_sub_f32_e32 v34, v42, v34
	v_add_f32_e32 v32, v32, v34
	v_add_f32_e32 v32, v32, v33
	;; [unrolled: 1-line block ×3, first 2 shown]
	v_cndmask_b32_e64 v32, v32, v48, s[68:69]
	v_add_f32_e32 v32, v31, v32
.LBB469_68:
	s_or_b64 exec, exec, s[70:71]
	v_bfe_u32 v31, v32, 16, 1
	v_add3_u32 v31, v32, v31, s72
	v_and_b32_e32 v31, 0xffff0000, v31
	v_cmp_o_f32_e64 s[68:69], v32, v32
	v_and_b32_e32 v11, 0xffff0000, v11
	s_nop 0
	v_cndmask_b32_e64 v33, v29, v31, s[68:69]
	v_max_f32_e32 v29, v33, v33
	v_max_f32_e32 v31, v11, v11
	v_min_f32_e32 v32, v29, v31
	v_cmp_u_f32_e64 s[70:71], v33, v33
	v_max_f32_e32 v29, v29, v31
	v_cmp_u_f32_e64 s[68:69], v11, v11
	v_cndmask_b32_e64 v32, v32, v33, s[70:71]
	v_cndmask_b32_e64 v29, v29, v33, s[70:71]
	;; [unrolled: 1-line block ×4, first 2 shown]
	v_cmp_neq_f32_e64 s[70:71], v32, v29
	v_cmp_class_f32_e64 s[72:73], v32, s33
	s_or_b64 s[70:71], s[70:71], s[72:73]
	s_and_saveexec_b64 s[72:73], s[70:71]
	s_cbranch_execz .LBB469_70
; %bb.69:
	v_sub_f32_e32 v32, v32, v29
	s_mov_b32 s2, 0x3fb8aa3b
	v_mul_f32_e32 v33, 0x3fb8aa3b, v32
	v_fma_f32 v34, v32, s2, -v33
	v_rndne_f32_e32 v35, v33
	v_fmamk_f32 v34, v32, 0x32a5705f, v34
	v_sub_f32_e32 v33, v33, v35
	v_add_f32_e32 v33, v33, v34
	v_exp_f32_e32 v33, v33
	v_cvt_i32_f32_e32 v34, v35
	s_mov_b32 s2, 0xc2ce8ed0
	v_cmp_ngt_f32_e64 s[70:71], s2, v32
	s_mov_b32 s2, 0x42b17218
	v_ldexp_f32 v33, v33, v34
	v_cndmask_b32_e64 v33, 0, v33, s[70:71]
	v_mov_b32_e32 v34, 0x7f800000
	v_cmp_nlt_f32_e64 s[70:71], s2, v32
	s_mov_b32 s2, 0x3f2aaaab
	s_mov_b32 s3, 0x7f800000
	v_cndmask_b32_e64 v48, v34, v33, s[70:71]
	v_add_f32_e32 v34, 1.0, v48
	v_add_f32_e32 v32, -1.0, v34
	v_sub_f32_e32 v33, v32, v34
	v_add_f32_e32 v33, 1.0, v33
	v_sub_f32_e32 v32, v48, v32
	v_add_f32_e32 v35, v32, v33
	v_frexp_mant_f32_e32 v36, v34
	v_cvt_f64_f32_e32 v[32:33], v34
	v_frexp_exp_i32_f64_e32 v32, v[32:33]
	v_cmp_gt_f32_e64 s[70:71], s2, v36
	s_mov_b32 s2, 0x3f317218
	s_nop 0
	v_subbrev_co_u32_e64 v40, s[70:71], 0, v32, s[70:71]
	v_sub_u32_e32 v32, 0, v40
	v_ldexp_f32 v33, v34, v32
	v_add_f32_e32 v34, -1.0, v33
	v_add_f32_e32 v36, 1.0, v33
	v_ldexp_f32 v32, v35, v32
	v_add_f32_e32 v35, 1.0, v34
	v_add_f32_e32 v37, -1.0, v36
	v_sub_f32_e32 v35, v33, v35
	v_sub_f32_e32 v33, v33, v37
	v_add_f32_e32 v35, v32, v35
	v_add_f32_e32 v32, v32, v33
	;; [unrolled: 1-line block ×3, first 2 shown]
	v_rcp_f32_e32 v43, v41
	v_sub_f32_e32 v33, v36, v41
	v_add_f32_e32 v42, v32, v33
	v_add_f32_e32 v33, v34, v35
	v_mul_f32_e32 v45, v33, v43
	v_sub_f32_e32 v32, v34, v33
	v_mul_f32_e32 v34, v41, v45
	v_fma_f32 v36, v45, v41, -v34
	v_fmac_f32_e32 v36, v45, v42
	v_add_f32_e32 v44, v35, v32
	v_add_f32_e32 v32, v34, v36
	v_sub_f32_e32 v35, v33, v32
	v_pk_add_f32 v[38:39], v[32:33], v[34:35] neg_lo:[0,1] neg_hi:[0,1]
	v_mov_b32_e32 v37, v32
	v_pk_add_f32 v[32:33], v[38:39], v[36:37] neg_lo:[0,1] neg_hi:[0,1]
	v_cmp_eq_f32_e64 s[70:71], s3, v48
	v_add_f32_e32 v33, v44, v33
	v_add_f32_e32 v32, v32, v33
	;; [unrolled: 1-line block ×3, first 2 shown]
	v_mul_f32_e32 v44, v43, v33
	v_mul_f32_e32 v34, v41, v44
	v_fma_f32 v36, v44, v41, -v34
	v_fmac_f32_e32 v36, v44, v42
	v_sub_f32_e32 v35, v35, v33
	v_add_f32_e32 v41, v32, v35
	v_add_f32_e32 v32, v34, v36
	v_sub_f32_e32 v35, v33, v32
	v_pk_add_f32 v[38:39], v[32:33], v[34:35] neg_lo:[0,1] neg_hi:[0,1]
	v_mov_b32_e32 v37, v32
	v_pk_add_f32 v[32:33], v[38:39], v[36:37] neg_lo:[0,1] neg_hi:[0,1]
	v_cvt_f32_i32_e32 v34, v40
	v_add_f32_e32 v33, v41, v33
	v_add_f32_e32 v32, v32, v33
	;; [unrolled: 1-line block ×4, first 2 shown]
	v_sub_f32_e32 v33, v35, v45
	v_mul_f32_e32 v32, v43, v32
	v_sub_f32_e32 v33, v44, v33
	v_add_f32_e32 v32, v33, v32
	v_add_f32_e32 v36, v35, v32
	v_mul_f32_e32 v38, v36, v36
	v_mov_b32_e32 v33, 0x3ecc95a3
	v_sub_f32_e32 v35, v36, v35
	v_fmac_f32_e32 v33, 0x3e9b6dac, v38
	v_sub_f32_e32 v32, v32, v35
	v_fmaak_f32 v33, v38, v33, 0x3f2aaada
	v_ldexp_f32 v39, v32, 1
	v_mul_f32_e32 v35, v36, v38
	v_mov_b32_e32 v32, 0x3f317218
	v_pk_mul_f32 v[32:33], v[34:35], v[32:33]
	v_ldexp_f32 v37, v36, 1
	v_fma_f32 v35, v34, s2, -v32
	v_fmamk_f32 v36, v34, 0xb102e308, v35
	v_pk_add_f32 v[34:35], v[32:33], v[36:37]
	v_mov_b32_e32 v38, v32
	v_sub_f32_e32 v37, v35, v37
	v_sub_f32_e32 v37, v33, v37
	v_add_f32_e32 v39, v39, v37
	v_pk_add_f32 v[32:33], v[34:35], v[32:33] neg_lo:[0,1] neg_hi:[0,1]
	v_pk_add_f32 v[40:41], v[34:35], v[38:39]
	v_mov_b32_e32 v37, v34
	v_mov_b32_e32 v33, v41
	v_pk_add_f32 v[42:43], v[36:37], v[32:33] neg_lo:[0,1] neg_hi:[0,1]
	v_pk_add_f32 v[32:33], v[36:37], v[32:33]
	v_mov_b32_e32 v38, v39
	v_mov_b32_e32 v36, v33
	v_pk_add_f32 v[44:45], v[36:37], v[34:35] neg_lo:[0,1] neg_hi:[0,1]
	v_mov_b32_e32 v32, v41
	v_mov_b32_e32 v37, v44
	v_pk_add_f32 v[46:47], v[40:41], v[36:37] neg_lo:[0,1] neg_hi:[0,1]
	v_mov_b32_e32 v40, v35
	v_mov_b32_e32 v41, v44
	;; [unrolled: 1-line block ×3, first 2 shown]
	v_pk_add_f32 v[32:33], v[32:33], v[40:41] neg_lo:[0,1] neg_hi:[0,1]
	v_mov_b32_e32 v39, v34
	v_pk_add_f32 v[32:33], v[38:39], v[32:33] neg_lo:[0,1] neg_hi:[0,1]
	v_mov_b32_e32 v46, v42
	v_pk_add_f32 v[34:35], v[46:47], v[32:33]
	s_mov_b32 s2, 0x33800000
	v_mov_b32_e32 v38, v35
	v_pk_add_f32 v[38:39], v[34:35], v[38:39]
	v_cmp_lt_f32_e64 s[74:75], |v48|, s2
	v_pk_add_f32 v[36:37], v[36:37], v[38:39]
	v_mov_b32_e32 v33, v38
	v_mov_b32_e32 v35, v36
	v_pk_add_f32 v[40:41], v[34:35], v[42:43] neg_lo:[0,1] neg_hi:[0,1]
	s_or_b64 s[70:71], s[70:71], s[74:75]
	v_sub_f32_e32 v34, v34, v40
	v_pk_add_f32 v[32:33], v[32:33], v[40:41] neg_lo:[0,1] neg_hi:[0,1]
	v_sub_f32_e32 v34, v42, v34
	v_add_f32_e32 v32, v32, v34
	v_add_f32_e32 v32, v32, v33
	;; [unrolled: 1-line block ×3, first 2 shown]
	v_cndmask_b32_e64 v32, v32, v48, s[70:71]
	v_add_f32_e32 v33, v29, v32
.LBB469_70:
	s_or_b64 exec, exec, s[72:73]
	v_bfe_u32 v29, v33, 16, 1
	s_movk_i32 s76, 0x7fff
	v_add3_u32 v29, v33, v29, s76
	v_and_b32_e32 v29, 0xffff0000, v29
	v_mov_b32_e32 v32, 0x7fc00000
	v_cmp_o_f32_e64 s[70:71], v33, v33
	s_nop 1
	v_cndmask_b32_e64 v35, v32, v29, s[70:71]
	v_lshlrev_b32_e32 v29, 16, v12
	v_max_f32_e32 v34, v35, v35
	v_max_f32_e32 v33, v29, v29
	v_min_f32_e32 v36, v34, v33
	v_cmp_u_f32_e64 s[72:73], v35, v35
	v_max_f32_e32 v34, v34, v33
	v_cmp_u_f32_e64 s[70:71], v29, v29
	v_cndmask_b32_e64 v36, v36, v35, s[72:73]
	v_cndmask_b32_e64 v34, v34, v35, s[72:73]
	;; [unrolled: 1-line block ×4, first 2 shown]
	v_cmp_neq_f32_e64 s[72:73], v36, v34
	v_cmp_class_f32_e64 s[74:75], v36, s33
	s_or_b64 s[72:73], s[72:73], s[74:75]
	s_and_saveexec_b64 s[74:75], s[72:73]
	s_cbranch_execz .LBB469_72
; %bb.71:
	v_sub_f32_e32 v35, v36, v34
	s_mov_b32 s2, 0x3fb8aa3b
	v_mul_f32_e32 v36, 0x3fb8aa3b, v35
	v_fma_f32 v37, v35, s2, -v36
	v_rndne_f32_e32 v38, v36
	v_fmamk_f32 v37, v35, 0x32a5705f, v37
	v_sub_f32_e32 v36, v36, v38
	v_add_f32_e32 v36, v36, v37
	v_exp_f32_e32 v36, v36
	v_cvt_i32_f32_e32 v37, v38
	s_mov_b32 s2, 0xc2ce8ed0
	v_cmp_ngt_f32_e64 s[72:73], s2, v35
	s_mov_b32 s2, 0x42b17218
	v_ldexp_f32 v36, v36, v37
	v_cndmask_b32_e64 v36, 0, v36, s[72:73]
	v_mov_b32_e32 v37, 0x7f800000
	v_cmp_nlt_f32_e64 s[72:73], s2, v35
	s_mov_b32 s2, 0x3f2aaaab
	s_mov_b32 s3, 0x7f800000
	v_cndmask_b32_e64 v48, v37, v36, s[72:73]
	v_add_f32_e32 v35, 1.0, v48
	v_add_f32_e32 v36, -1.0, v35
	v_sub_f32_e32 v37, v36, v35
	v_add_f32_e32 v37, 1.0, v37
	v_sub_f32_e32 v36, v48, v36
	v_add_f32_e32 v38, v36, v37
	v_frexp_mant_f32_e32 v39, v35
	v_cvt_f64_f32_e32 v[36:37], v35
	v_frexp_exp_i32_f64_e32 v36, v[36:37]
	v_cmp_gt_f32_e64 s[72:73], s2, v39
	s_mov_b32 s2, 0x3f317218
	s_nop 0
	v_subbrev_co_u32_e64 v44, s[72:73], 0, v36, s[72:73]
	v_sub_u32_e32 v36, 0, v44
	v_ldexp_f32 v35, v35, v36
	v_ldexp_f32 v36, v38, v36
	v_add_f32_e32 v38, -1.0, v35
	v_add_f32_e32 v37, 1.0, v38
	v_sub_f32_e32 v37, v35, v37
	v_add_f32_e32 v39, v36, v37
	v_add_f32_e32 v37, 1.0, v35
	v_add_f32_e32 v40, -1.0, v37
	v_sub_f32_e32 v35, v35, v40
	v_add_f32_e32 v35, v36, v35
	v_add_f32_e32 v45, v37, v35
	v_rcp_f32_e32 v46, v45
	v_sub_f32_e32 v36, v37, v45
	v_add_f32_e32 v37, v38, v39
	v_add_f32_e32 v35, v35, v36
	v_mul_f32_e32 v53, v37, v46
	v_sub_f32_e32 v36, v38, v37
	v_mul_f32_e32 v38, v45, v53
	v_fma_f32 v40, v53, v45, -v38
	v_fmac_f32_e32 v40, v53, v35
	v_add_f32_e32 v47, v39, v36
	v_add_f32_e32 v36, v38, v40
	v_sub_f32_e32 v39, v37, v36
	v_pk_add_f32 v[42:43], v[36:37], v[38:39] neg_lo:[0,1] neg_hi:[0,1]
	v_mov_b32_e32 v41, v36
	v_pk_add_f32 v[36:37], v[42:43], v[40:41] neg_lo:[0,1] neg_hi:[0,1]
	v_cmp_eq_f32_e64 s[72:73], s3, v48
	v_add_f32_e32 v37, v47, v37
	v_add_f32_e32 v36, v36, v37
	;; [unrolled: 1-line block ×3, first 2 shown]
	v_mul_f32_e32 v47, v46, v37
	v_mul_f32_e32 v38, v45, v47
	v_fma_f32 v40, v47, v45, -v38
	v_fmac_f32_e32 v40, v47, v35
	v_sub_f32_e32 v35, v39, v37
	v_add_f32_e32 v35, v36, v35
	v_add_f32_e32 v36, v38, v40
	v_sub_f32_e32 v39, v37, v36
	v_pk_add_f32 v[42:43], v[36:37], v[38:39] neg_lo:[0,1] neg_hi:[0,1]
	v_mov_b32_e32 v41, v36
	v_pk_add_f32 v[36:37], v[42:43], v[40:41] neg_lo:[0,1] neg_hi:[0,1]
	v_cvt_f32_i32_e32 v38, v44
	v_add_f32_e32 v35, v35, v37
	v_add_f32_e32 v35, v36, v35
	;; [unrolled: 1-line block ×4, first 2 shown]
	v_sub_f32_e32 v37, v36, v53
	v_mul_f32_e32 v35, v46, v35
	v_sub_f32_e32 v37, v47, v37
	v_add_f32_e32 v35, v37, v35
	v_add_f32_e32 v39, v36, v35
	v_mul_f32_e32 v40, v39, v39
	v_mov_b32_e32 v37, 0x3ecc95a3
	v_fmac_f32_e32 v37, 0x3e9b6dac, v40
	v_sub_f32_e32 v36, v39, v36
	v_fmaak_f32 v37, v40, v37, 0x3f2aaada
	v_sub_f32_e32 v35, v35, v36
	v_ldexp_f32 v41, v39, 1
	v_mul_f32_e32 v39, v39, v40
	v_mov_b32_e32 v36, 0x3f317218
	v_pk_mul_f32 v[36:37], v[38:39], v[36:37]
	v_ldexp_f32 v35, v35, 1
	v_fma_f32 v39, v38, s2, -v36
	v_fmamk_f32 v40, v38, 0xb102e308, v39
	v_pk_add_f32 v[38:39], v[36:37], v[40:41]
	v_mov_b32_e32 v42, v36
	v_sub_f32_e32 v41, v39, v41
	v_sub_f32_e32 v41, v37, v41
	v_add_f32_e32 v43, v35, v41
	v_pk_add_f32 v[36:37], v[38:39], v[36:37] neg_lo:[0,1] neg_hi:[0,1]
	v_pk_add_f32 v[44:45], v[38:39], v[42:43]
	v_mov_b32_e32 v41, v38
	v_mov_b32_e32 v37, v45
	v_pk_add_f32 v[46:47], v[40:41], v[36:37] neg_lo:[0,1] neg_hi:[0,1]
	v_pk_add_f32 v[36:37], v[40:41], v[36:37]
	v_mov_b32_e32 v42, v43
	v_mov_b32_e32 v40, v37
	v_pk_add_f32 v[54:55], v[40:41], v[38:39] neg_lo:[0,1] neg_hi:[0,1]
	v_mov_b32_e32 v36, v45
	v_mov_b32_e32 v35, v54
	v_pk_add_f32 v[56:57], v[44:45], v[34:35] neg_lo:[0,1] neg_hi:[0,1]
	v_mov_b32_e32 v44, v39
	v_mov_b32_e32 v45, v54
	;; [unrolled: 1-line block ×3, first 2 shown]
	v_pk_add_f32 v[36:37], v[36:37], v[44:45] neg_lo:[0,1] neg_hi:[0,1]
	v_mov_b32_e32 v43, v38
	v_pk_add_f32 v[36:37], v[42:43], v[36:37] neg_lo:[0,1] neg_hi:[0,1]
	v_mov_b32_e32 v56, v46
	v_pk_add_f32 v[38:39], v[56:57], v[36:37]
	s_mov_b32 s2, 0x33800000
	v_mov_b32_e32 v42, v39
	v_pk_add_f32 v[42:43], v[38:39], v[42:43]
	v_cmp_lt_f32_e64 s[78:79], |v48|, s2
	v_pk_add_f32 v[40:41], v[40:41], v[42:43]
	v_mov_b32_e32 v37, v42
	v_mov_b32_e32 v39, v40
	v_pk_add_f32 v[44:45], v[38:39], v[46:47] neg_lo:[0,1] neg_hi:[0,1]
	s_or_b64 s[72:73], s[72:73], s[78:79]
	v_sub_f32_e32 v35, v38, v44
	v_pk_add_f32 v[36:37], v[36:37], v[44:45] neg_lo:[0,1] neg_hi:[0,1]
	v_sub_f32_e32 v35, v46, v35
	v_add_f32_e32 v35, v36, v35
	v_add_f32_e32 v35, v35, v37
	;; [unrolled: 1-line block ×3, first 2 shown]
	v_cndmask_b32_e64 v35, v35, v48, s[72:73]
	v_add_f32_e32 v35, v34, v35
.LBB469_72:
	s_or_b64 exec, exec, s[74:75]
	v_bfe_u32 v34, v35, 16, 1
	v_add3_u32 v34, v35, v34, s76
	v_and_b32_e32 v34, 0xffff0000, v34
	v_cmp_o_f32_e64 s[72:73], v35, v35
	v_and_b32_e32 v12, 0xffff0000, v12
	s_nop 0
	v_cndmask_b32_e64 v36, v32, v34, s[72:73]
	v_max_f32_e32 v32, v36, v36
	v_max_f32_e32 v34, v12, v12
	v_min_f32_e32 v35, v32, v34
	v_cmp_u_f32_e64 s[74:75], v36, v36
	v_max_f32_e32 v32, v32, v34
	v_cmp_u_f32_e64 s[72:73], v12, v12
	v_cndmask_b32_e64 v35, v35, v36, s[74:75]
	v_cndmask_b32_e64 v32, v32, v36, s[74:75]
	v_cndmask_b32_e64 v35, v35, v12, s[72:73]
	v_cndmask_b32_e64 v32, v32, v12, s[72:73]
	v_cmp_neq_f32_e64 s[74:75], v35, v32
	v_cmp_class_f32_e64 s[76:77], v35, s33
	s_or_b64 s[74:75], s[74:75], s[76:77]
	s_and_saveexec_b64 s[76:77], s[74:75]
	s_cbranch_execz .LBB469_74
; %bb.73:
	v_sub_f32_e32 v35, v35, v32
	s_mov_b32 s2, 0x3fb8aa3b
	v_mul_f32_e32 v36, 0x3fb8aa3b, v35
	v_fma_f32 v37, v35, s2, -v36
	v_rndne_f32_e32 v38, v36
	v_fmamk_f32 v37, v35, 0x32a5705f, v37
	v_sub_f32_e32 v36, v36, v38
	v_add_f32_e32 v36, v36, v37
	v_exp_f32_e32 v36, v36
	v_cvt_i32_f32_e32 v37, v38
	s_mov_b32 s2, 0xc2ce8ed0
	v_cmp_ngt_f32_e64 s[74:75], s2, v35
	s_mov_b32 s2, 0x42b17218
	v_ldexp_f32 v36, v36, v37
	v_cndmask_b32_e64 v36, 0, v36, s[74:75]
	v_mov_b32_e32 v37, 0x7f800000
	v_cmp_nlt_f32_e64 s[74:75], s2, v35
	s_mov_b32 s2, 0x3f2aaaab
	s_mov_b32 s3, 0x7f800000
	v_cndmask_b32_e64 v48, v37, v36, s[74:75]
	v_add_f32_e32 v35, 1.0, v48
	v_add_f32_e32 v36, -1.0, v35
	v_sub_f32_e32 v37, v36, v35
	v_add_f32_e32 v37, 1.0, v37
	v_sub_f32_e32 v36, v48, v36
	v_add_f32_e32 v38, v36, v37
	v_frexp_mant_f32_e32 v39, v35
	v_cvt_f64_f32_e32 v[36:37], v35
	v_frexp_exp_i32_f64_e32 v36, v[36:37]
	v_cmp_gt_f32_e64 s[74:75], s2, v39
	s_mov_b32 s2, 0x3f317218
	s_nop 0
	v_subbrev_co_u32_e64 v44, s[74:75], 0, v36, s[74:75]
	v_sub_u32_e32 v36, 0, v44
	v_ldexp_f32 v35, v35, v36
	v_ldexp_f32 v36, v38, v36
	v_add_f32_e32 v38, -1.0, v35
	v_add_f32_e32 v37, 1.0, v38
	v_sub_f32_e32 v37, v35, v37
	v_add_f32_e32 v39, v36, v37
	v_add_f32_e32 v37, 1.0, v35
	v_add_f32_e32 v40, -1.0, v37
	v_sub_f32_e32 v35, v35, v40
	v_add_f32_e32 v35, v36, v35
	v_add_f32_e32 v45, v37, v35
	v_rcp_f32_e32 v46, v45
	v_sub_f32_e32 v36, v37, v45
	v_add_f32_e32 v37, v38, v39
	v_add_f32_e32 v35, v35, v36
	v_mul_f32_e32 v53, v37, v46
	v_sub_f32_e32 v36, v38, v37
	v_mul_f32_e32 v38, v45, v53
	v_fma_f32 v40, v53, v45, -v38
	v_fmac_f32_e32 v40, v53, v35
	v_add_f32_e32 v47, v39, v36
	v_add_f32_e32 v36, v38, v40
	v_sub_f32_e32 v39, v37, v36
	v_pk_add_f32 v[42:43], v[36:37], v[38:39] neg_lo:[0,1] neg_hi:[0,1]
	v_mov_b32_e32 v41, v36
	v_pk_add_f32 v[36:37], v[42:43], v[40:41] neg_lo:[0,1] neg_hi:[0,1]
	v_cmp_eq_f32_e64 s[74:75], s3, v48
	v_add_f32_e32 v37, v47, v37
	v_add_f32_e32 v36, v36, v37
	;; [unrolled: 1-line block ×3, first 2 shown]
	v_mul_f32_e32 v47, v46, v37
	v_mul_f32_e32 v38, v45, v47
	v_fma_f32 v40, v47, v45, -v38
	v_fmac_f32_e32 v40, v47, v35
	v_sub_f32_e32 v35, v39, v37
	v_add_f32_e32 v35, v36, v35
	v_add_f32_e32 v36, v38, v40
	v_sub_f32_e32 v39, v37, v36
	v_pk_add_f32 v[42:43], v[36:37], v[38:39] neg_lo:[0,1] neg_hi:[0,1]
	v_mov_b32_e32 v41, v36
	v_pk_add_f32 v[36:37], v[42:43], v[40:41] neg_lo:[0,1] neg_hi:[0,1]
	v_cvt_f32_i32_e32 v38, v44
	v_add_f32_e32 v35, v35, v37
	v_add_f32_e32 v35, v36, v35
	;; [unrolled: 1-line block ×4, first 2 shown]
	v_sub_f32_e32 v37, v36, v53
	v_mul_f32_e32 v35, v46, v35
	v_sub_f32_e32 v37, v47, v37
	v_add_f32_e32 v35, v37, v35
	v_add_f32_e32 v39, v36, v35
	v_mul_f32_e32 v40, v39, v39
	v_mov_b32_e32 v37, 0x3ecc95a3
	v_fmac_f32_e32 v37, 0x3e9b6dac, v40
	v_sub_f32_e32 v36, v39, v36
	v_fmaak_f32 v37, v40, v37, 0x3f2aaada
	v_sub_f32_e32 v35, v35, v36
	v_ldexp_f32 v41, v39, 1
	v_mul_f32_e32 v39, v39, v40
	v_mov_b32_e32 v36, 0x3f317218
	v_pk_mul_f32 v[36:37], v[38:39], v[36:37]
	v_ldexp_f32 v35, v35, 1
	v_fma_f32 v39, v38, s2, -v36
	v_fmamk_f32 v40, v38, 0xb102e308, v39
	v_pk_add_f32 v[38:39], v[36:37], v[40:41]
	v_mov_b32_e32 v42, v36
	v_sub_f32_e32 v41, v39, v41
	v_sub_f32_e32 v41, v37, v41
	v_add_f32_e32 v43, v35, v41
	v_pk_add_f32 v[36:37], v[38:39], v[36:37] neg_lo:[0,1] neg_hi:[0,1]
	v_pk_add_f32 v[44:45], v[38:39], v[42:43]
	v_mov_b32_e32 v41, v38
	v_mov_b32_e32 v37, v45
	v_pk_add_f32 v[46:47], v[40:41], v[36:37] neg_lo:[0,1] neg_hi:[0,1]
	v_pk_add_f32 v[36:37], v[40:41], v[36:37]
	v_mov_b32_e32 v42, v43
	v_mov_b32_e32 v40, v37
	v_pk_add_f32 v[54:55], v[40:41], v[38:39] neg_lo:[0,1] neg_hi:[0,1]
	v_mov_b32_e32 v36, v45
	v_mov_b32_e32 v35, v54
	v_pk_add_f32 v[56:57], v[44:45], v[34:35] neg_lo:[0,1] neg_hi:[0,1]
	v_mov_b32_e32 v44, v39
	v_mov_b32_e32 v45, v54
	;; [unrolled: 1-line block ×3, first 2 shown]
	v_pk_add_f32 v[36:37], v[36:37], v[44:45] neg_lo:[0,1] neg_hi:[0,1]
	v_mov_b32_e32 v43, v38
	v_pk_add_f32 v[36:37], v[42:43], v[36:37] neg_lo:[0,1] neg_hi:[0,1]
	v_mov_b32_e32 v56, v46
	v_pk_add_f32 v[38:39], v[56:57], v[36:37]
	s_mov_b32 s2, 0x33800000
	v_mov_b32_e32 v42, v39
	v_pk_add_f32 v[42:43], v[38:39], v[42:43]
	v_cmp_lt_f32_e64 s[78:79], |v48|, s2
	v_pk_add_f32 v[40:41], v[40:41], v[42:43]
	v_mov_b32_e32 v37, v42
	v_mov_b32_e32 v39, v40
	v_pk_add_f32 v[44:45], v[38:39], v[46:47] neg_lo:[0,1] neg_hi:[0,1]
	s_or_b64 s[74:75], s[74:75], s[78:79]
	v_sub_f32_e32 v35, v38, v44
	v_pk_add_f32 v[36:37], v[36:37], v[44:45] neg_lo:[0,1] neg_hi:[0,1]
	v_sub_f32_e32 v35, v46, v35
	v_add_f32_e32 v35, v36, v35
	v_add_f32_e32 v35, v35, v37
	;; [unrolled: 1-line block ×3, first 2 shown]
	v_cndmask_b32_e64 v35, v35, v48, s[74:75]
	v_add_f32_e32 v36, v32, v35
.LBB469_74:
	s_or_b64 exec, exec, s[76:77]
	v_bfe_u32 v32, v36, 16, 1
	s_movk_i32 s80, 0x7fff
	v_add3_u32 v32, v36, v32, s80
	v_and_b32_e32 v32, 0xffff0000, v32
	v_mov_b32_e32 v35, 0x7fc00000
	v_cmp_o_f32_e64 s[74:75], v36, v36
	s_nop 1
	v_cndmask_b32_e64 v38, v35, v32, s[74:75]
	v_lshlrev_b32_e32 v32, 16, v13
	v_max_f32_e32 v37, v38, v38
	v_max_f32_e32 v36, v32, v32
	v_min_f32_e32 v39, v37, v36
	v_cmp_u_f32_e64 s[76:77], v38, v38
	v_max_f32_e32 v37, v37, v36
	v_cmp_u_f32_e64 s[74:75], v32, v32
	v_cndmask_b32_e64 v39, v39, v38, s[76:77]
	v_cndmask_b32_e64 v37, v37, v38, s[76:77]
	;; [unrolled: 1-line block ×4, first 2 shown]
	v_cmp_neq_f32_e64 s[76:77], v39, v37
	v_cmp_class_f32_e64 s[78:79], v39, s33
	s_or_b64 s[76:77], s[76:77], s[78:79]
	s_and_saveexec_b64 s[78:79], s[76:77]
	s_cbranch_execz .LBB469_76
; %bb.75:
	v_sub_f32_e32 v38, v39, v37
	s_mov_b32 s2, 0x3fb8aa3b
	v_mul_f32_e32 v39, 0x3fb8aa3b, v38
	v_fma_f32 v40, v38, s2, -v39
	v_rndne_f32_e32 v41, v39
	v_fmamk_f32 v40, v38, 0x32a5705f, v40
	v_sub_f32_e32 v39, v39, v41
	v_add_f32_e32 v39, v39, v40
	v_exp_f32_e32 v39, v39
	v_cvt_i32_f32_e32 v40, v41
	s_mov_b32 s2, 0xc2ce8ed0
	v_cmp_ngt_f32_e64 s[76:77], s2, v38
	s_mov_b32 s2, 0x42b17218
	v_ldexp_f32 v39, v39, v40
	v_cndmask_b32_e64 v39, 0, v39, s[76:77]
	v_mov_b32_e32 v40, 0x7f800000
	v_cmp_nlt_f32_e64 s[76:77], s2, v38
	s_mov_b32 s2, 0x3f2aaaab
	s_mov_b32 s3, 0x7f800000
	v_cndmask_b32_e64 v48, v40, v39, s[76:77]
	v_add_f32_e32 v40, 1.0, v48
	v_add_f32_e32 v38, -1.0, v40
	v_sub_f32_e32 v39, v38, v40
	v_add_f32_e32 v39, 1.0, v39
	v_sub_f32_e32 v38, v48, v38
	v_add_f32_e32 v41, v38, v39
	v_frexp_mant_f32_e32 v42, v40
	v_cvt_f64_f32_e32 v[38:39], v40
	v_frexp_exp_i32_f64_e32 v38, v[38:39]
	v_cmp_gt_f32_e64 s[76:77], s2, v42
	s_mov_b32 s2, 0x3f317218
	s_nop 0
	v_subbrev_co_u32_e64 v46, s[76:77], 0, v38, s[76:77]
	v_sub_u32_e32 v38, 0, v46
	v_ldexp_f32 v39, v40, v38
	v_add_f32_e32 v40, -1.0, v39
	v_add_f32_e32 v42, 1.0, v39
	v_ldexp_f32 v38, v41, v38
	v_add_f32_e32 v41, 1.0, v40
	v_add_f32_e32 v43, -1.0, v42
	v_sub_f32_e32 v41, v39, v41
	v_sub_f32_e32 v39, v39, v43
	v_add_f32_e32 v41, v38, v41
	v_add_f32_e32 v38, v38, v39
	;; [unrolled: 1-line block ×3, first 2 shown]
	v_rcp_f32_e32 v54, v47
	v_sub_f32_e32 v39, v42, v47
	v_add_f32_e32 v53, v38, v39
	v_add_f32_e32 v39, v40, v41
	v_mul_f32_e32 v56, v39, v54
	v_sub_f32_e32 v38, v40, v39
	v_mul_f32_e32 v40, v47, v56
	v_fma_f32 v42, v56, v47, -v40
	v_fmac_f32_e32 v42, v56, v53
	v_add_f32_e32 v55, v41, v38
	v_add_f32_e32 v38, v40, v42
	v_sub_f32_e32 v41, v39, v38
	v_pk_add_f32 v[44:45], v[38:39], v[40:41] neg_lo:[0,1] neg_hi:[0,1]
	v_mov_b32_e32 v43, v38
	v_pk_add_f32 v[38:39], v[44:45], v[42:43] neg_lo:[0,1] neg_hi:[0,1]
	v_cmp_eq_f32_e64 s[76:77], s3, v48
	v_add_f32_e32 v39, v55, v39
	v_add_f32_e32 v38, v38, v39
	;; [unrolled: 1-line block ×3, first 2 shown]
	v_mul_f32_e32 v55, v54, v39
	v_mul_f32_e32 v40, v47, v55
	v_fma_f32 v42, v55, v47, -v40
	v_fmac_f32_e32 v42, v55, v53
	v_sub_f32_e32 v41, v41, v39
	v_add_f32_e32 v47, v38, v41
	v_add_f32_e32 v38, v40, v42
	v_sub_f32_e32 v41, v39, v38
	v_pk_add_f32 v[44:45], v[38:39], v[40:41] neg_lo:[0,1] neg_hi:[0,1]
	v_mov_b32_e32 v43, v38
	v_pk_add_f32 v[38:39], v[44:45], v[42:43] neg_lo:[0,1] neg_hi:[0,1]
	v_cvt_f32_i32_e32 v40, v46
	v_add_f32_e32 v39, v47, v39
	v_add_f32_e32 v38, v38, v39
	;; [unrolled: 1-line block ×4, first 2 shown]
	v_sub_f32_e32 v39, v41, v56
	v_mul_f32_e32 v38, v54, v38
	v_sub_f32_e32 v39, v55, v39
	v_add_f32_e32 v38, v39, v38
	v_add_f32_e32 v42, v41, v38
	v_mul_f32_e32 v44, v42, v42
	v_mov_b32_e32 v39, 0x3ecc95a3
	v_sub_f32_e32 v41, v42, v41
	v_fmac_f32_e32 v39, 0x3e9b6dac, v44
	v_sub_f32_e32 v38, v38, v41
	v_fmaak_f32 v39, v44, v39, 0x3f2aaada
	v_ldexp_f32 v45, v38, 1
	v_mul_f32_e32 v41, v42, v44
	v_mov_b32_e32 v38, 0x3f317218
	v_pk_mul_f32 v[38:39], v[40:41], v[38:39]
	v_ldexp_f32 v43, v42, 1
	v_fma_f32 v41, v40, s2, -v38
	v_fmamk_f32 v42, v40, 0xb102e308, v41
	v_pk_add_f32 v[40:41], v[38:39], v[42:43]
	v_mov_b32_e32 v44, v38
	v_sub_f32_e32 v43, v41, v43
	v_sub_f32_e32 v43, v39, v43
	v_add_f32_e32 v45, v45, v43
	v_pk_add_f32 v[38:39], v[40:41], v[38:39] neg_lo:[0,1] neg_hi:[0,1]
	v_pk_add_f32 v[46:47], v[40:41], v[44:45]
	v_mov_b32_e32 v43, v40
	v_mov_b32_e32 v39, v47
	v_pk_add_f32 v[54:55], v[42:43], v[38:39] neg_lo:[0,1] neg_hi:[0,1]
	v_pk_add_f32 v[38:39], v[42:43], v[38:39]
	v_mov_b32_e32 v44, v45
	v_mov_b32_e32 v42, v39
	v_pk_add_f32 v[56:57], v[42:43], v[40:41] neg_lo:[0,1] neg_hi:[0,1]
	v_mov_b32_e32 v38, v47
	v_mov_b32_e32 v43, v56
	v_pk_add_f32 v[58:59], v[46:47], v[42:43] neg_lo:[0,1] neg_hi:[0,1]
	v_mov_b32_e32 v46, v41
	v_mov_b32_e32 v47, v56
	;; [unrolled: 1-line block ×3, first 2 shown]
	v_pk_add_f32 v[38:39], v[38:39], v[46:47] neg_lo:[0,1] neg_hi:[0,1]
	v_mov_b32_e32 v45, v40
	v_pk_add_f32 v[38:39], v[44:45], v[38:39] neg_lo:[0,1] neg_hi:[0,1]
	v_mov_b32_e32 v58, v54
	v_pk_add_f32 v[40:41], v[58:59], v[38:39]
	s_mov_b32 s2, 0x33800000
	v_mov_b32_e32 v44, v41
	v_pk_add_f32 v[44:45], v[40:41], v[44:45]
	v_cmp_lt_f32_e64 s[82:83], |v48|, s2
	v_pk_add_f32 v[42:43], v[42:43], v[44:45]
	v_mov_b32_e32 v39, v44
	v_mov_b32_e32 v41, v42
	v_pk_add_f32 v[46:47], v[40:41], v[54:55] neg_lo:[0,1] neg_hi:[0,1]
	s_or_b64 s[76:77], s[76:77], s[82:83]
	v_sub_f32_e32 v40, v40, v46
	v_pk_add_f32 v[38:39], v[38:39], v[46:47] neg_lo:[0,1] neg_hi:[0,1]
	v_sub_f32_e32 v40, v54, v40
	v_add_f32_e32 v38, v38, v40
	v_add_f32_e32 v38, v38, v39
	;; [unrolled: 1-line block ×3, first 2 shown]
	v_cndmask_b32_e64 v38, v38, v48, s[76:77]
	v_add_f32_e32 v38, v37, v38
.LBB469_76:
	s_or_b64 exec, exec, s[78:79]
	v_bfe_u32 v37, v38, 16, 1
	v_add3_u32 v37, v38, v37, s80
	v_and_b32_e32 v37, 0xffff0000, v37
	v_cmp_o_f32_e64 s[76:77], v38, v38
	v_and_b32_e32 v13, 0xffff0000, v13
	s_nop 0
	v_cndmask_b32_e64 v39, v35, v37, s[76:77]
	v_max_f32_e32 v35, v39, v39
	v_max_f32_e32 v37, v13, v13
	v_min_f32_e32 v38, v35, v37
	v_cmp_u_f32_e64 s[78:79], v39, v39
	v_max_f32_e32 v35, v35, v37
	v_cmp_u_f32_e64 s[76:77], v13, v13
	v_cndmask_b32_e64 v38, v38, v39, s[78:79]
	v_cndmask_b32_e64 v35, v35, v39, s[78:79]
	;; [unrolled: 1-line block ×4, first 2 shown]
	v_cmp_neq_f32_e64 s[78:79], v38, v35
	v_cmp_class_f32_e64 s[80:81], v38, s33
	s_or_b64 s[78:79], s[78:79], s[80:81]
	s_and_saveexec_b64 s[80:81], s[78:79]
	s_cbranch_execz .LBB469_78
; %bb.77:
	v_sub_f32_e32 v38, v38, v35
	s_mov_b32 s2, 0x3fb8aa3b
	v_mul_f32_e32 v39, 0x3fb8aa3b, v38
	v_fma_f32 v40, v38, s2, -v39
	v_rndne_f32_e32 v41, v39
	v_fmamk_f32 v40, v38, 0x32a5705f, v40
	v_sub_f32_e32 v39, v39, v41
	v_add_f32_e32 v39, v39, v40
	v_exp_f32_e32 v39, v39
	v_cvt_i32_f32_e32 v40, v41
	s_mov_b32 s2, 0xc2ce8ed0
	v_cmp_ngt_f32_e64 s[78:79], s2, v38
	s_mov_b32 s2, 0x42b17218
	v_ldexp_f32 v39, v39, v40
	v_cndmask_b32_e64 v39, 0, v39, s[78:79]
	v_mov_b32_e32 v40, 0x7f800000
	v_cmp_nlt_f32_e64 s[78:79], s2, v38
	s_mov_b32 s2, 0x3f2aaaab
	s_mov_b32 s3, 0x7f800000
	v_cndmask_b32_e64 v48, v40, v39, s[78:79]
	v_add_f32_e32 v40, 1.0, v48
	v_add_f32_e32 v38, -1.0, v40
	v_sub_f32_e32 v39, v38, v40
	v_add_f32_e32 v39, 1.0, v39
	v_sub_f32_e32 v38, v48, v38
	v_add_f32_e32 v41, v38, v39
	v_frexp_mant_f32_e32 v42, v40
	v_cvt_f64_f32_e32 v[38:39], v40
	v_frexp_exp_i32_f64_e32 v38, v[38:39]
	v_cmp_gt_f32_e64 s[78:79], s2, v42
	s_mov_b32 s2, 0x3f317218
	s_nop 0
	v_subbrev_co_u32_e64 v46, s[78:79], 0, v38, s[78:79]
	v_sub_u32_e32 v38, 0, v46
	v_ldexp_f32 v39, v40, v38
	v_add_f32_e32 v40, -1.0, v39
	v_add_f32_e32 v42, 1.0, v39
	v_ldexp_f32 v38, v41, v38
	v_add_f32_e32 v41, 1.0, v40
	v_add_f32_e32 v43, -1.0, v42
	v_sub_f32_e32 v41, v39, v41
	v_sub_f32_e32 v39, v39, v43
	v_add_f32_e32 v41, v38, v41
	v_add_f32_e32 v38, v38, v39
	v_add_f32_e32 v47, v42, v38
	v_rcp_f32_e32 v54, v47
	v_sub_f32_e32 v39, v42, v47
	v_add_f32_e32 v53, v38, v39
	v_add_f32_e32 v39, v40, v41
	v_mul_f32_e32 v56, v39, v54
	v_sub_f32_e32 v38, v40, v39
	v_mul_f32_e32 v40, v47, v56
	v_fma_f32 v42, v56, v47, -v40
	v_fmac_f32_e32 v42, v56, v53
	v_add_f32_e32 v55, v41, v38
	v_add_f32_e32 v38, v40, v42
	v_sub_f32_e32 v41, v39, v38
	v_pk_add_f32 v[44:45], v[38:39], v[40:41] neg_lo:[0,1] neg_hi:[0,1]
	v_mov_b32_e32 v43, v38
	v_pk_add_f32 v[38:39], v[44:45], v[42:43] neg_lo:[0,1] neg_hi:[0,1]
	v_cmp_eq_f32_e64 s[78:79], s3, v48
	v_add_f32_e32 v39, v55, v39
	v_add_f32_e32 v38, v38, v39
	;; [unrolled: 1-line block ×3, first 2 shown]
	v_mul_f32_e32 v55, v54, v39
	v_mul_f32_e32 v40, v47, v55
	v_fma_f32 v42, v55, v47, -v40
	v_fmac_f32_e32 v42, v55, v53
	v_sub_f32_e32 v41, v41, v39
	v_add_f32_e32 v47, v38, v41
	v_add_f32_e32 v38, v40, v42
	v_sub_f32_e32 v41, v39, v38
	v_pk_add_f32 v[44:45], v[38:39], v[40:41] neg_lo:[0,1] neg_hi:[0,1]
	v_mov_b32_e32 v43, v38
	v_pk_add_f32 v[38:39], v[44:45], v[42:43] neg_lo:[0,1] neg_hi:[0,1]
	v_cvt_f32_i32_e32 v40, v46
	v_add_f32_e32 v39, v47, v39
	v_add_f32_e32 v38, v38, v39
	;; [unrolled: 1-line block ×4, first 2 shown]
	v_sub_f32_e32 v39, v41, v56
	v_mul_f32_e32 v38, v54, v38
	v_sub_f32_e32 v39, v55, v39
	v_add_f32_e32 v38, v39, v38
	v_add_f32_e32 v42, v41, v38
	v_mul_f32_e32 v44, v42, v42
	v_mov_b32_e32 v39, 0x3ecc95a3
	v_sub_f32_e32 v41, v42, v41
	v_fmac_f32_e32 v39, 0x3e9b6dac, v44
	v_sub_f32_e32 v38, v38, v41
	v_fmaak_f32 v39, v44, v39, 0x3f2aaada
	v_ldexp_f32 v45, v38, 1
	v_mul_f32_e32 v41, v42, v44
	v_mov_b32_e32 v38, 0x3f317218
	v_pk_mul_f32 v[38:39], v[40:41], v[38:39]
	v_ldexp_f32 v43, v42, 1
	v_fma_f32 v41, v40, s2, -v38
	v_fmamk_f32 v42, v40, 0xb102e308, v41
	v_pk_add_f32 v[40:41], v[38:39], v[42:43]
	v_mov_b32_e32 v44, v38
	v_sub_f32_e32 v43, v41, v43
	v_sub_f32_e32 v43, v39, v43
	v_add_f32_e32 v45, v45, v43
	v_pk_add_f32 v[38:39], v[40:41], v[38:39] neg_lo:[0,1] neg_hi:[0,1]
	v_pk_add_f32 v[46:47], v[40:41], v[44:45]
	v_mov_b32_e32 v43, v40
	v_mov_b32_e32 v39, v47
	v_pk_add_f32 v[54:55], v[42:43], v[38:39] neg_lo:[0,1] neg_hi:[0,1]
	v_pk_add_f32 v[38:39], v[42:43], v[38:39]
	v_mov_b32_e32 v44, v45
	v_mov_b32_e32 v42, v39
	v_pk_add_f32 v[56:57], v[42:43], v[40:41] neg_lo:[0,1] neg_hi:[0,1]
	v_mov_b32_e32 v38, v47
	v_mov_b32_e32 v43, v56
	v_pk_add_f32 v[58:59], v[46:47], v[42:43] neg_lo:[0,1] neg_hi:[0,1]
	v_mov_b32_e32 v46, v41
	v_mov_b32_e32 v47, v56
	;; [unrolled: 1-line block ×3, first 2 shown]
	v_pk_add_f32 v[38:39], v[38:39], v[46:47] neg_lo:[0,1] neg_hi:[0,1]
	v_mov_b32_e32 v45, v40
	v_pk_add_f32 v[38:39], v[44:45], v[38:39] neg_lo:[0,1] neg_hi:[0,1]
	v_mov_b32_e32 v58, v54
	v_pk_add_f32 v[40:41], v[58:59], v[38:39]
	s_mov_b32 s2, 0x33800000
	v_mov_b32_e32 v44, v41
	v_pk_add_f32 v[44:45], v[40:41], v[44:45]
	v_cmp_lt_f32_e64 s[82:83], |v48|, s2
	v_pk_add_f32 v[42:43], v[42:43], v[44:45]
	v_mov_b32_e32 v39, v44
	v_mov_b32_e32 v41, v42
	v_pk_add_f32 v[46:47], v[40:41], v[54:55] neg_lo:[0,1] neg_hi:[0,1]
	s_or_b64 s[78:79], s[78:79], s[82:83]
	v_sub_f32_e32 v40, v40, v46
	v_pk_add_f32 v[38:39], v[38:39], v[46:47] neg_lo:[0,1] neg_hi:[0,1]
	v_sub_f32_e32 v40, v54, v40
	v_add_f32_e32 v38, v38, v40
	v_add_f32_e32 v38, v38, v39
	;; [unrolled: 1-line block ×3, first 2 shown]
	v_cndmask_b32_e64 v38, v38, v48, s[78:79]
	v_add_f32_e32 v39, v35, v38
.LBB469_78:
	s_or_b64 exec, exec, s[80:81]
	v_bfe_u32 v35, v39, 16, 1
	s_movk_i32 s84, 0x7fff
	v_add3_u32 v35, v39, v35, s84
	v_and_b32_e32 v35, 0xffff0000, v35
	v_mov_b32_e32 v38, 0x7fc00000
	v_cmp_o_f32_e64 s[78:79], v39, v39
	s_nop 1
	v_cndmask_b32_e64 v41, v38, v35, s[78:79]
	v_lshlrev_b32_e32 v35, 16, v6
	v_max_f32_e32 v40, v41, v41
	v_max_f32_e32 v39, v35, v35
	v_min_f32_e32 v42, v40, v39
	v_cmp_u_f32_e64 s[80:81], v41, v41
	v_max_f32_e32 v40, v40, v39
	v_cmp_u_f32_e64 s[78:79], v35, v35
	v_cndmask_b32_e64 v42, v42, v41, s[80:81]
	v_cndmask_b32_e64 v40, v40, v41, s[80:81]
	;; [unrolled: 1-line block ×4, first 2 shown]
	v_cmp_neq_f32_e64 s[80:81], v42, v40
	v_cmp_class_f32_e64 s[82:83], v42, s33
	s_or_b64 s[80:81], s[80:81], s[82:83]
	s_and_saveexec_b64 s[82:83], s[80:81]
	s_cbranch_execz .LBB469_80
; %bb.79:
	v_sub_f32_e32 v41, v42, v40
	s_mov_b32 s2, 0x3fb8aa3b
	v_mul_f32_e32 v42, 0x3fb8aa3b, v41
	v_fma_f32 v43, v41, s2, -v42
	v_rndne_f32_e32 v44, v42
	v_fmamk_f32 v43, v41, 0x32a5705f, v43
	v_sub_f32_e32 v42, v42, v44
	v_add_f32_e32 v42, v42, v43
	v_exp_f32_e32 v42, v42
	v_cvt_i32_f32_e32 v43, v44
	s_mov_b32 s2, 0xc2ce8ed0
	v_cmp_ngt_f32_e64 s[80:81], s2, v41
	s_mov_b32 s2, 0x42b17218
	v_ldexp_f32 v42, v42, v43
	v_cndmask_b32_e64 v42, 0, v42, s[80:81]
	v_mov_b32_e32 v43, 0x7f800000
	v_cmp_nlt_f32_e64 s[80:81], s2, v41
	s_mov_b32 s2, 0x3f2aaaab
	s_mov_b32 s3, 0x7f800000
	v_cndmask_b32_e64 v53, v43, v42, s[80:81]
	v_add_f32_e32 v41, 1.0, v53
	v_add_f32_e32 v42, -1.0, v41
	v_sub_f32_e32 v43, v42, v41
	v_add_f32_e32 v43, 1.0, v43
	v_sub_f32_e32 v42, v53, v42
	v_add_f32_e32 v44, v42, v43
	v_frexp_mant_f32_e32 v45, v41
	v_cvt_f64_f32_e32 v[42:43], v41
	v_frexp_exp_i32_f64_e32 v42, v[42:43]
	v_cmp_gt_f32_e64 s[80:81], s2, v45
	s_mov_b32 s2, 0x3f317218
	s_nop 0
	v_subbrev_co_u32_e64 v48, s[80:81], 0, v42, s[80:81]
	v_sub_u32_e32 v42, 0, v48
	v_ldexp_f32 v41, v41, v42
	v_ldexp_f32 v42, v44, v42
	v_add_f32_e32 v44, -1.0, v41
	v_add_f32_e32 v43, 1.0, v44
	v_sub_f32_e32 v43, v41, v43
	v_add_f32_e32 v45, v42, v43
	v_add_f32_e32 v43, 1.0, v41
	v_add_f32_e32 v46, -1.0, v43
	v_sub_f32_e32 v41, v41, v46
	v_add_f32_e32 v41, v42, v41
	v_add_f32_e32 v56, v43, v41
	v_rcp_f32_e32 v57, v56
	v_sub_f32_e32 v42, v43, v56
	v_add_f32_e32 v43, v44, v45
	v_add_f32_e32 v41, v41, v42
	v_mul_f32_e32 v59, v43, v57
	v_sub_f32_e32 v42, v44, v43
	v_mul_f32_e32 v44, v56, v59
	v_fma_f32 v46, v59, v56, -v44
	v_fmac_f32_e32 v46, v59, v41
	v_add_f32_e32 v58, v45, v42
	v_add_f32_e32 v42, v44, v46
	v_sub_f32_e32 v45, v43, v42
	v_pk_add_f32 v[54:55], v[42:43], v[44:45] neg_lo:[0,1] neg_hi:[0,1]
	v_mov_b32_e32 v47, v42
	v_pk_add_f32 v[42:43], v[54:55], v[46:47] neg_lo:[0,1] neg_hi:[0,1]
	v_cmp_eq_f32_e64 s[80:81], s3, v53
	v_add_f32_e32 v43, v58, v43
	v_add_f32_e32 v42, v42, v43
	;; [unrolled: 1-line block ×3, first 2 shown]
	v_mul_f32_e32 v58, v57, v43
	v_mul_f32_e32 v44, v56, v58
	v_fma_f32 v46, v58, v56, -v44
	v_fmac_f32_e32 v46, v58, v41
	v_sub_f32_e32 v41, v45, v43
	v_add_f32_e32 v41, v42, v41
	v_add_f32_e32 v42, v44, v46
	v_sub_f32_e32 v45, v43, v42
	v_pk_add_f32 v[54:55], v[42:43], v[44:45] neg_lo:[0,1] neg_hi:[0,1]
	v_mov_b32_e32 v47, v42
	v_pk_add_f32 v[42:43], v[54:55], v[46:47] neg_lo:[0,1] neg_hi:[0,1]
	v_cvt_f32_i32_e32 v44, v48
	v_add_f32_e32 v41, v41, v43
	v_add_f32_e32 v41, v42, v41
	;; [unrolled: 1-line block ×4, first 2 shown]
	v_sub_f32_e32 v43, v42, v59
	v_mul_f32_e32 v41, v57, v41
	v_sub_f32_e32 v43, v58, v43
	v_add_f32_e32 v41, v43, v41
	v_add_f32_e32 v45, v42, v41
	v_mul_f32_e32 v46, v45, v45
	v_mov_b32_e32 v43, 0x3ecc95a3
	v_fmac_f32_e32 v43, 0x3e9b6dac, v46
	v_sub_f32_e32 v42, v45, v42
	v_fmaak_f32 v43, v46, v43, 0x3f2aaada
	v_sub_f32_e32 v41, v41, v42
	v_ldexp_f32 v47, v45, 1
	v_mul_f32_e32 v45, v45, v46
	v_mov_b32_e32 v42, 0x3f317218
	v_pk_mul_f32 v[42:43], v[44:45], v[42:43]
	v_ldexp_f32 v41, v41, 1
	v_fma_f32 v45, v44, s2, -v42
	v_fmamk_f32 v46, v44, 0xb102e308, v45
	v_pk_add_f32 v[44:45], v[42:43], v[46:47]
	v_mov_b32_e32 v54, v42
	v_sub_f32_e32 v47, v45, v47
	v_sub_f32_e32 v47, v43, v47
	v_add_f32_e32 v55, v41, v47
	v_pk_add_f32 v[42:43], v[44:45], v[42:43] neg_lo:[0,1] neg_hi:[0,1]
	v_pk_add_f32 v[56:57], v[44:45], v[54:55]
	v_mov_b32_e32 v47, v44
	v_mov_b32_e32 v43, v57
	v_pk_add_f32 v[58:59], v[46:47], v[42:43] neg_lo:[0,1] neg_hi:[0,1]
	v_pk_add_f32 v[42:43], v[46:47], v[42:43]
	v_mov_b32_e32 v54, v55
	v_mov_b32_e32 v46, v43
	v_pk_add_f32 v[60:61], v[46:47], v[44:45] neg_lo:[0,1] neg_hi:[0,1]
	v_mov_b32_e32 v42, v57
	v_mov_b32_e32 v41, v60
	v_pk_add_f32 v[62:63], v[56:57], v[40:41] neg_lo:[0,1] neg_hi:[0,1]
	v_mov_b32_e32 v56, v45
	v_mov_b32_e32 v57, v60
	;; [unrolled: 1-line block ×3, first 2 shown]
	v_pk_add_f32 v[42:43], v[42:43], v[56:57] neg_lo:[0,1] neg_hi:[0,1]
	v_mov_b32_e32 v55, v44
	v_pk_add_f32 v[42:43], v[54:55], v[42:43] neg_lo:[0,1] neg_hi:[0,1]
	v_mov_b32_e32 v62, v58
	v_pk_add_f32 v[44:45], v[62:63], v[42:43]
	s_mov_b32 s2, 0x33800000
	v_mov_b32_e32 v48, v45
	v_pk_add_f32 v[54:55], v[44:45], v[48:49]
	v_cmp_lt_f32_e64 s[86:87], |v53|, s2
	v_pk_add_f32 v[46:47], v[46:47], v[54:55]
	v_mov_b32_e32 v43, v54
	v_mov_b32_e32 v45, v46
	v_pk_add_f32 v[56:57], v[44:45], v[58:59] neg_lo:[0,1] neg_hi:[0,1]
	s_or_b64 s[80:81], s[80:81], s[86:87]
	v_sub_f32_e32 v41, v44, v56
	v_pk_add_f32 v[42:43], v[42:43], v[56:57] neg_lo:[0,1] neg_hi:[0,1]
	v_sub_f32_e32 v41, v58, v41
	v_add_f32_e32 v41, v42, v41
	v_add_f32_e32 v41, v41, v43
	;; [unrolled: 1-line block ×3, first 2 shown]
	v_cndmask_b32_e64 v41, v41, v53, s[80:81]
	v_add_f32_e32 v41, v40, v41
.LBB469_80:
	s_or_b64 exec, exec, s[82:83]
	v_bfe_u32 v40, v41, 16, 1
	v_add3_u32 v40, v41, v40, s84
	v_and_b32_e32 v40, 0xffff0000, v40
	v_cmp_o_f32_e64 s[80:81], v41, v41
	v_and_b32_e32 v6, 0xffff0000, v6
	s_nop 0
	v_cndmask_b32_e64 v42, v38, v40, s[80:81]
	v_max_f32_e32 v38, v42, v42
	v_max_f32_e32 v40, v6, v6
	v_min_f32_e32 v41, v38, v40
	v_cmp_u_f32_e64 s[82:83], v42, v42
	v_max_f32_e32 v38, v38, v40
	v_cmp_u_f32_e64 s[80:81], v6, v6
	v_cndmask_b32_e64 v41, v41, v42, s[82:83]
	v_cndmask_b32_e64 v38, v38, v42, s[82:83]
	;; [unrolled: 1-line block ×4, first 2 shown]
	v_cmp_neq_f32_e64 s[82:83], v41, v38
	v_cmp_class_f32_e64 s[84:85], v41, s33
	s_or_b64 s[82:83], s[82:83], s[84:85]
	s_and_saveexec_b64 s[84:85], s[82:83]
	s_cbranch_execz .LBB469_82
; %bb.81:
	v_sub_f32_e32 v41, v41, v38
	s_mov_b32 s2, 0x3fb8aa3b
	v_mul_f32_e32 v42, 0x3fb8aa3b, v41
	v_fma_f32 v43, v41, s2, -v42
	v_rndne_f32_e32 v44, v42
	v_fmamk_f32 v43, v41, 0x32a5705f, v43
	v_sub_f32_e32 v42, v42, v44
	v_add_f32_e32 v42, v42, v43
	v_exp_f32_e32 v42, v42
	v_cvt_i32_f32_e32 v43, v44
	s_mov_b32 s2, 0xc2ce8ed0
	v_cmp_ngt_f32_e64 s[82:83], s2, v41
	s_mov_b32 s2, 0x42b17218
	v_ldexp_f32 v42, v42, v43
	v_cndmask_b32_e64 v42, 0, v42, s[82:83]
	v_mov_b32_e32 v43, 0x7f800000
	v_cmp_nlt_f32_e64 s[82:83], s2, v41
	s_mov_b32 s2, 0x3f2aaaab
	s_mov_b32 s3, 0x7f800000
	v_cndmask_b32_e64 v53, v43, v42, s[82:83]
	v_add_f32_e32 v41, 1.0, v53
	v_add_f32_e32 v42, -1.0, v41
	v_sub_f32_e32 v43, v42, v41
	v_add_f32_e32 v43, 1.0, v43
	v_sub_f32_e32 v42, v53, v42
	v_add_f32_e32 v44, v42, v43
	v_frexp_mant_f32_e32 v45, v41
	v_cvt_f64_f32_e32 v[42:43], v41
	v_frexp_exp_i32_f64_e32 v42, v[42:43]
	v_cmp_gt_f32_e64 s[82:83], s2, v45
	s_mov_b32 s2, 0x3f317218
	s_nop 0
	v_subbrev_co_u32_e64 v48, s[82:83], 0, v42, s[82:83]
	v_sub_u32_e32 v42, 0, v48
	v_ldexp_f32 v41, v41, v42
	v_ldexp_f32 v42, v44, v42
	v_add_f32_e32 v44, -1.0, v41
	v_add_f32_e32 v43, 1.0, v44
	v_sub_f32_e32 v43, v41, v43
	v_add_f32_e32 v45, v42, v43
	v_add_f32_e32 v43, 1.0, v41
	v_add_f32_e32 v46, -1.0, v43
	v_sub_f32_e32 v41, v41, v46
	v_add_f32_e32 v41, v42, v41
	v_add_f32_e32 v56, v43, v41
	v_rcp_f32_e32 v57, v56
	v_sub_f32_e32 v42, v43, v56
	v_add_f32_e32 v43, v44, v45
	v_add_f32_e32 v41, v41, v42
	v_mul_f32_e32 v59, v43, v57
	v_sub_f32_e32 v42, v44, v43
	v_mul_f32_e32 v44, v56, v59
	v_fma_f32 v46, v59, v56, -v44
	v_fmac_f32_e32 v46, v59, v41
	v_add_f32_e32 v58, v45, v42
	v_add_f32_e32 v42, v44, v46
	v_sub_f32_e32 v45, v43, v42
	v_pk_add_f32 v[54:55], v[42:43], v[44:45] neg_lo:[0,1] neg_hi:[0,1]
	v_mov_b32_e32 v47, v42
	v_pk_add_f32 v[42:43], v[54:55], v[46:47] neg_lo:[0,1] neg_hi:[0,1]
	v_cmp_eq_f32_e64 s[82:83], s3, v53
	v_add_f32_e32 v43, v58, v43
	v_add_f32_e32 v42, v42, v43
	;; [unrolled: 1-line block ×3, first 2 shown]
	v_mul_f32_e32 v58, v57, v43
	v_mul_f32_e32 v44, v56, v58
	v_fma_f32 v46, v58, v56, -v44
	v_fmac_f32_e32 v46, v58, v41
	v_sub_f32_e32 v41, v45, v43
	v_add_f32_e32 v41, v42, v41
	v_add_f32_e32 v42, v44, v46
	v_sub_f32_e32 v45, v43, v42
	v_pk_add_f32 v[54:55], v[42:43], v[44:45] neg_lo:[0,1] neg_hi:[0,1]
	v_mov_b32_e32 v47, v42
	v_pk_add_f32 v[42:43], v[54:55], v[46:47] neg_lo:[0,1] neg_hi:[0,1]
	v_cvt_f32_i32_e32 v44, v48
	v_add_f32_e32 v41, v41, v43
	v_add_f32_e32 v41, v42, v41
	;; [unrolled: 1-line block ×4, first 2 shown]
	v_sub_f32_e32 v43, v42, v59
	v_mul_f32_e32 v41, v57, v41
	v_sub_f32_e32 v43, v58, v43
	v_add_f32_e32 v41, v43, v41
	v_add_f32_e32 v45, v42, v41
	v_mul_f32_e32 v46, v45, v45
	v_mov_b32_e32 v43, 0x3ecc95a3
	v_fmac_f32_e32 v43, 0x3e9b6dac, v46
	v_sub_f32_e32 v42, v45, v42
	v_fmaak_f32 v43, v46, v43, 0x3f2aaada
	v_sub_f32_e32 v41, v41, v42
	v_ldexp_f32 v47, v45, 1
	v_mul_f32_e32 v45, v45, v46
	v_mov_b32_e32 v42, 0x3f317218
	v_pk_mul_f32 v[42:43], v[44:45], v[42:43]
	v_ldexp_f32 v41, v41, 1
	v_fma_f32 v45, v44, s2, -v42
	v_fmamk_f32 v46, v44, 0xb102e308, v45
	v_pk_add_f32 v[44:45], v[42:43], v[46:47]
	v_mov_b32_e32 v54, v42
	v_sub_f32_e32 v47, v45, v47
	v_sub_f32_e32 v47, v43, v47
	v_add_f32_e32 v55, v41, v47
	v_pk_add_f32 v[42:43], v[44:45], v[42:43] neg_lo:[0,1] neg_hi:[0,1]
	v_pk_add_f32 v[56:57], v[44:45], v[54:55]
	v_mov_b32_e32 v47, v44
	v_mov_b32_e32 v43, v57
	v_pk_add_f32 v[58:59], v[46:47], v[42:43] neg_lo:[0,1] neg_hi:[0,1]
	v_pk_add_f32 v[42:43], v[46:47], v[42:43]
	v_mov_b32_e32 v54, v55
	v_mov_b32_e32 v46, v43
	v_pk_add_f32 v[60:61], v[46:47], v[44:45] neg_lo:[0,1] neg_hi:[0,1]
	v_mov_b32_e32 v42, v57
	v_mov_b32_e32 v41, v60
	v_pk_add_f32 v[62:63], v[56:57], v[40:41] neg_lo:[0,1] neg_hi:[0,1]
	v_mov_b32_e32 v56, v45
	v_mov_b32_e32 v57, v60
	;; [unrolled: 1-line block ×3, first 2 shown]
	v_pk_add_f32 v[42:43], v[42:43], v[56:57] neg_lo:[0,1] neg_hi:[0,1]
	v_mov_b32_e32 v55, v44
	v_pk_add_f32 v[42:43], v[54:55], v[42:43] neg_lo:[0,1] neg_hi:[0,1]
	v_mov_b32_e32 v62, v58
	v_pk_add_f32 v[44:45], v[62:63], v[42:43]
	s_mov_b32 s2, 0x33800000
	v_mov_b32_e32 v48, v45
	v_pk_add_f32 v[54:55], v[44:45], v[48:49]
	v_cmp_lt_f32_e64 s[86:87], |v53|, s2
	v_pk_add_f32 v[46:47], v[46:47], v[54:55]
	v_mov_b32_e32 v43, v54
	v_mov_b32_e32 v45, v46
	v_pk_add_f32 v[56:57], v[44:45], v[58:59] neg_lo:[0,1] neg_hi:[0,1]
	s_or_b64 s[82:83], s[82:83], s[86:87]
	v_sub_f32_e32 v41, v44, v56
	v_pk_add_f32 v[42:43], v[42:43], v[56:57] neg_lo:[0,1] neg_hi:[0,1]
	v_sub_f32_e32 v41, v58, v41
	v_add_f32_e32 v41, v42, v41
	v_add_f32_e32 v41, v41, v43
	;; [unrolled: 1-line block ×3, first 2 shown]
	v_cndmask_b32_e64 v41, v41, v53, s[82:83]
	v_add_f32_e32 v42, v38, v41
.LBB469_82:
	s_or_b64 exec, exec, s[84:85]
	v_bfe_u32 v38, v42, 16, 1
	s_movk_i32 s88, 0x7fff
	v_add3_u32 v38, v42, v38, s88
	v_and_b32_e32 v38, 0xffff0000, v38
	v_mov_b32_e32 v41, 0x7fc00000
	v_cmp_o_f32_e64 s[82:83], v42, v42
	s_nop 1
	v_cndmask_b32_e64 v44, v41, v38, s[82:83]
	v_lshlrev_b32_e32 v38, 16, v7
	v_max_f32_e32 v43, v44, v44
	v_max_f32_e32 v42, v38, v38
	v_min_f32_e32 v45, v43, v42
	v_cmp_u_f32_e64 s[84:85], v44, v44
	v_max_f32_e32 v43, v43, v42
	v_cmp_u_f32_e64 s[82:83], v38, v38
	v_cndmask_b32_e64 v45, v45, v44, s[84:85]
	v_cndmask_b32_e64 v43, v43, v44, s[84:85]
	;; [unrolled: 1-line block ×4, first 2 shown]
	v_cmp_neq_f32_e64 s[84:85], v45, v43
	v_cmp_class_f32_e64 s[86:87], v45, s33
	s_or_b64 s[84:85], s[84:85], s[86:87]
	s_and_saveexec_b64 s[86:87], s[84:85]
	s_cbranch_execz .LBB469_84
; %bb.83:
	v_sub_f32_e32 v44, v45, v43
	s_mov_b32 s2, 0x3fb8aa3b
	v_mul_f32_e32 v45, 0x3fb8aa3b, v44
	v_fma_f32 v46, v44, s2, -v45
	v_rndne_f32_e32 v47, v45
	v_fmamk_f32 v46, v44, 0x32a5705f, v46
	v_sub_f32_e32 v45, v45, v47
	v_add_f32_e32 v45, v45, v46
	v_exp_f32_e32 v45, v45
	v_cvt_i32_f32_e32 v46, v47
	s_mov_b32 s2, 0xc2ce8ed0
	v_cmp_ngt_f32_e64 s[84:85], s2, v44
	s_mov_b32 s2, 0x42b17218
	v_ldexp_f32 v45, v45, v46
	v_cndmask_b32_e64 v45, 0, v45, s[84:85]
	v_mov_b32_e32 v46, 0x7f800000
	v_cmp_nlt_f32_e64 s[84:85], s2, v44
	s_mov_b32 s2, 0x3f2aaaab
	s_mov_b32 s3, 0x7f800000
	v_cndmask_b32_e64 v64, v46, v45, s[84:85]
	v_add_f32_e32 v46, 1.0, v64
	v_add_f32_e32 v44, -1.0, v46
	v_sub_f32_e32 v45, v44, v46
	v_add_f32_e32 v45, 1.0, v45
	v_sub_f32_e32 v44, v64, v44
	v_add_f32_e32 v47, v44, v45
	v_frexp_mant_f32_e32 v48, v46
	v_cvt_f64_f32_e32 v[44:45], v46
	v_frexp_exp_i32_f64_e32 v44, v[44:45]
	v_cmp_gt_f32_e64 s[84:85], s2, v48
	s_mov_b32 s2, 0x3f317218
	s_nop 0
	v_subbrev_co_u32_e64 v48, s[84:85], 0, v44, s[84:85]
	v_sub_u32_e32 v44, 0, v48
	v_ldexp_f32 v45, v46, v44
	v_add_f32_e32 v46, -1.0, v45
	v_add_f32_e32 v53, 1.0, v45
	v_ldexp_f32 v44, v47, v44
	v_add_f32_e32 v47, 1.0, v46
	v_add_f32_e32 v54, -1.0, v53
	v_sub_f32_e32 v47, v45, v47
	v_sub_f32_e32 v45, v45, v54
	v_add_f32_e32 v47, v44, v47
	v_add_f32_e32 v44, v44, v45
	;; [unrolled: 1-line block ×3, first 2 shown]
	v_rcp_f32_e32 v59, v58
	v_sub_f32_e32 v45, v53, v58
	v_add_f32_e32 v53, v44, v45
	v_add_f32_e32 v45, v46, v47
	v_mul_f32_e32 v61, v45, v59
	v_sub_f32_e32 v44, v46, v45
	v_mul_f32_e32 v46, v58, v61
	v_fma_f32 v54, v61, v58, -v46
	v_fmac_f32_e32 v54, v61, v53
	v_add_f32_e32 v60, v47, v44
	v_add_f32_e32 v44, v46, v54
	v_sub_f32_e32 v47, v45, v44
	v_pk_add_f32 v[56:57], v[44:45], v[46:47] neg_lo:[0,1] neg_hi:[0,1]
	v_mov_b32_e32 v55, v44
	v_pk_add_f32 v[44:45], v[56:57], v[54:55] neg_lo:[0,1] neg_hi:[0,1]
	v_cmp_eq_f32_e64 s[84:85], s3, v64
	v_add_f32_e32 v45, v60, v45
	v_add_f32_e32 v44, v44, v45
	;; [unrolled: 1-line block ×3, first 2 shown]
	v_mul_f32_e32 v60, v59, v45
	v_mul_f32_e32 v46, v58, v60
	v_fma_f32 v54, v60, v58, -v46
	v_fmac_f32_e32 v54, v60, v53
	v_sub_f32_e32 v47, v47, v45
	v_add_f32_e32 v53, v44, v47
	v_add_f32_e32 v44, v46, v54
	v_sub_f32_e32 v47, v45, v44
	v_pk_add_f32 v[56:57], v[44:45], v[46:47] neg_lo:[0,1] neg_hi:[0,1]
	v_mov_b32_e32 v55, v44
	v_pk_add_f32 v[44:45], v[56:57], v[54:55] neg_lo:[0,1] neg_hi:[0,1]
	v_cvt_f32_i32_e32 v46, v48
	v_add_f32_e32 v45, v53, v45
	v_add_f32_e32 v44, v44, v45
	;; [unrolled: 1-line block ×4, first 2 shown]
	v_sub_f32_e32 v45, v47, v61
	v_mul_f32_e32 v44, v59, v44
	v_sub_f32_e32 v45, v60, v45
	v_add_f32_e32 v44, v45, v44
	v_add_f32_e32 v53, v47, v44
	v_mul_f32_e32 v54, v53, v53
	v_mov_b32_e32 v45, 0x3ecc95a3
	v_sub_f32_e32 v47, v53, v47
	v_fmac_f32_e32 v45, 0x3e9b6dac, v54
	v_sub_f32_e32 v44, v44, v47
	v_fmaak_f32 v45, v54, v45, 0x3f2aaada
	v_ldexp_f32 v48, v44, 1
	v_mul_f32_e32 v47, v53, v54
	v_mov_b32_e32 v44, 0x3f317218
	v_pk_mul_f32 v[44:45], v[46:47], v[44:45]
	v_ldexp_f32 v55, v53, 1
	v_fma_f32 v47, v46, s2, -v44
	v_fmamk_f32 v54, v46, 0xb102e308, v47
	v_pk_add_f32 v[46:47], v[44:45], v[54:55]
	v_mov_b32_e32 v56, v44
	v_sub_f32_e32 v53, v47, v55
	v_sub_f32_e32 v53, v45, v53
	v_add_f32_e32 v57, v48, v53
	v_pk_add_f32 v[44:45], v[46:47], v[44:45] neg_lo:[0,1] neg_hi:[0,1]
	v_pk_add_f32 v[58:59], v[46:47], v[56:57]
	v_mov_b32_e32 v55, v46
	v_mov_b32_e32 v45, v59
	v_pk_add_f32 v[60:61], v[54:55], v[44:45] neg_lo:[0,1] neg_hi:[0,1]
	v_pk_add_f32 v[44:45], v[54:55], v[44:45]
	s_mov_b32 s2, 0x33800000
	v_mov_b32_e32 v48, v45
	v_pk_add_f32 v[54:55], v[48:49], v[46:47] neg_lo:[0,1] neg_hi:[0,1]
	v_mov_b32_e32 v44, v59
	v_mov_b32_e32 v53, v54
	v_pk_add_f32 v[62:63], v[58:59], v[52:53] neg_lo:[0,1] neg_hi:[0,1]
	v_mov_b32_e32 v58, v47
	v_mov_b32_e32 v59, v54
	;; [unrolled: 1-line block ×3, first 2 shown]
	v_pk_add_f32 v[44:45], v[44:45], v[58:59] neg_lo:[0,1] neg_hi:[0,1]
	v_mov_b32_e32 v54, v57
	v_mov_b32_e32 v55, v46
	v_pk_add_f32 v[44:45], v[54:55], v[44:45] neg_lo:[0,1] neg_hi:[0,1]
	v_mov_b32_e32 v62, v60
	v_pk_add_f32 v[46:47], v[62:63], v[44:45]
	v_cmp_lt_f32_e64 s[90:91], |v64|, s2
	v_mov_b32_e32 v54, v47
	v_pk_add_f32 v[54:55], v[46:47], v[54:55]
	s_or_b64 s[84:85], s[84:85], s[90:91]
	v_pk_add_f32 v[56:57], v[48:49], v[54:55]
	v_mov_b32_e32 v45, v54
	v_mov_b32_e32 v47, v56
	v_pk_add_f32 v[58:59], v[46:47], v[60:61] neg_lo:[0,1] neg_hi:[0,1]
	s_nop 0
	v_sub_f32_e32 v46, v46, v58
	v_pk_add_f32 v[44:45], v[44:45], v[58:59] neg_lo:[0,1] neg_hi:[0,1]
	v_sub_f32_e32 v46, v60, v46
	v_add_f32_e32 v44, v44, v46
	v_add_f32_e32 v44, v44, v45
	;; [unrolled: 1-line block ×3, first 2 shown]
	v_cndmask_b32_e64 v44, v44, v64, s[84:85]
	v_add_f32_e32 v44, v43, v44
.LBB469_84:
	s_or_b64 exec, exec, s[86:87]
	v_bfe_u32 v43, v44, 16, 1
	v_add3_u32 v43, v44, v43, s88
	v_and_b32_e32 v43, 0xffff0000, v43
	v_cmp_o_f32_e64 s[84:85], v44, v44
	v_and_b32_e32 v7, 0xffff0000, v7
	s_nop 0
	v_cndmask_b32_e64 v45, v41, v43, s[84:85]
	v_max_f32_e32 v41, v45, v45
	v_max_f32_e32 v43, v7, v7
	v_min_f32_e32 v44, v41, v43
	v_cmp_u_f32_e64 s[86:87], v45, v45
	v_max_f32_e32 v41, v41, v43
	v_cmp_u_f32_e64 s[84:85], v7, v7
	v_cndmask_b32_e64 v44, v44, v45, s[86:87]
	v_cndmask_b32_e64 v41, v41, v45, s[86:87]
	;; [unrolled: 1-line block ×4, first 2 shown]
	v_cmp_neq_f32_e64 s[86:87], v44, v41
	v_cmp_class_f32_e64 s[88:89], v44, s33
	s_or_b64 s[86:87], s[86:87], s[88:89]
	s_and_saveexec_b64 s[88:89], s[86:87]
	s_cbranch_execz .LBB469_86
; %bb.85:
	v_sub_f32_e32 v44, v44, v41
	s_mov_b32 s2, 0x3fb8aa3b
	v_mul_f32_e32 v45, 0x3fb8aa3b, v44
	v_fma_f32 v46, v44, s2, -v45
	v_rndne_f32_e32 v47, v45
	v_fmamk_f32 v46, v44, 0x32a5705f, v46
	v_sub_f32_e32 v45, v45, v47
	v_add_f32_e32 v45, v45, v46
	v_exp_f32_e32 v45, v45
	v_cvt_i32_f32_e32 v46, v47
	s_mov_b32 s2, 0xc2ce8ed0
	v_cmp_ngt_f32_e64 s[86:87], s2, v44
	s_mov_b32 s2, 0x42b17218
	v_ldexp_f32 v45, v45, v46
	v_cndmask_b32_e64 v45, 0, v45, s[86:87]
	v_mov_b32_e32 v46, 0x7f800000
	v_cmp_nlt_f32_e64 s[86:87], s2, v44
	s_mov_b32 s2, 0x3f2aaaab
	s_mov_b32 s3, 0x7f800000
	v_cndmask_b32_e64 v64, v46, v45, s[86:87]
	v_add_f32_e32 v46, 1.0, v64
	v_add_f32_e32 v44, -1.0, v46
	v_sub_f32_e32 v45, v44, v46
	v_add_f32_e32 v45, 1.0, v45
	v_sub_f32_e32 v44, v64, v44
	v_add_f32_e32 v47, v44, v45
	v_frexp_mant_f32_e32 v48, v46
	v_cvt_f64_f32_e32 v[44:45], v46
	v_frexp_exp_i32_f64_e32 v44, v[44:45]
	v_cmp_gt_f32_e64 s[86:87], s2, v48
	s_mov_b32 s2, 0x3f317218
	s_nop 0
	v_subbrev_co_u32_e64 v48, s[86:87], 0, v44, s[86:87]
	v_sub_u32_e32 v44, 0, v48
	v_ldexp_f32 v45, v46, v44
	v_add_f32_e32 v46, -1.0, v45
	v_add_f32_e32 v53, 1.0, v45
	v_ldexp_f32 v44, v47, v44
	v_add_f32_e32 v47, 1.0, v46
	v_add_f32_e32 v54, -1.0, v53
	v_sub_f32_e32 v47, v45, v47
	v_sub_f32_e32 v45, v45, v54
	v_add_f32_e32 v47, v44, v47
	v_add_f32_e32 v44, v44, v45
	;; [unrolled: 1-line block ×3, first 2 shown]
	v_rcp_f32_e32 v59, v58
	v_sub_f32_e32 v45, v53, v58
	v_add_f32_e32 v53, v44, v45
	v_add_f32_e32 v45, v46, v47
	v_mul_f32_e32 v61, v45, v59
	v_sub_f32_e32 v44, v46, v45
	v_mul_f32_e32 v46, v58, v61
	v_fma_f32 v54, v61, v58, -v46
	v_fmac_f32_e32 v54, v61, v53
	v_add_f32_e32 v60, v47, v44
	v_add_f32_e32 v44, v46, v54
	v_sub_f32_e32 v47, v45, v44
	v_pk_add_f32 v[56:57], v[44:45], v[46:47] neg_lo:[0,1] neg_hi:[0,1]
	v_mov_b32_e32 v55, v44
	v_pk_add_f32 v[44:45], v[56:57], v[54:55] neg_lo:[0,1] neg_hi:[0,1]
	v_cmp_eq_f32_e64 s[86:87], s3, v64
	v_add_f32_e32 v45, v60, v45
	v_add_f32_e32 v44, v44, v45
	;; [unrolled: 1-line block ×3, first 2 shown]
	v_mul_f32_e32 v60, v59, v45
	v_mul_f32_e32 v46, v58, v60
	v_fma_f32 v54, v60, v58, -v46
	v_fmac_f32_e32 v54, v60, v53
	v_sub_f32_e32 v47, v47, v45
	v_add_f32_e32 v53, v44, v47
	v_add_f32_e32 v44, v46, v54
	v_sub_f32_e32 v47, v45, v44
	v_pk_add_f32 v[56:57], v[44:45], v[46:47] neg_lo:[0,1] neg_hi:[0,1]
	v_mov_b32_e32 v55, v44
	v_pk_add_f32 v[44:45], v[56:57], v[54:55] neg_lo:[0,1] neg_hi:[0,1]
	v_cvt_f32_i32_e32 v46, v48
	v_add_f32_e32 v45, v53, v45
	v_add_f32_e32 v44, v44, v45
	;; [unrolled: 1-line block ×4, first 2 shown]
	v_sub_f32_e32 v45, v47, v61
	v_mul_f32_e32 v44, v59, v44
	v_sub_f32_e32 v45, v60, v45
	v_add_f32_e32 v44, v45, v44
	v_add_f32_e32 v53, v47, v44
	v_mul_f32_e32 v54, v53, v53
	v_mov_b32_e32 v45, 0x3ecc95a3
	v_sub_f32_e32 v47, v53, v47
	v_fmac_f32_e32 v45, 0x3e9b6dac, v54
	v_sub_f32_e32 v44, v44, v47
	v_fmaak_f32 v45, v54, v45, 0x3f2aaada
	v_ldexp_f32 v48, v44, 1
	v_mul_f32_e32 v47, v53, v54
	v_mov_b32_e32 v44, 0x3f317218
	v_pk_mul_f32 v[44:45], v[46:47], v[44:45]
	v_ldexp_f32 v55, v53, 1
	v_fma_f32 v47, v46, s2, -v44
	v_fmamk_f32 v54, v46, 0xb102e308, v47
	v_pk_add_f32 v[46:47], v[44:45], v[54:55]
	v_mov_b32_e32 v56, v44
	v_sub_f32_e32 v53, v47, v55
	v_sub_f32_e32 v53, v45, v53
	v_add_f32_e32 v57, v48, v53
	v_pk_add_f32 v[44:45], v[46:47], v[44:45] neg_lo:[0,1] neg_hi:[0,1]
	v_pk_add_f32 v[58:59], v[46:47], v[56:57]
	v_mov_b32_e32 v55, v46
	v_mov_b32_e32 v45, v59
	v_pk_add_f32 v[60:61], v[54:55], v[44:45] neg_lo:[0,1] neg_hi:[0,1]
	v_pk_add_f32 v[44:45], v[54:55], v[44:45]
	s_mov_b32 s2, 0x33800000
	v_mov_b32_e32 v48, v45
	v_pk_add_f32 v[54:55], v[48:49], v[46:47] neg_lo:[0,1] neg_hi:[0,1]
	v_mov_b32_e32 v44, v59
	v_mov_b32_e32 v53, v54
	v_pk_add_f32 v[62:63], v[58:59], v[52:53] neg_lo:[0,1] neg_hi:[0,1]
	v_mov_b32_e32 v58, v47
	v_mov_b32_e32 v59, v54
	;; [unrolled: 1-line block ×3, first 2 shown]
	v_pk_add_f32 v[44:45], v[44:45], v[58:59] neg_lo:[0,1] neg_hi:[0,1]
	v_mov_b32_e32 v54, v57
	v_mov_b32_e32 v55, v46
	v_pk_add_f32 v[44:45], v[54:55], v[44:45] neg_lo:[0,1] neg_hi:[0,1]
	v_mov_b32_e32 v62, v60
	v_pk_add_f32 v[46:47], v[62:63], v[44:45]
	v_cmp_lt_f32_e64 s[90:91], |v64|, s2
	v_mov_b32_e32 v54, v47
	v_pk_add_f32 v[54:55], v[46:47], v[54:55]
	s_or_b64 s[86:87], s[86:87], s[90:91]
	v_pk_add_f32 v[56:57], v[48:49], v[54:55]
	v_mov_b32_e32 v45, v54
	v_mov_b32_e32 v47, v56
	v_pk_add_f32 v[58:59], v[46:47], v[60:61] neg_lo:[0,1] neg_hi:[0,1]
	s_nop 0
	v_sub_f32_e32 v46, v46, v58
	v_pk_add_f32 v[44:45], v[44:45], v[58:59] neg_lo:[0,1] neg_hi:[0,1]
	v_sub_f32_e32 v46, v60, v46
	v_add_f32_e32 v44, v44, v46
	v_add_f32_e32 v44, v44, v45
	;; [unrolled: 1-line block ×3, first 2 shown]
	v_cndmask_b32_e64 v44, v44, v64, s[86:87]
	v_add_f32_e32 v45, v41, v44
.LBB469_86:
	s_or_b64 exec, exec, s[88:89]
	v_bfe_u32 v41, v45, 16, 1
	s_movk_i32 s92, 0x7fff
	v_add3_u32 v41, v45, v41, s92
	v_and_b32_e32 v41, 0xffff0000, v41
	v_mov_b32_e32 v44, 0x7fc00000
	v_cmp_o_f32_e64 s[86:87], v45, v45
	s_nop 1
	v_cndmask_b32_e64 v47, v44, v41, s[86:87]
	v_lshlrev_b32_e32 v41, 16, v8
	v_max_f32_e32 v46, v47, v47
	v_max_f32_e32 v45, v41, v41
	v_min_f32_e32 v48, v46, v45
	v_cmp_u_f32_e64 s[88:89], v47, v47
	v_max_f32_e32 v46, v46, v45
	v_cmp_u_f32_e64 s[86:87], v41, v41
	v_cndmask_b32_e64 v48, v48, v47, s[88:89]
	v_cndmask_b32_e64 v46, v46, v47, s[88:89]
	;; [unrolled: 1-line block ×4, first 2 shown]
	v_cmp_neq_f32_e64 s[88:89], v48, v46
	v_cmp_class_f32_e64 s[90:91], v48, s33
	s_or_b64 s[88:89], s[88:89], s[90:91]
	s_and_saveexec_b64 s[90:91], s[88:89]
	s_cbranch_execz .LBB469_88
; %bb.87:
	v_sub_f32_e32 v47, v48, v46
	s_mov_b32 s2, 0x3fb8aa3b
	v_mul_f32_e32 v48, 0x3fb8aa3b, v47
	v_fma_f32 v53, v47, s2, -v48
	v_rndne_f32_e32 v54, v48
	v_fmamk_f32 v53, v47, 0x32a5705f, v53
	v_sub_f32_e32 v48, v48, v54
	v_add_f32_e32 v48, v48, v53
	v_exp_f32_e32 v48, v48
	v_cvt_i32_f32_e32 v53, v54
	s_mov_b32 s2, 0xc2ce8ed0
	v_cmp_ngt_f32_e64 s[88:89], s2, v47
	s_mov_b32 s2, 0x42b17218
	v_ldexp_f32 v48, v48, v53
	v_cndmask_b32_e64 v48, 0, v48, s[88:89]
	v_mov_b32_e32 v53, 0x7f800000
	v_cmp_nlt_f32_e64 s[88:89], s2, v47
	s_mov_b32 s2, 0x3f2aaaab
	s_mov_b32 s3, 0x7f800000
	v_cndmask_b32_e64 v53, v53, v48, s[88:89]
	v_add_f32_e32 v47, 1.0, v53
	v_add_f32_e32 v48, -1.0, v47
	v_sub_f32_e32 v54, v48, v47
	v_add_f32_e32 v54, 1.0, v54
	v_sub_f32_e32 v48, v53, v48
	v_add_f32_e32 v48, v48, v54
	v_frexp_mant_f32_e32 v56, v47
	v_cvt_f64_f32_e32 v[54:55], v47
	v_frexp_exp_i32_f64_e32 v54, v[54:55]
	v_cmp_gt_f32_e64 s[88:89], s2, v56
	s_mov_b32 s2, 0x3f317218
	s_nop 0
	v_subbrev_co_u32_e64 v62, s[88:89], 0, v54, s[88:89]
	v_sub_u32_e32 v54, 0, v62
	v_ldexp_f32 v47, v47, v54
	v_ldexp_f32 v48, v48, v54
	v_add_f32_e32 v54, -1.0, v47
	v_add_f32_e32 v55, 1.0, v54
	v_sub_f32_e32 v55, v47, v55
	v_add_f32_e32 v56, v48, v55
	v_add_f32_e32 v55, 1.0, v47
	v_add_f32_e32 v57, -1.0, v55
	v_sub_f32_e32 v47, v47, v57
	v_add_f32_e32 v47, v48, v47
	v_add_f32_e32 v48, v55, v47
	v_rcp_f32_e32 v63, v48
	v_sub_f32_e32 v55, v55, v48
	v_add_f32_e32 v47, v47, v55
	v_add_f32_e32 v55, v54, v56
	v_sub_f32_e32 v54, v54, v55
	v_mul_f32_e32 v65, v55, v63
	v_add_f32_e32 v64, v56, v54
	v_mul_f32_e32 v56, v48, v65
	v_fma_f32 v58, v65, v48, -v56
	v_fmac_f32_e32 v58, v65, v47
	v_add_f32_e32 v54, v56, v58
	v_sub_f32_e32 v57, v55, v54
	v_pk_add_f32 v[60:61], v[54:55], v[56:57] neg_lo:[0,1] neg_hi:[0,1]
	v_mov_b32_e32 v59, v54
	v_pk_add_f32 v[54:55], v[60:61], v[58:59] neg_lo:[0,1] neg_hi:[0,1]
	v_cmp_eq_f32_e64 s[88:89], s3, v53
	v_add_f32_e32 v55, v64, v55
	v_add_f32_e32 v54, v54, v55
	;; [unrolled: 1-line block ×3, first 2 shown]
	v_mul_f32_e32 v64, v63, v55
	v_mul_f32_e32 v56, v48, v64
	v_fma_f32 v58, v64, v48, -v56
	v_fmac_f32_e32 v58, v64, v47
	v_sub_f32_e32 v47, v57, v55
	v_add_f32_e32 v47, v54, v47
	v_add_f32_e32 v54, v56, v58
	v_sub_f32_e32 v57, v55, v54
	v_pk_add_f32 v[60:61], v[54:55], v[56:57] neg_lo:[0,1] neg_hi:[0,1]
	v_mov_b32_e32 v59, v54
	v_pk_add_f32 v[54:55], v[60:61], v[58:59] neg_lo:[0,1] neg_hi:[0,1]
	v_add_f32_e32 v48, v65, v64
	v_add_f32_e32 v47, v47, v55
	;; [unrolled: 1-line block ×4, first 2 shown]
	v_sub_f32_e32 v54, v48, v65
	v_mul_f32_e32 v47, v63, v47
	v_sub_f32_e32 v54, v64, v54
	v_add_f32_e32 v47, v54, v47
	v_add_f32_e32 v54, v48, v47
	v_cvt_f32_i32_e32 v56, v62
	v_mul_f32_e32 v57, v54, v54
	v_mov_b32_e32 v55, 0x3ecc95a3
	v_fmac_f32_e32 v55, 0x3e9b6dac, v57
	v_fmaak_f32 v55, v57, v55, 0x3f2aaada
	v_sub_f32_e32 v48, v54, v48
	v_ldexp_f32 v59, v54, 1
	v_mul_f32_e32 v57, v54, v57
	v_mov_b32_e32 v54, 0x3f317218
	v_pk_mul_f32 v[54:55], v[56:57], v[54:55]
	v_sub_f32_e32 v47, v47, v48
	v_fma_f32 v48, v56, s2, -v54
	v_fmamk_f32 v58, v56, 0xb102e308, v48
	v_pk_add_f32 v[56:57], v[54:55], v[58:59]
	v_ldexp_f32 v47, v47, 1
	v_sub_f32_e32 v48, v57, v59
	v_sub_f32_e32 v48, v55, v48
	v_add_f32_e32 v61, v47, v48
	v_mov_b32_e32 v60, v54
	v_pk_add_f32 v[54:55], v[56:57], v[54:55] neg_lo:[0,1] neg_hi:[0,1]
	v_pk_add_f32 v[62:63], v[56:57], v[60:61]
	v_mov_b32_e32 v59, v56
	v_mov_b32_e32 v55, v63
	v_pk_add_f32 v[64:65], v[58:59], v[54:55] neg_lo:[0,1] neg_hi:[0,1]
	v_pk_add_f32 v[54:55], v[58:59], v[54:55]
	s_mov_b32 s2, 0x33800000
	v_mov_b32_e32 v48, v55
	v_pk_add_f32 v[58:59], v[48:49], v[56:57] neg_lo:[0,1] neg_hi:[0,1]
	v_mov_b32_e32 v54, v63
	v_mov_b32_e32 v47, v58
	v_pk_add_f32 v[66:67], v[62:63], v[46:47] neg_lo:[0,1] neg_hi:[0,1]
	v_mov_b32_e32 v62, v57
	v_mov_b32_e32 v63, v58
	;; [unrolled: 1-line block ×3, first 2 shown]
	v_pk_add_f32 v[54:55], v[54:55], v[62:63] neg_lo:[0,1] neg_hi:[0,1]
	v_mov_b32_e32 v58, v61
	v_mov_b32_e32 v59, v56
	v_pk_add_f32 v[54:55], v[58:59], v[54:55] neg_lo:[0,1] neg_hi:[0,1]
	v_mov_b32_e32 v66, v64
	v_pk_add_f32 v[56:57], v[66:67], v[54:55]
	v_cmp_lt_f32_e64 s[96:97], |v53|, s2
	v_mov_b32_e32 v58, v57
	v_pk_add_f32 v[58:59], v[56:57], v[58:59]
	s_or_b64 s[88:89], s[88:89], s[96:97]
	v_pk_add_f32 v[60:61], v[48:49], v[58:59]
	v_mov_b32_e32 v55, v58
	v_mov_b32_e32 v57, v60
	v_pk_add_f32 v[62:63], v[56:57], v[64:65] neg_lo:[0,1] neg_hi:[0,1]
	s_nop 0
	v_sub_f32_e32 v47, v56, v62
	v_pk_add_f32 v[54:55], v[54:55], v[62:63] neg_lo:[0,1] neg_hi:[0,1]
	v_sub_f32_e32 v47, v64, v47
	v_add_f32_e32 v47, v54, v47
	v_add_f32_e32 v47, v47, v55
	;; [unrolled: 1-line block ×3, first 2 shown]
	v_cndmask_b32_e64 v47, v47, v53, s[88:89]
	v_add_f32_e32 v47, v46, v47
.LBB469_88:
	s_or_b64 exec, exec, s[90:91]
	v_bfe_u32 v46, v47, 16, 1
	v_add3_u32 v46, v47, v46, s92
	v_and_b32_e32 v46, 0xffff0000, v46
	v_cmp_o_f32_e64 s[88:89], v47, v47
	v_and_b32_e32 v8, 0xffff0000, v8
	s_nop 0
	v_cndmask_b32_e64 v47, v44, v46, s[88:89]
	v_max_f32_e32 v44, v47, v47
	v_max_f32_e32 v46, v8, v8
	v_min_f32_e32 v48, v44, v46
	v_cmp_u_f32_e64 s[90:91], v47, v47
	v_max_f32_e32 v44, v44, v46
	v_cmp_u_f32_e64 s[88:89], v8, v8
	v_cndmask_b32_e64 v48, v48, v47, s[90:91]
	v_cndmask_b32_e64 v44, v44, v47, s[90:91]
	;; [unrolled: 1-line block ×4, first 2 shown]
	v_cmp_neq_f32_e64 s[90:91], v48, v44
	v_cmp_class_f32_e64 s[92:93], v48, s33
	s_or_b64 s[90:91], s[90:91], s[92:93]
	s_and_saveexec_b64 s[92:93], s[90:91]
	s_cbranch_execz .LBB469_90
; %bb.89:
	v_sub_f32_e32 v47, v48, v44
	s_mov_b32 s2, 0x3fb8aa3b
	v_mul_f32_e32 v48, 0x3fb8aa3b, v47
	v_fma_f32 v53, v47, s2, -v48
	v_rndne_f32_e32 v54, v48
	v_fmamk_f32 v53, v47, 0x32a5705f, v53
	v_sub_f32_e32 v48, v48, v54
	v_add_f32_e32 v48, v48, v53
	v_exp_f32_e32 v48, v48
	v_cvt_i32_f32_e32 v53, v54
	s_mov_b32 s2, 0xc2ce8ed0
	v_cmp_ngt_f32_e64 s[90:91], s2, v47
	s_mov_b32 s2, 0x42b17218
	v_ldexp_f32 v48, v48, v53
	v_cndmask_b32_e64 v48, 0, v48, s[90:91]
	v_mov_b32_e32 v53, 0x7f800000
	v_cmp_nlt_f32_e64 s[90:91], s2, v47
	s_mov_b32 s2, 0x3f2aaaab
	s_mov_b32 s3, 0x7f800000
	v_cndmask_b32_e64 v53, v53, v48, s[90:91]
	v_add_f32_e32 v47, 1.0, v53
	v_add_f32_e32 v48, -1.0, v47
	v_sub_f32_e32 v54, v48, v47
	v_add_f32_e32 v54, 1.0, v54
	v_sub_f32_e32 v48, v53, v48
	v_add_f32_e32 v48, v48, v54
	v_frexp_mant_f32_e32 v56, v47
	v_cvt_f64_f32_e32 v[54:55], v47
	v_frexp_exp_i32_f64_e32 v54, v[54:55]
	v_cmp_gt_f32_e64 s[90:91], s2, v56
	s_mov_b32 s2, 0x3f317218
	s_nop 0
	v_subbrev_co_u32_e64 v62, s[90:91], 0, v54, s[90:91]
	v_sub_u32_e32 v54, 0, v62
	v_ldexp_f32 v47, v47, v54
	v_ldexp_f32 v48, v48, v54
	v_add_f32_e32 v54, -1.0, v47
	v_add_f32_e32 v55, 1.0, v54
	v_sub_f32_e32 v55, v47, v55
	v_add_f32_e32 v56, v48, v55
	v_add_f32_e32 v55, 1.0, v47
	v_add_f32_e32 v57, -1.0, v55
	v_sub_f32_e32 v47, v47, v57
	v_add_f32_e32 v47, v48, v47
	v_add_f32_e32 v48, v55, v47
	v_rcp_f32_e32 v63, v48
	v_sub_f32_e32 v55, v55, v48
	v_add_f32_e32 v47, v47, v55
	v_add_f32_e32 v55, v54, v56
	v_sub_f32_e32 v54, v54, v55
	v_mul_f32_e32 v65, v55, v63
	v_add_f32_e32 v64, v56, v54
	v_mul_f32_e32 v56, v48, v65
	v_fma_f32 v58, v65, v48, -v56
	v_fmac_f32_e32 v58, v65, v47
	v_add_f32_e32 v54, v56, v58
	v_sub_f32_e32 v57, v55, v54
	v_pk_add_f32 v[60:61], v[54:55], v[56:57] neg_lo:[0,1] neg_hi:[0,1]
	v_mov_b32_e32 v59, v54
	v_pk_add_f32 v[54:55], v[60:61], v[58:59] neg_lo:[0,1] neg_hi:[0,1]
	v_cmp_eq_f32_e64 s[90:91], s3, v53
	v_add_f32_e32 v55, v64, v55
	v_add_f32_e32 v54, v54, v55
	;; [unrolled: 1-line block ×3, first 2 shown]
	v_mul_f32_e32 v64, v63, v55
	v_mul_f32_e32 v56, v48, v64
	v_fma_f32 v58, v64, v48, -v56
	v_fmac_f32_e32 v58, v64, v47
	v_sub_f32_e32 v47, v57, v55
	v_add_f32_e32 v47, v54, v47
	v_add_f32_e32 v54, v56, v58
	v_sub_f32_e32 v57, v55, v54
	v_pk_add_f32 v[60:61], v[54:55], v[56:57] neg_lo:[0,1] neg_hi:[0,1]
	v_mov_b32_e32 v59, v54
	v_pk_add_f32 v[54:55], v[60:61], v[58:59] neg_lo:[0,1] neg_hi:[0,1]
	v_add_f32_e32 v48, v65, v64
	v_add_f32_e32 v47, v47, v55
	;; [unrolled: 1-line block ×4, first 2 shown]
	v_sub_f32_e32 v54, v48, v65
	v_mul_f32_e32 v47, v63, v47
	v_sub_f32_e32 v54, v64, v54
	v_add_f32_e32 v47, v54, v47
	v_add_f32_e32 v54, v48, v47
	v_cvt_f32_i32_e32 v56, v62
	v_mul_f32_e32 v57, v54, v54
	v_mov_b32_e32 v55, 0x3ecc95a3
	v_fmac_f32_e32 v55, 0x3e9b6dac, v57
	v_fmaak_f32 v55, v57, v55, 0x3f2aaada
	v_sub_f32_e32 v48, v54, v48
	v_ldexp_f32 v59, v54, 1
	v_mul_f32_e32 v57, v54, v57
	v_mov_b32_e32 v54, 0x3f317218
	v_pk_mul_f32 v[54:55], v[56:57], v[54:55]
	v_sub_f32_e32 v47, v47, v48
	v_fma_f32 v48, v56, s2, -v54
	v_fmamk_f32 v58, v56, 0xb102e308, v48
	v_pk_add_f32 v[56:57], v[54:55], v[58:59]
	v_ldexp_f32 v47, v47, 1
	v_sub_f32_e32 v48, v57, v59
	v_sub_f32_e32 v48, v55, v48
	v_add_f32_e32 v61, v47, v48
	v_mov_b32_e32 v60, v54
	v_pk_add_f32 v[54:55], v[56:57], v[54:55] neg_lo:[0,1] neg_hi:[0,1]
	v_pk_add_f32 v[62:63], v[56:57], v[60:61]
	v_mov_b32_e32 v59, v56
	v_mov_b32_e32 v55, v63
	v_pk_add_f32 v[64:65], v[58:59], v[54:55] neg_lo:[0,1] neg_hi:[0,1]
	v_pk_add_f32 v[54:55], v[58:59], v[54:55]
	s_mov_b32 s2, 0x33800000
	v_mov_b32_e32 v48, v55
	v_pk_add_f32 v[58:59], v[48:49], v[56:57] neg_lo:[0,1] neg_hi:[0,1]
	v_mov_b32_e32 v54, v63
	v_mov_b32_e32 v47, v58
	v_pk_add_f32 v[66:67], v[62:63], v[46:47] neg_lo:[0,1] neg_hi:[0,1]
	v_mov_b32_e32 v62, v57
	v_mov_b32_e32 v63, v58
	v_mov_b32_e32 v65, v55
	v_pk_add_f32 v[54:55], v[54:55], v[62:63] neg_lo:[0,1] neg_hi:[0,1]
	v_mov_b32_e32 v58, v61
	v_mov_b32_e32 v59, v56
	v_pk_add_f32 v[54:55], v[58:59], v[54:55] neg_lo:[0,1] neg_hi:[0,1]
	v_mov_b32_e32 v66, v64
	v_pk_add_f32 v[56:57], v[66:67], v[54:55]
	v_cmp_lt_f32_e64 s[96:97], |v53|, s2
	v_mov_b32_e32 v58, v57
	v_pk_add_f32 v[58:59], v[56:57], v[58:59]
	s_or_b64 s[90:91], s[90:91], s[96:97]
	v_pk_add_f32 v[60:61], v[48:49], v[58:59]
	v_mov_b32_e32 v55, v58
	v_mov_b32_e32 v57, v60
	v_pk_add_f32 v[62:63], v[56:57], v[64:65] neg_lo:[0,1] neg_hi:[0,1]
	s_nop 0
	v_sub_f32_e32 v47, v56, v62
	v_pk_add_f32 v[54:55], v[54:55], v[62:63] neg_lo:[0,1] neg_hi:[0,1]
	v_sub_f32_e32 v47, v64, v47
	v_add_f32_e32 v47, v54, v47
	v_add_f32_e32 v47, v47, v55
	v_add_f32_e32 v47, v60, v47
	v_cndmask_b32_e64 v47, v47, v53, s[90:91]
	v_add_f32_e32 v47, v44, v47
.LBB469_90:
	s_or_b64 exec, exec, s[92:93]
	v_bfe_u32 v44, v47, 16, 1
	s_movk_i32 s98, 0x7fff
	v_add3_u32 v44, v47, v44, s98
	v_and_b32_e32 v44, 0xffff0000, v44
	v_mov_b32_e32 v48, 0x7fc00000
	v_cmp_o_f32_e64 s[90:91], v47, v47
	s_nop 1
	v_cndmask_b32_e64 v54, v48, v44, s[90:91]
	v_lshlrev_b32_e32 v44, 16, v9
	v_max_f32_e32 v53, v54, v54
	v_max_f32_e32 v47, v44, v44
	v_min_f32_e32 v55, v53, v47
	v_cmp_u_f32_e64 s[92:93], v54, v54
	v_max_f32_e32 v53, v53, v47
	v_cmp_u_f32_e64 s[90:91], v44, v44
	v_cndmask_b32_e64 v55, v55, v54, s[92:93]
	v_cndmask_b32_e64 v53, v53, v54, s[92:93]
	v_cndmask_b32_e64 v55, v55, v44, s[90:91]
	v_cndmask_b32_e64 v53, v53, v44, s[90:91]
	v_cmp_neq_f32_e64 s[92:93], v55, v53
	v_cmp_class_f32_e64 s[96:97], v55, s33
	s_or_b64 s[92:93], s[92:93], s[96:97]
	s_and_saveexec_b64 s[96:97], s[92:93]
	s_cbranch_execz .LBB469_92
; %bb.91:
	v_sub_f32_e32 v54, v55, v53
	s_mov_b32 s2, 0x3fb8aa3b
	v_mul_f32_e32 v55, 0x3fb8aa3b, v54
	v_fma_f32 v56, v54, s2, -v55
	v_rndne_f32_e32 v57, v55
	v_fmamk_f32 v56, v54, 0x32a5705f, v56
	v_sub_f32_e32 v55, v55, v57
	v_add_f32_e32 v55, v55, v56
	v_exp_f32_e32 v55, v55
	v_cvt_i32_f32_e32 v56, v57
	s_mov_b32 s2, 0xc2ce8ed0
	v_cmp_ngt_f32_e64 s[92:93], s2, v54
	s_mov_b32 s2, 0x42b17218
	v_ldexp_f32 v55, v55, v56
	v_cndmask_b32_e64 v55, 0, v55, s[92:93]
	v_mov_b32_e32 v56, 0x7f800000
	v_cmp_nlt_f32_e64 s[92:93], s2, v54
	s_mov_b32 s2, 0x3f2aaaab
	s_mov_b32 s3, 0x7f800000
	v_cndmask_b32_e64 v70, v56, v55, s[92:93]
	v_add_f32_e32 v56, 1.0, v70
	v_add_f32_e32 v54, -1.0, v56
	v_sub_f32_e32 v55, v54, v56
	v_add_f32_e32 v55, 1.0, v55
	v_sub_f32_e32 v54, v70, v54
	v_add_f32_e32 v57, v54, v55
	v_frexp_mant_f32_e32 v58, v56
	v_cvt_f64_f32_e32 v[54:55], v56
	v_frexp_exp_i32_f64_e32 v54, v[54:55]
	v_cmp_gt_f32_e64 s[92:93], s2, v58
	s_mov_b32 s2, 0x3f317218
	s_nop 0
	v_subbrev_co_u32_e64 v62, s[92:93], 0, v54, s[92:93]
	v_sub_u32_e32 v54, 0, v62
	v_ldexp_f32 v55, v56, v54
	v_add_f32_e32 v56, -1.0, v55
	v_add_f32_e32 v58, 1.0, v55
	v_ldexp_f32 v54, v57, v54
	v_add_f32_e32 v57, 1.0, v56
	v_add_f32_e32 v59, -1.0, v58
	v_sub_f32_e32 v57, v55, v57
	v_sub_f32_e32 v55, v55, v59
	v_add_f32_e32 v57, v54, v57
	v_add_f32_e32 v54, v54, v55
	;; [unrolled: 1-line block ×3, first 2 shown]
	v_rcp_f32_e32 v65, v63
	v_sub_f32_e32 v55, v58, v63
	v_add_f32_e32 v64, v54, v55
	v_add_f32_e32 v55, v56, v57
	v_mul_f32_e32 v67, v55, v65
	v_sub_f32_e32 v54, v56, v55
	v_mul_f32_e32 v56, v63, v67
	v_fma_f32 v58, v67, v63, -v56
	v_fmac_f32_e32 v58, v67, v64
	v_add_f32_e32 v66, v57, v54
	v_add_f32_e32 v54, v56, v58
	v_sub_f32_e32 v57, v55, v54
	v_pk_add_f32 v[60:61], v[54:55], v[56:57] neg_lo:[0,1] neg_hi:[0,1]
	v_mov_b32_e32 v59, v54
	v_pk_add_f32 v[54:55], v[60:61], v[58:59] neg_lo:[0,1] neg_hi:[0,1]
	v_cmp_eq_f32_e64 s[92:93], s3, v70
	v_add_f32_e32 v55, v66, v55
	v_add_f32_e32 v54, v54, v55
	;; [unrolled: 1-line block ×3, first 2 shown]
	v_mul_f32_e32 v66, v65, v55
	v_mul_f32_e32 v56, v63, v66
	v_fma_f32 v58, v66, v63, -v56
	v_fmac_f32_e32 v58, v66, v64
	v_sub_f32_e32 v57, v57, v55
	v_add_f32_e32 v63, v54, v57
	v_add_f32_e32 v54, v56, v58
	v_sub_f32_e32 v57, v55, v54
	v_pk_add_f32 v[60:61], v[54:55], v[56:57] neg_lo:[0,1] neg_hi:[0,1]
	v_mov_b32_e32 v59, v54
	v_pk_add_f32 v[54:55], v[60:61], v[58:59] neg_lo:[0,1] neg_hi:[0,1]
	v_cvt_f32_i32_e32 v56, v62
	v_add_f32_e32 v55, v63, v55
	v_add_f32_e32 v54, v54, v55
	;; [unrolled: 1-line block ×4, first 2 shown]
	v_sub_f32_e32 v55, v57, v67
	v_mul_f32_e32 v54, v65, v54
	v_sub_f32_e32 v55, v66, v55
	v_add_f32_e32 v54, v55, v54
	v_add_f32_e32 v58, v57, v54
	v_mul_f32_e32 v60, v58, v58
	v_mov_b32_e32 v55, 0x3ecc95a3
	v_sub_f32_e32 v57, v58, v57
	v_fmac_f32_e32 v55, 0x3e9b6dac, v60
	v_sub_f32_e32 v54, v54, v57
	v_fmaak_f32 v55, v60, v55, 0x3f2aaada
	v_ldexp_f32 v61, v54, 1
	v_mul_f32_e32 v57, v58, v60
	v_mov_b32_e32 v54, 0x3f317218
	v_pk_mul_f32 v[54:55], v[56:57], v[54:55]
	v_ldexp_f32 v59, v58, 1
	v_fma_f32 v57, v56, s2, -v54
	v_fmamk_f32 v58, v56, 0xb102e308, v57
	v_pk_add_f32 v[56:57], v[54:55], v[58:59]
	v_mov_b32_e32 v60, v54
	v_sub_f32_e32 v59, v57, v59
	v_sub_f32_e32 v59, v55, v59
	v_add_f32_e32 v61, v61, v59
	v_pk_add_f32 v[54:55], v[56:57], v[54:55] neg_lo:[0,1] neg_hi:[0,1]
	v_pk_add_f32 v[62:63], v[56:57], v[60:61]
	v_mov_b32_e32 v59, v56
	v_mov_b32_e32 v55, v63
	v_pk_add_f32 v[64:65], v[58:59], v[54:55] neg_lo:[0,1] neg_hi:[0,1]
	v_pk_add_f32 v[54:55], v[58:59], v[54:55]
	v_mov_b32_e32 v60, v61
	v_mov_b32_e32 v58, v55
	v_pk_add_f32 v[66:67], v[58:59], v[56:57] neg_lo:[0,1] neg_hi:[0,1]
	v_mov_b32_e32 v54, v63
	v_mov_b32_e32 v59, v66
	v_pk_add_f32 v[68:69], v[62:63], v[58:59] neg_lo:[0,1] neg_hi:[0,1]
	v_mov_b32_e32 v62, v57
	v_mov_b32_e32 v63, v66
	;; [unrolled: 1-line block ×3, first 2 shown]
	v_pk_add_f32 v[54:55], v[54:55], v[62:63] neg_lo:[0,1] neg_hi:[0,1]
	v_mov_b32_e32 v61, v56
	v_pk_add_f32 v[54:55], v[60:61], v[54:55] neg_lo:[0,1] neg_hi:[0,1]
	v_mov_b32_e32 v68, v64
	v_pk_add_f32 v[56:57], v[68:69], v[54:55]
	s_mov_b32 s2, 0x33800000
	v_mov_b32_e32 v60, v57
	v_pk_add_f32 v[60:61], v[56:57], v[60:61]
	v_cmp_lt_f32_e64 vcc, |v70|, s2
	v_pk_add_f32 v[58:59], v[58:59], v[60:61]
	v_mov_b32_e32 v55, v60
	v_mov_b32_e32 v57, v58
	v_pk_add_f32 v[62:63], v[56:57], v[64:65] neg_lo:[0,1] neg_hi:[0,1]
	s_or_b64 s[92:93], s[92:93], vcc
	v_sub_f32_e32 v56, v56, v62
	v_pk_add_f32 v[54:55], v[54:55], v[62:63] neg_lo:[0,1] neg_hi:[0,1]
	v_sub_f32_e32 v56, v64, v56
	v_add_f32_e32 v54, v54, v56
	v_add_f32_e32 v54, v54, v55
	;; [unrolled: 1-line block ×3, first 2 shown]
	v_cndmask_b32_e64 v54, v54, v70, s[92:93]
	v_add_f32_e32 v54, v53, v54
.LBB469_92:
	s_or_b64 exec, exec, s[96:97]
	v_bfe_u32 v53, v54, 16, 1
	v_add3_u32 v53, v54, v53, s98
	v_and_b32_e32 v53, 0xffff0000, v53
	v_cmp_o_f32_e64 s[92:93], v54, v54
	v_and_b32_e32 v9, 0xffff0000, v9
	s_movk_i32 s2, 0x1f8
	v_cndmask_b32_e64 v54, v48, v53, s[92:93]
	v_max_f32_e32 v53, v54, v54
	v_max_f32_e32 v48, v9, v9
	v_min_f32_e32 v55, v53, v48
	v_cmp_u_f32_e64 s[98:99], v54, v54
	v_max_f32_e32 v53, v53, v48
	v_cmp_u_f32_e64 s[92:93], v9, v9
	v_cndmask_b32_e64 v55, v55, v54, s[98:99]
	v_cndmask_b32_e64 v53, v53, v54, s[98:99]
	;; [unrolled: 1-line block ×4, first 2 shown]
	v_cmp_neq_f32_e64 s[98:99], v55, v53
	v_cmp_class_f32_e64 s[96:97], v55, s2
	s_or_b64 s[98:99], s[98:99], s[96:97]
	s_and_saveexec_b64 s[96:97], s[98:99]
	s_cbranch_execz .LBB469_94
; %bb.93:
	v_sub_f32_e32 v54, v55, v53
	s_mov_b32 s2, 0x3fb8aa3b
	v_mul_f32_e32 v55, 0x3fb8aa3b, v54
	v_fma_f32 v56, v54, s2, -v55
	v_rndne_f32_e32 v57, v55
	v_fmamk_f32 v56, v54, 0x32a5705f, v56
	v_sub_f32_e32 v55, v55, v57
	v_add_f32_e32 v55, v55, v56
	v_exp_f32_e32 v55, v55
	v_cvt_i32_f32_e32 v56, v57
	s_mov_b32 s2, 0xc2ce8ed0
	v_cmp_ngt_f32_e64 s[98:99], s2, v54
	s_mov_b32 s2, 0x42b17218
	v_ldexp_f32 v55, v55, v56
	v_cndmask_b32_e64 v55, 0, v55, s[98:99]
	v_mov_b32_e32 v56, 0x7f800000
	v_cmp_nlt_f32_e64 s[98:99], s2, v54
	s_mov_b32 s2, 0x3f2aaaab
	s_mov_b32 s3, 0x7f800000
	v_cndmask_b32_e64 v70, v56, v55, s[98:99]
	v_add_f32_e32 v56, 1.0, v70
	v_add_f32_e32 v54, -1.0, v56
	v_sub_f32_e32 v55, v54, v56
	v_add_f32_e32 v55, 1.0, v55
	v_sub_f32_e32 v54, v70, v54
	v_add_f32_e32 v57, v54, v55
	v_frexp_mant_f32_e32 v58, v56
	v_cvt_f64_f32_e32 v[54:55], v56
	v_frexp_exp_i32_f64_e32 v54, v[54:55]
	v_cmp_gt_f32_e64 s[98:99], s2, v58
	s_mov_b32 s2, 0x3f317218
	s_nop 0
	v_subbrev_co_u32_e64 v62, s[98:99], 0, v54, s[98:99]
	v_sub_u32_e32 v54, 0, v62
	v_ldexp_f32 v55, v56, v54
	v_add_f32_e32 v56, -1.0, v55
	v_add_f32_e32 v58, 1.0, v55
	v_ldexp_f32 v54, v57, v54
	v_add_f32_e32 v57, 1.0, v56
	v_add_f32_e32 v59, -1.0, v58
	v_sub_f32_e32 v57, v55, v57
	v_sub_f32_e32 v55, v55, v59
	v_add_f32_e32 v57, v54, v57
	v_add_f32_e32 v54, v54, v55
	v_add_f32_e32 v63, v58, v54
	v_rcp_f32_e32 v65, v63
	v_sub_f32_e32 v55, v58, v63
	v_add_f32_e32 v64, v54, v55
	v_add_f32_e32 v55, v56, v57
	v_mul_f32_e32 v67, v55, v65
	v_sub_f32_e32 v54, v56, v55
	v_mul_f32_e32 v56, v63, v67
	v_fma_f32 v58, v67, v63, -v56
	v_fmac_f32_e32 v58, v67, v64
	v_add_f32_e32 v66, v57, v54
	v_add_f32_e32 v54, v56, v58
	v_sub_f32_e32 v57, v55, v54
	v_pk_add_f32 v[60:61], v[54:55], v[56:57] neg_lo:[0,1] neg_hi:[0,1]
	v_mov_b32_e32 v59, v54
	v_pk_add_f32 v[54:55], v[60:61], v[58:59] neg_lo:[0,1] neg_hi:[0,1]
	v_cmp_eq_f32_e64 s[98:99], s3, v70
	v_add_f32_e32 v55, v66, v55
	v_add_f32_e32 v54, v54, v55
	;; [unrolled: 1-line block ×3, first 2 shown]
	v_mul_f32_e32 v66, v65, v55
	v_mul_f32_e32 v56, v63, v66
	v_fma_f32 v58, v66, v63, -v56
	v_fmac_f32_e32 v58, v66, v64
	v_sub_f32_e32 v57, v57, v55
	v_add_f32_e32 v63, v54, v57
	v_add_f32_e32 v54, v56, v58
	v_sub_f32_e32 v57, v55, v54
	v_pk_add_f32 v[60:61], v[54:55], v[56:57] neg_lo:[0,1] neg_hi:[0,1]
	v_mov_b32_e32 v59, v54
	v_pk_add_f32 v[54:55], v[60:61], v[58:59] neg_lo:[0,1] neg_hi:[0,1]
	v_cvt_f32_i32_e32 v56, v62
	v_add_f32_e32 v55, v63, v55
	v_add_f32_e32 v54, v54, v55
	;; [unrolled: 1-line block ×4, first 2 shown]
	v_sub_f32_e32 v55, v57, v67
	v_mul_f32_e32 v54, v65, v54
	v_sub_f32_e32 v55, v66, v55
	v_add_f32_e32 v54, v55, v54
	v_add_f32_e32 v58, v57, v54
	v_mul_f32_e32 v60, v58, v58
	v_mov_b32_e32 v55, 0x3ecc95a3
	v_sub_f32_e32 v57, v58, v57
	v_fmac_f32_e32 v55, 0x3e9b6dac, v60
	v_sub_f32_e32 v54, v54, v57
	v_fmaak_f32 v55, v60, v55, 0x3f2aaada
	v_ldexp_f32 v61, v54, 1
	v_mul_f32_e32 v57, v58, v60
	v_mov_b32_e32 v54, 0x3f317218
	v_pk_mul_f32 v[54:55], v[56:57], v[54:55]
	v_ldexp_f32 v59, v58, 1
	v_fma_f32 v57, v56, s2, -v54
	v_fmamk_f32 v58, v56, 0xb102e308, v57
	v_pk_add_f32 v[56:57], v[54:55], v[58:59]
	v_mov_b32_e32 v60, v54
	v_sub_f32_e32 v59, v57, v59
	v_sub_f32_e32 v59, v55, v59
	v_add_f32_e32 v61, v61, v59
	v_pk_add_f32 v[54:55], v[56:57], v[54:55] neg_lo:[0,1] neg_hi:[0,1]
	v_pk_add_f32 v[62:63], v[56:57], v[60:61]
	v_mov_b32_e32 v59, v56
	v_mov_b32_e32 v55, v63
	v_pk_add_f32 v[64:65], v[58:59], v[54:55] neg_lo:[0,1] neg_hi:[0,1]
	v_pk_add_f32 v[54:55], v[58:59], v[54:55]
	v_mov_b32_e32 v60, v61
	v_mov_b32_e32 v58, v55
	v_pk_add_f32 v[66:67], v[58:59], v[56:57] neg_lo:[0,1] neg_hi:[0,1]
	v_mov_b32_e32 v54, v63
	v_mov_b32_e32 v59, v66
	v_pk_add_f32 v[68:69], v[62:63], v[58:59] neg_lo:[0,1] neg_hi:[0,1]
	v_mov_b32_e32 v62, v57
	v_mov_b32_e32 v63, v66
	;; [unrolled: 1-line block ×3, first 2 shown]
	v_pk_add_f32 v[54:55], v[54:55], v[62:63] neg_lo:[0,1] neg_hi:[0,1]
	v_mov_b32_e32 v61, v56
	v_pk_add_f32 v[54:55], v[60:61], v[54:55] neg_lo:[0,1] neg_hi:[0,1]
	v_mov_b32_e32 v68, v64
	v_pk_add_f32 v[56:57], v[68:69], v[54:55]
	s_mov_b32 s2, 0x33800000
	v_mov_b32_e32 v60, v57
	v_pk_add_f32 v[60:61], v[56:57], v[60:61]
	v_cmp_lt_f32_e64 vcc, |v70|, s2
	v_pk_add_f32 v[58:59], v[58:59], v[60:61]
	v_mov_b32_e32 v55, v60
	v_mov_b32_e32 v57, v58
	v_pk_add_f32 v[62:63], v[56:57], v[64:65] neg_lo:[0,1] neg_hi:[0,1]
	s_or_b64 s[98:99], s[98:99], vcc
	v_sub_f32_e32 v56, v56, v62
	v_pk_add_f32 v[54:55], v[54:55], v[62:63] neg_lo:[0,1] neg_hi:[0,1]
	v_sub_f32_e32 v56, v64, v56
	v_add_f32_e32 v54, v54, v56
	v_add_f32_e32 v54, v54, v55
	v_add_f32_e32 v54, v58, v54
	v_cndmask_b32_e64 v54, v54, v70, s[98:99]
	v_add_f32_e32 v54, v53, v54
.LBB469_94:
	s_or_b64 exec, exec, s[96:97]
	v_bfe_u32 v53, v54, 16, 1
	s_movk_i32 s2, 0x7fff
	v_add3_u32 v53, v54, v53, s2
	v_lshrrev_b32_e32 v53, 16, v53
	v_mov_b32_e32 v55, 0x7fc0
	v_cmp_o_f32_e64 s[98:99], v54, v54
	s_nop 1
	v_cndmask_b32_e64 v56, v55, v53, s[98:99]
	v_mbcnt_lo_u32_b32 v53, -1, 0
	v_mbcnt_hi_u32_b32 v54, -1, v53
	v_and_b32_e32 v55, 15, v54
	v_and_b32_e32 v57, 0xffff, v56
	v_cmp_ne_u32_e64 s[98:99], 0, v55
	s_nop 0
	v_mov_b32_dpp v53, v57 row_shr:1 row_mask:0xf bank_mask:0xf
	s_and_saveexec_b64 s[96:97], s[98:99]
	s_cbranch_execz .LBB469_98
; %bb.95:
	v_lshlrev_b32_e32 v56, 16, v53
	v_lshlrev_b32_e32 v53, 16, v57
	v_max_f32_e32 v58, v53, v53
	v_max_f32_e32 v59, v56, v56
	v_min_f32_e32 v57, v59, v58
	v_cmp_u_f32_e64 s[98:99], v56, v56
	v_max_f32_e32 v58, v59, v58
	v_cmp_u_f32_e32 vcc, v53, v53
	v_cndmask_b32_e64 v57, v57, v56, s[98:99]
	v_cndmask_b32_e64 v58, v58, v56, s[98:99]
	v_cndmask_b32_e32 v57, v57, v53, vcc
	v_cndmask_b32_e32 v53, v58, v53, vcc
	s_movk_i32 s2, 0x1f8
	v_cmp_neq_f32_e32 vcc, v57, v53
	v_cmp_class_f32_e64 s[98:99], v57, s2
	s_or_b64 vcc, vcc, s[98:99]
	s_and_saveexec_b64 s[98:99], vcc
	s_cbranch_execz .LBB469_97
; %bb.96:
	v_sub_f32_e32 v56, v57, v53
	s_mov_b32 s2, 0x3fb8aa3b
	v_mul_f32_e32 v57, 0x3fb8aa3b, v56
	v_fma_f32 v58, v56, s2, -v57
	v_rndne_f32_e32 v59, v57
	v_fmamk_f32 v58, v56, 0x32a5705f, v58
	v_sub_f32_e32 v57, v57, v59
	v_add_f32_e32 v57, v57, v58
	v_exp_f32_e32 v57, v57
	v_cvt_i32_f32_e32 v58, v59
	s_mov_b32 s2, 0xc2ce8ed0
	v_cmp_ngt_f32_e32 vcc, s2, v56
	s_mov_b32 s2, 0x42b17218
	v_ldexp_f32 v57, v57, v58
	v_cndmask_b32_e32 v57, 0, v57, vcc
	v_mov_b32_e32 v58, 0x7f800000
	v_cmp_nlt_f32_e32 vcc, s2, v56
	s_mov_b32 s2, 0x3f2aaaab
	s_mov_b32 s3, 0x7f800000
	v_cndmask_b32_e32 v72, v58, v57, vcc
	v_add_f32_e32 v58, 1.0, v72
	v_add_f32_e32 v56, -1.0, v58
	v_sub_f32_e32 v57, v56, v58
	v_add_f32_e32 v57, 1.0, v57
	v_sub_f32_e32 v56, v72, v56
	v_add_f32_e32 v59, v56, v57
	v_frexp_mant_f32_e32 v60, v58
	v_cvt_f64_f32_e32 v[56:57], v58
	v_frexp_exp_i32_f64_e32 v56, v[56:57]
	v_cmp_gt_f32_e32 vcc, s2, v60
	s_mov_b32 s2, 0x3f317218
	s_nop 0
	v_subbrev_co_u32_e32 v64, vcc, 0, v56, vcc
	v_sub_u32_e32 v56, 0, v64
	v_ldexp_f32 v57, v58, v56
	v_add_f32_e32 v58, -1.0, v57
	v_add_f32_e32 v60, 1.0, v57
	v_ldexp_f32 v56, v59, v56
	v_add_f32_e32 v59, 1.0, v58
	v_add_f32_e32 v61, -1.0, v60
	v_sub_f32_e32 v59, v57, v59
	v_sub_f32_e32 v57, v57, v61
	v_add_f32_e32 v59, v56, v59
	v_add_f32_e32 v56, v56, v57
	v_add_f32_e32 v65, v60, v56
	v_rcp_f32_e32 v67, v65
	v_sub_f32_e32 v57, v60, v65
	v_add_f32_e32 v66, v56, v57
	v_add_f32_e32 v57, v58, v59
	v_mul_f32_e32 v69, v57, v67
	v_sub_f32_e32 v56, v58, v57
	v_mul_f32_e32 v58, v65, v69
	v_fma_f32 v60, v69, v65, -v58
	v_fmac_f32_e32 v60, v69, v66
	v_add_f32_e32 v68, v59, v56
	v_add_f32_e32 v56, v58, v60
	v_sub_f32_e32 v59, v57, v56
	v_pk_add_f32 v[62:63], v[56:57], v[58:59] neg_lo:[0,1] neg_hi:[0,1]
	v_mov_b32_e32 v61, v56
	v_pk_add_f32 v[56:57], v[62:63], v[60:61] neg_lo:[0,1] neg_hi:[0,1]
	v_cmp_eq_f32_e32 vcc, s3, v72
	v_add_f32_e32 v57, v68, v57
	v_add_f32_e32 v56, v56, v57
	;; [unrolled: 1-line block ×3, first 2 shown]
	v_mul_f32_e32 v68, v67, v57
	v_mul_f32_e32 v58, v65, v68
	v_fma_f32 v60, v68, v65, -v58
	v_fmac_f32_e32 v60, v68, v66
	v_sub_f32_e32 v59, v59, v57
	v_add_f32_e32 v65, v56, v59
	v_add_f32_e32 v56, v58, v60
	v_sub_f32_e32 v59, v57, v56
	v_pk_add_f32 v[62:63], v[56:57], v[58:59] neg_lo:[0,1] neg_hi:[0,1]
	v_mov_b32_e32 v61, v56
	v_pk_add_f32 v[56:57], v[62:63], v[60:61] neg_lo:[0,1] neg_hi:[0,1]
	v_cvt_f32_i32_e32 v58, v64
	v_add_f32_e32 v57, v65, v57
	v_add_f32_e32 v56, v56, v57
	;; [unrolled: 1-line block ×4, first 2 shown]
	v_sub_f32_e32 v57, v59, v69
	v_mul_f32_e32 v56, v67, v56
	v_sub_f32_e32 v57, v68, v57
	v_add_f32_e32 v56, v57, v56
	v_add_f32_e32 v60, v59, v56
	v_mul_f32_e32 v62, v60, v60
	v_mov_b32_e32 v57, 0x3ecc95a3
	v_sub_f32_e32 v59, v60, v59
	v_fmac_f32_e32 v57, 0x3e9b6dac, v62
	v_sub_f32_e32 v56, v56, v59
	v_fmaak_f32 v57, v62, v57, 0x3f2aaada
	v_ldexp_f32 v63, v56, 1
	v_mul_f32_e32 v59, v60, v62
	v_mov_b32_e32 v56, 0x3f317218
	v_pk_mul_f32 v[56:57], v[58:59], v[56:57]
	v_ldexp_f32 v61, v60, 1
	v_fma_f32 v59, v58, s2, -v56
	v_fmamk_f32 v60, v58, 0xb102e308, v59
	v_pk_add_f32 v[58:59], v[56:57], v[60:61]
	v_mov_b32_e32 v62, v56
	v_sub_f32_e32 v61, v59, v61
	v_sub_f32_e32 v61, v57, v61
	v_add_f32_e32 v63, v63, v61
	v_pk_add_f32 v[56:57], v[58:59], v[56:57] neg_lo:[0,1] neg_hi:[0,1]
	v_pk_add_f32 v[64:65], v[58:59], v[62:63]
	v_mov_b32_e32 v61, v58
	v_mov_b32_e32 v57, v65
	v_pk_add_f32 v[66:67], v[60:61], v[56:57] neg_lo:[0,1] neg_hi:[0,1]
	v_pk_add_f32 v[56:57], v[60:61], v[56:57]
	v_mov_b32_e32 v62, v63
	v_mov_b32_e32 v60, v57
	v_pk_add_f32 v[68:69], v[60:61], v[58:59] neg_lo:[0,1] neg_hi:[0,1]
	v_mov_b32_e32 v56, v65
	v_mov_b32_e32 v61, v68
	v_pk_add_f32 v[70:71], v[64:65], v[60:61] neg_lo:[0,1] neg_hi:[0,1]
	v_mov_b32_e32 v64, v59
	v_mov_b32_e32 v65, v68
	;; [unrolled: 1-line block ×3, first 2 shown]
	v_pk_add_f32 v[56:57], v[56:57], v[64:65] neg_lo:[0,1] neg_hi:[0,1]
	v_mov_b32_e32 v63, v58
	v_pk_add_f32 v[56:57], v[62:63], v[56:57] neg_lo:[0,1] neg_hi:[0,1]
	v_mov_b32_e32 v70, v66
	v_pk_add_f32 v[58:59], v[70:71], v[56:57]
	s_mov_b32 s2, 0x33800000
	v_mov_b32_e32 v62, v59
	v_pk_add_f32 v[62:63], v[58:59], v[62:63]
	v_cmp_lt_f32_e64 s[2:3], |v72|, s2
	v_pk_add_f32 v[60:61], v[60:61], v[62:63]
	v_mov_b32_e32 v57, v62
	v_mov_b32_e32 v59, v60
	v_pk_add_f32 v[64:65], v[58:59], v[66:67] neg_lo:[0,1] neg_hi:[0,1]
	s_or_b64 vcc, vcc, s[2:3]
	v_sub_f32_e32 v58, v58, v64
	v_pk_add_f32 v[56:57], v[56:57], v[64:65] neg_lo:[0,1] neg_hi:[0,1]
	v_sub_f32_e32 v58, v66, v58
	v_add_f32_e32 v56, v56, v58
	v_add_f32_e32 v56, v56, v57
	;; [unrolled: 1-line block ×3, first 2 shown]
	v_cndmask_b32_e32 v56, v56, v72, vcc
	v_add_f32_e32 v56, v53, v56
.LBB469_97:
	s_or_b64 exec, exec, s[98:99]
	v_bfe_u32 v53, v56, 16, 1
	s_movk_i32 s2, 0x7fff
	v_add3_u32 v53, v56, v53, s2
	v_lshrrev_b32_e32 v53, 16, v53
	v_mov_b32_e32 v57, 0x7fc0
	v_cmp_o_f32_e32 vcc, v56, v56
	s_nop 1
	v_cndmask_b32_e32 v56, v57, v53, vcc
	v_and_b32_e32 v57, 0xffff, v56
.LBB469_98:
	s_or_b64 exec, exec, s[96:97]
	s_load_dwordx2 s[0:1], s[0:1], 0x18
	v_mul_u32_u24_e32 v53, 46, v0
	v_mov_b32_dpp v58, v57 row_shr:2 row_mask:0xf bank_mask:0xf
	v_cmp_lt_u32_e32 vcc, 1, v55
	s_waitcnt lgkmcnt(0)
	v_writelane_b32 v77, s0, 6
	s_nop 1
	v_writelane_b32 v77, s1, 7
	s_and_saveexec_b64 s[96:97], vcc
	s_cbranch_execz .LBB469_102
; %bb.99:
	v_lshlrev_b32_e32 v58, 16, v58
	v_lshlrev_b32_e32 v56, 16, v57
	v_max_f32_e32 v59, v56, v56
	v_max_f32_e32 v60, v58, v58
	v_min_f32_e32 v57, v60, v59
	v_cmp_u_f32_e32 vcc, v58, v58
	v_max_f32_e32 v59, v60, v59
	v_cmp_u_f32_e64 s[0:1], v56, v56
	v_cndmask_b32_e32 v57, v57, v58, vcc
	v_cndmask_b32_e32 v59, v59, v58, vcc
	v_cndmask_b32_e64 v57, v57, v56, s[0:1]
	v_cndmask_b32_e64 v56, v59, v56, s[0:1]
	s_movk_i32 s0, 0x1f8
	v_cmp_neq_f32_e32 vcc, v57, v56
	v_cmp_class_f32_e64 s[0:1], v57, s0
	s_or_b64 s[2:3], vcc, s[0:1]
	s_and_saveexec_b64 s[0:1], s[2:3]
	s_cbranch_execz .LBB469_101
; %bb.100:
	v_sub_f32_e32 v57, v57, v56
	s_mov_b32 s2, 0x3fb8aa3b
	v_mul_f32_e32 v58, 0x3fb8aa3b, v57
	v_fma_f32 v59, v57, s2, -v58
	v_rndne_f32_e32 v60, v58
	v_fmamk_f32 v59, v57, 0x32a5705f, v59
	v_sub_f32_e32 v58, v58, v60
	v_add_f32_e32 v58, v58, v59
	v_exp_f32_e32 v58, v58
	v_cvt_i32_f32_e32 v59, v60
	s_mov_b32 s2, 0xc2ce8ed0
	v_cmp_ngt_f32_e32 vcc, s2, v57
	s_mov_b32 s2, 0x42b17218
	v_ldexp_f32 v58, v58, v59
	v_cndmask_b32_e32 v58, 0, v58, vcc
	v_mov_b32_e32 v59, 0x7f800000
	v_cmp_nlt_f32_e32 vcc, s2, v57
	s_mov_b32 s2, 0x3f2aaaab
	s_mov_b32 s3, 0x7f800000
	v_cndmask_b32_e32 v74, v59, v58, vcc
	v_add_f32_e32 v57, 1.0, v74
	v_add_f32_e32 v58, -1.0, v57
	v_sub_f32_e32 v59, v58, v57
	v_add_f32_e32 v59, 1.0, v59
	v_sub_f32_e32 v58, v74, v58
	v_add_f32_e32 v60, v58, v59
	v_frexp_mant_f32_e32 v61, v57
	v_cvt_f64_f32_e32 v[58:59], v57
	v_frexp_exp_i32_f64_e32 v58, v[58:59]
	v_cmp_gt_f32_e32 vcc, s2, v61
	s_mov_b32 s2, 0x3f317218
	s_nop 0
	v_subbrev_co_u32_e32 v66, vcc, 0, v58, vcc
	v_sub_u32_e32 v58, 0, v66
	v_ldexp_f32 v57, v57, v58
	v_ldexp_f32 v58, v60, v58
	v_add_f32_e32 v60, -1.0, v57
	v_add_f32_e32 v59, 1.0, v60
	v_sub_f32_e32 v59, v57, v59
	v_add_f32_e32 v61, v58, v59
	v_add_f32_e32 v59, 1.0, v57
	v_add_f32_e32 v62, -1.0, v59
	v_sub_f32_e32 v57, v57, v62
	v_add_f32_e32 v57, v58, v57
	v_add_f32_e32 v67, v59, v57
	v_rcp_f32_e32 v68, v67
	v_sub_f32_e32 v58, v59, v67
	v_add_f32_e32 v59, v60, v61
	v_add_f32_e32 v57, v57, v58
	v_mul_f32_e32 v70, v59, v68
	v_sub_f32_e32 v58, v60, v59
	v_mul_f32_e32 v60, v67, v70
	v_fma_f32 v62, v70, v67, -v60
	v_fmac_f32_e32 v62, v70, v57
	v_add_f32_e32 v69, v61, v58
	v_add_f32_e32 v58, v60, v62
	v_sub_f32_e32 v61, v59, v58
	v_pk_add_f32 v[64:65], v[58:59], v[60:61] neg_lo:[0,1] neg_hi:[0,1]
	v_mov_b32_e32 v63, v58
	v_pk_add_f32 v[58:59], v[64:65], v[62:63] neg_lo:[0,1] neg_hi:[0,1]
	v_cmp_eq_f32_e32 vcc, s3, v74
	v_add_f32_e32 v59, v69, v59
	v_add_f32_e32 v58, v58, v59
	;; [unrolled: 1-line block ×3, first 2 shown]
	v_mul_f32_e32 v69, v68, v59
	v_mul_f32_e32 v60, v67, v69
	v_fma_f32 v62, v69, v67, -v60
	v_fmac_f32_e32 v62, v69, v57
	v_sub_f32_e32 v57, v61, v59
	v_add_f32_e32 v57, v58, v57
	v_add_f32_e32 v58, v60, v62
	v_sub_f32_e32 v61, v59, v58
	v_pk_add_f32 v[64:65], v[58:59], v[60:61] neg_lo:[0,1] neg_hi:[0,1]
	v_mov_b32_e32 v63, v58
	v_pk_add_f32 v[58:59], v[64:65], v[62:63] neg_lo:[0,1] neg_hi:[0,1]
	v_cvt_f32_i32_e32 v60, v66
	v_add_f32_e32 v57, v57, v59
	v_add_f32_e32 v57, v58, v57
	v_add_f32_e32 v58, v70, v69
	v_add_f32_e32 v57, v61, v57
	v_sub_f32_e32 v59, v58, v70
	v_mul_f32_e32 v57, v68, v57
	v_sub_f32_e32 v59, v69, v59
	v_add_f32_e32 v57, v59, v57
	v_add_f32_e32 v61, v58, v57
	v_mul_f32_e32 v62, v61, v61
	v_mov_b32_e32 v59, 0x3ecc95a3
	v_fmac_f32_e32 v59, 0x3e9b6dac, v62
	v_sub_f32_e32 v58, v61, v58
	v_fmaak_f32 v59, v62, v59, 0x3f2aaada
	v_sub_f32_e32 v57, v57, v58
	v_ldexp_f32 v63, v61, 1
	v_mul_f32_e32 v61, v61, v62
	v_mov_b32_e32 v58, 0x3f317218
	v_pk_mul_f32 v[58:59], v[60:61], v[58:59]
	v_ldexp_f32 v57, v57, 1
	v_fma_f32 v61, v60, s2, -v58
	v_fmamk_f32 v62, v60, 0xb102e308, v61
	v_pk_add_f32 v[60:61], v[58:59], v[62:63]
	v_mov_b32_e32 v64, v58
	v_sub_f32_e32 v63, v61, v63
	v_sub_f32_e32 v63, v59, v63
	v_add_f32_e32 v65, v57, v63
	v_pk_add_f32 v[58:59], v[60:61], v[58:59] neg_lo:[0,1] neg_hi:[0,1]
	v_pk_add_f32 v[66:67], v[60:61], v[64:65]
	v_mov_b32_e32 v63, v60
	v_mov_b32_e32 v59, v67
	v_pk_add_f32 v[68:69], v[62:63], v[58:59] neg_lo:[0,1] neg_hi:[0,1]
	v_pk_add_f32 v[58:59], v[62:63], v[58:59]
	v_mov_b32_e32 v64, v65
	v_mov_b32_e32 v62, v59
	v_pk_add_f32 v[70:71], v[62:63], v[60:61] neg_lo:[0,1] neg_hi:[0,1]
	v_mov_b32_e32 v58, v67
	v_mov_b32_e32 v57, v70
	v_pk_add_f32 v[72:73], v[66:67], v[56:57] neg_lo:[0,1] neg_hi:[0,1]
	v_mov_b32_e32 v66, v61
	v_mov_b32_e32 v67, v70
	;; [unrolled: 1-line block ×3, first 2 shown]
	v_pk_add_f32 v[58:59], v[58:59], v[66:67] neg_lo:[0,1] neg_hi:[0,1]
	v_mov_b32_e32 v65, v60
	v_pk_add_f32 v[58:59], v[64:65], v[58:59] neg_lo:[0,1] neg_hi:[0,1]
	v_mov_b32_e32 v72, v68
	v_pk_add_f32 v[60:61], v[72:73], v[58:59]
	s_mov_b32 s2, 0x33800000
	v_mov_b32_e32 v64, v61
	v_pk_add_f32 v[64:65], v[60:61], v[64:65]
	v_cmp_lt_f32_e64 s[2:3], |v74|, s2
	v_pk_add_f32 v[62:63], v[62:63], v[64:65]
	v_mov_b32_e32 v59, v64
	v_mov_b32_e32 v61, v62
	v_pk_add_f32 v[66:67], v[60:61], v[68:69] neg_lo:[0,1] neg_hi:[0,1]
	s_or_b64 vcc, vcc, s[2:3]
	v_sub_f32_e32 v57, v60, v66
	v_pk_add_f32 v[58:59], v[58:59], v[66:67] neg_lo:[0,1] neg_hi:[0,1]
	v_sub_f32_e32 v57, v68, v57
	v_add_f32_e32 v57, v58, v57
	v_add_f32_e32 v57, v57, v59
	;; [unrolled: 1-line block ×3, first 2 shown]
	v_cndmask_b32_e32 v57, v57, v74, vcc
	v_add_f32_e32 v58, v56, v57
.LBB469_101:
	s_or_b64 exec, exec, s[0:1]
	v_bfe_u32 v56, v58, 16, 1
	s_movk_i32 s0, 0x7fff
	v_add3_u32 v56, v58, v56, s0
	v_lshrrev_b32_e32 v56, 16, v56
	v_mov_b32_e32 v57, 0x7fc0
	v_cmp_o_f32_e32 vcc, v58, v58
	s_nop 1
	v_cndmask_b32_e32 v56, v57, v56, vcc
	v_and_b32_e32 v57, 0xffff, v56
.LBB469_102:
	s_or_b64 exec, exec, s[96:97]
	s_nop 0
	v_mov_b32_dpp v58, v57 row_shr:4 row_mask:0xf bank_mask:0xf
	v_cmp_lt_u32_e32 vcc, 3, v55
	s_and_saveexec_b64 s[96:97], vcc
	s_cbranch_execz .LBB469_106
; %bb.103:
	v_lshlrev_b32_e32 v58, 16, v58
	v_lshlrev_b32_e32 v56, 16, v57
	v_max_f32_e32 v59, v56, v56
	v_max_f32_e32 v60, v58, v58
	v_min_f32_e32 v57, v60, v59
	v_cmp_u_f32_e32 vcc, v58, v58
	v_max_f32_e32 v59, v60, v59
	v_cmp_u_f32_e64 s[0:1], v56, v56
	v_cndmask_b32_e32 v57, v57, v58, vcc
	v_cndmask_b32_e32 v59, v59, v58, vcc
	v_cndmask_b32_e64 v57, v57, v56, s[0:1]
	v_cndmask_b32_e64 v56, v59, v56, s[0:1]
	s_movk_i32 s0, 0x1f8
	v_cmp_neq_f32_e32 vcc, v57, v56
	v_cmp_class_f32_e64 s[0:1], v57, s0
	s_or_b64 s[2:3], vcc, s[0:1]
	s_and_saveexec_b64 s[0:1], s[2:3]
	s_cbranch_execz .LBB469_105
; %bb.104:
	v_sub_f32_e32 v57, v57, v56
	s_mov_b32 s2, 0x3fb8aa3b
	v_mul_f32_e32 v58, 0x3fb8aa3b, v57
	v_fma_f32 v59, v57, s2, -v58
	v_rndne_f32_e32 v60, v58
	v_fmamk_f32 v59, v57, 0x32a5705f, v59
	v_sub_f32_e32 v58, v58, v60
	v_add_f32_e32 v58, v58, v59
	v_exp_f32_e32 v58, v58
	v_cvt_i32_f32_e32 v59, v60
	s_mov_b32 s2, 0xc2ce8ed0
	v_cmp_ngt_f32_e32 vcc, s2, v57
	s_mov_b32 s2, 0x42b17218
	v_ldexp_f32 v58, v58, v59
	v_cndmask_b32_e32 v58, 0, v58, vcc
	v_mov_b32_e32 v59, 0x7f800000
	v_cmp_nlt_f32_e32 vcc, s2, v57
	s_mov_b32 s2, 0x3f2aaaab
	s_mov_b32 s3, 0x7f800000
	v_cndmask_b32_e32 v74, v59, v58, vcc
	v_add_f32_e32 v57, 1.0, v74
	v_add_f32_e32 v58, -1.0, v57
	v_sub_f32_e32 v59, v58, v57
	v_add_f32_e32 v59, 1.0, v59
	v_sub_f32_e32 v58, v74, v58
	v_add_f32_e32 v60, v58, v59
	v_frexp_mant_f32_e32 v61, v57
	v_cvt_f64_f32_e32 v[58:59], v57
	v_frexp_exp_i32_f64_e32 v58, v[58:59]
	v_cmp_gt_f32_e32 vcc, s2, v61
	s_mov_b32 s2, 0x3f317218
	s_nop 0
	v_subbrev_co_u32_e32 v66, vcc, 0, v58, vcc
	v_sub_u32_e32 v58, 0, v66
	v_ldexp_f32 v57, v57, v58
	v_ldexp_f32 v58, v60, v58
	v_add_f32_e32 v60, -1.0, v57
	v_add_f32_e32 v59, 1.0, v60
	v_sub_f32_e32 v59, v57, v59
	v_add_f32_e32 v61, v58, v59
	v_add_f32_e32 v59, 1.0, v57
	v_add_f32_e32 v62, -1.0, v59
	v_sub_f32_e32 v57, v57, v62
	v_add_f32_e32 v57, v58, v57
	v_add_f32_e32 v67, v59, v57
	v_rcp_f32_e32 v68, v67
	v_sub_f32_e32 v58, v59, v67
	v_add_f32_e32 v59, v60, v61
	v_add_f32_e32 v57, v57, v58
	v_mul_f32_e32 v70, v59, v68
	v_sub_f32_e32 v58, v60, v59
	v_mul_f32_e32 v60, v67, v70
	v_fma_f32 v62, v70, v67, -v60
	v_fmac_f32_e32 v62, v70, v57
	v_add_f32_e32 v69, v61, v58
	v_add_f32_e32 v58, v60, v62
	v_sub_f32_e32 v61, v59, v58
	v_pk_add_f32 v[64:65], v[58:59], v[60:61] neg_lo:[0,1] neg_hi:[0,1]
	v_mov_b32_e32 v63, v58
	v_pk_add_f32 v[58:59], v[64:65], v[62:63] neg_lo:[0,1] neg_hi:[0,1]
	v_cmp_eq_f32_e32 vcc, s3, v74
	v_add_f32_e32 v59, v69, v59
	v_add_f32_e32 v58, v58, v59
	;; [unrolled: 1-line block ×3, first 2 shown]
	v_mul_f32_e32 v69, v68, v59
	v_mul_f32_e32 v60, v67, v69
	v_fma_f32 v62, v69, v67, -v60
	v_fmac_f32_e32 v62, v69, v57
	v_sub_f32_e32 v57, v61, v59
	v_add_f32_e32 v57, v58, v57
	v_add_f32_e32 v58, v60, v62
	v_sub_f32_e32 v61, v59, v58
	v_pk_add_f32 v[64:65], v[58:59], v[60:61] neg_lo:[0,1] neg_hi:[0,1]
	v_mov_b32_e32 v63, v58
	v_pk_add_f32 v[58:59], v[64:65], v[62:63] neg_lo:[0,1] neg_hi:[0,1]
	v_cvt_f32_i32_e32 v60, v66
	v_add_f32_e32 v57, v57, v59
	v_add_f32_e32 v57, v58, v57
	;; [unrolled: 1-line block ×4, first 2 shown]
	v_sub_f32_e32 v59, v58, v70
	v_mul_f32_e32 v57, v68, v57
	v_sub_f32_e32 v59, v69, v59
	v_add_f32_e32 v57, v59, v57
	v_add_f32_e32 v61, v58, v57
	v_mul_f32_e32 v62, v61, v61
	v_mov_b32_e32 v59, 0x3ecc95a3
	v_fmac_f32_e32 v59, 0x3e9b6dac, v62
	v_sub_f32_e32 v58, v61, v58
	v_fmaak_f32 v59, v62, v59, 0x3f2aaada
	v_sub_f32_e32 v57, v57, v58
	v_ldexp_f32 v63, v61, 1
	v_mul_f32_e32 v61, v61, v62
	v_mov_b32_e32 v58, 0x3f317218
	v_pk_mul_f32 v[58:59], v[60:61], v[58:59]
	v_ldexp_f32 v57, v57, 1
	v_fma_f32 v61, v60, s2, -v58
	v_fmamk_f32 v62, v60, 0xb102e308, v61
	v_pk_add_f32 v[60:61], v[58:59], v[62:63]
	v_mov_b32_e32 v64, v58
	v_sub_f32_e32 v63, v61, v63
	v_sub_f32_e32 v63, v59, v63
	v_add_f32_e32 v65, v57, v63
	v_pk_add_f32 v[58:59], v[60:61], v[58:59] neg_lo:[0,1] neg_hi:[0,1]
	v_pk_add_f32 v[66:67], v[60:61], v[64:65]
	v_mov_b32_e32 v63, v60
	v_mov_b32_e32 v59, v67
	v_pk_add_f32 v[68:69], v[62:63], v[58:59] neg_lo:[0,1] neg_hi:[0,1]
	v_pk_add_f32 v[58:59], v[62:63], v[58:59]
	v_mov_b32_e32 v64, v65
	v_mov_b32_e32 v62, v59
	v_pk_add_f32 v[70:71], v[62:63], v[60:61] neg_lo:[0,1] neg_hi:[0,1]
	v_mov_b32_e32 v58, v67
	v_mov_b32_e32 v57, v70
	v_pk_add_f32 v[72:73], v[66:67], v[56:57] neg_lo:[0,1] neg_hi:[0,1]
	v_mov_b32_e32 v66, v61
	v_mov_b32_e32 v67, v70
	;; [unrolled: 1-line block ×3, first 2 shown]
	v_pk_add_f32 v[58:59], v[58:59], v[66:67] neg_lo:[0,1] neg_hi:[0,1]
	v_mov_b32_e32 v65, v60
	v_pk_add_f32 v[58:59], v[64:65], v[58:59] neg_lo:[0,1] neg_hi:[0,1]
	v_mov_b32_e32 v72, v68
	v_pk_add_f32 v[60:61], v[72:73], v[58:59]
	s_mov_b32 s2, 0x33800000
	v_mov_b32_e32 v64, v61
	v_pk_add_f32 v[64:65], v[60:61], v[64:65]
	v_cmp_lt_f32_e64 s[2:3], |v74|, s2
	v_pk_add_f32 v[62:63], v[62:63], v[64:65]
	v_mov_b32_e32 v59, v64
	v_mov_b32_e32 v61, v62
	v_pk_add_f32 v[66:67], v[60:61], v[68:69] neg_lo:[0,1] neg_hi:[0,1]
	s_or_b64 vcc, vcc, s[2:3]
	v_sub_f32_e32 v57, v60, v66
	v_pk_add_f32 v[58:59], v[58:59], v[66:67] neg_lo:[0,1] neg_hi:[0,1]
	v_sub_f32_e32 v57, v68, v57
	v_add_f32_e32 v57, v58, v57
	v_add_f32_e32 v57, v57, v59
	;; [unrolled: 1-line block ×3, first 2 shown]
	v_cndmask_b32_e32 v57, v57, v74, vcc
	v_add_f32_e32 v58, v56, v57
.LBB469_105:
	s_or_b64 exec, exec, s[0:1]
	v_bfe_u32 v56, v58, 16, 1
	s_movk_i32 s0, 0x7fff
	v_add3_u32 v56, v58, v56, s0
	v_lshrrev_b32_e32 v56, 16, v56
	v_mov_b32_e32 v57, 0x7fc0
	v_cmp_o_f32_e32 vcc, v58, v58
	s_nop 1
	v_cndmask_b32_e32 v56, v57, v56, vcc
	v_and_b32_e32 v57, 0xffff, v56
.LBB469_106:
	s_or_b64 exec, exec, s[96:97]
	s_nop 0
	v_mov_b32_dpp v58, v57 row_shr:8 row_mask:0xf bank_mask:0xf
	v_cmp_lt_u32_e32 vcc, 7, v55
	s_and_saveexec_b64 s[96:97], vcc
	s_cbranch_execz .LBB469_110
; %bb.107:
	v_lshlrev_b32_e32 v56, 16, v58
	v_lshlrev_b32_e32 v55, 16, v57
	v_max_f32_e32 v58, v55, v55
	v_max_f32_e32 v59, v56, v56
	v_min_f32_e32 v57, v59, v58
	v_cmp_u_f32_e32 vcc, v56, v56
	v_max_f32_e32 v58, v59, v58
	v_cmp_u_f32_e64 s[0:1], v55, v55
	v_cndmask_b32_e32 v57, v57, v56, vcc
	v_cndmask_b32_e32 v58, v58, v56, vcc
	v_cndmask_b32_e64 v57, v57, v55, s[0:1]
	v_cndmask_b32_e64 v55, v58, v55, s[0:1]
	s_movk_i32 s0, 0x1f8
	v_cmp_neq_f32_e32 vcc, v57, v55
	v_cmp_class_f32_e64 s[0:1], v57, s0
	s_or_b64 s[2:3], vcc, s[0:1]
	s_and_saveexec_b64 s[0:1], s[2:3]
	s_cbranch_execz .LBB469_109
; %bb.108:
	v_sub_f32_e32 v56, v57, v55
	s_mov_b32 s2, 0x3fb8aa3b
	v_mul_f32_e32 v57, 0x3fb8aa3b, v56
	v_fma_f32 v58, v56, s2, -v57
	v_rndne_f32_e32 v59, v57
	v_fmamk_f32 v58, v56, 0x32a5705f, v58
	v_sub_f32_e32 v57, v57, v59
	v_add_f32_e32 v57, v57, v58
	v_exp_f32_e32 v57, v57
	v_cvt_i32_f32_e32 v58, v59
	s_mov_b32 s2, 0xc2ce8ed0
	v_cmp_ngt_f32_e32 vcc, s2, v56
	s_mov_b32 s2, 0x42b17218
	v_ldexp_f32 v57, v57, v58
	v_cndmask_b32_e32 v57, 0, v57, vcc
	v_mov_b32_e32 v58, 0x7f800000
	v_cmp_nlt_f32_e32 vcc, s2, v56
	s_mov_b32 s2, 0x3f2aaaab
	s_mov_b32 s3, 0x7f800000
	v_cndmask_b32_e32 v72, v58, v57, vcc
	v_add_f32_e32 v58, 1.0, v72
	v_add_f32_e32 v56, -1.0, v58
	v_sub_f32_e32 v57, v56, v58
	v_add_f32_e32 v57, 1.0, v57
	v_sub_f32_e32 v56, v72, v56
	v_add_f32_e32 v59, v56, v57
	v_frexp_mant_f32_e32 v60, v58
	v_cvt_f64_f32_e32 v[56:57], v58
	v_frexp_exp_i32_f64_e32 v56, v[56:57]
	v_cmp_gt_f32_e32 vcc, s2, v60
	s_mov_b32 s2, 0x3f317218
	s_nop 0
	v_subbrev_co_u32_e32 v64, vcc, 0, v56, vcc
	v_sub_u32_e32 v56, 0, v64
	v_ldexp_f32 v57, v58, v56
	v_add_f32_e32 v58, -1.0, v57
	v_add_f32_e32 v60, 1.0, v57
	v_ldexp_f32 v56, v59, v56
	v_add_f32_e32 v59, 1.0, v58
	v_add_f32_e32 v61, -1.0, v60
	v_sub_f32_e32 v59, v57, v59
	v_sub_f32_e32 v57, v57, v61
	v_add_f32_e32 v59, v56, v59
	v_add_f32_e32 v56, v56, v57
	;; [unrolled: 1-line block ×3, first 2 shown]
	v_rcp_f32_e32 v67, v65
	v_sub_f32_e32 v57, v60, v65
	v_add_f32_e32 v66, v56, v57
	v_add_f32_e32 v57, v58, v59
	v_mul_f32_e32 v69, v57, v67
	v_sub_f32_e32 v56, v58, v57
	v_mul_f32_e32 v58, v65, v69
	v_fma_f32 v60, v69, v65, -v58
	v_fmac_f32_e32 v60, v69, v66
	v_add_f32_e32 v68, v59, v56
	v_add_f32_e32 v56, v58, v60
	v_sub_f32_e32 v59, v57, v56
	v_pk_add_f32 v[62:63], v[56:57], v[58:59] neg_lo:[0,1] neg_hi:[0,1]
	v_mov_b32_e32 v61, v56
	v_pk_add_f32 v[56:57], v[62:63], v[60:61] neg_lo:[0,1] neg_hi:[0,1]
	v_cmp_eq_f32_e32 vcc, s3, v72
	v_add_f32_e32 v57, v68, v57
	v_add_f32_e32 v56, v56, v57
	v_add_f32_e32 v57, v59, v56
	v_mul_f32_e32 v68, v67, v57
	v_mul_f32_e32 v58, v65, v68
	v_fma_f32 v60, v68, v65, -v58
	v_fmac_f32_e32 v60, v68, v66
	v_sub_f32_e32 v59, v59, v57
	v_add_f32_e32 v65, v56, v59
	v_add_f32_e32 v56, v58, v60
	v_sub_f32_e32 v59, v57, v56
	v_pk_add_f32 v[62:63], v[56:57], v[58:59] neg_lo:[0,1] neg_hi:[0,1]
	v_mov_b32_e32 v61, v56
	v_pk_add_f32 v[56:57], v[62:63], v[60:61] neg_lo:[0,1] neg_hi:[0,1]
	v_cvt_f32_i32_e32 v58, v64
	v_add_f32_e32 v57, v65, v57
	v_add_f32_e32 v56, v56, v57
	;; [unrolled: 1-line block ×4, first 2 shown]
	v_sub_f32_e32 v57, v59, v69
	v_mul_f32_e32 v56, v67, v56
	v_sub_f32_e32 v57, v68, v57
	v_add_f32_e32 v56, v57, v56
	v_add_f32_e32 v60, v59, v56
	v_mul_f32_e32 v62, v60, v60
	v_mov_b32_e32 v57, 0x3ecc95a3
	v_sub_f32_e32 v59, v60, v59
	v_fmac_f32_e32 v57, 0x3e9b6dac, v62
	v_sub_f32_e32 v56, v56, v59
	v_fmaak_f32 v57, v62, v57, 0x3f2aaada
	v_ldexp_f32 v63, v56, 1
	v_mul_f32_e32 v59, v60, v62
	v_mov_b32_e32 v56, 0x3f317218
	v_pk_mul_f32 v[56:57], v[58:59], v[56:57]
	v_ldexp_f32 v61, v60, 1
	v_fma_f32 v59, v58, s2, -v56
	v_fmamk_f32 v60, v58, 0xb102e308, v59
	v_pk_add_f32 v[58:59], v[56:57], v[60:61]
	v_mov_b32_e32 v62, v56
	v_sub_f32_e32 v61, v59, v61
	v_sub_f32_e32 v61, v57, v61
	v_add_f32_e32 v63, v63, v61
	v_pk_add_f32 v[56:57], v[58:59], v[56:57] neg_lo:[0,1] neg_hi:[0,1]
	v_pk_add_f32 v[64:65], v[58:59], v[62:63]
	v_mov_b32_e32 v61, v58
	v_mov_b32_e32 v57, v65
	v_pk_add_f32 v[66:67], v[60:61], v[56:57] neg_lo:[0,1] neg_hi:[0,1]
	v_pk_add_f32 v[56:57], v[60:61], v[56:57]
	v_mov_b32_e32 v62, v63
	v_mov_b32_e32 v60, v57
	v_pk_add_f32 v[68:69], v[60:61], v[58:59] neg_lo:[0,1] neg_hi:[0,1]
	v_mov_b32_e32 v56, v65
	v_mov_b32_e32 v61, v68
	v_pk_add_f32 v[70:71], v[64:65], v[60:61] neg_lo:[0,1] neg_hi:[0,1]
	v_mov_b32_e32 v64, v59
	v_mov_b32_e32 v65, v68
	;; [unrolled: 1-line block ×3, first 2 shown]
	v_pk_add_f32 v[56:57], v[56:57], v[64:65] neg_lo:[0,1] neg_hi:[0,1]
	v_mov_b32_e32 v63, v58
	v_pk_add_f32 v[56:57], v[62:63], v[56:57] neg_lo:[0,1] neg_hi:[0,1]
	v_mov_b32_e32 v70, v66
	v_pk_add_f32 v[58:59], v[70:71], v[56:57]
	s_mov_b32 s2, 0x33800000
	v_mov_b32_e32 v62, v59
	v_pk_add_f32 v[62:63], v[58:59], v[62:63]
	v_cmp_lt_f32_e64 s[2:3], |v72|, s2
	v_pk_add_f32 v[60:61], v[60:61], v[62:63]
	v_mov_b32_e32 v57, v62
	v_mov_b32_e32 v59, v60
	v_pk_add_f32 v[64:65], v[58:59], v[66:67] neg_lo:[0,1] neg_hi:[0,1]
	s_or_b64 vcc, vcc, s[2:3]
	v_sub_f32_e32 v58, v58, v64
	v_pk_add_f32 v[56:57], v[56:57], v[64:65] neg_lo:[0,1] neg_hi:[0,1]
	v_sub_f32_e32 v58, v66, v58
	v_add_f32_e32 v56, v56, v58
	v_add_f32_e32 v56, v56, v57
	;; [unrolled: 1-line block ×3, first 2 shown]
	v_cndmask_b32_e32 v56, v56, v72, vcc
	v_add_f32_e32 v56, v55, v56
.LBB469_109:
	s_or_b64 exec, exec, s[0:1]
	v_bfe_u32 v55, v56, 16, 1
	s_movk_i32 s0, 0x7fff
	v_add3_u32 v55, v56, v55, s0
	v_lshrrev_b32_e32 v55, 16, v55
	v_mov_b32_e32 v57, 0x7fc0
	v_cmp_o_f32_e32 vcc, v56, v56
	s_nop 1
	v_cndmask_b32_e32 v56, v57, v55, vcc
	v_and_b32_e32 v57, 0xffff, v56
.LBB469_110:
	s_or_b64 exec, exec, s[96:97]
	v_and_b32_e32 v58, 16, v54
	v_mov_b32_dpp v55, v57 row_bcast:15 row_mask:0xf bank_mask:0xf
	v_cmp_ne_u32_e32 vcc, 0, v58
	s_and_saveexec_b64 s[96:97], vcc
	s_cbranch_execz .LBB469_114
; %bb.111:
	v_lshlrev_b32_e32 v56, 16, v55
	v_lshlrev_b32_e32 v55, 16, v57
	v_max_f32_e32 v58, v55, v55
	v_max_f32_e32 v59, v56, v56
	v_min_f32_e32 v57, v59, v58
	v_cmp_u_f32_e32 vcc, v56, v56
	v_max_f32_e32 v58, v59, v58
	v_cmp_u_f32_e64 s[0:1], v55, v55
	v_cndmask_b32_e32 v57, v57, v56, vcc
	v_cndmask_b32_e32 v58, v58, v56, vcc
	v_cndmask_b32_e64 v57, v57, v55, s[0:1]
	v_cndmask_b32_e64 v55, v58, v55, s[0:1]
	s_movk_i32 s0, 0x1f8
	v_cmp_neq_f32_e32 vcc, v57, v55
	v_cmp_class_f32_e64 s[0:1], v57, s0
	s_or_b64 s[2:3], vcc, s[0:1]
	s_and_saveexec_b64 s[0:1], s[2:3]
	s_cbranch_execz .LBB469_113
; %bb.112:
	v_sub_f32_e32 v56, v57, v55
	s_mov_b32 s2, 0x3fb8aa3b
	v_mul_f32_e32 v57, 0x3fb8aa3b, v56
	v_fma_f32 v58, v56, s2, -v57
	v_rndne_f32_e32 v59, v57
	v_fmamk_f32 v58, v56, 0x32a5705f, v58
	v_sub_f32_e32 v57, v57, v59
	v_add_f32_e32 v57, v57, v58
	v_exp_f32_e32 v57, v57
	v_cvt_i32_f32_e32 v58, v59
	s_mov_b32 s2, 0xc2ce8ed0
	v_cmp_ngt_f32_e32 vcc, s2, v56
	s_mov_b32 s2, 0x42b17218
	v_ldexp_f32 v57, v57, v58
	v_cndmask_b32_e32 v57, 0, v57, vcc
	v_mov_b32_e32 v58, 0x7f800000
	v_cmp_nlt_f32_e32 vcc, s2, v56
	s_mov_b32 s2, 0x3f2aaaab
	s_mov_b32 s3, 0x7f800000
	v_cndmask_b32_e32 v72, v58, v57, vcc
	v_add_f32_e32 v58, 1.0, v72
	v_add_f32_e32 v56, -1.0, v58
	v_sub_f32_e32 v57, v56, v58
	v_add_f32_e32 v57, 1.0, v57
	v_sub_f32_e32 v56, v72, v56
	v_add_f32_e32 v59, v56, v57
	v_frexp_mant_f32_e32 v60, v58
	v_cvt_f64_f32_e32 v[56:57], v58
	v_frexp_exp_i32_f64_e32 v56, v[56:57]
	v_cmp_gt_f32_e32 vcc, s2, v60
	s_mov_b32 s2, 0x3f317218
	s_nop 0
	v_subbrev_co_u32_e32 v64, vcc, 0, v56, vcc
	v_sub_u32_e32 v56, 0, v64
	v_ldexp_f32 v57, v58, v56
	v_add_f32_e32 v58, -1.0, v57
	v_add_f32_e32 v60, 1.0, v57
	v_ldexp_f32 v56, v59, v56
	v_add_f32_e32 v59, 1.0, v58
	v_add_f32_e32 v61, -1.0, v60
	v_sub_f32_e32 v59, v57, v59
	v_sub_f32_e32 v57, v57, v61
	v_add_f32_e32 v59, v56, v59
	v_add_f32_e32 v56, v56, v57
	v_add_f32_e32 v65, v60, v56
	v_rcp_f32_e32 v67, v65
	v_sub_f32_e32 v57, v60, v65
	v_add_f32_e32 v66, v56, v57
	v_add_f32_e32 v57, v58, v59
	v_mul_f32_e32 v69, v57, v67
	v_sub_f32_e32 v56, v58, v57
	v_mul_f32_e32 v58, v65, v69
	v_fma_f32 v60, v69, v65, -v58
	v_fmac_f32_e32 v60, v69, v66
	v_add_f32_e32 v68, v59, v56
	v_add_f32_e32 v56, v58, v60
	v_sub_f32_e32 v59, v57, v56
	v_pk_add_f32 v[62:63], v[56:57], v[58:59] neg_lo:[0,1] neg_hi:[0,1]
	v_mov_b32_e32 v61, v56
	v_pk_add_f32 v[56:57], v[62:63], v[60:61] neg_lo:[0,1] neg_hi:[0,1]
	v_cmp_eq_f32_e32 vcc, s3, v72
	v_add_f32_e32 v57, v68, v57
	v_add_f32_e32 v56, v56, v57
	;; [unrolled: 1-line block ×3, first 2 shown]
	v_mul_f32_e32 v68, v67, v57
	v_mul_f32_e32 v58, v65, v68
	v_fma_f32 v60, v68, v65, -v58
	v_fmac_f32_e32 v60, v68, v66
	v_sub_f32_e32 v59, v59, v57
	v_add_f32_e32 v65, v56, v59
	v_add_f32_e32 v56, v58, v60
	v_sub_f32_e32 v59, v57, v56
	v_pk_add_f32 v[62:63], v[56:57], v[58:59] neg_lo:[0,1] neg_hi:[0,1]
	v_mov_b32_e32 v61, v56
	v_pk_add_f32 v[56:57], v[62:63], v[60:61] neg_lo:[0,1] neg_hi:[0,1]
	v_cvt_f32_i32_e32 v58, v64
	v_add_f32_e32 v57, v65, v57
	v_add_f32_e32 v56, v56, v57
	;; [unrolled: 1-line block ×4, first 2 shown]
	v_sub_f32_e32 v57, v59, v69
	v_mul_f32_e32 v56, v67, v56
	v_sub_f32_e32 v57, v68, v57
	v_add_f32_e32 v56, v57, v56
	v_add_f32_e32 v60, v59, v56
	v_mul_f32_e32 v62, v60, v60
	v_mov_b32_e32 v57, 0x3ecc95a3
	v_sub_f32_e32 v59, v60, v59
	v_fmac_f32_e32 v57, 0x3e9b6dac, v62
	v_sub_f32_e32 v56, v56, v59
	v_fmaak_f32 v57, v62, v57, 0x3f2aaada
	v_ldexp_f32 v63, v56, 1
	v_mul_f32_e32 v59, v60, v62
	v_mov_b32_e32 v56, 0x3f317218
	v_pk_mul_f32 v[56:57], v[58:59], v[56:57]
	v_ldexp_f32 v61, v60, 1
	v_fma_f32 v59, v58, s2, -v56
	v_fmamk_f32 v60, v58, 0xb102e308, v59
	v_pk_add_f32 v[58:59], v[56:57], v[60:61]
	v_mov_b32_e32 v62, v56
	v_sub_f32_e32 v61, v59, v61
	v_sub_f32_e32 v61, v57, v61
	v_add_f32_e32 v63, v63, v61
	v_pk_add_f32 v[56:57], v[58:59], v[56:57] neg_lo:[0,1] neg_hi:[0,1]
	v_pk_add_f32 v[64:65], v[58:59], v[62:63]
	v_mov_b32_e32 v61, v58
	v_mov_b32_e32 v57, v65
	v_pk_add_f32 v[66:67], v[60:61], v[56:57] neg_lo:[0,1] neg_hi:[0,1]
	v_pk_add_f32 v[56:57], v[60:61], v[56:57]
	v_mov_b32_e32 v62, v63
	v_mov_b32_e32 v60, v57
	v_pk_add_f32 v[68:69], v[60:61], v[58:59] neg_lo:[0,1] neg_hi:[0,1]
	v_mov_b32_e32 v56, v65
	v_mov_b32_e32 v61, v68
	v_pk_add_f32 v[70:71], v[64:65], v[60:61] neg_lo:[0,1] neg_hi:[0,1]
	v_mov_b32_e32 v64, v59
	v_mov_b32_e32 v65, v68
	;; [unrolled: 1-line block ×3, first 2 shown]
	v_pk_add_f32 v[56:57], v[56:57], v[64:65] neg_lo:[0,1] neg_hi:[0,1]
	v_mov_b32_e32 v63, v58
	v_pk_add_f32 v[56:57], v[62:63], v[56:57] neg_lo:[0,1] neg_hi:[0,1]
	v_mov_b32_e32 v70, v66
	v_pk_add_f32 v[58:59], v[70:71], v[56:57]
	s_mov_b32 s2, 0x33800000
	v_mov_b32_e32 v62, v59
	v_pk_add_f32 v[62:63], v[58:59], v[62:63]
	v_cmp_lt_f32_e64 s[2:3], |v72|, s2
	v_pk_add_f32 v[60:61], v[60:61], v[62:63]
	v_mov_b32_e32 v57, v62
	v_mov_b32_e32 v59, v60
	v_pk_add_f32 v[64:65], v[58:59], v[66:67] neg_lo:[0,1] neg_hi:[0,1]
	s_or_b64 vcc, vcc, s[2:3]
	v_sub_f32_e32 v58, v58, v64
	v_pk_add_f32 v[56:57], v[56:57], v[64:65] neg_lo:[0,1] neg_hi:[0,1]
	v_sub_f32_e32 v58, v66, v58
	v_add_f32_e32 v56, v56, v58
	v_add_f32_e32 v56, v56, v57
	;; [unrolled: 1-line block ×3, first 2 shown]
	v_cndmask_b32_e32 v56, v56, v72, vcc
	v_add_f32_e32 v56, v55, v56
.LBB469_113:
	s_or_b64 exec, exec, s[0:1]
	v_bfe_u32 v55, v56, 16, 1
	s_movk_i32 s0, 0x7fff
	v_add3_u32 v55, v56, v55, s0
	v_lshrrev_b32_e32 v55, 16, v55
	v_mov_b32_e32 v57, 0x7fc0
	v_cmp_o_f32_e32 vcc, v56, v56
	s_nop 1
	v_cndmask_b32_e32 v56, v57, v55, vcc
	v_and_b32_e32 v57, 0xffff, v56
.LBB469_114:
	s_or_b64 exec, exec, s[96:97]
	s_nop 0
	v_mov_b32_dpp v55, v57 row_bcast:31 row_mask:0xf bank_mask:0xf
	v_cmp_lt_u32_e32 vcc, 31, v54
	s_and_saveexec_b64 s[96:97], vcc
	s_cbranch_execz .LBB469_118
; %bb.115:
	v_lshlrev_b32_e32 v56, 16, v55
	v_lshlrev_b32_e32 v55, 16, v57
	v_max_f32_e32 v58, v55, v55
	v_max_f32_e32 v59, v56, v56
	v_min_f32_e32 v57, v59, v58
	v_cmp_u_f32_e32 vcc, v56, v56
	v_max_f32_e32 v58, v59, v58
	v_cmp_u_f32_e64 s[0:1], v55, v55
	v_cndmask_b32_e32 v57, v57, v56, vcc
	v_cndmask_b32_e32 v58, v58, v56, vcc
	v_cndmask_b32_e64 v57, v57, v55, s[0:1]
	v_cndmask_b32_e64 v55, v58, v55, s[0:1]
	s_movk_i32 s0, 0x1f8
	v_cmp_neq_f32_e32 vcc, v57, v55
	v_cmp_class_f32_e64 s[0:1], v57, s0
	s_or_b64 s[2:3], vcc, s[0:1]
	s_and_saveexec_b64 s[0:1], s[2:3]
	s_cbranch_execz .LBB469_117
; %bb.116:
	v_sub_f32_e32 v56, v57, v55
	s_mov_b32 s2, 0x3fb8aa3b
	v_mul_f32_e32 v57, 0x3fb8aa3b, v56
	v_fma_f32 v58, v56, s2, -v57
	v_rndne_f32_e32 v59, v57
	v_fmamk_f32 v58, v56, 0x32a5705f, v58
	v_sub_f32_e32 v57, v57, v59
	v_add_f32_e32 v57, v57, v58
	v_exp_f32_e32 v57, v57
	v_cvt_i32_f32_e32 v58, v59
	s_mov_b32 s2, 0xc2ce8ed0
	v_cmp_ngt_f32_e32 vcc, s2, v56
	s_mov_b32 s2, 0x42b17218
	v_ldexp_f32 v57, v57, v58
	v_cndmask_b32_e32 v57, 0, v57, vcc
	v_mov_b32_e32 v58, 0x7f800000
	v_cmp_nlt_f32_e32 vcc, s2, v56
	s_mov_b32 s2, 0x3f2aaaab
	s_mov_b32 s3, 0x7f800000
	v_cndmask_b32_e32 v72, v58, v57, vcc
	v_add_f32_e32 v58, 1.0, v72
	v_add_f32_e32 v56, -1.0, v58
	v_sub_f32_e32 v57, v56, v58
	v_add_f32_e32 v57, 1.0, v57
	v_sub_f32_e32 v56, v72, v56
	v_add_f32_e32 v59, v56, v57
	v_frexp_mant_f32_e32 v60, v58
	v_cvt_f64_f32_e32 v[56:57], v58
	v_frexp_exp_i32_f64_e32 v56, v[56:57]
	v_cmp_gt_f32_e32 vcc, s2, v60
	s_mov_b32 s2, 0x3f317218
	s_nop 0
	v_subbrev_co_u32_e32 v64, vcc, 0, v56, vcc
	v_sub_u32_e32 v56, 0, v64
	v_ldexp_f32 v57, v58, v56
	v_add_f32_e32 v58, -1.0, v57
	v_add_f32_e32 v60, 1.0, v57
	v_ldexp_f32 v56, v59, v56
	v_add_f32_e32 v59, 1.0, v58
	v_add_f32_e32 v61, -1.0, v60
	v_sub_f32_e32 v59, v57, v59
	v_sub_f32_e32 v57, v57, v61
	v_add_f32_e32 v59, v56, v59
	v_add_f32_e32 v56, v56, v57
	;; [unrolled: 1-line block ×3, first 2 shown]
	v_rcp_f32_e32 v67, v65
	v_sub_f32_e32 v57, v60, v65
	v_add_f32_e32 v66, v56, v57
	v_add_f32_e32 v57, v58, v59
	v_mul_f32_e32 v69, v57, v67
	v_sub_f32_e32 v56, v58, v57
	v_mul_f32_e32 v58, v65, v69
	v_fma_f32 v60, v69, v65, -v58
	v_fmac_f32_e32 v60, v69, v66
	v_add_f32_e32 v68, v59, v56
	v_add_f32_e32 v56, v58, v60
	v_sub_f32_e32 v59, v57, v56
	v_pk_add_f32 v[62:63], v[56:57], v[58:59] neg_lo:[0,1] neg_hi:[0,1]
	v_mov_b32_e32 v61, v56
	v_pk_add_f32 v[56:57], v[62:63], v[60:61] neg_lo:[0,1] neg_hi:[0,1]
	v_cmp_eq_f32_e32 vcc, s3, v72
	v_add_f32_e32 v57, v68, v57
	v_add_f32_e32 v56, v56, v57
	;; [unrolled: 1-line block ×3, first 2 shown]
	v_mul_f32_e32 v68, v67, v57
	v_mul_f32_e32 v58, v65, v68
	v_fma_f32 v60, v68, v65, -v58
	v_fmac_f32_e32 v60, v68, v66
	v_sub_f32_e32 v59, v59, v57
	v_add_f32_e32 v65, v56, v59
	v_add_f32_e32 v56, v58, v60
	v_sub_f32_e32 v59, v57, v56
	v_pk_add_f32 v[62:63], v[56:57], v[58:59] neg_lo:[0,1] neg_hi:[0,1]
	v_mov_b32_e32 v61, v56
	v_pk_add_f32 v[56:57], v[62:63], v[60:61] neg_lo:[0,1] neg_hi:[0,1]
	v_cvt_f32_i32_e32 v58, v64
	v_add_f32_e32 v57, v65, v57
	v_add_f32_e32 v56, v56, v57
	;; [unrolled: 1-line block ×4, first 2 shown]
	v_sub_f32_e32 v57, v59, v69
	v_mul_f32_e32 v56, v67, v56
	v_sub_f32_e32 v57, v68, v57
	v_add_f32_e32 v56, v57, v56
	v_add_f32_e32 v60, v59, v56
	v_mul_f32_e32 v62, v60, v60
	v_mov_b32_e32 v57, 0x3ecc95a3
	v_sub_f32_e32 v59, v60, v59
	v_fmac_f32_e32 v57, 0x3e9b6dac, v62
	v_sub_f32_e32 v56, v56, v59
	v_fmaak_f32 v57, v62, v57, 0x3f2aaada
	v_ldexp_f32 v63, v56, 1
	v_mul_f32_e32 v59, v60, v62
	v_mov_b32_e32 v56, 0x3f317218
	v_pk_mul_f32 v[56:57], v[58:59], v[56:57]
	v_ldexp_f32 v61, v60, 1
	v_fma_f32 v59, v58, s2, -v56
	v_fmamk_f32 v60, v58, 0xb102e308, v59
	v_pk_add_f32 v[58:59], v[56:57], v[60:61]
	v_mov_b32_e32 v62, v56
	v_sub_f32_e32 v61, v59, v61
	v_sub_f32_e32 v61, v57, v61
	v_add_f32_e32 v63, v63, v61
	v_pk_add_f32 v[56:57], v[58:59], v[56:57] neg_lo:[0,1] neg_hi:[0,1]
	v_pk_add_f32 v[64:65], v[58:59], v[62:63]
	v_mov_b32_e32 v61, v58
	v_mov_b32_e32 v57, v65
	v_pk_add_f32 v[66:67], v[60:61], v[56:57] neg_lo:[0,1] neg_hi:[0,1]
	v_pk_add_f32 v[56:57], v[60:61], v[56:57]
	v_mov_b32_e32 v62, v63
	v_mov_b32_e32 v60, v57
	v_pk_add_f32 v[68:69], v[60:61], v[58:59] neg_lo:[0,1] neg_hi:[0,1]
	v_mov_b32_e32 v56, v65
	v_mov_b32_e32 v61, v68
	v_pk_add_f32 v[70:71], v[64:65], v[60:61] neg_lo:[0,1] neg_hi:[0,1]
	v_mov_b32_e32 v64, v59
	v_mov_b32_e32 v65, v68
	;; [unrolled: 1-line block ×3, first 2 shown]
	v_pk_add_f32 v[56:57], v[56:57], v[64:65] neg_lo:[0,1] neg_hi:[0,1]
	v_mov_b32_e32 v63, v58
	v_pk_add_f32 v[56:57], v[62:63], v[56:57] neg_lo:[0,1] neg_hi:[0,1]
	v_mov_b32_e32 v70, v66
	v_pk_add_f32 v[58:59], v[70:71], v[56:57]
	s_mov_b32 s2, 0x33800000
	v_mov_b32_e32 v62, v59
	v_pk_add_f32 v[62:63], v[58:59], v[62:63]
	v_cmp_lt_f32_e64 s[2:3], |v72|, s2
	v_pk_add_f32 v[60:61], v[60:61], v[62:63]
	v_mov_b32_e32 v57, v62
	v_mov_b32_e32 v59, v60
	v_pk_add_f32 v[64:65], v[58:59], v[66:67] neg_lo:[0,1] neg_hi:[0,1]
	s_or_b64 vcc, vcc, s[2:3]
	v_sub_f32_e32 v58, v58, v64
	v_pk_add_f32 v[56:57], v[56:57], v[64:65] neg_lo:[0,1] neg_hi:[0,1]
	v_sub_f32_e32 v58, v66, v58
	v_add_f32_e32 v56, v56, v58
	v_add_f32_e32 v56, v56, v57
	;; [unrolled: 1-line block ×3, first 2 shown]
	v_cndmask_b32_e32 v56, v56, v72, vcc
	v_add_f32_e32 v56, v55, v56
.LBB469_117:
	s_or_b64 exec, exec, s[0:1]
	v_bfe_u32 v55, v56, 16, 1
	s_movk_i32 s0, 0x7fff
	v_add3_u32 v55, v56, v55, s0
	v_lshrrev_b32_e32 v55, 16, v55
	v_mov_b32_e32 v57, 0x7fc0
	v_cmp_o_f32_e32 vcc, v56, v56
	s_nop 1
	v_cndmask_b32_e32 v56, v57, v55, vcc
.LBB469_118:
	s_or_b64 exec, exec, s[96:97]
	v_or_b32_e32 v57, 63, v0
	v_lshrrev_b32_e32 v55, 6, v0
	v_cmp_eq_u32_e32 vcc, v57, v0
	s_and_saveexec_b64 s[0:1], vcc
	s_cbranch_execz .LBB469_120
; %bb.119:
	v_lshlrev_b32_e32 v57, 1, v55
	ds_write_b16 v57, v56
.LBB469_120:
	s_or_b64 exec, exec, s[0:1]
	v_cmp_gt_u32_e32 vcc, 4, v0
	s_waitcnt lgkmcnt(0)
	s_barrier
	s_and_saveexec_b64 s[98:99], vcc
	s_cbranch_execz .LBB469_130
; %bb.121:
	ds_read_u16 v58, v14
	v_and_b32_e32 v57, 3, v54
	v_cmp_ne_u32_e32 vcc, 0, v57
	s_waitcnt lgkmcnt(0)
	v_and_b32_e32 v60, 0xffff, v58
	s_nop 1
	v_mov_b32_dpp v59, v60 row_shr:1 row_mask:0xf bank_mask:0xf
	s_and_saveexec_b64 s[96:97], vcc
	s_cbranch_execz .LBB469_125
; %bb.122:
	v_lshlrev_b32_e32 v59, 16, v59
	v_lshlrev_b32_e32 v58, 16, v60
	v_max_f32_e32 v61, v58, v58
	v_max_f32_e32 v62, v59, v59
	v_min_f32_e32 v60, v62, v61
	v_cmp_u_f32_e32 vcc, v59, v59
	v_max_f32_e32 v61, v62, v61
	v_cmp_u_f32_e64 s[0:1], v58, v58
	v_cndmask_b32_e32 v60, v60, v59, vcc
	v_cndmask_b32_e32 v61, v61, v59, vcc
	v_cndmask_b32_e64 v60, v60, v58, s[0:1]
	v_cndmask_b32_e64 v58, v61, v58, s[0:1]
	s_movk_i32 s0, 0x1f8
	v_cmp_neq_f32_e32 vcc, v60, v58
	v_cmp_class_f32_e64 s[0:1], v60, s0
	s_or_b64 s[2:3], vcc, s[0:1]
	s_and_saveexec_b64 s[0:1], s[2:3]
	s_cbranch_execz .LBB469_124
; %bb.123:
	v_sub_f32_e32 v59, v60, v58
	s_mov_b32 s2, 0x3fb8aa3b
	v_mul_f32_e32 v60, 0x3fb8aa3b, v59
	v_fma_f32 v61, v59, s2, -v60
	v_rndne_f32_e32 v62, v60
	v_fmamk_f32 v61, v59, 0x32a5705f, v61
	v_sub_f32_e32 v60, v60, v62
	v_add_f32_e32 v60, v60, v61
	v_exp_f32_e32 v60, v60
	v_cvt_i32_f32_e32 v61, v62
	s_mov_b32 s2, 0xc2ce8ed0
	v_cmp_ngt_f32_e32 vcc, s2, v59
	s_mov_b32 s2, 0x42b17218
	v_ldexp_f32 v60, v60, v61
	v_cndmask_b32_e32 v60, 0, v60, vcc
	v_mov_b32_e32 v61, 0x7f800000
	v_cmp_nlt_f32_e32 vcc, s2, v59
	s_mov_b32 s2, 0x3f2aaaab
	s_mov_b32 s3, 0x7f800000
	v_cndmask_b32_e32 v76, v61, v60, vcc
	v_add_f32_e32 v59, 1.0, v76
	v_add_f32_e32 v60, -1.0, v59
	v_sub_f32_e32 v61, v60, v59
	v_add_f32_e32 v61, 1.0, v61
	v_sub_f32_e32 v60, v76, v60
	v_add_f32_e32 v62, v60, v61
	v_frexp_mant_f32_e32 v63, v59
	v_cvt_f64_f32_e32 v[60:61], v59
	v_frexp_exp_i32_f64_e32 v60, v[60:61]
	v_cmp_gt_f32_e32 vcc, s2, v63
	s_mov_b32 s2, 0x3f317218
	s_nop 0
	v_subbrev_co_u32_e32 v68, vcc, 0, v60, vcc
	v_sub_u32_e32 v60, 0, v68
	v_ldexp_f32 v59, v59, v60
	v_ldexp_f32 v60, v62, v60
	v_add_f32_e32 v62, -1.0, v59
	v_add_f32_e32 v61, 1.0, v62
	v_sub_f32_e32 v61, v59, v61
	v_add_f32_e32 v63, v60, v61
	v_add_f32_e32 v61, 1.0, v59
	v_add_f32_e32 v64, -1.0, v61
	v_sub_f32_e32 v59, v59, v64
	v_add_f32_e32 v59, v60, v59
	v_add_f32_e32 v69, v61, v59
	v_rcp_f32_e32 v70, v69
	v_sub_f32_e32 v60, v61, v69
	v_add_f32_e32 v61, v62, v63
	v_add_f32_e32 v59, v59, v60
	v_mul_f32_e32 v72, v61, v70
	v_sub_f32_e32 v60, v62, v61
	v_mul_f32_e32 v62, v69, v72
	v_fma_f32 v64, v72, v69, -v62
	v_fmac_f32_e32 v64, v72, v59
	v_add_f32_e32 v71, v63, v60
	v_add_f32_e32 v60, v62, v64
	v_sub_f32_e32 v63, v61, v60
	v_pk_add_f32 v[66:67], v[60:61], v[62:63] neg_lo:[0,1] neg_hi:[0,1]
	v_mov_b32_e32 v65, v60
	v_pk_add_f32 v[60:61], v[66:67], v[64:65] neg_lo:[0,1] neg_hi:[0,1]
	v_cmp_eq_f32_e32 vcc, s3, v76
	v_add_f32_e32 v61, v71, v61
	v_add_f32_e32 v60, v60, v61
	;; [unrolled: 1-line block ×3, first 2 shown]
	v_mul_f32_e32 v71, v70, v61
	v_mul_f32_e32 v62, v69, v71
	v_fma_f32 v64, v71, v69, -v62
	v_fmac_f32_e32 v64, v71, v59
	v_sub_f32_e32 v59, v63, v61
	v_add_f32_e32 v59, v60, v59
	v_add_f32_e32 v60, v62, v64
	v_sub_f32_e32 v63, v61, v60
	v_pk_add_f32 v[66:67], v[60:61], v[62:63] neg_lo:[0,1] neg_hi:[0,1]
	v_mov_b32_e32 v65, v60
	v_pk_add_f32 v[60:61], v[66:67], v[64:65] neg_lo:[0,1] neg_hi:[0,1]
	v_cvt_f32_i32_e32 v62, v68
	v_add_f32_e32 v59, v59, v61
	v_add_f32_e32 v59, v60, v59
	;; [unrolled: 1-line block ×4, first 2 shown]
	v_sub_f32_e32 v61, v60, v72
	v_mul_f32_e32 v59, v70, v59
	v_sub_f32_e32 v61, v71, v61
	v_add_f32_e32 v59, v61, v59
	v_add_f32_e32 v63, v60, v59
	v_mul_f32_e32 v64, v63, v63
	v_mov_b32_e32 v61, 0x3ecc95a3
	v_fmac_f32_e32 v61, 0x3e9b6dac, v64
	v_sub_f32_e32 v60, v63, v60
	v_fmaak_f32 v61, v64, v61, 0x3f2aaada
	v_sub_f32_e32 v59, v59, v60
	v_ldexp_f32 v65, v63, 1
	v_mul_f32_e32 v63, v63, v64
	v_mov_b32_e32 v60, 0x3f317218
	v_pk_mul_f32 v[60:61], v[62:63], v[60:61]
	v_ldexp_f32 v59, v59, 1
	v_fma_f32 v63, v62, s2, -v60
	v_fmamk_f32 v64, v62, 0xb102e308, v63
	v_pk_add_f32 v[62:63], v[60:61], v[64:65]
	v_mov_b32_e32 v66, v60
	v_sub_f32_e32 v65, v63, v65
	v_sub_f32_e32 v65, v61, v65
	v_add_f32_e32 v67, v59, v65
	v_pk_add_f32 v[60:61], v[62:63], v[60:61] neg_lo:[0,1] neg_hi:[0,1]
	v_pk_add_f32 v[68:69], v[62:63], v[66:67]
	v_mov_b32_e32 v65, v62
	v_mov_b32_e32 v61, v69
	v_pk_add_f32 v[70:71], v[64:65], v[60:61] neg_lo:[0,1] neg_hi:[0,1]
	v_pk_add_f32 v[60:61], v[64:65], v[60:61]
	v_mov_b32_e32 v66, v67
	v_mov_b32_e32 v64, v61
	v_pk_add_f32 v[72:73], v[64:65], v[62:63] neg_lo:[0,1] neg_hi:[0,1]
	v_mov_b32_e32 v60, v69
	v_mov_b32_e32 v59, v72
	v_pk_add_f32 v[74:75], v[68:69], v[58:59] neg_lo:[0,1] neg_hi:[0,1]
	v_mov_b32_e32 v68, v63
	v_mov_b32_e32 v69, v72
	;; [unrolled: 1-line block ×3, first 2 shown]
	v_pk_add_f32 v[60:61], v[60:61], v[68:69] neg_lo:[0,1] neg_hi:[0,1]
	v_mov_b32_e32 v67, v62
	v_pk_add_f32 v[60:61], v[66:67], v[60:61] neg_lo:[0,1] neg_hi:[0,1]
	v_mov_b32_e32 v74, v70
	v_pk_add_f32 v[62:63], v[74:75], v[60:61]
	s_mov_b32 s2, 0x33800000
	v_mov_b32_e32 v66, v63
	v_pk_add_f32 v[66:67], v[62:63], v[66:67]
	v_cmp_lt_f32_e64 s[2:3], |v76|, s2
	v_pk_add_f32 v[64:65], v[64:65], v[66:67]
	v_mov_b32_e32 v61, v66
	v_mov_b32_e32 v63, v64
	v_pk_add_f32 v[68:69], v[62:63], v[70:71] neg_lo:[0,1] neg_hi:[0,1]
	s_or_b64 vcc, vcc, s[2:3]
	v_sub_f32_e32 v59, v62, v68
	v_pk_add_f32 v[60:61], v[60:61], v[68:69] neg_lo:[0,1] neg_hi:[0,1]
	v_sub_f32_e32 v59, v70, v59
	v_add_f32_e32 v59, v60, v59
	v_add_f32_e32 v59, v59, v61
	;; [unrolled: 1-line block ×3, first 2 shown]
	v_cndmask_b32_e32 v59, v59, v76, vcc
	v_add_f32_e32 v59, v58, v59
.LBB469_124:
	s_or_b64 exec, exec, s[0:1]
	v_bfe_u32 v58, v59, 16, 1
	s_movk_i32 s0, 0x7fff
	v_add3_u32 v58, v59, v58, s0
	v_lshrrev_b32_e32 v58, 16, v58
	v_mov_b32_e32 v60, 0x7fc0
	v_cmp_o_f32_e32 vcc, v59, v59
	s_nop 1
	v_cndmask_b32_e32 v58, v60, v58, vcc
	v_and_b32_e32 v60, 0xffff, v58
.LBB469_125:
	s_or_b64 exec, exec, s[96:97]
	s_nop 0
	v_mov_b32_dpp v59, v60 row_shr:2 row_mask:0xf bank_mask:0xf
	v_cmp_lt_u32_e32 vcc, 1, v57
	s_and_saveexec_b64 s[96:97], vcc
	s_cbranch_execz .LBB469_129
; %bb.126:
	v_lshlrev_b32_e32 v58, 16, v59
	v_lshlrev_b32_e32 v57, 16, v60
	v_max_f32_e32 v60, v57, v57
	v_max_f32_e32 v61, v58, v58
	v_min_f32_e32 v59, v61, v60
	v_cmp_u_f32_e32 vcc, v58, v58
	v_max_f32_e32 v60, v61, v60
	v_cmp_u_f32_e64 s[0:1], v57, v57
	v_cndmask_b32_e32 v59, v59, v58, vcc
	v_cndmask_b32_e32 v60, v60, v58, vcc
	v_cndmask_b32_e64 v59, v59, v57, s[0:1]
	v_cndmask_b32_e64 v57, v60, v57, s[0:1]
	s_movk_i32 s0, 0x1f8
	v_cmp_neq_f32_e32 vcc, v59, v57
	v_cmp_class_f32_e64 s[0:1], v59, s0
	s_or_b64 s[2:3], vcc, s[0:1]
	s_and_saveexec_b64 s[0:1], s[2:3]
	s_cbranch_execz .LBB469_128
; %bb.127:
	v_sub_f32_e32 v58, v59, v57
	s_mov_b32 s2, 0x3fb8aa3b
	v_mul_f32_e32 v59, 0x3fb8aa3b, v58
	v_fma_f32 v60, v58, s2, -v59
	v_rndne_f32_e32 v61, v59
	v_fmamk_f32 v60, v58, 0x32a5705f, v60
	v_sub_f32_e32 v59, v59, v61
	v_add_f32_e32 v59, v59, v60
	v_exp_f32_e32 v59, v59
	v_cvt_i32_f32_e32 v60, v61
	s_mov_b32 s2, 0xc2ce8ed0
	v_cmp_ngt_f32_e32 vcc, s2, v58
	s_mov_b32 s2, 0x42b17218
	v_ldexp_f32 v59, v59, v60
	v_cndmask_b32_e32 v59, 0, v59, vcc
	v_mov_b32_e32 v60, 0x7f800000
	v_cmp_nlt_f32_e32 vcc, s2, v58
	s_mov_b32 s2, 0x3f2aaaab
	s_mov_b32 s3, 0x7f800000
	v_cndmask_b32_e32 v74, v60, v59, vcc
	v_add_f32_e32 v60, 1.0, v74
	v_add_f32_e32 v58, -1.0, v60
	v_sub_f32_e32 v59, v58, v60
	v_add_f32_e32 v59, 1.0, v59
	v_sub_f32_e32 v58, v74, v58
	v_add_f32_e32 v61, v58, v59
	v_frexp_mant_f32_e32 v62, v60
	v_cvt_f64_f32_e32 v[58:59], v60
	v_frexp_exp_i32_f64_e32 v58, v[58:59]
	v_cmp_gt_f32_e32 vcc, s2, v62
	s_mov_b32 s2, 0x3f317218
	s_nop 0
	v_subbrev_co_u32_e32 v66, vcc, 0, v58, vcc
	v_sub_u32_e32 v58, 0, v66
	v_ldexp_f32 v59, v60, v58
	v_add_f32_e32 v60, -1.0, v59
	v_add_f32_e32 v62, 1.0, v59
	v_ldexp_f32 v58, v61, v58
	v_add_f32_e32 v61, 1.0, v60
	v_add_f32_e32 v63, -1.0, v62
	v_sub_f32_e32 v61, v59, v61
	v_sub_f32_e32 v59, v59, v63
	v_add_f32_e32 v61, v58, v61
	v_add_f32_e32 v58, v58, v59
	;; [unrolled: 1-line block ×3, first 2 shown]
	v_rcp_f32_e32 v69, v67
	v_sub_f32_e32 v59, v62, v67
	v_add_f32_e32 v68, v58, v59
	v_add_f32_e32 v59, v60, v61
	v_mul_f32_e32 v71, v59, v69
	v_sub_f32_e32 v58, v60, v59
	v_mul_f32_e32 v60, v67, v71
	v_fma_f32 v62, v71, v67, -v60
	v_fmac_f32_e32 v62, v71, v68
	v_add_f32_e32 v70, v61, v58
	v_add_f32_e32 v58, v60, v62
	v_sub_f32_e32 v61, v59, v58
	v_pk_add_f32 v[64:65], v[58:59], v[60:61] neg_lo:[0,1] neg_hi:[0,1]
	v_mov_b32_e32 v63, v58
	v_pk_add_f32 v[58:59], v[64:65], v[62:63] neg_lo:[0,1] neg_hi:[0,1]
	v_cmp_eq_f32_e32 vcc, s3, v74
	v_add_f32_e32 v59, v70, v59
	v_add_f32_e32 v58, v58, v59
	;; [unrolled: 1-line block ×3, first 2 shown]
	v_mul_f32_e32 v70, v69, v59
	v_mul_f32_e32 v60, v67, v70
	v_fma_f32 v62, v70, v67, -v60
	v_fmac_f32_e32 v62, v70, v68
	v_sub_f32_e32 v61, v61, v59
	v_add_f32_e32 v67, v58, v61
	v_add_f32_e32 v58, v60, v62
	v_sub_f32_e32 v61, v59, v58
	v_pk_add_f32 v[64:65], v[58:59], v[60:61] neg_lo:[0,1] neg_hi:[0,1]
	v_mov_b32_e32 v63, v58
	v_pk_add_f32 v[58:59], v[64:65], v[62:63] neg_lo:[0,1] neg_hi:[0,1]
	v_cvt_f32_i32_e32 v60, v66
	v_add_f32_e32 v59, v67, v59
	v_add_f32_e32 v58, v58, v59
	;; [unrolled: 1-line block ×4, first 2 shown]
	v_sub_f32_e32 v59, v61, v71
	v_mul_f32_e32 v58, v69, v58
	v_sub_f32_e32 v59, v70, v59
	v_add_f32_e32 v58, v59, v58
	v_add_f32_e32 v62, v61, v58
	v_mul_f32_e32 v64, v62, v62
	v_mov_b32_e32 v59, 0x3ecc95a3
	v_sub_f32_e32 v61, v62, v61
	v_fmac_f32_e32 v59, 0x3e9b6dac, v64
	v_sub_f32_e32 v58, v58, v61
	v_fmaak_f32 v59, v64, v59, 0x3f2aaada
	v_ldexp_f32 v65, v58, 1
	v_mul_f32_e32 v61, v62, v64
	v_mov_b32_e32 v58, 0x3f317218
	v_pk_mul_f32 v[58:59], v[60:61], v[58:59]
	v_ldexp_f32 v63, v62, 1
	v_fma_f32 v61, v60, s2, -v58
	v_fmamk_f32 v62, v60, 0xb102e308, v61
	v_pk_add_f32 v[60:61], v[58:59], v[62:63]
	v_mov_b32_e32 v64, v58
	v_sub_f32_e32 v63, v61, v63
	v_sub_f32_e32 v63, v59, v63
	v_add_f32_e32 v65, v65, v63
	v_pk_add_f32 v[58:59], v[60:61], v[58:59] neg_lo:[0,1] neg_hi:[0,1]
	v_pk_add_f32 v[66:67], v[60:61], v[64:65]
	v_mov_b32_e32 v63, v60
	v_mov_b32_e32 v59, v67
	v_pk_add_f32 v[68:69], v[62:63], v[58:59] neg_lo:[0,1] neg_hi:[0,1]
	v_pk_add_f32 v[58:59], v[62:63], v[58:59]
	v_mov_b32_e32 v64, v65
	v_mov_b32_e32 v62, v59
	v_pk_add_f32 v[70:71], v[62:63], v[60:61] neg_lo:[0,1] neg_hi:[0,1]
	v_mov_b32_e32 v58, v67
	v_mov_b32_e32 v63, v70
	v_pk_add_f32 v[72:73], v[66:67], v[62:63] neg_lo:[0,1] neg_hi:[0,1]
	v_mov_b32_e32 v66, v61
	v_mov_b32_e32 v67, v70
	;; [unrolled: 1-line block ×3, first 2 shown]
	v_pk_add_f32 v[58:59], v[58:59], v[66:67] neg_lo:[0,1] neg_hi:[0,1]
	v_mov_b32_e32 v65, v60
	v_pk_add_f32 v[58:59], v[64:65], v[58:59] neg_lo:[0,1] neg_hi:[0,1]
	v_mov_b32_e32 v72, v68
	v_pk_add_f32 v[60:61], v[72:73], v[58:59]
	s_mov_b32 s2, 0x33800000
	v_mov_b32_e32 v64, v61
	v_pk_add_f32 v[64:65], v[60:61], v[64:65]
	v_cmp_lt_f32_e64 s[2:3], |v74|, s2
	v_pk_add_f32 v[62:63], v[62:63], v[64:65]
	v_mov_b32_e32 v59, v64
	v_mov_b32_e32 v61, v62
	v_pk_add_f32 v[66:67], v[60:61], v[68:69] neg_lo:[0,1] neg_hi:[0,1]
	s_or_b64 vcc, vcc, s[2:3]
	v_sub_f32_e32 v60, v60, v66
	v_pk_add_f32 v[58:59], v[58:59], v[66:67] neg_lo:[0,1] neg_hi:[0,1]
	v_sub_f32_e32 v60, v68, v60
	v_add_f32_e32 v58, v58, v60
	v_add_f32_e32 v58, v58, v59
	;; [unrolled: 1-line block ×3, first 2 shown]
	v_cndmask_b32_e32 v58, v58, v74, vcc
	v_add_f32_e32 v58, v57, v58
.LBB469_128:
	s_or_b64 exec, exec, s[0:1]
	v_bfe_u32 v57, v58, 16, 1
	s_movk_i32 s0, 0x7fff
	v_add3_u32 v57, v58, v57, s0
	v_lshrrev_b32_e32 v57, 16, v57
	v_mov_b32_e32 v59, 0x7fc0
	v_cmp_o_f32_e32 vcc, v58, v58
	s_nop 1
	v_cndmask_b32_e32 v58, v59, v57, vcc
.LBB469_129:
	s_or_b64 exec, exec, s[96:97]
	ds_write_b16 v14, v58
.LBB469_130:
	s_or_b64 exec, exec, s[98:99]
	v_cmp_lt_u32_e32 vcc, 63, v0
	s_waitcnt lgkmcnt(0)
	s_barrier
	s_waitcnt lgkmcnt(0)
                                        ; implicit-def: $vgpr57
	s_and_saveexec_b64 s[98:99], vcc
	s_cbranch_execz .LBB469_134
; %bb.131:
	v_lshl_add_u32 v55, v55, 1, -2
	ds_read_u16 v57, v55
	v_lshlrev_b32_e32 v55, 16, v56
	v_max_f32_e32 v59, v55, v55
	v_cmp_u_f32_e32 vcc, v55, v55
	s_waitcnt lgkmcnt(0)
	v_lshlrev_b32_e32 v56, 16, v57
	v_max_f32_e32 v60, v56, v56
	v_cmp_u_f32_e64 s[0:1], v56, v56
	v_min_f32_e32 v58, v60, v59
	v_max_f32_e32 v59, v60, v59
	v_cndmask_b32_e64 v58, v58, v56, s[0:1]
	v_cndmask_b32_e64 v59, v59, v56, s[0:1]
	v_cndmask_b32_e32 v58, v58, v55, vcc
	v_cndmask_b32_e32 v55, v59, v55, vcc
	s_movk_i32 s0, 0x1f8
	v_cmp_neq_f32_e32 vcc, v58, v55
	v_cmp_class_f32_e64 s[0:1], v58, s0
	s_or_b64 s[2:3], vcc, s[0:1]
	s_and_saveexec_b64 s[0:1], s[2:3]
	s_cbranch_execz .LBB469_133
; %bb.132:
	v_sub_f32_e32 v56, v58, v55
	s_mov_b32 s2, 0x3fb8aa3b
	v_mul_f32_e32 v58, 0x3fb8aa3b, v56
	v_fma_f32 v59, v56, s2, -v58
	v_rndne_f32_e32 v60, v58
	v_fmamk_f32 v59, v56, 0x32a5705f, v59
	v_sub_f32_e32 v58, v58, v60
	v_add_f32_e32 v58, v58, v59
	v_exp_f32_e32 v58, v58
	v_cvt_i32_f32_e32 v59, v60
	s_mov_b32 s2, 0xc2ce8ed0
	v_cmp_ngt_f32_e32 vcc, s2, v56
	s_mov_b32 s2, 0x42b17218
	v_ldexp_f32 v58, v58, v59
	v_cndmask_b32_e32 v58, 0, v58, vcc
	v_mov_b32_e32 v59, 0x7f800000
	v_cmp_nlt_f32_e32 vcc, s2, v56
	s_mov_b32 s2, 0x3f2aaaab
	s_mov_b32 s3, 0x7f800000
	v_cndmask_b32_e32 v72, v59, v58, vcc
	v_add_f32_e32 v56, 1.0, v72
	v_add_f32_e32 v58, -1.0, v56
	v_sub_f32_e32 v59, v58, v56
	v_add_f32_e32 v59, 1.0, v59
	v_sub_f32_e32 v58, v72, v58
	v_add_f32_e32 v60, v58, v59
	v_frexp_mant_f32_e32 v61, v56
	v_cvt_f64_f32_e32 v[58:59], v56
	v_frexp_exp_i32_f64_e32 v58, v[58:59]
	v_cmp_gt_f32_e32 vcc, s2, v61
	s_mov_b32 s2, 0x3f317218
	s_nop 0
	v_subbrev_co_u32_e32 v66, vcc, 0, v58, vcc
	v_sub_u32_e32 v58, 0, v66
	v_ldexp_f32 v56, v56, v58
	v_ldexp_f32 v58, v60, v58
	v_add_f32_e32 v60, -1.0, v56
	v_add_f32_e32 v59, 1.0, v60
	v_sub_f32_e32 v59, v56, v59
	v_add_f32_e32 v61, v58, v59
	v_add_f32_e32 v59, 1.0, v56
	v_add_f32_e32 v62, -1.0, v59
	v_sub_f32_e32 v56, v56, v62
	v_add_f32_e32 v56, v58, v56
	v_add_f32_e32 v67, v59, v56
	v_rcp_f32_e32 v68, v67
	v_sub_f32_e32 v58, v59, v67
	v_add_f32_e32 v59, v60, v61
	v_add_f32_e32 v56, v56, v58
	v_mul_f32_e32 v70, v59, v68
	v_sub_f32_e32 v58, v60, v59
	v_mul_f32_e32 v60, v67, v70
	v_fma_f32 v62, v70, v67, -v60
	v_fmac_f32_e32 v62, v70, v56
	v_add_f32_e32 v69, v61, v58
	v_add_f32_e32 v58, v60, v62
	v_sub_f32_e32 v61, v59, v58
	v_pk_add_f32 v[64:65], v[58:59], v[60:61] neg_lo:[0,1] neg_hi:[0,1]
	v_mov_b32_e32 v63, v58
	v_pk_add_f32 v[58:59], v[64:65], v[62:63] neg_lo:[0,1] neg_hi:[0,1]
	v_cmp_eq_f32_e32 vcc, s3, v72
	v_add_f32_e32 v59, v69, v59
	v_add_f32_e32 v58, v58, v59
	;; [unrolled: 1-line block ×3, first 2 shown]
	v_mul_f32_e32 v69, v68, v59
	v_mul_f32_e32 v60, v67, v69
	v_fma_f32 v62, v69, v67, -v60
	v_fmac_f32_e32 v62, v69, v56
	v_sub_f32_e32 v56, v61, v59
	v_add_f32_e32 v56, v58, v56
	v_add_f32_e32 v58, v60, v62
	v_sub_f32_e32 v61, v59, v58
	v_pk_add_f32 v[64:65], v[58:59], v[60:61] neg_lo:[0,1] neg_hi:[0,1]
	v_mov_b32_e32 v63, v58
	v_pk_add_f32 v[58:59], v[64:65], v[62:63] neg_lo:[0,1] neg_hi:[0,1]
	v_cvt_f32_i32_e32 v60, v66
	v_add_f32_e32 v56, v56, v59
	v_add_f32_e32 v56, v58, v56
	v_add_f32_e32 v58, v70, v69
	v_add_f32_e32 v56, v61, v56
	v_sub_f32_e32 v59, v58, v70
	v_mul_f32_e32 v56, v68, v56
	v_sub_f32_e32 v59, v69, v59
	v_add_f32_e32 v56, v59, v56
	v_add_f32_e32 v61, v58, v56
	v_mul_f32_e32 v62, v61, v61
	v_mov_b32_e32 v59, 0x3ecc95a3
	v_fmac_f32_e32 v59, 0x3e9b6dac, v62
	v_sub_f32_e32 v58, v61, v58
	v_fmaak_f32 v59, v62, v59, 0x3f2aaada
	v_sub_f32_e32 v56, v56, v58
	v_ldexp_f32 v63, v61, 1
	v_mul_f32_e32 v61, v61, v62
	v_mov_b32_e32 v58, 0x3f317218
	v_pk_mul_f32 v[58:59], v[60:61], v[58:59]
	v_ldexp_f32 v56, v56, 1
	v_fma_f32 v61, v60, s2, -v58
	v_fmamk_f32 v62, v60, 0xb102e308, v61
	v_pk_add_f32 v[60:61], v[58:59], v[62:63]
	v_mov_b32_e32 v64, v58
	v_sub_f32_e32 v63, v61, v63
	v_sub_f32_e32 v63, v59, v63
	v_add_f32_e32 v65, v56, v63
	v_pk_add_f32 v[58:59], v[60:61], v[58:59] neg_lo:[0,1] neg_hi:[0,1]
	v_pk_add_f32 v[66:67], v[60:61], v[64:65]
	v_mov_b32_e32 v63, v60
	v_mov_b32_e32 v59, v67
	v_pk_add_f32 v[68:69], v[62:63], v[58:59] neg_lo:[0,1] neg_hi:[0,1]
	v_pk_add_f32 v[58:59], v[62:63], v[58:59]
	s_mov_b32 s2, 0x33800000
	v_mov_b32_e32 v56, v59
	v_pk_add_f32 v[62:63], v[56:57], v[60:61] neg_lo:[0,1] neg_hi:[0,1]
	v_mov_b32_e32 v58, v67
	v_mov_b32_e32 v63, v62
	v_pk_add_f32 v[70:71], v[66:67], v[62:63] neg_lo:[0,1] neg_hi:[0,1]
	v_mov_b32_e32 v66, v61
	v_mov_b32_e32 v67, v62
	;; [unrolled: 1-line block ×3, first 2 shown]
	v_pk_add_f32 v[58:59], v[58:59], v[66:67] neg_lo:[0,1] neg_hi:[0,1]
	v_mov_b32_e32 v62, v65
	v_mov_b32_e32 v63, v60
	v_pk_add_f32 v[58:59], v[62:63], v[58:59] neg_lo:[0,1] neg_hi:[0,1]
	v_mov_b32_e32 v70, v68
	v_pk_add_f32 v[60:61], v[70:71], v[58:59]
	v_cmp_lt_f32_e64 s[2:3], |v72|, s2
	v_mov_b32_e32 v62, v61
	v_pk_add_f32 v[62:63], v[60:61], v[62:63]
	s_or_b64 vcc, vcc, s[2:3]
	v_pk_add_f32 v[64:65], v[56:57], v[62:63]
	v_mov_b32_e32 v59, v62
	v_mov_b32_e32 v61, v64
	v_pk_add_f32 v[66:67], v[60:61], v[68:69] neg_lo:[0,1] neg_hi:[0,1]
	s_nop 0
	v_sub_f32_e32 v56, v60, v66
	v_pk_add_f32 v[58:59], v[58:59], v[66:67] neg_lo:[0,1] neg_hi:[0,1]
	v_sub_f32_e32 v56, v68, v56
	v_add_f32_e32 v56, v58, v56
	v_add_f32_e32 v56, v56, v59
	;; [unrolled: 1-line block ×3, first 2 shown]
	v_cndmask_b32_e32 v56, v56, v72, vcc
	v_add_f32_e32 v56, v55, v56
.LBB469_133:
	s_or_b64 exec, exec, s[0:1]
	v_bfe_u32 v55, v56, 16, 1
	s_movk_i32 s0, 0x7fff
	v_add3_u32 v55, v56, v55, s0
	v_lshrrev_b32_e32 v55, 16, v55
	v_mov_b32_e32 v58, 0x7fc0
	v_cmp_o_f32_e32 vcc, v56, v56
	s_nop 1
	v_cndmask_b32_e32 v56, v58, v55, vcc
.LBB469_134:
	s_or_b64 exec, exec, s[98:99]
	v_and_b32_e32 v55, 0xffff, v56
	v_add_u32_e32 v56, -1, v54
	v_and_b32_e32 v58, 64, v54
	v_cmp_lt_i32_e32 vcc, v56, v58
	s_nop 1
	v_cndmask_b32_e32 v56, v56, v54, vcc
	v_lshlrev_b32_e32 v56, 2, v56
	ds_bpermute_b32 v55, v56, v55
	v_cmp_ne_u32_e32 vcc, 0, v0
	s_and_saveexec_b64 s[0:1], vcc
	s_cbranch_execz .LBB469_138
; %bb.135:
	v_cmp_eq_u32_e32 vcc, 0, v54
	s_movk_i32 s2, 0x1f8
	s_waitcnt lgkmcnt(0)
	v_cndmask_b32_e32 v0, v55, v57, vcc
	v_lshlrev_b32_e32 v2, 16, v0
	v_max_f32_e32 v0, v2, v2
	v_min_f32_e32 v50, v0, v51
	v_cmp_u_f32_e32 vcc, v2, v2
	v_max_f32_e32 v0, v0, v51
	s_nop 0
	v_cndmask_b32_e32 v50, v50, v2, vcc
	v_cndmask_b32_e32 v0, v0, v2, vcc
	v_cndmask_b32_e64 v50, v50, v49, s[94:95]
	v_cndmask_b32_e64 v0, v0, v49, s[94:95]
	v_cmp_neq_f32_e32 vcc, v50, v0
	v_cmp_class_f32_e64 s[2:3], v50, s2
	s_or_b64 s[2:3], vcc, s[2:3]
	s_and_saveexec_b64 s[94:95], s[2:3]
	s_cbranch_execz .LBB469_137
; %bb.136:
	v_sub_f32_e32 v2, v50, v0
	s_mov_b32 s2, 0x3fb8aa3b
	v_mul_f32_e32 v49, 0x3fb8aa3b, v2
	v_fma_f32 v50, v2, s2, -v49
	v_rndne_f32_e32 v51, v49
	v_fmamk_f32 v50, v2, 0x32a5705f, v50
	v_sub_f32_e32 v49, v49, v51
	v_add_f32_e32 v49, v49, v50
	v_exp_f32_e32 v49, v49
	v_cvt_i32_f32_e32 v50, v51
	s_mov_b32 s2, 0xc2ce8ed0
	v_cmp_ngt_f32_e32 vcc, s2, v2
	s_mov_b32 s2, 0x42b17218
	v_ldexp_f32 v49, v49, v50
	v_cndmask_b32_e32 v49, 0, v49, vcc
	v_mov_b32_e32 v50, 0x7f800000
	v_cmp_nlt_f32_e32 vcc, s2, v2
	s_mov_b32 s2, 0x3f2aaaab
	s_mov_b32 s3, 0x7f800000
	v_cndmask_b32_e32 v66, v50, v49, vcc
	v_add_f32_e32 v2, 1.0, v66
	v_add_f32_e32 v49, -1.0, v2
	v_sub_f32_e32 v50, v49, v2
	v_add_f32_e32 v50, 1.0, v50
	v_sub_f32_e32 v49, v66, v49
	v_add_f32_e32 v49, v49, v50
	v_frexp_mant_f32_e32 v52, v2
	v_cvt_f64_f32_e32 v[50:51], v2
	v_frexp_exp_i32_f64_e32 v50, v[50:51]
	v_cmp_gt_f32_e32 vcc, s2, v52
	s_mov_b32 s2, 0x3f317218
	s_nop 0
	v_subbrev_co_u32_e32 v52, vcc, 0, v50, vcc
	v_sub_u32_e32 v50, 0, v52
	v_ldexp_f32 v2, v2, v50
	v_ldexp_f32 v49, v49, v50
	v_add_f32_e32 v50, -1.0, v2
	v_add_f32_e32 v51, 1.0, v50
	v_sub_f32_e32 v51, v2, v51
	v_add_f32_e32 v54, v49, v51
	v_add_f32_e32 v51, 1.0, v2
	v_add_f32_e32 v55, -1.0, v51
	v_sub_f32_e32 v2, v2, v55
	v_add_f32_e32 v2, v49, v2
	v_add_f32_e32 v49, v51, v2
	v_rcp_f32_e32 v60, v49
	v_sub_f32_e32 v51, v51, v49
	v_add_f32_e32 v2, v2, v51
	v_add_f32_e32 v51, v50, v54
	v_sub_f32_e32 v50, v50, v51
	v_mul_f32_e32 v62, v51, v60
	v_add_f32_e32 v61, v54, v50
	v_mul_f32_e32 v54, v49, v62
	v_fma_f32 v56, v62, v49, -v54
	v_fmac_f32_e32 v56, v62, v2
	v_add_f32_e32 v50, v54, v56
	v_sub_f32_e32 v55, v51, v50
	v_pk_add_f32 v[58:59], v[50:51], v[54:55] neg_lo:[0,1] neg_hi:[0,1]
	v_mov_b32_e32 v57, v50
	v_pk_add_f32 v[50:51], v[58:59], v[56:57] neg_lo:[0,1] neg_hi:[0,1]
	v_cmp_eq_f32_e32 vcc, s3, v66
	v_add_f32_e32 v51, v61, v51
	v_add_f32_e32 v50, v50, v51
	v_add_f32_e32 v51, v55, v50
	v_mul_f32_e32 v61, v60, v51
	v_mul_f32_e32 v54, v49, v61
	v_fma_f32 v56, v61, v49, -v54
	v_fmac_f32_e32 v56, v61, v2
	v_sub_f32_e32 v2, v55, v51
	v_add_f32_e32 v2, v50, v2
	v_add_f32_e32 v50, v54, v56
	v_sub_f32_e32 v55, v51, v50
	v_pk_add_f32 v[58:59], v[50:51], v[54:55] neg_lo:[0,1] neg_hi:[0,1]
	v_mov_b32_e32 v57, v50
	v_pk_add_f32 v[50:51], v[58:59], v[56:57] neg_lo:[0,1] neg_hi:[0,1]
	v_add_f32_e32 v49, v62, v61
	v_add_f32_e32 v2, v2, v51
	;; [unrolled: 1-line block ×4, first 2 shown]
	v_sub_f32_e32 v50, v49, v62
	v_mul_f32_e32 v2, v60, v2
	v_sub_f32_e32 v50, v61, v50
	v_add_f32_e32 v2, v50, v2
	v_add_f32_e32 v50, v49, v2
	v_cvt_f32_i32_e32 v54, v52
	v_mul_f32_e32 v55, v50, v50
	v_mov_b32_e32 v51, 0x3ecc95a3
	v_fmac_f32_e32 v51, 0x3e9b6dac, v55
	v_fmaak_f32 v51, v55, v51, 0x3f2aaada
	v_sub_f32_e32 v49, v50, v49
	v_ldexp_f32 v57, v50, 1
	v_mul_f32_e32 v55, v50, v55
	v_mov_b32_e32 v50, 0x3f317218
	v_pk_mul_f32 v[50:51], v[54:55], v[50:51]
	v_sub_f32_e32 v2, v2, v49
	v_fma_f32 v49, v54, s2, -v50
	v_fmamk_f32 v56, v54, 0xb102e308, v49
	v_pk_add_f32 v[54:55], v[50:51], v[56:57]
	v_ldexp_f32 v2, v2, 1
	v_sub_f32_e32 v49, v55, v57
	v_sub_f32_e32 v49, v51, v49
	v_add_f32_e32 v59, v2, v49
	v_mov_b32_e32 v58, v50
	v_pk_add_f32 v[50:51], v[54:55], v[50:51] neg_lo:[0,1] neg_hi:[0,1]
	v_pk_add_f32 v[60:61], v[54:55], v[58:59]
	v_mov_b32_e32 v57, v54
	v_mov_b32_e32 v51, v61
	v_pk_add_f32 v[62:63], v[56:57], v[50:51] neg_lo:[0,1] neg_hi:[0,1]
	v_pk_add_f32 v[50:51], v[56:57], v[50:51]
	s_mov_b32 s2, 0x33800000
	v_mov_b32_e32 v2, v51
	v_pk_add_f32 v[56:57], v[2:3], v[54:55] neg_lo:[0,1] neg_hi:[0,1]
	v_mov_b32_e32 v50, v61
	v_mov_b32_e32 v49, v56
	v_pk_add_f32 v[64:65], v[60:61], v[48:49] neg_lo:[0,1] neg_hi:[0,1]
	v_mov_b32_e32 v60, v55
	v_mov_b32_e32 v61, v56
	v_mov_b32_e32 v63, v51
	v_pk_add_f32 v[50:51], v[50:51], v[60:61] neg_lo:[0,1] neg_hi:[0,1]
	v_mov_b32_e32 v56, v59
	v_mov_b32_e32 v57, v54
	v_pk_add_f32 v[50:51], v[56:57], v[50:51] neg_lo:[0,1] neg_hi:[0,1]
	v_mov_b32_e32 v64, v62
	v_pk_add_f32 v[54:55], v[64:65], v[50:51]
	v_cmp_lt_f32_e64 s[2:3], |v66|, s2
	v_mov_b32_e32 v52, v55
	v_pk_add_f32 v[56:57], v[54:55], v[52:53]
	s_or_b64 vcc, vcc, s[2:3]
	v_pk_add_f32 v[58:59], v[2:3], v[56:57]
	v_mov_b32_e32 v51, v56
	v_mov_b32_e32 v55, v58
	v_pk_add_f32 v[60:61], v[54:55], v[62:63] neg_lo:[0,1] neg_hi:[0,1]
	s_nop 0
	v_sub_f32_e32 v2, v54, v60
	v_pk_add_f32 v[50:51], v[50:51], v[60:61] neg_lo:[0,1] neg_hi:[0,1]
	v_sub_f32_e32 v2, v62, v2
	v_add_f32_e32 v2, v50, v2
	v_add_f32_e32 v2, v2, v51
	;; [unrolled: 1-line block ×3, first 2 shown]
	v_cndmask_b32_e32 v2, v2, v66, vcc
	v_add_f32_e32 v2, v0, v2
.LBB469_137:
	s_or_b64 exec, exec, s[94:95]
	v_bfe_u32 v0, v2, 16, 1
	s_movk_i32 s2, 0x7fff
	v_add3_u32 v0, v2, v0, s2
	v_lshrrev_b32_e32 v0, 16, v0
	v_mov_b32_e32 v49, 0x7fc0
	v_cmp_o_f32_e32 vcc, v2, v2
	;;#ASMSTART
	;;#ASMEND
	s_nop 1
	v_cndmask_b32_e32 v2, v49, v0, vcc
	v_lshlrev_b32_e32 v49, 16, v2
	v_max_f32_e32 v0, v49, v49
	v_min_f32_e32 v50, v0, v24
	v_max_f32_e32 v52, v0, v24
.LBB469_138:
	s_or_b64 exec, exec, s[0:1]
	v_cmp_u_f32_e32 vcc, v49, v49
	s_nop 1
	v_cndmask_b32_e32 v0, v50, v49, vcc
	v_cndmask_b32_e64 v24, v0, v1, s[48:49]
	v_cndmask_b32_e32 v0, v52, v49, vcc
	v_cndmask_b32_e64 v0, v0, v1, s[48:49]
	v_cmp_neq_f32_e32 vcc, v24, v0
	v_cmp_class_f32_e64 s[0:1], v24, s33
	s_or_b64 s[2:3], vcc, s[0:1]
	s_and_saveexec_b64 s[0:1], s[2:3]
	s_cbranch_execz .LBB469_140
; %bb.139:
	v_sub_f32_e32 v1, v24, v0
	s_mov_b32 s2, 0x3fb8aa3b
	v_mul_f32_e32 v24, 0x3fb8aa3b, v1
	v_fma_f32 v49, v1, s2, -v24
	v_rndne_f32_e32 v50, v24
	v_fmamk_f32 v49, v1, 0x32a5705f, v49
	v_sub_f32_e32 v24, v24, v50
	v_add_f32_e32 v24, v24, v49
	v_exp_f32_e32 v24, v24
	v_cvt_i32_f32_e32 v49, v50
	s_mov_b32 s2, 0xc2ce8ed0
	v_cmp_ngt_f32_e32 vcc, s2, v1
	s_mov_b32 s2, 0x42b17218
	v_ldexp_f32 v24, v24, v49
	v_cndmask_b32_e32 v24, 0, v24, vcc
	v_mov_b32_e32 v49, 0x7f800000
	v_cmp_nlt_f32_e32 vcc, s2, v1
	s_mov_b32 s2, 0x3f2aaaab
	s_mov_b32 s3, 0x7f800000
	v_cndmask_b32_e32 v49, v49, v24, vcc
	v_add_f32_e32 v1, 1.0, v49
	v_add_f32_e32 v24, -1.0, v1
	v_sub_f32_e32 v50, v24, v1
	v_add_f32_e32 v50, 1.0, v50
	v_sub_f32_e32 v24, v49, v24
	v_add_f32_e32 v24, v24, v50
	v_frexp_mant_f32_e32 v52, v1
	v_cvt_f64_f32_e32 v[50:51], v1
	v_frexp_exp_i32_f64_e32 v50, v[50:51]
	v_cmp_gt_f32_e32 vcc, s2, v52
	s_mov_b32 s2, 0x3f317218
	s_nop 0
	v_subbrev_co_u32_e32 v52, vcc, 0, v50, vcc
	v_sub_u32_e32 v50, 0, v52
	v_ldexp_f32 v1, v1, v50
	v_ldexp_f32 v24, v24, v50
	v_add_f32_e32 v50, -1.0, v1
	v_add_f32_e32 v51, 1.0, v50
	v_sub_f32_e32 v51, v1, v51
	v_add_f32_e32 v54, v24, v51
	v_add_f32_e32 v51, 1.0, v1
	s_waitcnt lgkmcnt(0)
	v_add_f32_e32 v55, -1.0, v51
	v_sub_f32_e32 v1, v1, v55
	v_add_f32_e32 v1, v24, v1
	v_add_f32_e32 v24, v51, v1
	v_rcp_f32_e32 v60, v24
	v_sub_f32_e32 v51, v51, v24
	v_add_f32_e32 v1, v1, v51
	v_add_f32_e32 v51, v50, v54
	v_sub_f32_e32 v50, v50, v51
	v_mul_f32_e32 v62, v51, v60
	v_add_f32_e32 v61, v54, v50
	v_mul_f32_e32 v54, v24, v62
	v_fma_f32 v56, v62, v24, -v54
	v_fmac_f32_e32 v56, v62, v1
	v_add_f32_e32 v50, v54, v56
	v_sub_f32_e32 v55, v51, v50
	v_pk_add_f32 v[58:59], v[50:51], v[54:55] neg_lo:[0,1] neg_hi:[0,1]
	v_mov_b32_e32 v57, v50
	v_pk_add_f32 v[50:51], v[58:59], v[56:57] neg_lo:[0,1] neg_hi:[0,1]
	v_cmp_eq_f32_e32 vcc, s3, v49
	v_add_f32_e32 v51, v61, v51
	v_add_f32_e32 v50, v50, v51
	;; [unrolled: 1-line block ×3, first 2 shown]
	v_mul_f32_e32 v61, v60, v51
	v_mul_f32_e32 v54, v24, v61
	v_fma_f32 v56, v61, v24, -v54
	v_fmac_f32_e32 v56, v61, v1
	v_sub_f32_e32 v1, v55, v51
	v_add_f32_e32 v1, v50, v1
	v_add_f32_e32 v50, v54, v56
	v_sub_f32_e32 v55, v51, v50
	v_pk_add_f32 v[58:59], v[50:51], v[54:55] neg_lo:[0,1] neg_hi:[0,1]
	v_mov_b32_e32 v57, v50
	v_pk_add_f32 v[50:51], v[58:59], v[56:57] neg_lo:[0,1] neg_hi:[0,1]
	v_add_f32_e32 v24, v62, v61
	v_add_f32_e32 v1, v1, v51
	;; [unrolled: 1-line block ×4, first 2 shown]
	v_sub_f32_e32 v50, v24, v62
	v_mul_f32_e32 v1, v60, v1
	v_sub_f32_e32 v50, v61, v50
	v_add_f32_e32 v1, v50, v1
	v_add_f32_e32 v50, v24, v1
	v_cvt_f32_i32_e32 v54, v52
	v_mul_f32_e32 v55, v50, v50
	v_mov_b32_e32 v51, 0x3ecc95a3
	v_fmac_f32_e32 v51, 0x3e9b6dac, v55
	v_fmaak_f32 v51, v55, v51, 0x3f2aaada
	v_sub_f32_e32 v24, v50, v24
	v_ldexp_f32 v57, v50, 1
	v_mul_f32_e32 v55, v50, v55
	v_mov_b32_e32 v50, 0x3f317218
	v_pk_mul_f32 v[50:51], v[54:55], v[50:51]
	v_sub_f32_e32 v1, v1, v24
	v_fma_f32 v24, v54, s2, -v50
	v_fmamk_f32 v56, v54, 0xb102e308, v24
	v_pk_add_f32 v[54:55], v[50:51], v[56:57]
	v_ldexp_f32 v1, v1, 1
	v_sub_f32_e32 v24, v55, v57
	v_sub_f32_e32 v24, v51, v24
	v_add_f32_e32 v59, v1, v24
	v_mov_b32_e32 v58, v50
	v_pk_add_f32 v[50:51], v[54:55], v[50:51] neg_lo:[0,1] neg_hi:[0,1]
	v_pk_add_f32 v[60:61], v[54:55], v[58:59]
	v_mov_b32_e32 v57, v54
	v_mov_b32_e32 v51, v61
	v_pk_add_f32 v[62:63], v[56:57], v[50:51] neg_lo:[0,1] neg_hi:[0,1]
	v_pk_add_f32 v[50:51], v[56:57], v[50:51]
	s_mov_b32 s2, 0x33800000
	v_mov_b32_e32 v24, v51
	v_pk_add_f32 v[56:57], v[24:25], v[54:55] neg_lo:[0,1] neg_hi:[0,1]
	v_mov_b32_e32 v50, v61
	v_mov_b32_e32 v1, v56
	v_pk_add_f32 v[64:65], v[60:61], v[0:1] neg_lo:[0,1] neg_hi:[0,1]
	v_mov_b32_e32 v60, v55
	v_mov_b32_e32 v61, v56
	;; [unrolled: 1-line block ×3, first 2 shown]
	v_pk_add_f32 v[50:51], v[50:51], v[60:61] neg_lo:[0,1] neg_hi:[0,1]
	v_mov_b32_e32 v56, v59
	v_mov_b32_e32 v57, v54
	v_pk_add_f32 v[50:51], v[56:57], v[50:51] neg_lo:[0,1] neg_hi:[0,1]
	v_mov_b32_e32 v64, v62
	v_pk_add_f32 v[54:55], v[64:65], v[50:51]
	v_cmp_lt_f32_e64 s[2:3], |v49|, s2
	v_mov_b32_e32 v52, v55
	v_pk_add_f32 v[56:57], v[54:55], v[52:53]
	s_or_b64 vcc, vcc, s[2:3]
	v_pk_add_f32 v[58:59], v[24:25], v[56:57]
	v_mov_b32_e32 v51, v56
	v_mov_b32_e32 v55, v58
	v_pk_add_f32 v[60:61], v[54:55], v[62:63] neg_lo:[0,1] neg_hi:[0,1]
	s_nop 0
	v_sub_f32_e32 v1, v54, v60
	v_pk_add_f32 v[50:51], v[50:51], v[60:61] neg_lo:[0,1] neg_hi:[0,1]
	v_sub_f32_e32 v1, v62, v1
	v_add_f32_e32 v1, v50, v1
	v_add_f32_e32 v1, v1, v51
	v_add_f32_e32 v1, v58, v1
	v_cndmask_b32_e32 v1, v1, v49, vcc
	v_add_f32_e32 v49, v0, v1
.LBB469_140:
	s_or_b64 exec, exec, s[0:1]
	v_bfe_u32 v0, v49, 16, 1
	s_movk_i32 s48, 0x7fff
	v_add3_u32 v0, v49, v0, s48
	v_lshrrev_b32_e32 v0, 16, v0
	v_mov_b32_e32 v1, 0x7fc0
	v_cmp_o_f32_e32 vcc, v49, v49
	s_nop 1
	v_cndmask_b32_e32 v0, v1, v0, vcc
	v_lshlrev_b32_e32 v24, 16, v0
	v_max_f32_e32 v50, v24, v24
	v_min_f32_e32 v49, v50, v17
	v_cmp_u_f32_e32 vcc, v24, v24
	v_max_f32_e32 v17, v50, v17
	s_nop 0
	v_cndmask_b32_e32 v49, v49, v24, vcc
	v_cndmask_b32_e32 v17, v17, v24, vcc
	v_cndmask_b32_e64 v49, v49, v15, s[50:51]
	v_cndmask_b32_e64 v15, v17, v15, s[50:51]
	v_cmp_neq_f32_e32 vcc, v49, v15
	v_cmp_class_f32_e64 s[0:1], v49, s33
	s_or_b64 s[2:3], vcc, s[0:1]
	s_and_saveexec_b64 s[0:1], s[2:3]
	s_cbranch_execz .LBB469_142
; %bb.141:
	v_sub_f32_e32 v17, v49, v15
	s_mov_b32 s2, 0x3fb8aa3b
	v_mul_f32_e32 v24, 0x3fb8aa3b, v17
	v_fma_f32 v49, v17, s2, -v24
	v_rndne_f32_e32 v50, v24
	v_fmamk_f32 v49, v17, 0x32a5705f, v49
	v_sub_f32_e32 v24, v24, v50
	v_add_f32_e32 v24, v24, v49
	v_exp_f32_e32 v24, v24
	v_cvt_i32_f32_e32 v49, v50
	s_mov_b32 s2, 0xc2ce8ed0
	v_cmp_ngt_f32_e32 vcc, s2, v17
	s_mov_b32 s2, 0x42b17218
	v_ldexp_f32 v24, v24, v49
	v_cndmask_b32_e32 v24, 0, v24, vcc
	v_mov_b32_e32 v49, 0x7f800000
	v_cmp_nlt_f32_e32 vcc, s2, v17
	s_mov_b32 s2, 0x3f2aaaab
	s_mov_b32 s3, 0x7f800000
	v_cndmask_b32_e32 v49, v49, v24, vcc
	v_add_f32_e32 v17, 1.0, v49
	v_add_f32_e32 v24, -1.0, v17
	v_sub_f32_e32 v50, v24, v17
	v_add_f32_e32 v50, 1.0, v50
	v_sub_f32_e32 v24, v49, v24
	v_add_f32_e32 v24, v24, v50
	v_frexp_mant_f32_e32 v52, v17
	v_cvt_f64_f32_e32 v[50:51], v17
	v_frexp_exp_i32_f64_e32 v50, v[50:51]
	v_cmp_gt_f32_e32 vcc, s2, v52
	s_mov_b32 s2, 0x3f317218
	s_nop 0
	v_subbrev_co_u32_e32 v52, vcc, 0, v50, vcc
	v_sub_u32_e32 v50, 0, v52
	v_ldexp_f32 v17, v17, v50
	v_ldexp_f32 v24, v24, v50
	v_add_f32_e32 v50, -1.0, v17
	v_add_f32_e32 v51, 1.0, v50
	v_sub_f32_e32 v51, v17, v51
	v_add_f32_e32 v54, v24, v51
	v_add_f32_e32 v51, 1.0, v17
	s_waitcnt lgkmcnt(0)
	v_add_f32_e32 v55, -1.0, v51
	v_sub_f32_e32 v17, v17, v55
	v_add_f32_e32 v17, v24, v17
	v_add_f32_e32 v24, v51, v17
	v_rcp_f32_e32 v60, v24
	v_sub_f32_e32 v51, v51, v24
	v_add_f32_e32 v17, v17, v51
	v_add_f32_e32 v51, v50, v54
	v_sub_f32_e32 v50, v50, v51
	v_mul_f32_e32 v62, v51, v60
	v_add_f32_e32 v61, v54, v50
	v_mul_f32_e32 v54, v24, v62
	v_fma_f32 v56, v62, v24, -v54
	v_fmac_f32_e32 v56, v62, v17
	v_add_f32_e32 v50, v54, v56
	v_sub_f32_e32 v55, v51, v50
	v_pk_add_f32 v[58:59], v[50:51], v[54:55] neg_lo:[0,1] neg_hi:[0,1]
	v_mov_b32_e32 v57, v50
	v_pk_add_f32 v[50:51], v[58:59], v[56:57] neg_lo:[0,1] neg_hi:[0,1]
	v_cmp_eq_f32_e32 vcc, s3, v49
	v_add_f32_e32 v51, v61, v51
	v_add_f32_e32 v50, v50, v51
	;; [unrolled: 1-line block ×3, first 2 shown]
	v_mul_f32_e32 v61, v60, v51
	v_mul_f32_e32 v54, v24, v61
	v_fma_f32 v56, v61, v24, -v54
	v_fmac_f32_e32 v56, v61, v17
	v_sub_f32_e32 v17, v55, v51
	v_add_f32_e32 v17, v50, v17
	v_add_f32_e32 v50, v54, v56
	v_sub_f32_e32 v55, v51, v50
	v_pk_add_f32 v[58:59], v[50:51], v[54:55] neg_lo:[0,1] neg_hi:[0,1]
	v_mov_b32_e32 v57, v50
	v_pk_add_f32 v[50:51], v[58:59], v[56:57] neg_lo:[0,1] neg_hi:[0,1]
	v_add_f32_e32 v24, v62, v61
	v_add_f32_e32 v17, v17, v51
	;; [unrolled: 1-line block ×4, first 2 shown]
	v_sub_f32_e32 v50, v24, v62
	v_mul_f32_e32 v17, v60, v17
	v_sub_f32_e32 v50, v61, v50
	v_add_f32_e32 v17, v50, v17
	v_add_f32_e32 v50, v24, v17
	v_cvt_f32_i32_e32 v54, v52
	v_mul_f32_e32 v55, v50, v50
	v_mov_b32_e32 v51, 0x3ecc95a3
	v_fmac_f32_e32 v51, 0x3e9b6dac, v55
	v_fmaak_f32 v51, v55, v51, 0x3f2aaada
	v_sub_f32_e32 v24, v50, v24
	v_ldexp_f32 v57, v50, 1
	v_mul_f32_e32 v55, v50, v55
	v_mov_b32_e32 v50, 0x3f317218
	v_pk_mul_f32 v[50:51], v[54:55], v[50:51]
	v_sub_f32_e32 v17, v17, v24
	v_fma_f32 v24, v54, s2, -v50
	v_fmamk_f32 v56, v54, 0xb102e308, v24
	v_pk_add_f32 v[54:55], v[50:51], v[56:57]
	v_ldexp_f32 v17, v17, 1
	v_sub_f32_e32 v24, v55, v57
	v_sub_f32_e32 v24, v51, v24
	v_add_f32_e32 v59, v17, v24
	v_mov_b32_e32 v58, v50
	v_pk_add_f32 v[50:51], v[54:55], v[50:51] neg_lo:[0,1] neg_hi:[0,1]
	v_pk_add_f32 v[60:61], v[54:55], v[58:59]
	v_mov_b32_e32 v57, v54
	v_mov_b32_e32 v51, v61
	v_pk_add_f32 v[62:63], v[56:57], v[50:51] neg_lo:[0,1] neg_hi:[0,1]
	v_pk_add_f32 v[50:51], v[56:57], v[50:51]
	s_mov_b32 s2, 0x33800000
	v_mov_b32_e32 v24, v51
	v_pk_add_f32 v[56:57], v[24:25], v[54:55] neg_lo:[0,1] neg_hi:[0,1]
	v_mov_b32_e32 v50, v61
	v_mov_b32_e32 v17, v56
	v_pk_add_f32 v[64:65], v[60:61], v[16:17] neg_lo:[0,1] neg_hi:[0,1]
	v_mov_b32_e32 v60, v55
	v_mov_b32_e32 v61, v56
	;; [unrolled: 1-line block ×3, first 2 shown]
	v_pk_add_f32 v[50:51], v[50:51], v[60:61] neg_lo:[0,1] neg_hi:[0,1]
	v_mov_b32_e32 v56, v59
	v_mov_b32_e32 v57, v54
	v_pk_add_f32 v[50:51], v[56:57], v[50:51] neg_lo:[0,1] neg_hi:[0,1]
	v_mov_b32_e32 v64, v62
	v_pk_add_f32 v[54:55], v[64:65], v[50:51]
	v_cmp_lt_f32_e64 s[2:3], |v49|, s2
	v_mov_b32_e32 v52, v55
	v_pk_add_f32 v[56:57], v[54:55], v[52:53]
	s_or_b64 vcc, vcc, s[2:3]
	v_pk_add_f32 v[58:59], v[24:25], v[56:57]
	v_mov_b32_e32 v51, v56
	v_mov_b32_e32 v55, v58
	v_pk_add_f32 v[60:61], v[54:55], v[62:63] neg_lo:[0,1] neg_hi:[0,1]
	s_nop 0
	v_sub_f32_e32 v17, v54, v60
	v_pk_add_f32 v[50:51], v[50:51], v[60:61] neg_lo:[0,1] neg_hi:[0,1]
	v_sub_f32_e32 v17, v62, v17
	v_add_f32_e32 v17, v50, v17
	v_add_f32_e32 v17, v17, v51
	;; [unrolled: 1-line block ×3, first 2 shown]
	v_cndmask_b32_e32 v17, v17, v49, vcc
	v_add_f32_e32 v24, v15, v17
.LBB469_142:
	s_or_b64 exec, exec, s[0:1]
	v_bfe_u32 v15, v24, 16, 1
	v_add3_u32 v15, v24, v15, s48
	v_lshrrev_b32_e32 v15, 16, v15
	v_cmp_o_f32_e32 vcc, v24, v24
	s_nop 1
	v_cndmask_b32_e32 v1, v1, v15, vcc
	v_lshlrev_b32_e32 v17, 16, v1
	v_max_f32_e32 v24, v17, v17
	v_min_f32_e32 v15, v24, v18
	v_cmp_u_f32_e32 vcc, v17, v17
	v_max_f32_e32 v18, v24, v18
	s_nop 0
	v_cndmask_b32_e32 v15, v15, v17, vcc
	v_cndmask_b32_e32 v18, v18, v17, vcc
	v_cndmask_b32_e64 v15, v15, v3, s[52:53]
	v_cndmask_b32_e64 v3, v18, v3, s[52:53]
	v_cmp_neq_f32_e32 vcc, v15, v3
	v_cmp_class_f32_e64 s[0:1], v15, s33
	s_or_b64 s[2:3], vcc, s[0:1]
	s_and_saveexec_b64 s[0:1], s[2:3]
	s_cbranch_execz .LBB469_144
; %bb.143:
	v_sub_f32_e32 v15, v15, v3
	s_mov_b32 s2, 0x3fb8aa3b
	v_mul_f32_e32 v17, 0x3fb8aa3b, v15
	v_fma_f32 v18, v15, s2, -v17
	v_rndne_f32_e32 v24, v17
	v_fmamk_f32 v18, v15, 0x32a5705f, v18
	v_sub_f32_e32 v17, v17, v24
	v_add_f32_e32 v17, v17, v18
	v_exp_f32_e32 v17, v17
	v_cvt_i32_f32_e32 v18, v24
	s_mov_b32 s2, 0xc2ce8ed0
	v_cmp_ngt_f32_e32 vcc, s2, v15
	s_mov_b32 s2, 0x42b17218
	v_ldexp_f32 v17, v17, v18
	v_cndmask_b32_e32 v17, 0, v17, vcc
	v_mov_b32_e32 v18, 0x7f800000
	v_cmp_nlt_f32_e32 vcc, s2, v15
	s_mov_b32 s2, 0x3f2aaaab
	s_mov_b32 s3, 0x7f800000
	v_cndmask_b32_e32 v17, v18, v17, vcc
	v_add_f32_e32 v15, 1.0, v17
	v_add_f32_e32 v18, -1.0, v15
	v_sub_f32_e32 v24, v18, v15
	v_add_f32_e32 v24, 1.0, v24
	v_sub_f32_e32 v18, v17, v18
	v_add_f32_e32 v18, v18, v24
	v_frexp_mant_f32_e32 v24, v15
	v_cvt_f64_f32_e32 v[50:51], v15
	v_frexp_exp_i32_f64_e32 v49, v[50:51]
	v_cmp_gt_f32_e32 vcc, s2, v24
	s_mov_b32 s2, 0x3f317218
	s_nop 0
	v_subbrev_co_u32_e32 v24, vcc, 0, v49, vcc
	v_sub_u32_e32 v49, 0, v24
	v_ldexp_f32 v15, v15, v49
	v_ldexp_f32 v18, v18, v49
	v_add_f32_e32 v49, -1.0, v15
	v_add_f32_e32 v51, 1.0, v15
	v_add_f32_e32 v50, 1.0, v49
	v_add_f32_e32 v52, -1.0, v51
	v_sub_f32_e32 v50, v15, v50
	v_sub_f32_e32 v15, v15, v52
	v_add_f32_e32 v15, v18, v15
	v_add_f32_e32 v50, v18, v50
	;; [unrolled: 1-line block ×3, first 2 shown]
	v_rcp_f32_e32 v52, v18
	v_sub_f32_e32 v51, v51, v18
	v_add_f32_e32 v15, v15, v51
	v_add_f32_e32 v51, v49, v50
	v_mul_f32_e32 v60, v51, v52
	v_mul_f32_e32 v54, v18, v60
	v_fma_f32 v56, v60, v18, -v54
	v_sub_f32_e32 v49, v49, v51
	v_fmac_f32_e32 v56, v60, v15
	v_add_f32_e32 v49, v50, v49
	v_add_f32_e32 v50, v54, v56
	s_waitcnt lgkmcnt(0)
	v_sub_f32_e32 v55, v51, v50
	v_pk_add_f32 v[58:59], v[50:51], v[54:55] neg_lo:[0,1] neg_hi:[0,1]
	v_mov_b32_e32 v57, v50
	v_pk_add_f32 v[50:51], v[58:59], v[56:57] neg_lo:[0,1] neg_hi:[0,1]
	v_cmp_eq_f32_e32 vcc, s3, v17
	v_add_f32_e32 v49, v49, v51
	v_add_f32_e32 v49, v50, v49
	;; [unrolled: 1-line block ×3, first 2 shown]
	v_mul_f32_e32 v61, v52, v51
	v_mul_f32_e32 v54, v18, v61
	v_fma_f32 v56, v61, v18, -v54
	v_fmac_f32_e32 v56, v61, v15
	v_add_f32_e32 v50, v54, v56
	v_sub_f32_e32 v15, v55, v51
	v_sub_f32_e32 v55, v51, v50
	v_pk_add_f32 v[58:59], v[50:51], v[54:55] neg_lo:[0,1] neg_hi:[0,1]
	v_mov_b32_e32 v57, v50
	v_add_f32_e32 v15, v49, v15
	v_pk_add_f32 v[50:51], v[58:59], v[56:57] neg_lo:[0,1] neg_hi:[0,1]
	v_add_f32_e32 v18, v60, v61
	v_add_f32_e32 v15, v15, v51
	;; [unrolled: 1-line block ×4, first 2 shown]
	v_sub_f32_e32 v49, v18, v60
	v_mul_f32_e32 v15, v52, v15
	v_sub_f32_e32 v49, v61, v49
	v_add_f32_e32 v15, v49, v15
	v_add_f32_e32 v49, v18, v15
	v_cvt_f32_i32_e32 v54, v24
	v_mul_f32_e32 v50, v49, v49
	v_mov_b32_e32 v51, 0x3ecc95a3
	v_fmac_f32_e32 v51, 0x3e9b6dac, v50
	v_fmaak_f32 v51, v50, v51, 0x3f2aaada
	v_mul_f32_e32 v55, v49, v50
	v_mov_b32_e32 v50, 0x3f317218
	v_sub_f32_e32 v18, v49, v18
	v_pk_mul_f32 v[50:51], v[54:55], v[50:51]
	v_sub_f32_e32 v15, v15, v18
	v_fma_f32 v18, v54, s2, -v50
	v_ldexp_f32 v57, v49, 1
	v_fmamk_f32 v56, v54, 0xb102e308, v18
	v_pk_add_f32 v[54:55], v[50:51], v[56:57]
	v_ldexp_f32 v15, v15, 1
	v_sub_f32_e32 v18, v55, v57
	v_sub_f32_e32 v18, v51, v18
	v_add_f32_e32 v59, v15, v18
	v_mov_b32_e32 v58, v50
	v_pk_add_f32 v[50:51], v[54:55], v[50:51] neg_lo:[0,1] neg_hi:[0,1]
	v_pk_add_f32 v[60:61], v[54:55], v[58:59]
	v_mov_b32_e32 v57, v54
	v_mov_b32_e32 v51, v61
	v_pk_add_f32 v[62:63], v[56:57], v[50:51] neg_lo:[0,1] neg_hi:[0,1]
	v_pk_add_f32 v[50:51], v[56:57], v[50:51]
	s_mov_b32 s2, 0x33800000
	v_mov_b32_e32 v18, v51
	v_pk_add_f32 v[56:57], v[18:19], v[54:55] neg_lo:[0,1] neg_hi:[0,1]
	v_mov_b32_e32 v50, v61
	v_mov_b32_e32 v15, v56
	v_pk_add_f32 v[64:65], v[60:61], v[14:15] neg_lo:[0,1] neg_hi:[0,1]
	v_mov_b32_e32 v60, v55
	v_mov_b32_e32 v61, v56
	;; [unrolled: 1-line block ×3, first 2 shown]
	v_pk_add_f32 v[50:51], v[50:51], v[60:61] neg_lo:[0,1] neg_hi:[0,1]
	v_mov_b32_e32 v56, v59
	v_mov_b32_e32 v57, v54
	v_pk_add_f32 v[50:51], v[56:57], v[50:51] neg_lo:[0,1] neg_hi:[0,1]
	v_mov_b32_e32 v64, v62
	v_pk_add_f32 v[54:55], v[64:65], v[50:51]
	v_cmp_lt_f32_e64 s[2:3], |v17|, s2
	v_mov_b32_e32 v24, v55
	v_pk_add_f32 v[56:57], v[54:55], v[24:25]
	s_or_b64 vcc, vcc, s[2:3]
	v_pk_add_f32 v[58:59], v[18:19], v[56:57]
	v_mov_b32_e32 v51, v56
	v_mov_b32_e32 v55, v58
	v_pk_add_f32 v[60:61], v[54:55], v[62:63] neg_lo:[0,1] neg_hi:[0,1]
	s_nop 0
	v_sub_f32_e32 v15, v54, v60
	v_pk_add_f32 v[50:51], v[50:51], v[60:61] neg_lo:[0,1] neg_hi:[0,1]
	v_sub_f32_e32 v15, v62, v15
	v_add_f32_e32 v15, v50, v15
	v_add_f32_e32 v15, v15, v51
	;; [unrolled: 1-line block ×3, first 2 shown]
	v_cndmask_b32_e32 v15, v15, v17, vcc
	v_add_f32_e32 v17, v3, v15
.LBB469_144:
	s_or_b64 exec, exec, s[0:1]
	v_bfe_u32 v3, v17, 16, 1
	v_add3_u32 v3, v17, v3, s48
	v_lshrrev_b32_e32 v3, 16, v3
	v_mov_b32_e32 v15, 0x7fc0
	v_cmp_o_f32_e32 vcc, v17, v17
	s_nop 1
	v_cndmask_b32_e32 v3, v15, v3, vcc
	v_lshlrev_b32_e32 v17, 16, v3
	v_max_f32_e32 v24, v17, v17
	v_min_f32_e32 v18, v24, v20
	v_cmp_u_f32_e32 vcc, v17, v17
	v_max_f32_e32 v20, v24, v20
	s_nop 0
	v_cndmask_b32_e32 v18, v18, v17, vcc
	v_cndmask_b32_e32 v20, v20, v17, vcc
	v_cndmask_b32_e64 v18, v18, v16, s[54:55]
	v_cndmask_b32_e64 v16, v20, v16, s[54:55]
	v_cmp_neq_f32_e32 vcc, v18, v16
	v_cmp_class_f32_e64 s[0:1], v18, s33
	s_or_b64 s[2:3], vcc, s[0:1]
	s_and_saveexec_b64 s[0:1], s[2:3]
	s_cbranch_execz .LBB469_146
; %bb.145:
	v_sub_f32_e32 v17, v18, v16
	s_mov_b32 s2, 0x3fb8aa3b
	v_mul_f32_e32 v18, 0x3fb8aa3b, v17
	v_fma_f32 v20, v17, s2, -v18
	v_rndne_f32_e32 v24, v18
	v_fmamk_f32 v20, v17, 0x32a5705f, v20
	v_sub_f32_e32 v18, v18, v24
	v_add_f32_e32 v18, v18, v20
	v_exp_f32_e32 v18, v18
	v_cvt_i32_f32_e32 v20, v24
	s_mov_b32 s2, 0xc2ce8ed0
	v_cmp_ngt_f32_e32 vcc, s2, v17
	s_mov_b32 s2, 0x42b17218
	v_ldexp_f32 v18, v18, v20
	v_cndmask_b32_e32 v18, 0, v18, vcc
	v_mov_b32_e32 v20, 0x7f800000
	v_cmp_nlt_f32_e32 vcc, s2, v17
	s_mov_b32 s2, 0x3f2aaaab
	s_mov_b32 s3, 0x7f800000
	v_cndmask_b32_e32 v24, v20, v18, vcc
	v_add_f32_e32 v17, 1.0, v24
	v_add_f32_e32 v18, -1.0, v17
	v_sub_f32_e32 v20, v18, v17
	v_add_f32_e32 v20, 1.0, v20
	v_sub_f32_e32 v18, v24, v18
	v_add_f32_e32 v18, v18, v20
	v_frexp_mant_f32_e32 v20, v17
	v_cvt_f64_f32_e32 v[50:51], v17
	v_frexp_exp_i32_f64_e32 v49, v[50:51]
	v_cmp_gt_f32_e32 vcc, s2, v20
	s_mov_b32 s2, 0x3f317218
	s_nop 0
	v_subbrev_co_u32_e32 v20, vcc, 0, v49, vcc
	v_sub_u32_e32 v49, 0, v20
	v_ldexp_f32 v17, v17, v49
	v_ldexp_f32 v18, v18, v49
	v_add_f32_e32 v49, -1.0, v17
	v_add_f32_e32 v51, 1.0, v17
	v_add_f32_e32 v50, 1.0, v49
	v_add_f32_e32 v52, -1.0, v51
	v_sub_f32_e32 v50, v17, v50
	v_sub_f32_e32 v17, v17, v52
	v_add_f32_e32 v17, v18, v17
	v_add_f32_e32 v50, v18, v50
	;; [unrolled: 1-line block ×3, first 2 shown]
	v_rcp_f32_e32 v52, v18
	v_sub_f32_e32 v51, v51, v18
	v_add_f32_e32 v17, v17, v51
	v_add_f32_e32 v51, v49, v50
	v_mul_f32_e32 v60, v51, v52
	v_mul_f32_e32 v54, v18, v60
	v_fma_f32 v56, v60, v18, -v54
	v_sub_f32_e32 v49, v49, v51
	v_fmac_f32_e32 v56, v60, v17
	v_add_f32_e32 v49, v50, v49
	v_add_f32_e32 v50, v54, v56
	s_waitcnt lgkmcnt(0)
	v_sub_f32_e32 v55, v51, v50
	v_pk_add_f32 v[58:59], v[50:51], v[54:55] neg_lo:[0,1] neg_hi:[0,1]
	v_mov_b32_e32 v57, v50
	v_pk_add_f32 v[50:51], v[58:59], v[56:57] neg_lo:[0,1] neg_hi:[0,1]
	v_cmp_eq_f32_e32 vcc, s3, v24
	v_add_f32_e32 v49, v49, v51
	v_add_f32_e32 v49, v50, v49
	;; [unrolled: 1-line block ×3, first 2 shown]
	v_mul_f32_e32 v61, v52, v51
	v_mul_f32_e32 v54, v18, v61
	v_fma_f32 v56, v61, v18, -v54
	v_fmac_f32_e32 v56, v61, v17
	v_add_f32_e32 v50, v54, v56
	v_sub_f32_e32 v17, v55, v51
	v_sub_f32_e32 v55, v51, v50
	v_pk_add_f32 v[58:59], v[50:51], v[54:55] neg_lo:[0,1] neg_hi:[0,1]
	v_mov_b32_e32 v57, v50
	v_add_f32_e32 v17, v49, v17
	v_pk_add_f32 v[50:51], v[58:59], v[56:57] neg_lo:[0,1] neg_hi:[0,1]
	v_add_f32_e32 v18, v60, v61
	v_add_f32_e32 v17, v17, v51
	;; [unrolled: 1-line block ×4, first 2 shown]
	v_sub_f32_e32 v49, v18, v60
	v_mul_f32_e32 v17, v52, v17
	v_sub_f32_e32 v49, v61, v49
	v_add_f32_e32 v17, v49, v17
	v_add_f32_e32 v49, v18, v17
	v_cvt_f32_i32_e32 v54, v20
	v_mul_f32_e32 v50, v49, v49
	v_mov_b32_e32 v51, 0x3ecc95a3
	v_fmac_f32_e32 v51, 0x3e9b6dac, v50
	v_fmaak_f32 v51, v50, v51, 0x3f2aaada
	v_mul_f32_e32 v55, v49, v50
	v_mov_b32_e32 v50, 0x3f317218
	v_sub_f32_e32 v18, v49, v18
	v_pk_mul_f32 v[50:51], v[54:55], v[50:51]
	v_sub_f32_e32 v17, v17, v18
	v_fma_f32 v18, v54, s2, -v50
	v_ldexp_f32 v57, v49, 1
	v_fmamk_f32 v56, v54, 0xb102e308, v18
	v_pk_add_f32 v[54:55], v[50:51], v[56:57]
	v_ldexp_f32 v17, v17, 1
	v_sub_f32_e32 v18, v55, v57
	v_sub_f32_e32 v18, v51, v18
	v_add_f32_e32 v59, v17, v18
	v_mov_b32_e32 v58, v50
	v_pk_add_f32 v[50:51], v[54:55], v[50:51] neg_lo:[0,1] neg_hi:[0,1]
	v_pk_add_f32 v[60:61], v[54:55], v[58:59]
	v_mov_b32_e32 v57, v54
	v_mov_b32_e32 v51, v61
	v_pk_add_f32 v[62:63], v[56:57], v[50:51] neg_lo:[0,1] neg_hi:[0,1]
	v_pk_add_f32 v[50:51], v[56:57], v[50:51]
	s_mov_b32 s2, 0x33800000
	v_mov_b32_e32 v18, v51
	v_pk_add_f32 v[56:57], v[18:19], v[54:55] neg_lo:[0,1] neg_hi:[0,1]
	v_mov_b32_e32 v50, v61
	v_mov_b32_e32 v17, v56
	v_pk_add_f32 v[64:65], v[60:61], v[16:17] neg_lo:[0,1] neg_hi:[0,1]
	v_mov_b32_e32 v60, v55
	v_mov_b32_e32 v61, v56
	;; [unrolled: 1-line block ×3, first 2 shown]
	v_pk_add_f32 v[50:51], v[50:51], v[60:61] neg_lo:[0,1] neg_hi:[0,1]
	v_mov_b32_e32 v56, v59
	v_mov_b32_e32 v57, v54
	v_pk_add_f32 v[50:51], v[56:57], v[50:51] neg_lo:[0,1] neg_hi:[0,1]
	v_mov_b32_e32 v64, v62
	v_pk_add_f32 v[54:55], v[64:65], v[50:51]
	v_cmp_lt_f32_e64 s[2:3], |v24|, s2
	v_mov_b32_e32 v20, v55
	v_pk_add_f32 v[56:57], v[54:55], v[20:21]
	s_or_b64 vcc, vcc, s[2:3]
	v_pk_add_f32 v[58:59], v[18:19], v[56:57]
	v_mov_b32_e32 v51, v56
	v_mov_b32_e32 v55, v58
	v_pk_add_f32 v[60:61], v[54:55], v[62:63] neg_lo:[0,1] neg_hi:[0,1]
	s_nop 0
	v_sub_f32_e32 v17, v54, v60
	v_pk_add_f32 v[50:51], v[50:51], v[60:61] neg_lo:[0,1] neg_hi:[0,1]
	v_sub_f32_e32 v17, v62, v17
	v_add_f32_e32 v17, v50, v17
	v_add_f32_e32 v17, v17, v51
	;; [unrolled: 1-line block ×3, first 2 shown]
	v_cndmask_b32_e32 v17, v17, v24, vcc
	v_add_f32_e32 v17, v16, v17
.LBB469_146:
	s_or_b64 exec, exec, s[0:1]
	v_bfe_u32 v16, v17, 16, 1
	v_add3_u32 v16, v17, v16, s48
	v_lshrrev_b32_e32 v16, 16, v16
	v_cmp_o_f32_e32 vcc, v17, v17
	s_nop 1
	v_cndmask_b32_e32 v15, v15, v16, vcc
	v_lshlrev_b32_e32 v17, 16, v15
	v_max_f32_e32 v18, v17, v17
	v_min_f32_e32 v16, v18, v21
	v_cmp_u_f32_e32 vcc, v17, v17
	v_max_f32_e32 v18, v18, v21
	s_nop 0
	v_cndmask_b32_e32 v16, v16, v17, vcc
	v_cndmask_b32_e32 v18, v18, v17, vcc
	v_cndmask_b32_e64 v16, v16, v4, s[56:57]
	v_cndmask_b32_e64 v4, v18, v4, s[56:57]
	v_cmp_neq_f32_e32 vcc, v16, v4
	v_cmp_class_f32_e64 s[0:1], v16, s33
	s_or_b64 s[2:3], vcc, s[0:1]
	s_and_saveexec_b64 s[0:1], s[2:3]
	s_cbranch_execz .LBB469_148
; %bb.147:
	v_sub_f32_e32 v16, v16, v4
	s_mov_b32 s2, 0x3fb8aa3b
	v_mul_f32_e32 v17, 0x3fb8aa3b, v16
	v_fma_f32 v18, v16, s2, -v17
	v_rndne_f32_e32 v20, v17
	v_fmamk_f32 v18, v16, 0x32a5705f, v18
	v_sub_f32_e32 v17, v17, v20
	v_add_f32_e32 v17, v17, v18
	v_exp_f32_e32 v17, v17
	v_cvt_i32_f32_e32 v18, v20
	s_mov_b32 s2, 0xc2ce8ed0
	v_cmp_ngt_f32_e32 vcc, s2, v16
	s_mov_b32 s2, 0x42b17218
	v_ldexp_f32 v17, v17, v18
	v_cndmask_b32_e32 v17, 0, v17, vcc
	v_mov_b32_e32 v18, 0x7f800000
	v_cmp_nlt_f32_e32 vcc, s2, v16
	s_mov_b32 s2, 0x3f2aaaab
	s_mov_b32 s3, 0x7f800000
	v_cndmask_b32_e32 v52, v18, v17, vcc
	v_add_f32_e32 v18, 1.0, v52
	v_add_f32_e32 v16, -1.0, v18
	v_sub_f32_e32 v17, v16, v18
	v_add_f32_e32 v17, 1.0, v17
	v_sub_f32_e32 v16, v52, v16
	v_add_f32_e32 v20, v16, v17
	v_frexp_mant_f32_e32 v21, v18
	v_cvt_f64_f32_e32 v[16:17], v18
	v_frexp_exp_i32_f64_e32 v16, v[16:17]
	v_cmp_gt_f32_e32 vcc, s2, v21
	s_mov_b32 s2, 0x3f317218
	s_nop 0
	v_subbrev_co_u32_e32 v24, vcc, 0, v16, vcc
	v_sub_u32_e32 v16, 0, v24
	v_ldexp_f32 v17, v18, v16
	v_add_f32_e32 v18, -1.0, v17
	v_add_f32_e32 v21, 1.0, v17
	v_ldexp_f32 v16, v20, v16
	v_add_f32_e32 v20, 1.0, v18
	v_add_f32_e32 v49, -1.0, v21
	v_sub_f32_e32 v20, v17, v20
	v_sub_f32_e32 v17, v17, v49
	v_add_f32_e32 v20, v16, v20
	v_add_f32_e32 v16, v16, v17
	;; [unrolled: 1-line block ×3, first 2 shown]
	v_rcp_f32_e32 v57, v49
	v_sub_f32_e32 v17, v21, v49
	v_add_f32_e32 v56, v16, v17
	v_add_f32_e32 v17, v18, v20
	v_sub_f32_e32 v16, v18, v17
	v_mul_f32_e32 v58, v17, v57
	v_add_f32_e32 v18, v20, v16
	v_mul_f32_e32 v20, v49, v58
	v_fma_f32 v50, v58, v49, -v20
	v_fmac_f32_e32 v50, v58, v56
	v_add_f32_e32 v16, v20, v50
	v_sub_f32_e32 v21, v17, v16
	s_waitcnt lgkmcnt(0)
	v_pk_add_f32 v[54:55], v[16:17], v[20:21] neg_lo:[0,1] neg_hi:[0,1]
	v_mov_b32_e32 v51, v16
	v_pk_add_f32 v[16:17], v[54:55], v[50:51] neg_lo:[0,1] neg_hi:[0,1]
	v_cmp_eq_f32_e32 vcc, s3, v52
	v_add_f32_e32 v17, v18, v17
	v_add_f32_e32 v16, v16, v17
	;; [unrolled: 1-line block ×3, first 2 shown]
	v_mul_f32_e32 v18, v57, v17
	v_mul_f32_e32 v20, v49, v18
	v_fma_f32 v50, v18, v49, -v20
	v_fmac_f32_e32 v50, v18, v56
	v_sub_f32_e32 v21, v21, v17
	v_add_f32_e32 v49, v16, v21
	v_add_f32_e32 v16, v20, v50
	v_sub_f32_e32 v21, v17, v16
	v_pk_add_f32 v[54:55], v[16:17], v[20:21] neg_lo:[0,1] neg_hi:[0,1]
	v_mov_b32_e32 v51, v16
	v_pk_add_f32 v[16:17], v[54:55], v[50:51] neg_lo:[0,1] neg_hi:[0,1]
	v_cvt_f32_i32_e32 v20, v24
	v_add_f32_e32 v17, v49, v17
	v_add_f32_e32 v16, v16, v17
	;; [unrolled: 1-line block ×4, first 2 shown]
	v_sub_f32_e32 v17, v21, v58
	v_mul_f32_e32 v16, v57, v16
	v_sub_f32_e32 v17, v18, v17
	v_add_f32_e32 v16, v17, v16
	v_add_f32_e32 v18, v21, v16
	v_mul_f32_e32 v49, v18, v18
	v_mov_b32_e32 v17, 0x3ecc95a3
	v_sub_f32_e32 v21, v18, v21
	v_fmac_f32_e32 v17, 0x3e9b6dac, v49
	v_sub_f32_e32 v16, v16, v21
	v_fmaak_f32 v17, v49, v17, 0x3f2aaada
	v_ldexp_f32 v24, v16, 1
	v_mul_f32_e32 v21, v18, v49
	v_mov_b32_e32 v16, 0x3f317218
	v_pk_mul_f32 v[16:17], v[20:21], v[16:17]
	v_ldexp_f32 v51, v18, 1
	v_fma_f32 v18, v20, s2, -v16
	v_fmamk_f32 v50, v20, 0xb102e308, v18
	v_pk_add_f32 v[20:21], v[16:17], v[50:51]
	v_mov_b32_e32 v54, v16
	v_sub_f32_e32 v18, v21, v51
	v_sub_f32_e32 v18, v17, v18
	v_add_f32_e32 v55, v24, v18
	v_pk_add_f32 v[16:17], v[20:21], v[16:17] neg_lo:[0,1] neg_hi:[0,1]
	v_pk_add_f32 v[56:57], v[20:21], v[54:55]
	v_mov_b32_e32 v51, v20
	v_mov_b32_e32 v17, v57
	v_pk_add_f32 v[58:59], v[50:51], v[16:17] neg_lo:[0,1] neg_hi:[0,1]
	v_pk_add_f32 v[16:17], v[50:51], v[16:17]
	s_mov_b32 s2, 0x33800000
	v_mov_b32_e32 v18, v17
	v_pk_add_f32 v[50:51], v[18:19], v[20:21] neg_lo:[0,1] neg_hi:[0,1]
	v_mov_b32_e32 v16, v57
	v_mov_b32_e32 v49, v50
	v_pk_add_f32 v[60:61], v[56:57], v[48:49] neg_lo:[0,1] neg_hi:[0,1]
	v_mov_b32_e32 v56, v21
	v_mov_b32_e32 v57, v50
	;; [unrolled: 1-line block ×3, first 2 shown]
	v_pk_add_f32 v[16:17], v[16:17], v[56:57] neg_lo:[0,1] neg_hi:[0,1]
	v_mov_b32_e32 v50, v55
	v_mov_b32_e32 v51, v20
	v_pk_add_f32 v[16:17], v[50:51], v[16:17] neg_lo:[0,1] neg_hi:[0,1]
	v_mov_b32_e32 v60, v58
	v_pk_add_f32 v[20:21], v[60:61], v[16:17]
	v_cmp_lt_f32_e64 s[2:3], |v52|, s2
	v_mov_b32_e32 v24, v21
	v_pk_add_f32 v[50:51], v[20:21], v[24:25]
	s_or_b64 vcc, vcc, s[2:3]
	v_pk_add_f32 v[54:55], v[18:19], v[50:51]
	v_mov_b32_e32 v17, v50
	v_mov_b32_e32 v21, v54
	v_pk_add_f32 v[56:57], v[20:21], v[58:59] neg_lo:[0,1] neg_hi:[0,1]
	s_nop 0
	v_sub_f32_e32 v18, v20, v56
	v_pk_add_f32 v[16:17], v[16:17], v[56:57] neg_lo:[0,1] neg_hi:[0,1]
	v_sub_f32_e32 v18, v58, v18
	v_add_f32_e32 v16, v16, v18
	v_add_f32_e32 v16, v16, v17
	;; [unrolled: 1-line block ×3, first 2 shown]
	v_cndmask_b32_e32 v16, v16, v52, vcc
	v_add_f32_e32 v17, v4, v16
.LBB469_148:
	s_or_b64 exec, exec, s[0:1]
	v_bfe_u32 v4, v17, 16, 1
	v_add3_u32 v4, v17, v4, s48
	v_lshrrev_b32_e32 v4, 16, v4
	v_mov_b32_e32 v16, 0x7fc0
	v_cmp_o_f32_e32 vcc, v17, v17
	s_nop 1
	v_cndmask_b32_e32 v4, v16, v4, vcc
	v_lshlrev_b32_e32 v18, 16, v4
	v_max_f32_e32 v17, v18, v18
	v_min_f32_e32 v20, v17, v23
	v_cmp_u_f32_e32 vcc, v18, v18
	v_max_f32_e32 v17, v17, v23
	s_nop 0
	v_cndmask_b32_e32 v20, v20, v18, vcc
	v_cndmask_b32_e32 v17, v17, v18, vcc
	v_cndmask_b32_e64 v20, v20, v19, s[58:59]
	v_cndmask_b32_e64 v17, v17, v19, s[58:59]
	v_cmp_neq_f32_e32 vcc, v20, v17
	v_cmp_class_f32_e64 s[0:1], v20, s33
	s_or_b64 s[2:3], vcc, s[0:1]
	s_and_saveexec_b64 s[0:1], s[2:3]
	s_cbranch_execz .LBB469_150
; %bb.149:
	v_sub_f32_e32 v18, v20, v17
	s_mov_b32 s2, 0x3fb8aa3b
	v_mul_f32_e32 v19, 0x3fb8aa3b, v18
	v_fma_f32 v20, v18, s2, -v19
	v_rndne_f32_e32 v21, v19
	v_fmamk_f32 v20, v18, 0x32a5705f, v20
	v_sub_f32_e32 v19, v19, v21
	v_add_f32_e32 v19, v19, v20
	v_exp_f32_e32 v19, v19
	v_cvt_i32_f32_e32 v20, v21
	s_mov_b32 s2, 0xc2ce8ed0
	v_cmp_ngt_f32_e32 vcc, s2, v18
	s_mov_b32 s2, 0x42b17218
	v_ldexp_f32 v19, v19, v20
	v_cndmask_b32_e32 v19, 0, v19, vcc
	v_mov_b32_e32 v20, 0x7f800000
	v_cmp_nlt_f32_e32 vcc, s2, v18
	s_mov_b32 s2, 0x3f2aaaab
	s_mov_b32 s3, 0x7f800000
	v_cndmask_b32_e32 v49, v20, v19, vcc
	v_add_f32_e32 v20, 1.0, v49
	v_add_f32_e32 v18, -1.0, v20
	v_sub_f32_e32 v19, v18, v20
	v_add_f32_e32 v19, 1.0, v19
	v_sub_f32_e32 v18, v49, v18
	v_add_f32_e32 v21, v18, v19
	v_frexp_mant_f32_e32 v23, v20
	v_cvt_f64_f32_e32 v[18:19], v20
	v_frexp_exp_i32_f64_e32 v18, v[18:19]
	v_cmp_gt_f32_e32 vcc, s2, v23
	s_mov_b32 s2, 0x3f317218
	s_nop 0
	v_subbrev_co_u32_e32 v23, vcc, 0, v18, vcc
	v_sub_u32_e32 v18, 0, v23
	v_ldexp_f32 v19, v20, v18
	v_add_f32_e32 v20, -1.0, v19
	v_add_f32_e32 v24, 1.0, v19
	v_ldexp_f32 v18, v21, v18
	v_add_f32_e32 v21, 1.0, v20
	v_add_f32_e32 v50, -1.0, v24
	v_sub_f32_e32 v21, v19, v21
	v_sub_f32_e32 v19, v19, v50
	v_add_f32_e32 v21, v18, v21
	v_add_f32_e32 v18, v18, v19
	v_add_f32_e32 v52, v24, v18
	v_rcp_f32_e32 v56, v52
	v_sub_f32_e32 v19, v24, v52
	v_add_f32_e32 v24, v18, v19
	v_add_f32_e32 v19, v20, v21
	v_mul_f32_e32 v58, v19, v56
	v_sub_f32_e32 v18, v20, v19
	v_mul_f32_e32 v20, v52, v58
	v_fma_f32 v50, v58, v52, -v20
	v_fmac_f32_e32 v50, v58, v24
	v_add_f32_e32 v57, v21, v18
	v_add_f32_e32 v18, v20, v50
	v_sub_f32_e32 v21, v19, v18
	s_waitcnt lgkmcnt(0)
	v_pk_add_f32 v[54:55], v[18:19], v[20:21] neg_lo:[0,1] neg_hi:[0,1]
	v_mov_b32_e32 v51, v18
	v_pk_add_f32 v[18:19], v[54:55], v[50:51] neg_lo:[0,1] neg_hi:[0,1]
	v_cmp_eq_f32_e32 vcc, s3, v49
	v_add_f32_e32 v19, v57, v19
	v_add_f32_e32 v18, v18, v19
	v_add_f32_e32 v19, v21, v18
	v_mul_f32_e32 v57, v56, v19
	v_mul_f32_e32 v20, v52, v57
	v_fma_f32 v50, v57, v52, -v20
	v_fmac_f32_e32 v50, v57, v24
	v_sub_f32_e32 v21, v21, v19
	v_add_f32_e32 v24, v18, v21
	v_add_f32_e32 v18, v20, v50
	v_sub_f32_e32 v21, v19, v18
	v_pk_add_f32 v[54:55], v[18:19], v[20:21] neg_lo:[0,1] neg_hi:[0,1]
	v_mov_b32_e32 v51, v18
	v_pk_add_f32 v[18:19], v[54:55], v[50:51] neg_lo:[0,1] neg_hi:[0,1]
	v_cvt_f32_i32_e32 v20, v23
	v_add_f32_e32 v19, v24, v19
	v_add_f32_e32 v18, v18, v19
	;; [unrolled: 1-line block ×4, first 2 shown]
	v_sub_f32_e32 v19, v21, v58
	v_mul_f32_e32 v18, v56, v18
	v_sub_f32_e32 v19, v57, v19
	v_add_f32_e32 v18, v19, v18
	v_add_f32_e32 v24, v21, v18
	v_mul_f32_e32 v50, v24, v24
	v_mov_b32_e32 v19, 0x3ecc95a3
	v_sub_f32_e32 v21, v24, v21
	v_fmac_f32_e32 v19, 0x3e9b6dac, v50
	v_sub_f32_e32 v18, v18, v21
	v_fmaak_f32 v19, v50, v19, 0x3f2aaada
	v_ldexp_f32 v23, v18, 1
	v_mul_f32_e32 v21, v24, v50
	v_mov_b32_e32 v18, 0x3f317218
	v_pk_mul_f32 v[18:19], v[20:21], v[18:19]
	v_ldexp_f32 v51, v24, 1
	v_fma_f32 v21, v20, s2, -v18
	v_fmamk_f32 v50, v20, 0xb102e308, v21
	v_pk_add_f32 v[20:21], v[18:19], v[50:51]
	v_mov_b32_e32 v54, v18
	v_sub_f32_e32 v24, v21, v51
	v_sub_f32_e32 v24, v19, v24
	v_add_f32_e32 v55, v23, v24
	v_pk_add_f32 v[18:19], v[20:21], v[18:19] neg_lo:[0,1] neg_hi:[0,1]
	v_pk_add_f32 v[56:57], v[20:21], v[54:55]
	v_mov_b32_e32 v51, v20
	v_mov_b32_e32 v19, v57
	v_pk_add_f32 v[58:59], v[50:51], v[18:19] neg_lo:[0,1] neg_hi:[0,1]
	v_pk_add_f32 v[18:19], v[50:51], v[18:19]
	s_mov_b32 s2, 0x33800000
	v_mov_b32_e32 v24, v19
	v_pk_add_f32 v[50:51], v[24:25], v[20:21] neg_lo:[0,1] neg_hi:[0,1]
	v_mov_b32_e32 v18, v57
	v_mov_b32_e32 v23, v50
	v_pk_add_f32 v[60:61], v[56:57], v[22:23] neg_lo:[0,1] neg_hi:[0,1]
	v_mov_b32_e32 v56, v21
	v_mov_b32_e32 v57, v50
	;; [unrolled: 1-line block ×3, first 2 shown]
	v_pk_add_f32 v[18:19], v[18:19], v[56:57] neg_lo:[0,1] neg_hi:[0,1]
	v_mov_b32_e32 v50, v55
	v_mov_b32_e32 v51, v20
	v_pk_add_f32 v[18:19], v[50:51], v[18:19] neg_lo:[0,1] neg_hi:[0,1]
	v_mov_b32_e32 v60, v58
	v_pk_add_f32 v[20:21], v[60:61], v[18:19]
	v_cmp_lt_f32_e64 s[2:3], |v49|, s2
	v_mov_b32_e32 v50, v21
	v_pk_add_f32 v[50:51], v[20:21], v[50:51]
	s_or_b64 vcc, vcc, s[2:3]
	v_pk_add_f32 v[54:55], v[24:25], v[50:51]
	v_mov_b32_e32 v19, v50
	v_mov_b32_e32 v21, v54
	v_pk_add_f32 v[56:57], v[20:21], v[58:59] neg_lo:[0,1] neg_hi:[0,1]
	s_nop 0
	v_sub_f32_e32 v20, v20, v56
	v_pk_add_f32 v[18:19], v[18:19], v[56:57] neg_lo:[0,1] neg_hi:[0,1]
	v_sub_f32_e32 v20, v58, v20
	v_add_f32_e32 v18, v18, v20
	v_add_f32_e32 v18, v18, v19
	;; [unrolled: 1-line block ×3, first 2 shown]
	v_cndmask_b32_e32 v18, v18, v49, vcc
	v_add_f32_e32 v18, v17, v18
.LBB469_150:
	s_or_b64 exec, exec, s[0:1]
	v_bfe_u32 v17, v18, 16, 1
	v_add3_u32 v17, v18, v17, s48
	v_lshrrev_b32_e32 v17, 16, v17
	v_cmp_o_f32_e32 vcc, v18, v18
	s_nop 1
	v_cndmask_b32_e32 v16, v16, v17, vcc
	v_lshlrev_b32_e32 v18, 16, v16
	v_max_f32_e32 v19, v18, v18
	v_min_f32_e32 v17, v19, v25
	v_cmp_u_f32_e32 vcc, v18, v18
	v_max_f32_e32 v19, v19, v25
	s_nop 0
	v_cndmask_b32_e32 v17, v17, v18, vcc
	v_cndmask_b32_e32 v19, v19, v18, vcc
	v_cndmask_b32_e64 v17, v17, v5, s[60:61]
	v_cndmask_b32_e64 v5, v19, v5, s[60:61]
	v_cmp_neq_f32_e32 vcc, v17, v5
	v_cmp_class_f32_e64 s[0:1], v17, s33
	s_or_b64 s[2:3], vcc, s[0:1]
	s_and_saveexec_b64 s[0:1], s[2:3]
	s_cbranch_execz .LBB469_152
; %bb.151:
	v_sub_f32_e32 v17, v17, v5
	s_mov_b32 s2, 0x3fb8aa3b
	v_mul_f32_e32 v18, 0x3fb8aa3b, v17
	v_fma_f32 v19, v17, s2, -v18
	v_rndne_f32_e32 v20, v18
	v_fmamk_f32 v19, v17, 0x32a5705f, v19
	v_sub_f32_e32 v18, v18, v20
	v_add_f32_e32 v18, v18, v19
	v_exp_f32_e32 v18, v18
	v_cvt_i32_f32_e32 v19, v20
	s_mov_b32 s2, 0xc2ce8ed0
	v_cmp_ngt_f32_e32 vcc, s2, v17
	s_mov_b32 s2, 0x42b17218
	v_ldexp_f32 v18, v18, v19
	v_cndmask_b32_e32 v18, 0, v18, vcc
	v_mov_b32_e32 v19, 0x7f800000
	v_cmp_nlt_f32_e32 vcc, s2, v17
	s_mov_b32 s2, 0x3f2aaaab
	s_mov_b32 s3, 0x7f800000
	v_cndmask_b32_e32 v23, v19, v18, vcc
	v_add_f32_e32 v17, 1.0, v23
	v_add_f32_e32 v18, -1.0, v17
	v_sub_f32_e32 v19, v18, v17
	v_add_f32_e32 v19, 1.0, v19
	v_sub_f32_e32 v18, v23, v18
	v_add_f32_e32 v20, v18, v19
	v_frexp_mant_f32_e32 v21, v17
	v_cvt_f64_f32_e32 v[18:19], v17
	v_frexp_exp_i32_f64_e32 v18, v[18:19]
	v_cmp_gt_f32_e32 vcc, s2, v21
	s_mov_b32 s2, 0x3f317218
	s_nop 0
	v_subbrev_co_u32_e32 v49, vcc, 0, v18, vcc
	v_sub_u32_e32 v18, 0, v49
	v_ldexp_f32 v17, v17, v18
	v_ldexp_f32 v18, v20, v18
	v_add_f32_e32 v20, -1.0, v17
	v_add_f32_e32 v19, 1.0, v20
	v_sub_f32_e32 v19, v17, v19
	v_add_f32_e32 v21, v18, v19
	v_add_f32_e32 v19, 1.0, v17
	v_add_f32_e32 v24, -1.0, v19
	v_sub_f32_e32 v17, v17, v24
	v_add_f32_e32 v17, v18, v17
	v_add_f32_e32 v52, v19, v17
	v_rcp_f32_e32 v54, v52
	v_sub_f32_e32 v18, v19, v52
	v_add_f32_e32 v19, v20, v21
	v_add_f32_e32 v17, v17, v18
	v_mul_f32_e32 v56, v19, v54
	v_sub_f32_e32 v18, v20, v19
	v_mul_f32_e32 v20, v52, v56
	v_fma_f32 v24, v56, v52, -v20
	v_fmac_f32_e32 v24, v56, v17
	s_waitcnt lgkmcnt(0)
	v_add_f32_e32 v55, v21, v18
	v_add_f32_e32 v18, v20, v24
	v_sub_f32_e32 v21, v19, v18
	v_pk_add_f32 v[50:51], v[18:19], v[20:21] neg_lo:[0,1] neg_hi:[0,1]
	v_mov_b32_e32 v25, v18
	v_pk_add_f32 v[18:19], v[50:51], v[24:25] neg_lo:[0,1] neg_hi:[0,1]
	v_cmp_eq_f32_e32 vcc, s3, v23
	v_add_f32_e32 v19, v55, v19
	v_add_f32_e32 v18, v18, v19
	;; [unrolled: 1-line block ×3, first 2 shown]
	v_mul_f32_e32 v55, v54, v19
	v_mul_f32_e32 v20, v52, v55
	v_fma_f32 v24, v55, v52, -v20
	v_fmac_f32_e32 v24, v55, v17
	v_sub_f32_e32 v17, v21, v19
	v_add_f32_e32 v17, v18, v17
	v_add_f32_e32 v18, v20, v24
	v_sub_f32_e32 v21, v19, v18
	v_pk_add_f32 v[50:51], v[18:19], v[20:21] neg_lo:[0,1] neg_hi:[0,1]
	v_mov_b32_e32 v25, v18
	v_pk_add_f32 v[18:19], v[50:51], v[24:25] neg_lo:[0,1] neg_hi:[0,1]
	v_cvt_f32_i32_e32 v20, v49
	v_add_f32_e32 v17, v17, v19
	v_add_f32_e32 v17, v18, v17
	;; [unrolled: 1-line block ×4, first 2 shown]
	v_sub_f32_e32 v19, v18, v56
	v_mul_f32_e32 v17, v54, v17
	v_sub_f32_e32 v19, v55, v19
	v_add_f32_e32 v17, v19, v17
	v_add_f32_e32 v21, v18, v17
	v_mul_f32_e32 v24, v21, v21
	v_mov_b32_e32 v19, 0x3ecc95a3
	v_fmac_f32_e32 v19, 0x3e9b6dac, v24
	v_sub_f32_e32 v18, v21, v18
	v_fmaak_f32 v19, v24, v19, 0x3f2aaada
	v_sub_f32_e32 v17, v17, v18
	v_ldexp_f32 v25, v21, 1
	v_mul_f32_e32 v21, v21, v24
	v_mov_b32_e32 v18, 0x3f317218
	v_pk_mul_f32 v[18:19], v[20:21], v[18:19]
	v_ldexp_f32 v17, v17, 1
	v_fma_f32 v21, v20, s2, -v18
	v_fmamk_f32 v24, v20, 0xb102e308, v21
	v_pk_add_f32 v[20:21], v[18:19], v[24:25]
	v_mov_b32_e32 v50, v18
	v_sub_f32_e32 v25, v21, v25
	v_sub_f32_e32 v25, v19, v25
	v_add_f32_e32 v51, v17, v25
	v_pk_add_f32 v[18:19], v[20:21], v[18:19] neg_lo:[0,1] neg_hi:[0,1]
	v_pk_add_f32 v[54:55], v[20:21], v[50:51]
	v_mov_b32_e32 v25, v20
	v_mov_b32_e32 v19, v55
	v_pk_add_f32 v[56:57], v[24:25], v[18:19] neg_lo:[0,1] neg_hi:[0,1]
	v_pk_add_f32 v[18:19], v[24:25], v[18:19]
	v_mov_b32_e32 v50, v51
	v_mov_b32_e32 v24, v19
	v_pk_add_f32 v[58:59], v[24:25], v[20:21] neg_lo:[0,1] neg_hi:[0,1]
	v_mov_b32_e32 v18, v55
	v_mov_b32_e32 v17, v58
	v_pk_add_f32 v[60:61], v[54:55], v[16:17] neg_lo:[0,1] neg_hi:[0,1]
	v_mov_b32_e32 v54, v21
	v_mov_b32_e32 v55, v58
	;; [unrolled: 1-line block ×3, first 2 shown]
	v_pk_add_f32 v[18:19], v[18:19], v[54:55] neg_lo:[0,1] neg_hi:[0,1]
	v_mov_b32_e32 v51, v20
	v_pk_add_f32 v[18:19], v[50:51], v[18:19] neg_lo:[0,1] neg_hi:[0,1]
	v_mov_b32_e32 v60, v56
	v_pk_add_f32 v[20:21], v[60:61], v[18:19]
	s_mov_b32 s2, 0x33800000
	v_mov_b32_e32 v50, v21
	v_pk_add_f32 v[50:51], v[20:21], v[50:51]
	v_cmp_lt_f32_e64 s[2:3], |v23|, s2
	v_pk_add_f32 v[24:25], v[24:25], v[50:51]
	v_mov_b32_e32 v19, v50
	v_mov_b32_e32 v21, v24
	v_pk_add_f32 v[54:55], v[20:21], v[56:57] neg_lo:[0,1] neg_hi:[0,1]
	s_or_b64 vcc, vcc, s[2:3]
	v_sub_f32_e32 v17, v20, v54
	v_pk_add_f32 v[18:19], v[18:19], v[54:55] neg_lo:[0,1] neg_hi:[0,1]
	v_sub_f32_e32 v17, v56, v17
	v_add_f32_e32 v17, v18, v17
	v_add_f32_e32 v17, v17, v19
	;; [unrolled: 1-line block ×3, first 2 shown]
	v_cndmask_b32_e32 v17, v17, v23, vcc
	v_add_f32_e32 v18, v5, v17
.LBB469_152:
	s_or_b64 exec, exec, s[0:1]
	v_bfe_u32 v5, v18, 16, 1
	v_add3_u32 v5, v18, v5, s48
	v_lshrrev_b32_e32 v5, 16, v5
	v_mov_b32_e32 v17, 0x7fc0
	v_cmp_o_f32_e32 vcc, v18, v18
	s_nop 1
	v_cndmask_b32_e32 v5, v17, v5, vcc
	v_lshlrev_b32_e32 v19, 16, v5
	v_max_f32_e32 v18, v19, v19
	v_min_f32_e32 v20, v18, v27
	v_cmp_u_f32_e32 vcc, v19, v19
	v_max_f32_e32 v18, v18, v27
	s_nop 0
	v_cndmask_b32_e32 v20, v20, v19, vcc
	v_cndmask_b32_e32 v18, v18, v19, vcc
	v_cndmask_b32_e64 v20, v20, v22, s[62:63]
	v_cndmask_b32_e64 v18, v18, v22, s[62:63]
	v_cmp_neq_f32_e32 vcc, v20, v18
	v_cmp_class_f32_e64 s[0:1], v20, s33
	s_or_b64 s[2:3], vcc, s[0:1]
	s_and_saveexec_b64 s[0:1], s[2:3]
	s_cbranch_execz .LBB469_154
; %bb.153:
	v_sub_f32_e32 v19, v20, v18
	s_mov_b32 s2, 0x3fb8aa3b
	v_mul_f32_e32 v20, 0x3fb8aa3b, v19
	v_fma_f32 v21, v19, s2, -v20
	v_rndne_f32_e32 v22, v20
	v_fmamk_f32 v21, v19, 0x32a5705f, v21
	v_sub_f32_e32 v20, v20, v22
	v_add_f32_e32 v20, v20, v21
	v_exp_f32_e32 v20, v20
	v_cvt_i32_f32_e32 v21, v22
	s_mov_b32 s2, 0xc2ce8ed0
	v_cmp_ngt_f32_e32 vcc, s2, v19
	s_mov_b32 s2, 0x42b17218
	v_ldexp_f32 v20, v20, v21
	v_cndmask_b32_e32 v20, 0, v20, vcc
	v_mov_b32_e32 v21, 0x7f800000
	v_cmp_nlt_f32_e32 vcc, s2, v19
	s_mov_b32 s2, 0x3f2aaaab
	s_mov_b32 s3, 0x7f800000
	v_cndmask_b32_e32 v27, v21, v20, vcc
	v_add_f32_e32 v19, 1.0, v27
	v_add_f32_e32 v20, -1.0, v19
	v_sub_f32_e32 v21, v20, v19
	v_add_f32_e32 v21, 1.0, v21
	v_sub_f32_e32 v20, v27, v20
	v_add_f32_e32 v22, v20, v21
	v_frexp_mant_f32_e32 v23, v19
	v_cvt_f64_f32_e32 v[20:21], v19
	v_frexp_exp_i32_f64_e32 v20, v[20:21]
	v_cmp_gt_f32_e32 vcc, s2, v23
	s_mov_b32 s2, 0x3f317218
	s_nop 0
	v_subbrev_co_u32_e32 v49, vcc, 0, v20, vcc
	v_sub_u32_e32 v20, 0, v49
	v_ldexp_f32 v19, v19, v20
	v_ldexp_f32 v20, v22, v20
	v_add_f32_e32 v22, -1.0, v19
	v_add_f32_e32 v21, 1.0, v22
	v_sub_f32_e32 v21, v19, v21
	v_add_f32_e32 v23, v20, v21
	v_add_f32_e32 v21, 1.0, v19
	v_add_f32_e32 v24, -1.0, v21
	v_sub_f32_e32 v19, v19, v24
	v_add_f32_e32 v19, v20, v19
	v_add_f32_e32 v52, v21, v19
	v_rcp_f32_e32 v54, v52
	v_sub_f32_e32 v20, v21, v52
	v_add_f32_e32 v21, v22, v23
	v_add_f32_e32 v19, v19, v20
	v_mul_f32_e32 v56, v21, v54
	v_sub_f32_e32 v20, v22, v21
	v_mul_f32_e32 v22, v52, v56
	v_fma_f32 v24, v56, v52, -v22
	v_fmac_f32_e32 v24, v56, v19
	s_waitcnt lgkmcnt(0)
	v_add_f32_e32 v55, v23, v20
	v_add_f32_e32 v20, v22, v24
	v_sub_f32_e32 v23, v21, v20
	v_pk_add_f32 v[50:51], v[20:21], v[22:23] neg_lo:[0,1] neg_hi:[0,1]
	v_mov_b32_e32 v25, v20
	v_pk_add_f32 v[20:21], v[50:51], v[24:25] neg_lo:[0,1] neg_hi:[0,1]
	v_cmp_eq_f32_e32 vcc, s3, v27
	v_add_f32_e32 v21, v55, v21
	v_add_f32_e32 v20, v20, v21
	;; [unrolled: 1-line block ×3, first 2 shown]
	v_mul_f32_e32 v55, v54, v21
	v_mul_f32_e32 v22, v52, v55
	v_fma_f32 v24, v55, v52, -v22
	v_fmac_f32_e32 v24, v55, v19
	v_sub_f32_e32 v19, v23, v21
	v_add_f32_e32 v19, v20, v19
	v_add_f32_e32 v20, v22, v24
	v_sub_f32_e32 v23, v21, v20
	v_pk_add_f32 v[50:51], v[20:21], v[22:23] neg_lo:[0,1] neg_hi:[0,1]
	v_mov_b32_e32 v25, v20
	v_pk_add_f32 v[20:21], v[50:51], v[24:25] neg_lo:[0,1] neg_hi:[0,1]
	v_cvt_f32_i32_e32 v22, v49
	v_add_f32_e32 v19, v19, v21
	v_add_f32_e32 v19, v20, v19
	;; [unrolled: 1-line block ×4, first 2 shown]
	v_sub_f32_e32 v21, v20, v56
	v_mul_f32_e32 v19, v54, v19
	v_sub_f32_e32 v21, v55, v21
	v_add_f32_e32 v19, v21, v19
	v_add_f32_e32 v23, v20, v19
	v_mul_f32_e32 v24, v23, v23
	v_mov_b32_e32 v21, 0x3ecc95a3
	v_fmac_f32_e32 v21, 0x3e9b6dac, v24
	v_sub_f32_e32 v20, v23, v20
	v_fmaak_f32 v21, v24, v21, 0x3f2aaada
	v_sub_f32_e32 v19, v19, v20
	v_ldexp_f32 v25, v23, 1
	v_mul_f32_e32 v23, v23, v24
	v_mov_b32_e32 v20, 0x3f317218
	v_pk_mul_f32 v[20:21], v[22:23], v[20:21]
	v_ldexp_f32 v19, v19, 1
	v_fma_f32 v23, v22, s2, -v20
	v_fmamk_f32 v24, v22, 0xb102e308, v23
	v_pk_add_f32 v[22:23], v[20:21], v[24:25]
	v_mov_b32_e32 v50, v20
	v_sub_f32_e32 v25, v23, v25
	v_sub_f32_e32 v25, v21, v25
	v_add_f32_e32 v51, v19, v25
	v_pk_add_f32 v[20:21], v[22:23], v[20:21] neg_lo:[0,1] neg_hi:[0,1]
	v_pk_add_f32 v[54:55], v[22:23], v[50:51]
	v_mov_b32_e32 v25, v22
	v_mov_b32_e32 v21, v55
	v_pk_add_f32 v[56:57], v[24:25], v[20:21] neg_lo:[0,1] neg_hi:[0,1]
	v_pk_add_f32 v[20:21], v[24:25], v[20:21]
	v_mov_b32_e32 v50, v51
	v_mov_b32_e32 v24, v21
	v_pk_add_f32 v[58:59], v[24:25], v[22:23] neg_lo:[0,1] neg_hi:[0,1]
	v_mov_b32_e32 v20, v55
	v_mov_b32_e32 v19, v58
	v_pk_add_f32 v[60:61], v[54:55], v[18:19] neg_lo:[0,1] neg_hi:[0,1]
	v_mov_b32_e32 v54, v23
	v_mov_b32_e32 v55, v58
	;; [unrolled: 1-line block ×3, first 2 shown]
	v_pk_add_f32 v[20:21], v[20:21], v[54:55] neg_lo:[0,1] neg_hi:[0,1]
	v_mov_b32_e32 v51, v22
	v_pk_add_f32 v[20:21], v[50:51], v[20:21] neg_lo:[0,1] neg_hi:[0,1]
	v_mov_b32_e32 v60, v56
	v_pk_add_f32 v[22:23], v[60:61], v[20:21]
	s_mov_b32 s2, 0x33800000
	v_mov_b32_e32 v50, v23
	v_pk_add_f32 v[50:51], v[22:23], v[50:51]
	v_cmp_lt_f32_e64 s[2:3], |v27|, s2
	v_pk_add_f32 v[24:25], v[24:25], v[50:51]
	v_mov_b32_e32 v21, v50
	v_mov_b32_e32 v23, v24
	v_pk_add_f32 v[54:55], v[22:23], v[56:57] neg_lo:[0,1] neg_hi:[0,1]
	s_or_b64 vcc, vcc, s[2:3]
	v_sub_f32_e32 v19, v22, v54
	v_pk_add_f32 v[20:21], v[20:21], v[54:55] neg_lo:[0,1] neg_hi:[0,1]
	v_sub_f32_e32 v19, v56, v19
	v_add_f32_e32 v19, v20, v19
	v_add_f32_e32 v19, v19, v21
	;; [unrolled: 1-line block ×3, first 2 shown]
	v_cndmask_b32_e32 v19, v19, v27, vcc
	v_add_f32_e32 v19, v18, v19
.LBB469_154:
	s_or_b64 exec, exec, s[0:1]
	v_bfe_u32 v18, v19, 16, 1
	v_add3_u32 v18, v19, v18, s48
	v_lshrrev_b32_e32 v18, 16, v18
	v_cmp_o_f32_e32 vcc, v19, v19
	s_nop 1
	v_cndmask_b32_e32 v17, v17, v18, vcc
	v_lshlrev_b32_e32 v19, 16, v17
	v_max_f32_e32 v20, v19, v19
	v_min_f32_e32 v18, v20, v28
	v_cmp_u_f32_e32 vcc, v19, v19
	v_max_f32_e32 v20, v20, v28
	s_nop 0
	v_cndmask_b32_e32 v18, v18, v19, vcc
	v_cndmask_b32_e32 v20, v20, v19, vcc
	v_cndmask_b32_e64 v18, v18, v10, s[64:65]
	v_cndmask_b32_e64 v10, v20, v10, s[64:65]
	v_cmp_neq_f32_e32 vcc, v18, v10
	v_cmp_class_f32_e64 s[0:1], v18, s33
	s_or_b64 s[2:3], vcc, s[0:1]
	s_and_saveexec_b64 s[0:1], s[2:3]
	s_cbranch_execz .LBB469_156
; %bb.155:
	v_sub_f32_e32 v18, v18, v10
	s_mov_b32 s2, 0x3fb8aa3b
	v_mul_f32_e32 v19, 0x3fb8aa3b, v18
	v_fma_f32 v20, v18, s2, -v19
	v_rndne_f32_e32 v21, v19
	v_fmamk_f32 v20, v18, 0x32a5705f, v20
	v_sub_f32_e32 v19, v19, v21
	v_add_f32_e32 v19, v19, v20
	v_exp_f32_e32 v19, v19
	v_cvt_i32_f32_e32 v20, v21
	s_mov_b32 s2, 0xc2ce8ed0
	v_cmp_ngt_f32_e32 vcc, s2, v18
	s_mov_b32 s2, 0x42b17218
	v_ldexp_f32 v19, v19, v20
	v_cndmask_b32_e32 v19, 0, v19, vcc
	v_mov_b32_e32 v20, 0x7f800000
	v_cmp_nlt_f32_e32 vcc, s2, v18
	s_mov_b32 s2, 0x3f2aaaab
	s_mov_b32 s3, 0x7f800000
	v_cndmask_b32_e32 v27, v20, v19, vcc
	v_add_f32_e32 v20, 1.0, v27
	v_add_f32_e32 v18, -1.0, v20
	v_sub_f32_e32 v19, v18, v20
	v_add_f32_e32 v19, 1.0, v19
	v_sub_f32_e32 v18, v27, v18
	v_add_f32_e32 v21, v18, v19
	v_frexp_mant_f32_e32 v22, v20
	v_cvt_f64_f32_e32 v[18:19], v20
	v_frexp_exp_i32_f64_e32 v18, v[18:19]
	v_cmp_gt_f32_e32 vcc, s2, v22
	s_mov_b32 s2, 0x3f317218
	s_nop 0
	v_subbrev_co_u32_e32 v28, vcc, 0, v18, vcc
	v_sub_u32_e32 v18, 0, v28
	v_ldexp_f32 v19, v20, v18
	v_add_f32_e32 v20, -1.0, v19
	v_add_f32_e32 v22, 1.0, v19
	v_ldexp_f32 v18, v21, v18
	v_add_f32_e32 v21, 1.0, v20
	v_add_f32_e32 v23, -1.0, v22
	v_sub_f32_e32 v21, v19, v21
	v_sub_f32_e32 v19, v19, v23
	v_add_f32_e32 v21, v18, v21
	v_add_f32_e32 v18, v18, v19
	;; [unrolled: 1-line block ×3, first 2 shown]
	v_rcp_f32_e32 v51, v49
	v_sub_f32_e32 v19, v22, v49
	v_add_f32_e32 v50, v18, v19
	v_add_f32_e32 v19, v20, v21
	v_mul_f32_e32 v54, v19, v51
	v_sub_f32_e32 v18, v20, v19
	v_mul_f32_e32 v20, v49, v54
	v_fma_f32 v22, v54, v49, -v20
	v_fmac_f32_e32 v22, v54, v50
	v_add_f32_e32 v52, v21, v18
	v_add_f32_e32 v18, v20, v22
	v_sub_f32_e32 v21, v19, v18
	v_pk_add_f32 v[24:25], v[18:19], v[20:21] neg_lo:[0,1] neg_hi:[0,1]
	v_mov_b32_e32 v23, v18
	v_pk_add_f32 v[18:19], v[24:25], v[22:23] neg_lo:[0,1] neg_hi:[0,1]
	v_cmp_eq_f32_e32 vcc, s3, v27
	v_add_f32_e32 v19, v52, v19
	v_add_f32_e32 v18, v18, v19
	;; [unrolled: 1-line block ×3, first 2 shown]
	v_mul_f32_e32 v52, v51, v19
	v_mul_f32_e32 v20, v49, v52
	v_fma_f32 v22, v52, v49, -v20
	v_fmac_f32_e32 v22, v52, v50
	v_sub_f32_e32 v21, v21, v19
	v_add_f32_e32 v49, v18, v21
	v_add_f32_e32 v18, v20, v22
	v_sub_f32_e32 v21, v19, v18
	v_pk_add_f32 v[24:25], v[18:19], v[20:21] neg_lo:[0,1] neg_hi:[0,1]
	v_mov_b32_e32 v23, v18
	v_pk_add_f32 v[18:19], v[24:25], v[22:23] neg_lo:[0,1] neg_hi:[0,1]
	v_cvt_f32_i32_e32 v20, v28
	v_add_f32_e32 v19, v49, v19
	v_add_f32_e32 v18, v18, v19
	;; [unrolled: 1-line block ×4, first 2 shown]
	v_sub_f32_e32 v19, v21, v54
	v_mul_f32_e32 v18, v51, v18
	v_sub_f32_e32 v19, v52, v19
	v_add_f32_e32 v18, v19, v18
	v_add_f32_e32 v22, v21, v18
	v_mul_f32_e32 v24, v22, v22
	v_mov_b32_e32 v19, 0x3ecc95a3
	v_sub_f32_e32 v21, v22, v21
	v_fmac_f32_e32 v19, 0x3e9b6dac, v24
	v_sub_f32_e32 v18, v18, v21
	v_fmaak_f32 v19, v24, v19, 0x3f2aaada
	v_ldexp_f32 v25, v18, 1
	v_mul_f32_e32 v21, v22, v24
	v_mov_b32_e32 v18, 0x3f317218
	v_pk_mul_f32 v[18:19], v[20:21], v[18:19]
	v_ldexp_f32 v23, v22, 1
	v_fma_f32 v21, v20, s2, -v18
	v_fmamk_f32 v22, v20, 0xb102e308, v21
	v_pk_add_f32 v[20:21], v[18:19], v[22:23]
	v_mov_b32_e32 v24, v18
	v_sub_f32_e32 v23, v21, v23
	v_sub_f32_e32 v23, v19, v23
	v_add_f32_e32 v25, v25, v23
	v_pk_add_f32 v[18:19], v[20:21], v[18:19] neg_lo:[0,1] neg_hi:[0,1]
	v_pk_add_f32 v[50:51], v[20:21], v[24:25]
	v_mov_b32_e32 v23, v20
	v_mov_b32_e32 v19, v51
	s_waitcnt lgkmcnt(0)
	v_pk_add_f32 v[54:55], v[22:23], v[18:19] neg_lo:[0,1] neg_hi:[0,1]
	v_pk_add_f32 v[18:19], v[22:23], v[18:19]
	v_mov_b32_e32 v24, v25
	v_mov_b32_e32 v22, v19
	v_pk_add_f32 v[56:57], v[22:23], v[20:21] neg_lo:[0,1] neg_hi:[0,1]
	v_mov_b32_e32 v18, v51
	v_mov_b32_e32 v23, v56
	v_pk_add_f32 v[58:59], v[50:51], v[22:23] neg_lo:[0,1] neg_hi:[0,1]
	v_mov_b32_e32 v50, v21
	v_mov_b32_e32 v51, v56
	;; [unrolled: 1-line block ×3, first 2 shown]
	v_pk_add_f32 v[18:19], v[18:19], v[50:51] neg_lo:[0,1] neg_hi:[0,1]
	v_mov_b32_e32 v25, v20
	v_pk_add_f32 v[18:19], v[24:25], v[18:19] neg_lo:[0,1] neg_hi:[0,1]
	v_mov_b32_e32 v58, v54
	v_pk_add_f32 v[20:21], v[58:59], v[18:19]
	s_mov_b32 s2, 0x33800000
	v_mov_b32_e32 v24, v21
	v_pk_add_f32 v[24:25], v[20:21], v[24:25]
	v_cmp_lt_f32_e64 s[2:3], |v27|, s2
	v_pk_add_f32 v[22:23], v[22:23], v[24:25]
	v_mov_b32_e32 v19, v24
	v_mov_b32_e32 v21, v22
	v_pk_add_f32 v[50:51], v[20:21], v[54:55] neg_lo:[0,1] neg_hi:[0,1]
	s_or_b64 vcc, vcc, s[2:3]
	v_sub_f32_e32 v20, v20, v50
	v_pk_add_f32 v[18:19], v[18:19], v[50:51] neg_lo:[0,1] neg_hi:[0,1]
	v_sub_f32_e32 v20, v54, v20
	v_add_f32_e32 v18, v18, v20
	v_add_f32_e32 v18, v18, v19
	;; [unrolled: 1-line block ×3, first 2 shown]
	v_cndmask_b32_e32 v18, v18, v27, vcc
	v_add_f32_e32 v19, v10, v18
.LBB469_156:
	s_or_b64 exec, exec, s[0:1]
	v_bfe_u32 v10, v19, 16, 1
	v_add3_u32 v10, v19, v10, s48
	v_lshrrev_b32_e32 v10, 16, v10
	v_mov_b32_e32 v18, 0x7fc0
	v_cmp_o_f32_e32 vcc, v19, v19
	s_nop 1
	v_cndmask_b32_e32 v10, v18, v10, vcc
	v_lshlrev_b32_e32 v20, 16, v10
	v_max_f32_e32 v19, v20, v20
	v_min_f32_e32 v21, v19, v30
	v_cmp_u_f32_e32 vcc, v20, v20
	v_max_f32_e32 v19, v19, v30
	s_nop 0
	v_cndmask_b32_e32 v21, v21, v20, vcc
	v_cndmask_b32_e32 v19, v19, v20, vcc
	v_cndmask_b32_e64 v21, v21, v26, s[66:67]
	v_cndmask_b32_e64 v19, v19, v26, s[66:67]
	v_cmp_neq_f32_e32 vcc, v21, v19
	v_cmp_class_f32_e64 s[0:1], v21, s33
	s_or_b64 s[2:3], vcc, s[0:1]
	s_and_saveexec_b64 s[0:1], s[2:3]
	s_cbranch_execz .LBB469_158
; %bb.157:
	v_sub_f32_e32 v20, v21, v19
	s_mov_b32 s2, 0x3fb8aa3b
	v_mul_f32_e32 v21, 0x3fb8aa3b, v20
	v_fma_f32 v22, v20, s2, -v21
	v_rndne_f32_e32 v23, v21
	v_fmamk_f32 v22, v20, 0x32a5705f, v22
	v_sub_f32_e32 v21, v21, v23
	v_add_f32_e32 v21, v21, v22
	v_exp_f32_e32 v21, v21
	v_cvt_i32_f32_e32 v22, v23
	s_mov_b32 s2, 0xc2ce8ed0
	v_cmp_ngt_f32_e32 vcc, s2, v20
	s_mov_b32 s2, 0x42b17218
	v_ldexp_f32 v21, v21, v22
	v_cndmask_b32_e32 v21, 0, v21, vcc
	v_mov_b32_e32 v22, 0x7f800000
	v_cmp_nlt_f32_e32 vcc, s2, v20
	s_mov_b32 s2, 0x3f2aaaab
	s_mov_b32 s3, 0x7f800000
	v_cndmask_b32_e32 v28, v22, v21, vcc
	v_add_f32_e32 v22, 1.0, v28
	v_add_f32_e32 v20, -1.0, v22
	v_sub_f32_e32 v21, v20, v22
	v_add_f32_e32 v21, 1.0, v21
	v_sub_f32_e32 v20, v28, v20
	v_add_f32_e32 v23, v20, v21
	v_frexp_mant_f32_e32 v24, v22
	v_cvt_f64_f32_e32 v[20:21], v22
	v_frexp_exp_i32_f64_e32 v20, v[20:21]
	v_cmp_gt_f32_e32 vcc, s2, v24
	s_mov_b32 s2, 0x3f317218
	s_nop 0
	v_subbrev_co_u32_e32 v30, vcc, 0, v20, vcc
	v_sub_u32_e32 v20, 0, v30
	v_ldexp_f32 v21, v22, v20
	v_add_f32_e32 v22, -1.0, v21
	v_add_f32_e32 v24, 1.0, v21
	v_ldexp_f32 v20, v23, v20
	v_add_f32_e32 v23, 1.0, v22
	v_add_f32_e32 v25, -1.0, v24
	v_sub_f32_e32 v23, v21, v23
	v_sub_f32_e32 v21, v21, v25
	v_add_f32_e32 v23, v20, v23
	v_add_f32_e32 v20, v20, v21
	;; [unrolled: 1-line block ×3, first 2 shown]
	v_rcp_f32_e32 v51, v49
	v_sub_f32_e32 v21, v24, v49
	v_add_f32_e32 v50, v20, v21
	v_add_f32_e32 v21, v22, v23
	v_mul_f32_e32 v54, v21, v51
	v_sub_f32_e32 v20, v22, v21
	v_mul_f32_e32 v22, v49, v54
	v_fma_f32 v24, v54, v49, -v22
	v_fmac_f32_e32 v24, v54, v50
	v_add_f32_e32 v52, v23, v20
	v_add_f32_e32 v20, v22, v24
	v_sub_f32_e32 v23, v21, v20
	v_pk_add_f32 v[26:27], v[20:21], v[22:23] neg_lo:[0,1] neg_hi:[0,1]
	v_mov_b32_e32 v25, v20
	v_pk_add_f32 v[20:21], v[26:27], v[24:25] neg_lo:[0,1] neg_hi:[0,1]
	v_cmp_eq_f32_e32 vcc, s3, v28
	v_add_f32_e32 v21, v52, v21
	v_add_f32_e32 v20, v20, v21
	;; [unrolled: 1-line block ×3, first 2 shown]
	v_mul_f32_e32 v52, v51, v21
	v_mul_f32_e32 v22, v49, v52
	v_fma_f32 v24, v52, v49, -v22
	v_fmac_f32_e32 v24, v52, v50
	v_sub_f32_e32 v23, v23, v21
	v_add_f32_e32 v49, v20, v23
	v_add_f32_e32 v20, v22, v24
	v_sub_f32_e32 v23, v21, v20
	v_pk_add_f32 v[26:27], v[20:21], v[22:23] neg_lo:[0,1] neg_hi:[0,1]
	v_mov_b32_e32 v25, v20
	v_pk_add_f32 v[20:21], v[26:27], v[24:25] neg_lo:[0,1] neg_hi:[0,1]
	v_cvt_f32_i32_e32 v22, v30
	v_add_f32_e32 v21, v49, v21
	v_add_f32_e32 v20, v20, v21
	;; [unrolled: 1-line block ×4, first 2 shown]
	v_sub_f32_e32 v21, v23, v54
	v_mul_f32_e32 v20, v51, v20
	v_sub_f32_e32 v21, v52, v21
	v_add_f32_e32 v20, v21, v20
	v_add_f32_e32 v24, v23, v20
	v_mul_f32_e32 v26, v24, v24
	v_mov_b32_e32 v21, 0x3ecc95a3
	v_sub_f32_e32 v23, v24, v23
	v_fmac_f32_e32 v21, 0x3e9b6dac, v26
	v_sub_f32_e32 v20, v20, v23
	v_fmaak_f32 v21, v26, v21, 0x3f2aaada
	v_ldexp_f32 v27, v20, 1
	v_mul_f32_e32 v23, v24, v26
	v_mov_b32_e32 v20, 0x3f317218
	v_pk_mul_f32 v[20:21], v[22:23], v[20:21]
	v_ldexp_f32 v25, v24, 1
	v_fma_f32 v23, v22, s2, -v20
	v_fmamk_f32 v24, v22, 0xb102e308, v23
	v_pk_add_f32 v[22:23], v[20:21], v[24:25]
	v_mov_b32_e32 v26, v20
	v_sub_f32_e32 v25, v23, v25
	v_sub_f32_e32 v25, v21, v25
	v_add_f32_e32 v27, v27, v25
	v_pk_add_f32 v[20:21], v[22:23], v[20:21] neg_lo:[0,1] neg_hi:[0,1]
	v_pk_add_f32 v[50:51], v[22:23], v[26:27]
	v_mov_b32_e32 v25, v22
	v_mov_b32_e32 v21, v51
	s_waitcnt lgkmcnt(0)
	v_pk_add_f32 v[54:55], v[24:25], v[20:21] neg_lo:[0,1] neg_hi:[0,1]
	v_pk_add_f32 v[20:21], v[24:25], v[20:21]
	v_mov_b32_e32 v26, v27
	v_mov_b32_e32 v24, v21
	v_pk_add_f32 v[56:57], v[24:25], v[22:23] neg_lo:[0,1] neg_hi:[0,1]
	v_mov_b32_e32 v20, v51
	v_mov_b32_e32 v25, v56
	v_pk_add_f32 v[58:59], v[50:51], v[24:25] neg_lo:[0,1] neg_hi:[0,1]
	v_mov_b32_e32 v50, v23
	v_mov_b32_e32 v51, v56
	;; [unrolled: 1-line block ×3, first 2 shown]
	v_pk_add_f32 v[20:21], v[20:21], v[50:51] neg_lo:[0,1] neg_hi:[0,1]
	v_mov_b32_e32 v27, v22
	v_pk_add_f32 v[20:21], v[26:27], v[20:21] neg_lo:[0,1] neg_hi:[0,1]
	v_mov_b32_e32 v58, v54
	v_pk_add_f32 v[22:23], v[58:59], v[20:21]
	s_mov_b32 s2, 0x33800000
	v_mov_b32_e32 v26, v23
	v_pk_add_f32 v[26:27], v[22:23], v[26:27]
	v_cmp_lt_f32_e64 s[2:3], |v28|, s2
	v_pk_add_f32 v[24:25], v[24:25], v[26:27]
	v_mov_b32_e32 v21, v26
	v_mov_b32_e32 v23, v24
	v_pk_add_f32 v[50:51], v[22:23], v[54:55] neg_lo:[0,1] neg_hi:[0,1]
	s_or_b64 vcc, vcc, s[2:3]
	v_sub_f32_e32 v22, v22, v50
	v_pk_add_f32 v[20:21], v[20:21], v[50:51] neg_lo:[0,1] neg_hi:[0,1]
	v_sub_f32_e32 v22, v54, v22
	v_add_f32_e32 v20, v20, v22
	v_add_f32_e32 v20, v20, v21
	v_add_f32_e32 v20, v24, v20
	v_cndmask_b32_e32 v20, v20, v28, vcc
	v_add_f32_e32 v20, v19, v20
.LBB469_158:
	s_or_b64 exec, exec, s[0:1]
	v_bfe_u32 v19, v20, 16, 1
	v_add3_u32 v19, v20, v19, s48
	v_lshrrev_b32_e32 v19, 16, v19
	v_cmp_o_f32_e32 vcc, v20, v20
	s_nop 1
	v_cndmask_b32_e32 v18, v18, v19, vcc
	v_lshlrev_b32_e32 v20, 16, v18
	v_max_f32_e32 v21, v20, v20
	v_min_f32_e32 v19, v21, v31
	v_cmp_u_f32_e32 vcc, v20, v20
	v_max_f32_e32 v21, v21, v31
	s_nop 0
	v_cndmask_b32_e32 v19, v19, v20, vcc
	v_cndmask_b32_e32 v21, v21, v20, vcc
	v_cndmask_b32_e64 v19, v19, v11, s[68:69]
	v_cndmask_b32_e64 v11, v21, v11, s[68:69]
	v_cmp_neq_f32_e32 vcc, v19, v11
	v_cmp_class_f32_e64 s[0:1], v19, s33
	s_or_b64 s[2:3], vcc, s[0:1]
	s_and_saveexec_b64 s[0:1], s[2:3]
	s_cbranch_execz .LBB469_160
; %bb.159:
	v_sub_f32_e32 v19, v19, v11
	s_mov_b32 s2, 0x3fb8aa3b
	v_mul_f32_e32 v20, 0x3fb8aa3b, v19
	v_fma_f32 v21, v19, s2, -v20
	v_rndne_f32_e32 v22, v20
	v_fmamk_f32 v21, v19, 0x32a5705f, v21
	v_sub_f32_e32 v20, v20, v22
	v_add_f32_e32 v20, v20, v21
	v_exp_f32_e32 v20, v20
	v_cvt_i32_f32_e32 v21, v22
	s_mov_b32 s2, 0xc2ce8ed0
	v_cmp_ngt_f32_e32 vcc, s2, v19
	s_mov_b32 s2, 0x42b17218
	v_ldexp_f32 v20, v20, v21
	v_cndmask_b32_e32 v20, 0, v20, vcc
	v_mov_b32_e32 v21, 0x7f800000
	v_cmp_nlt_f32_e32 vcc, s2, v19
	s_mov_b32 s2, 0x3f2aaaab
	s_mov_b32 s3, 0x7f800000
	v_cndmask_b32_e32 v28, v21, v20, vcc
	v_add_f32_e32 v19, 1.0, v28
	v_add_f32_e32 v20, -1.0, v19
	v_sub_f32_e32 v21, v20, v19
	v_add_f32_e32 v21, 1.0, v21
	v_sub_f32_e32 v20, v28, v20
	v_add_f32_e32 v22, v20, v21
	v_frexp_mant_f32_e32 v23, v19
	v_cvt_f64_f32_e32 v[20:21], v19
	v_frexp_exp_i32_f64_e32 v20, v[20:21]
	v_cmp_gt_f32_e32 vcc, s2, v23
	s_mov_b32 s2, 0x3f317218
	s_nop 0
	v_subbrev_co_u32_e32 v30, vcc, 0, v20, vcc
	v_sub_u32_e32 v20, 0, v30
	v_ldexp_f32 v19, v19, v20
	v_ldexp_f32 v20, v22, v20
	v_add_f32_e32 v22, -1.0, v19
	v_add_f32_e32 v21, 1.0, v22
	v_sub_f32_e32 v21, v19, v21
	v_add_f32_e32 v23, v20, v21
	v_add_f32_e32 v21, 1.0, v19
	v_add_f32_e32 v24, -1.0, v21
	v_sub_f32_e32 v19, v19, v24
	v_add_f32_e32 v19, v20, v19
	v_add_f32_e32 v31, v21, v19
	v_rcp_f32_e32 v49, v31
	v_sub_f32_e32 v20, v21, v31
	v_add_f32_e32 v21, v22, v23
	v_add_f32_e32 v19, v19, v20
	v_mul_f32_e32 v51, v21, v49
	v_sub_f32_e32 v20, v22, v21
	v_mul_f32_e32 v22, v31, v51
	v_fma_f32 v24, v51, v31, -v22
	v_fmac_f32_e32 v24, v51, v19
	v_add_f32_e32 v50, v23, v20
	v_add_f32_e32 v20, v22, v24
	v_sub_f32_e32 v23, v21, v20
	v_pk_add_f32 v[26:27], v[20:21], v[22:23] neg_lo:[0,1] neg_hi:[0,1]
	v_mov_b32_e32 v25, v20
	v_pk_add_f32 v[20:21], v[26:27], v[24:25] neg_lo:[0,1] neg_hi:[0,1]
	v_cmp_eq_f32_e32 vcc, s3, v28
	v_add_f32_e32 v21, v50, v21
	v_add_f32_e32 v20, v20, v21
	;; [unrolled: 1-line block ×3, first 2 shown]
	v_mul_f32_e32 v50, v49, v21
	v_mul_f32_e32 v22, v31, v50
	v_fma_f32 v24, v50, v31, -v22
	v_fmac_f32_e32 v24, v50, v19
	v_sub_f32_e32 v19, v23, v21
	v_add_f32_e32 v19, v20, v19
	v_add_f32_e32 v20, v22, v24
	v_sub_f32_e32 v23, v21, v20
	v_pk_add_f32 v[26:27], v[20:21], v[22:23] neg_lo:[0,1] neg_hi:[0,1]
	v_mov_b32_e32 v25, v20
	v_pk_add_f32 v[20:21], v[26:27], v[24:25] neg_lo:[0,1] neg_hi:[0,1]
	v_cvt_f32_i32_e32 v22, v30
	v_add_f32_e32 v19, v19, v21
	v_add_f32_e32 v19, v20, v19
	;; [unrolled: 1-line block ×4, first 2 shown]
	v_sub_f32_e32 v21, v20, v51
	v_mul_f32_e32 v19, v49, v19
	v_sub_f32_e32 v21, v50, v21
	v_add_f32_e32 v19, v21, v19
	v_add_f32_e32 v23, v20, v19
	v_mul_f32_e32 v24, v23, v23
	v_mov_b32_e32 v21, 0x3ecc95a3
	v_fmac_f32_e32 v21, 0x3e9b6dac, v24
	v_sub_f32_e32 v20, v23, v20
	v_fmaak_f32 v21, v24, v21, 0x3f2aaada
	v_sub_f32_e32 v19, v19, v20
	v_ldexp_f32 v25, v23, 1
	v_mul_f32_e32 v23, v23, v24
	v_mov_b32_e32 v20, 0x3f317218
	v_pk_mul_f32 v[20:21], v[22:23], v[20:21]
	v_ldexp_f32 v19, v19, 1
	v_fma_f32 v23, v22, s2, -v20
	v_fmamk_f32 v24, v22, 0xb102e308, v23
	v_pk_add_f32 v[22:23], v[20:21], v[24:25]
	v_mov_b32_e32 v26, v20
	v_sub_f32_e32 v25, v23, v25
	v_sub_f32_e32 v25, v21, v25
	v_add_f32_e32 v27, v19, v25
	v_pk_add_f32 v[20:21], v[22:23], v[20:21] neg_lo:[0,1] neg_hi:[0,1]
	v_pk_add_f32 v[30:31], v[22:23], v[26:27]
	v_mov_b32_e32 v25, v22
	v_mov_b32_e32 v21, v31
	v_pk_add_f32 v[50:51], v[24:25], v[20:21] neg_lo:[0,1] neg_hi:[0,1]
	v_pk_add_f32 v[20:21], v[24:25], v[20:21]
	v_mov_b32_e32 v26, v27
	v_mov_b32_e32 v24, v21
	s_waitcnt lgkmcnt(0)
	v_pk_add_f32 v[54:55], v[24:25], v[22:23] neg_lo:[0,1] neg_hi:[0,1]
	v_mov_b32_e32 v20, v31
	v_mov_b32_e32 v19, v54
	v_pk_add_f32 v[56:57], v[30:31], v[18:19] neg_lo:[0,1] neg_hi:[0,1]
	v_mov_b32_e32 v30, v23
	v_mov_b32_e32 v31, v54
	v_mov_b32_e32 v51, v21
	v_pk_add_f32 v[20:21], v[20:21], v[30:31] neg_lo:[0,1] neg_hi:[0,1]
	v_mov_b32_e32 v27, v22
	v_pk_add_f32 v[20:21], v[26:27], v[20:21] neg_lo:[0,1] neg_hi:[0,1]
	v_mov_b32_e32 v56, v50
	v_pk_add_f32 v[22:23], v[56:57], v[20:21]
	s_mov_b32 s2, 0x33800000
	v_mov_b32_e32 v26, v23
	v_pk_add_f32 v[26:27], v[22:23], v[26:27]
	v_cmp_lt_f32_e64 s[2:3], |v28|, s2
	v_pk_add_f32 v[24:25], v[24:25], v[26:27]
	v_mov_b32_e32 v21, v26
	v_mov_b32_e32 v23, v24
	v_pk_add_f32 v[30:31], v[22:23], v[50:51] neg_lo:[0,1] neg_hi:[0,1]
	s_or_b64 vcc, vcc, s[2:3]
	v_sub_f32_e32 v19, v22, v30
	v_pk_add_f32 v[20:21], v[20:21], v[30:31] neg_lo:[0,1] neg_hi:[0,1]
	v_sub_f32_e32 v19, v50, v19
	v_add_f32_e32 v19, v20, v19
	v_add_f32_e32 v19, v19, v21
	;; [unrolled: 1-line block ×3, first 2 shown]
	v_cndmask_b32_e32 v19, v19, v28, vcc
	v_add_f32_e32 v20, v11, v19
.LBB469_160:
	s_or_b64 exec, exec, s[0:1]
	v_bfe_u32 v11, v20, 16, 1
	v_add3_u32 v11, v20, v11, s48
	v_lshrrev_b32_e32 v11, 16, v11
	v_mov_b32_e32 v19, 0x7fc0
	v_cmp_o_f32_e32 vcc, v20, v20
	s_nop 1
	v_cndmask_b32_e32 v11, v19, v11, vcc
	v_lshlrev_b32_e32 v21, 16, v11
	v_max_f32_e32 v20, v21, v21
	v_min_f32_e32 v22, v20, v33
	v_cmp_u_f32_e32 vcc, v21, v21
	v_max_f32_e32 v20, v20, v33
	s_nop 0
	v_cndmask_b32_e32 v22, v22, v21, vcc
	v_cndmask_b32_e32 v20, v20, v21, vcc
	v_cndmask_b32_e64 v22, v22, v29, s[70:71]
	v_cndmask_b32_e64 v20, v20, v29, s[70:71]
	v_cmp_neq_f32_e32 vcc, v22, v20
	v_cmp_class_f32_e64 s[0:1], v22, s33
	s_or_b64 s[2:3], vcc, s[0:1]
	s_and_saveexec_b64 s[0:1], s[2:3]
	s_cbranch_execz .LBB469_162
; %bb.161:
	v_sub_f32_e32 v21, v22, v20
	s_mov_b32 s2, 0x3fb8aa3b
	v_mul_f32_e32 v22, 0x3fb8aa3b, v21
	v_fma_f32 v23, v21, s2, -v22
	v_rndne_f32_e32 v24, v22
	v_fmamk_f32 v23, v21, 0x32a5705f, v23
	v_sub_f32_e32 v22, v22, v24
	v_add_f32_e32 v22, v22, v23
	v_exp_f32_e32 v22, v22
	v_cvt_i32_f32_e32 v23, v24
	s_mov_b32 s2, 0xc2ce8ed0
	v_cmp_ngt_f32_e32 vcc, s2, v21
	s_mov_b32 s2, 0x42b17218
	v_ldexp_f32 v22, v22, v23
	v_cndmask_b32_e32 v22, 0, v22, vcc
	v_mov_b32_e32 v23, 0x7f800000
	v_cmp_nlt_f32_e32 vcc, s2, v21
	s_mov_b32 s2, 0x3f2aaaab
	s_mov_b32 s3, 0x7f800000
	v_cndmask_b32_e32 v33, v23, v22, vcc
	v_add_f32_e32 v21, 1.0, v33
	v_add_f32_e32 v22, -1.0, v21
	v_sub_f32_e32 v23, v22, v21
	v_add_f32_e32 v23, 1.0, v23
	v_sub_f32_e32 v22, v33, v22
	v_add_f32_e32 v24, v22, v23
	v_frexp_mant_f32_e32 v25, v21
	v_cvt_f64_f32_e32 v[22:23], v21
	v_frexp_exp_i32_f64_e32 v22, v[22:23]
	v_cmp_gt_f32_e32 vcc, s2, v25
	s_mov_b32 s2, 0x3f317218
	s_nop 0
	v_subbrev_co_u32_e32 v30, vcc, 0, v22, vcc
	v_sub_u32_e32 v22, 0, v30
	v_ldexp_f32 v21, v21, v22
	v_ldexp_f32 v22, v24, v22
	v_add_f32_e32 v24, -1.0, v21
	v_add_f32_e32 v23, 1.0, v24
	v_sub_f32_e32 v23, v21, v23
	v_add_f32_e32 v25, v22, v23
	v_add_f32_e32 v23, 1.0, v21
	v_add_f32_e32 v26, -1.0, v23
	v_sub_f32_e32 v21, v21, v26
	v_add_f32_e32 v21, v22, v21
	v_add_f32_e32 v31, v23, v21
	v_rcp_f32_e32 v49, v31
	v_sub_f32_e32 v22, v23, v31
	v_add_f32_e32 v23, v24, v25
	v_add_f32_e32 v21, v21, v22
	v_mul_f32_e32 v51, v23, v49
	v_sub_f32_e32 v22, v24, v23
	v_mul_f32_e32 v24, v31, v51
	v_fma_f32 v26, v51, v31, -v24
	v_fmac_f32_e32 v26, v51, v21
	v_add_f32_e32 v50, v25, v22
	v_add_f32_e32 v22, v24, v26
	v_sub_f32_e32 v25, v23, v22
	v_pk_add_f32 v[28:29], v[22:23], v[24:25] neg_lo:[0,1] neg_hi:[0,1]
	v_mov_b32_e32 v27, v22
	v_pk_add_f32 v[22:23], v[28:29], v[26:27] neg_lo:[0,1] neg_hi:[0,1]
	v_cmp_eq_f32_e32 vcc, s3, v33
	v_add_f32_e32 v23, v50, v23
	v_add_f32_e32 v22, v22, v23
	;; [unrolled: 1-line block ×3, first 2 shown]
	v_mul_f32_e32 v50, v49, v23
	v_mul_f32_e32 v24, v31, v50
	v_fma_f32 v26, v50, v31, -v24
	v_fmac_f32_e32 v26, v50, v21
	v_sub_f32_e32 v21, v25, v23
	v_add_f32_e32 v21, v22, v21
	v_add_f32_e32 v22, v24, v26
	v_sub_f32_e32 v25, v23, v22
	v_pk_add_f32 v[28:29], v[22:23], v[24:25] neg_lo:[0,1] neg_hi:[0,1]
	v_mov_b32_e32 v27, v22
	v_pk_add_f32 v[22:23], v[28:29], v[26:27] neg_lo:[0,1] neg_hi:[0,1]
	v_cvt_f32_i32_e32 v24, v30
	v_add_f32_e32 v21, v21, v23
	v_add_f32_e32 v21, v22, v21
	;; [unrolled: 1-line block ×4, first 2 shown]
	v_sub_f32_e32 v23, v22, v51
	v_mul_f32_e32 v21, v49, v21
	v_sub_f32_e32 v23, v50, v23
	v_add_f32_e32 v21, v23, v21
	v_add_f32_e32 v25, v22, v21
	v_mul_f32_e32 v26, v25, v25
	v_mov_b32_e32 v23, 0x3ecc95a3
	v_fmac_f32_e32 v23, 0x3e9b6dac, v26
	v_sub_f32_e32 v22, v25, v22
	v_fmaak_f32 v23, v26, v23, 0x3f2aaada
	v_sub_f32_e32 v21, v21, v22
	v_ldexp_f32 v27, v25, 1
	v_mul_f32_e32 v25, v25, v26
	v_mov_b32_e32 v22, 0x3f317218
	v_pk_mul_f32 v[22:23], v[24:25], v[22:23]
	v_ldexp_f32 v21, v21, 1
	v_fma_f32 v25, v24, s2, -v22
	v_fmamk_f32 v26, v24, 0xb102e308, v25
	v_pk_add_f32 v[24:25], v[22:23], v[26:27]
	v_mov_b32_e32 v28, v22
	v_sub_f32_e32 v27, v25, v27
	v_sub_f32_e32 v27, v23, v27
	v_add_f32_e32 v29, v21, v27
	v_pk_add_f32 v[22:23], v[24:25], v[22:23] neg_lo:[0,1] neg_hi:[0,1]
	v_pk_add_f32 v[30:31], v[24:25], v[28:29]
	v_mov_b32_e32 v27, v24
	v_mov_b32_e32 v23, v31
	v_pk_add_f32 v[50:51], v[26:27], v[22:23] neg_lo:[0,1] neg_hi:[0,1]
	v_pk_add_f32 v[22:23], v[26:27], v[22:23]
	v_mov_b32_e32 v28, v29
	v_mov_b32_e32 v26, v23
	s_waitcnt lgkmcnt(0)
	v_pk_add_f32 v[54:55], v[26:27], v[24:25] neg_lo:[0,1] neg_hi:[0,1]
	v_mov_b32_e32 v22, v31
	v_mov_b32_e32 v21, v54
	v_pk_add_f32 v[56:57], v[30:31], v[20:21] neg_lo:[0,1] neg_hi:[0,1]
	v_mov_b32_e32 v30, v25
	v_mov_b32_e32 v31, v54
	;; [unrolled: 1-line block ×3, first 2 shown]
	v_pk_add_f32 v[22:23], v[22:23], v[30:31] neg_lo:[0,1] neg_hi:[0,1]
	v_mov_b32_e32 v29, v24
	v_pk_add_f32 v[22:23], v[28:29], v[22:23] neg_lo:[0,1] neg_hi:[0,1]
	v_mov_b32_e32 v56, v50
	v_pk_add_f32 v[24:25], v[56:57], v[22:23]
	s_mov_b32 s2, 0x33800000
	v_mov_b32_e32 v28, v25
	v_pk_add_f32 v[28:29], v[24:25], v[28:29]
	v_cmp_lt_f32_e64 s[2:3], |v33|, s2
	v_pk_add_f32 v[26:27], v[26:27], v[28:29]
	v_mov_b32_e32 v23, v28
	v_mov_b32_e32 v25, v26
	v_pk_add_f32 v[30:31], v[24:25], v[50:51] neg_lo:[0,1] neg_hi:[0,1]
	s_or_b64 vcc, vcc, s[2:3]
	v_sub_f32_e32 v21, v24, v30
	v_pk_add_f32 v[22:23], v[22:23], v[30:31] neg_lo:[0,1] neg_hi:[0,1]
	v_sub_f32_e32 v21, v50, v21
	v_add_f32_e32 v21, v22, v21
	v_add_f32_e32 v21, v21, v23
	;; [unrolled: 1-line block ×3, first 2 shown]
	v_cndmask_b32_e32 v21, v21, v33, vcc
	v_add_f32_e32 v21, v20, v21
.LBB469_162:
	s_or_b64 exec, exec, s[0:1]
	v_bfe_u32 v20, v21, 16, 1
	v_add3_u32 v20, v21, v20, s48
	v_lshrrev_b32_e32 v20, 16, v20
	v_cmp_o_f32_e32 vcc, v21, v21
	s_nop 1
	v_cndmask_b32_e32 v19, v19, v20, vcc
	v_lshlrev_b32_e32 v21, 16, v19
	v_max_f32_e32 v22, v21, v21
	v_min_f32_e32 v20, v22, v34
	v_cmp_u_f32_e32 vcc, v21, v21
	v_max_f32_e32 v22, v22, v34
	s_nop 0
	v_cndmask_b32_e32 v20, v20, v21, vcc
	v_cndmask_b32_e32 v22, v22, v21, vcc
	v_cndmask_b32_e64 v20, v20, v12, s[72:73]
	v_cndmask_b32_e64 v12, v22, v12, s[72:73]
	v_cmp_neq_f32_e32 vcc, v20, v12
	v_cmp_class_f32_e64 s[0:1], v20, s33
	s_or_b64 s[2:3], vcc, s[0:1]
	s_and_saveexec_b64 s[0:1], s[2:3]
	s_cbranch_execz .LBB469_164
; %bb.163:
	v_sub_f32_e32 v20, v20, v12
	s_mov_b32 s2, 0x3fb8aa3b
	v_mul_f32_e32 v21, 0x3fb8aa3b, v20
	v_fma_f32 v22, v20, s2, -v21
	v_rndne_f32_e32 v23, v21
	v_fmamk_f32 v22, v20, 0x32a5705f, v22
	v_sub_f32_e32 v21, v21, v23
	v_add_f32_e32 v21, v21, v22
	v_exp_f32_e32 v21, v21
	v_cvt_i32_f32_e32 v22, v23
	s_mov_b32 s2, 0xc2ce8ed0
	v_cmp_ngt_f32_e32 vcc, s2, v20
	s_mov_b32 s2, 0x42b17218
	v_ldexp_f32 v21, v21, v22
	v_cndmask_b32_e32 v21, 0, v21, vcc
	v_mov_b32_e32 v22, 0x7f800000
	v_cmp_nlt_f32_e32 vcc, s2, v20
	s_mov_b32 s2, 0x3f2aaaab
	s_mov_b32 s3, 0x7f800000
	v_cndmask_b32_e32 v33, v22, v21, vcc
	v_add_f32_e32 v22, 1.0, v33
	v_add_f32_e32 v20, -1.0, v22
	v_sub_f32_e32 v21, v20, v22
	v_add_f32_e32 v21, 1.0, v21
	v_sub_f32_e32 v20, v33, v20
	v_add_f32_e32 v23, v20, v21
	v_frexp_mant_f32_e32 v24, v22
	v_cvt_f64_f32_e32 v[20:21], v22
	v_frexp_exp_i32_f64_e32 v20, v[20:21]
	v_cmp_gt_f32_e32 vcc, s2, v24
	s_mov_b32 s2, 0x3f317218
	s_nop 0
	v_subbrev_co_u32_e32 v28, vcc, 0, v20, vcc
	v_sub_u32_e32 v20, 0, v28
	v_ldexp_f32 v21, v22, v20
	v_add_f32_e32 v22, -1.0, v21
	v_add_f32_e32 v24, 1.0, v21
	v_ldexp_f32 v20, v23, v20
	v_add_f32_e32 v23, 1.0, v22
	v_add_f32_e32 v25, -1.0, v24
	v_sub_f32_e32 v23, v21, v23
	v_sub_f32_e32 v21, v21, v25
	v_add_f32_e32 v23, v20, v23
	v_add_f32_e32 v20, v20, v21
	;; [unrolled: 1-line block ×3, first 2 shown]
	v_rcp_f32_e32 v31, v29
	v_sub_f32_e32 v21, v24, v29
	v_add_f32_e32 v30, v20, v21
	v_add_f32_e32 v21, v22, v23
	v_mul_f32_e32 v49, v21, v31
	v_sub_f32_e32 v20, v22, v21
	v_mul_f32_e32 v22, v29, v49
	v_fma_f32 v24, v49, v29, -v22
	v_fmac_f32_e32 v24, v49, v30
	v_add_f32_e32 v34, v23, v20
	v_add_f32_e32 v20, v22, v24
	v_sub_f32_e32 v23, v21, v20
	v_pk_add_f32 v[26:27], v[20:21], v[22:23] neg_lo:[0,1] neg_hi:[0,1]
	v_mov_b32_e32 v25, v20
	v_pk_add_f32 v[20:21], v[26:27], v[24:25] neg_lo:[0,1] neg_hi:[0,1]
	v_cmp_eq_f32_e32 vcc, s3, v33
	v_add_f32_e32 v21, v34, v21
	v_add_f32_e32 v20, v20, v21
	;; [unrolled: 1-line block ×3, first 2 shown]
	v_mul_f32_e32 v34, v31, v21
	v_mul_f32_e32 v22, v29, v34
	v_fma_f32 v24, v34, v29, -v22
	v_fmac_f32_e32 v24, v34, v30
	v_sub_f32_e32 v23, v23, v21
	v_add_f32_e32 v29, v20, v23
	v_add_f32_e32 v20, v22, v24
	v_sub_f32_e32 v23, v21, v20
	v_pk_add_f32 v[26:27], v[20:21], v[22:23] neg_lo:[0,1] neg_hi:[0,1]
	v_mov_b32_e32 v25, v20
	v_pk_add_f32 v[20:21], v[26:27], v[24:25] neg_lo:[0,1] neg_hi:[0,1]
	v_cvt_f32_i32_e32 v22, v28
	v_add_f32_e32 v21, v29, v21
	v_add_f32_e32 v20, v20, v21
	;; [unrolled: 1-line block ×4, first 2 shown]
	v_sub_f32_e32 v21, v23, v49
	v_mul_f32_e32 v20, v31, v20
	v_sub_f32_e32 v21, v34, v21
	v_add_f32_e32 v20, v21, v20
	v_add_f32_e32 v24, v23, v20
	v_mul_f32_e32 v26, v24, v24
	v_mov_b32_e32 v21, 0x3ecc95a3
	v_sub_f32_e32 v23, v24, v23
	v_fmac_f32_e32 v21, 0x3e9b6dac, v26
	v_sub_f32_e32 v20, v20, v23
	v_fmaak_f32 v21, v26, v21, 0x3f2aaada
	v_ldexp_f32 v27, v20, 1
	v_mul_f32_e32 v23, v24, v26
	v_mov_b32_e32 v20, 0x3f317218
	v_pk_mul_f32 v[20:21], v[22:23], v[20:21]
	v_ldexp_f32 v25, v24, 1
	v_fma_f32 v23, v22, s2, -v20
	v_fmamk_f32 v24, v22, 0xb102e308, v23
	v_pk_add_f32 v[22:23], v[20:21], v[24:25]
	v_mov_b32_e32 v26, v20
	v_sub_f32_e32 v25, v23, v25
	v_sub_f32_e32 v25, v21, v25
	v_add_f32_e32 v27, v27, v25
	v_pk_add_f32 v[20:21], v[22:23], v[20:21] neg_lo:[0,1] neg_hi:[0,1]
	v_pk_add_f32 v[28:29], v[22:23], v[26:27]
	v_mov_b32_e32 v25, v22
	v_mov_b32_e32 v21, v29
	v_pk_add_f32 v[30:31], v[24:25], v[20:21] neg_lo:[0,1] neg_hi:[0,1]
	v_pk_add_f32 v[20:21], v[24:25], v[20:21]
	v_mov_b32_e32 v26, v27
	v_mov_b32_e32 v24, v21
	v_pk_add_f32 v[50:51], v[24:25], v[22:23] neg_lo:[0,1] neg_hi:[0,1]
	v_mov_b32_e32 v20, v29
	v_mov_b32_e32 v25, v50
	s_waitcnt lgkmcnt(0)
	v_pk_add_f32 v[54:55], v[28:29], v[24:25] neg_lo:[0,1] neg_hi:[0,1]
	v_mov_b32_e32 v28, v23
	v_mov_b32_e32 v29, v50
	;; [unrolled: 1-line block ×3, first 2 shown]
	v_pk_add_f32 v[20:21], v[20:21], v[28:29] neg_lo:[0,1] neg_hi:[0,1]
	v_mov_b32_e32 v27, v22
	v_pk_add_f32 v[20:21], v[26:27], v[20:21] neg_lo:[0,1] neg_hi:[0,1]
	v_mov_b32_e32 v54, v30
	v_pk_add_f32 v[22:23], v[54:55], v[20:21]
	s_mov_b32 s2, 0x33800000
	v_mov_b32_e32 v26, v23
	v_pk_add_f32 v[26:27], v[22:23], v[26:27]
	v_cmp_lt_f32_e64 s[2:3], |v33|, s2
	v_pk_add_f32 v[24:25], v[24:25], v[26:27]
	v_mov_b32_e32 v21, v26
	v_mov_b32_e32 v23, v24
	v_pk_add_f32 v[28:29], v[22:23], v[30:31] neg_lo:[0,1] neg_hi:[0,1]
	s_or_b64 vcc, vcc, s[2:3]
	v_sub_f32_e32 v22, v22, v28
	v_pk_add_f32 v[20:21], v[20:21], v[28:29] neg_lo:[0,1] neg_hi:[0,1]
	v_sub_f32_e32 v22, v30, v22
	v_add_f32_e32 v20, v20, v22
	v_add_f32_e32 v20, v20, v21
	v_add_f32_e32 v20, v24, v20
	v_cndmask_b32_e32 v20, v20, v33, vcc
	v_add_f32_e32 v21, v12, v20
.LBB469_164:
	s_or_b64 exec, exec, s[0:1]
	v_bfe_u32 v12, v21, 16, 1
	v_add3_u32 v12, v21, v12, s48
	v_lshrrev_b32_e32 v12, 16, v12
	v_mov_b32_e32 v20, 0x7fc0
	v_cmp_o_f32_e32 vcc, v21, v21
	s_nop 1
	v_cndmask_b32_e32 v12, v20, v12, vcc
	v_lshlrev_b32_e32 v22, 16, v12
	v_max_f32_e32 v21, v22, v22
	v_min_f32_e32 v23, v21, v36
	v_cmp_u_f32_e32 vcc, v22, v22
	v_max_f32_e32 v21, v21, v36
	s_nop 0
	v_cndmask_b32_e32 v23, v23, v22, vcc
	v_cndmask_b32_e32 v21, v21, v22, vcc
	v_cndmask_b32_e64 v23, v23, v32, s[74:75]
	v_cndmask_b32_e64 v21, v21, v32, s[74:75]
	v_cmp_neq_f32_e32 vcc, v23, v21
	v_cmp_class_f32_e64 s[0:1], v23, s33
	s_or_b64 s[2:3], vcc, s[0:1]
	s_and_saveexec_b64 s[0:1], s[2:3]
	s_cbranch_execz .LBB469_166
; %bb.165:
	v_sub_f32_e32 v22, v23, v21
	s_mov_b32 s2, 0x3fb8aa3b
	v_mul_f32_e32 v23, 0x3fb8aa3b, v22
	v_fma_f32 v24, v22, s2, -v23
	v_rndne_f32_e32 v25, v23
	v_fmamk_f32 v24, v22, 0x32a5705f, v24
	v_sub_f32_e32 v23, v23, v25
	v_add_f32_e32 v23, v23, v24
	v_exp_f32_e32 v23, v23
	v_cvt_i32_f32_e32 v24, v25
	s_mov_b32 s2, 0xc2ce8ed0
	v_cmp_ngt_f32_e32 vcc, s2, v22
	s_mov_b32 s2, 0x42b17218
	v_ldexp_f32 v23, v23, v24
	v_cndmask_b32_e32 v23, 0, v23, vcc
	v_mov_b32_e32 v24, 0x7f800000
	v_cmp_nlt_f32_e32 vcc, s2, v22
	s_mov_b32 s2, 0x3f2aaaab
	s_mov_b32 s3, 0x7f800000
	v_cndmask_b32_e32 v34, v24, v23, vcc
	v_add_f32_e32 v24, 1.0, v34
	v_add_f32_e32 v22, -1.0, v24
	v_sub_f32_e32 v23, v22, v24
	v_add_f32_e32 v23, 1.0, v23
	v_sub_f32_e32 v22, v34, v22
	v_add_f32_e32 v25, v22, v23
	v_frexp_mant_f32_e32 v26, v24
	v_cvt_f64_f32_e32 v[22:23], v24
	v_frexp_exp_i32_f64_e32 v22, v[22:23]
	v_cmp_gt_f32_e32 vcc, s2, v26
	s_mov_b32 s2, 0x3f317218
	s_nop 0
	v_subbrev_co_u32_e32 v30, vcc, 0, v22, vcc
	v_sub_u32_e32 v22, 0, v30
	v_ldexp_f32 v23, v24, v22
	v_add_f32_e32 v24, -1.0, v23
	v_add_f32_e32 v26, 1.0, v23
	v_ldexp_f32 v22, v25, v22
	v_add_f32_e32 v25, 1.0, v24
	v_add_f32_e32 v27, -1.0, v26
	v_sub_f32_e32 v25, v23, v25
	v_sub_f32_e32 v23, v23, v27
	v_add_f32_e32 v25, v22, v25
	v_add_f32_e32 v22, v22, v23
	;; [unrolled: 1-line block ×3, first 2 shown]
	v_rcp_f32_e32 v33, v31
	v_sub_f32_e32 v23, v26, v31
	v_add_f32_e32 v32, v22, v23
	v_add_f32_e32 v23, v24, v25
	v_mul_f32_e32 v49, v23, v33
	v_sub_f32_e32 v22, v24, v23
	v_mul_f32_e32 v24, v31, v49
	v_fma_f32 v26, v49, v31, -v24
	v_fmac_f32_e32 v26, v49, v32
	v_add_f32_e32 v36, v25, v22
	v_add_f32_e32 v22, v24, v26
	v_sub_f32_e32 v25, v23, v22
	v_pk_add_f32 v[28:29], v[22:23], v[24:25] neg_lo:[0,1] neg_hi:[0,1]
	v_mov_b32_e32 v27, v22
	v_pk_add_f32 v[22:23], v[28:29], v[26:27] neg_lo:[0,1] neg_hi:[0,1]
	v_cmp_eq_f32_e32 vcc, s3, v34
	v_add_f32_e32 v23, v36, v23
	v_add_f32_e32 v22, v22, v23
	;; [unrolled: 1-line block ×3, first 2 shown]
	v_mul_f32_e32 v36, v33, v23
	v_mul_f32_e32 v24, v31, v36
	v_fma_f32 v26, v36, v31, -v24
	v_fmac_f32_e32 v26, v36, v32
	v_sub_f32_e32 v25, v25, v23
	v_add_f32_e32 v31, v22, v25
	v_add_f32_e32 v22, v24, v26
	v_sub_f32_e32 v25, v23, v22
	v_pk_add_f32 v[28:29], v[22:23], v[24:25] neg_lo:[0,1] neg_hi:[0,1]
	v_mov_b32_e32 v27, v22
	v_pk_add_f32 v[22:23], v[28:29], v[26:27] neg_lo:[0,1] neg_hi:[0,1]
	v_cvt_f32_i32_e32 v24, v30
	v_add_f32_e32 v23, v31, v23
	v_add_f32_e32 v22, v22, v23
	;; [unrolled: 1-line block ×4, first 2 shown]
	v_sub_f32_e32 v23, v25, v49
	v_mul_f32_e32 v22, v33, v22
	v_sub_f32_e32 v23, v36, v23
	v_add_f32_e32 v22, v23, v22
	v_add_f32_e32 v26, v25, v22
	v_mul_f32_e32 v28, v26, v26
	v_mov_b32_e32 v23, 0x3ecc95a3
	v_sub_f32_e32 v25, v26, v25
	v_fmac_f32_e32 v23, 0x3e9b6dac, v28
	v_sub_f32_e32 v22, v22, v25
	v_fmaak_f32 v23, v28, v23, 0x3f2aaada
	v_ldexp_f32 v29, v22, 1
	v_mul_f32_e32 v25, v26, v28
	v_mov_b32_e32 v22, 0x3f317218
	v_pk_mul_f32 v[22:23], v[24:25], v[22:23]
	v_ldexp_f32 v27, v26, 1
	v_fma_f32 v25, v24, s2, -v22
	v_fmamk_f32 v26, v24, 0xb102e308, v25
	v_pk_add_f32 v[24:25], v[22:23], v[26:27]
	v_mov_b32_e32 v28, v22
	v_sub_f32_e32 v27, v25, v27
	v_sub_f32_e32 v27, v23, v27
	v_add_f32_e32 v29, v29, v27
	v_pk_add_f32 v[22:23], v[24:25], v[22:23] neg_lo:[0,1] neg_hi:[0,1]
	v_pk_add_f32 v[30:31], v[24:25], v[28:29]
	v_mov_b32_e32 v27, v24
	v_mov_b32_e32 v23, v31
	v_pk_add_f32 v[32:33], v[26:27], v[22:23] neg_lo:[0,1] neg_hi:[0,1]
	v_pk_add_f32 v[22:23], v[26:27], v[22:23]
	v_mov_b32_e32 v28, v29
	v_mov_b32_e32 v26, v23
	v_pk_add_f32 v[50:51], v[26:27], v[24:25] neg_lo:[0,1] neg_hi:[0,1]
	v_mov_b32_e32 v22, v31
	v_mov_b32_e32 v27, v50
	s_waitcnt lgkmcnt(0)
	v_pk_add_f32 v[54:55], v[30:31], v[26:27] neg_lo:[0,1] neg_hi:[0,1]
	v_mov_b32_e32 v30, v25
	v_mov_b32_e32 v31, v50
	;; [unrolled: 1-line block ×3, first 2 shown]
	v_pk_add_f32 v[22:23], v[22:23], v[30:31] neg_lo:[0,1] neg_hi:[0,1]
	v_mov_b32_e32 v29, v24
	v_pk_add_f32 v[22:23], v[28:29], v[22:23] neg_lo:[0,1] neg_hi:[0,1]
	v_mov_b32_e32 v54, v32
	v_pk_add_f32 v[24:25], v[54:55], v[22:23]
	s_mov_b32 s2, 0x33800000
	v_mov_b32_e32 v28, v25
	v_pk_add_f32 v[28:29], v[24:25], v[28:29]
	v_cmp_lt_f32_e64 s[2:3], |v34|, s2
	v_pk_add_f32 v[26:27], v[26:27], v[28:29]
	v_mov_b32_e32 v23, v28
	v_mov_b32_e32 v25, v26
	v_pk_add_f32 v[30:31], v[24:25], v[32:33] neg_lo:[0,1] neg_hi:[0,1]
	s_or_b64 vcc, vcc, s[2:3]
	v_sub_f32_e32 v24, v24, v30
	v_pk_add_f32 v[22:23], v[22:23], v[30:31] neg_lo:[0,1] neg_hi:[0,1]
	v_sub_f32_e32 v24, v32, v24
	v_add_f32_e32 v22, v22, v24
	v_add_f32_e32 v22, v22, v23
	;; [unrolled: 1-line block ×3, first 2 shown]
	v_cndmask_b32_e32 v22, v22, v34, vcc
	v_add_f32_e32 v22, v21, v22
.LBB469_166:
	s_or_b64 exec, exec, s[0:1]
	v_bfe_u32 v21, v22, 16, 1
	v_add3_u32 v21, v22, v21, s48
	v_lshrrev_b32_e32 v21, 16, v21
	v_cmp_o_f32_e32 vcc, v22, v22
	s_nop 1
	v_cndmask_b32_e32 v20, v20, v21, vcc
	v_lshlrev_b32_e32 v22, 16, v20
	v_max_f32_e32 v23, v22, v22
	v_min_f32_e32 v21, v23, v37
	v_cmp_u_f32_e32 vcc, v22, v22
	v_max_f32_e32 v23, v23, v37
	s_nop 0
	v_cndmask_b32_e32 v21, v21, v22, vcc
	v_cndmask_b32_e32 v23, v23, v22, vcc
	v_cndmask_b32_e64 v21, v21, v13, s[76:77]
	v_cndmask_b32_e64 v13, v23, v13, s[76:77]
	v_cmp_neq_f32_e32 vcc, v21, v13
	v_cmp_class_f32_e64 s[0:1], v21, s33
	s_or_b64 s[2:3], vcc, s[0:1]
	s_and_saveexec_b64 s[0:1], s[2:3]
	s_cbranch_execz .LBB469_168
; %bb.167:
	v_sub_f32_e32 v21, v21, v13
	s_mov_b32 s2, 0x3fb8aa3b
	v_mul_f32_e32 v22, 0x3fb8aa3b, v21
	v_fma_f32 v23, v21, s2, -v22
	v_rndne_f32_e32 v24, v22
	v_fmamk_f32 v23, v21, 0x32a5705f, v23
	v_sub_f32_e32 v22, v22, v24
	v_add_f32_e32 v22, v22, v23
	v_exp_f32_e32 v22, v22
	v_cvt_i32_f32_e32 v23, v24
	s_mov_b32 s2, 0xc2ce8ed0
	v_cmp_ngt_f32_e32 vcc, s2, v21
	s_mov_b32 s2, 0x42b17218
	v_ldexp_f32 v22, v22, v23
	v_cndmask_b32_e32 v22, 0, v22, vcc
	v_mov_b32_e32 v23, 0x7f800000
	v_cmp_nlt_f32_e32 vcc, s2, v21
	s_mov_b32 s2, 0x3f2aaaab
	s_mov_b32 s3, 0x7f800000
	v_cndmask_b32_e32 v34, v23, v22, vcc
	v_add_f32_e32 v21, 1.0, v34
	v_add_f32_e32 v22, -1.0, v21
	v_sub_f32_e32 v23, v22, v21
	v_add_f32_e32 v23, 1.0, v23
	v_sub_f32_e32 v22, v34, v22
	v_add_f32_e32 v24, v22, v23
	v_frexp_mant_f32_e32 v25, v21
	v_cvt_f64_f32_e32 v[22:23], v21
	v_frexp_exp_i32_f64_e32 v22, v[22:23]
	v_cmp_gt_f32_e32 vcc, s2, v25
	s_mov_b32 s2, 0x3f317218
	s_nop 0
	v_subbrev_co_u32_e32 v30, vcc, 0, v22, vcc
	v_sub_u32_e32 v22, 0, v30
	v_ldexp_f32 v21, v21, v22
	v_ldexp_f32 v22, v24, v22
	v_add_f32_e32 v24, -1.0, v21
	v_add_f32_e32 v23, 1.0, v24
	v_sub_f32_e32 v23, v21, v23
	v_add_f32_e32 v25, v22, v23
	v_add_f32_e32 v23, 1.0, v21
	v_add_f32_e32 v26, -1.0, v23
	v_sub_f32_e32 v21, v21, v26
	v_add_f32_e32 v21, v22, v21
	v_add_f32_e32 v31, v23, v21
	v_rcp_f32_e32 v32, v31
	v_sub_f32_e32 v22, v23, v31
	v_add_f32_e32 v23, v24, v25
	v_add_f32_e32 v21, v21, v22
	v_mul_f32_e32 v36, v23, v32
	v_sub_f32_e32 v22, v24, v23
	v_mul_f32_e32 v24, v31, v36
	v_fma_f32 v26, v36, v31, -v24
	v_fmac_f32_e32 v26, v36, v21
	v_add_f32_e32 v33, v25, v22
	v_add_f32_e32 v22, v24, v26
	v_sub_f32_e32 v25, v23, v22
	v_pk_add_f32 v[28:29], v[22:23], v[24:25] neg_lo:[0,1] neg_hi:[0,1]
	v_mov_b32_e32 v27, v22
	v_pk_add_f32 v[22:23], v[28:29], v[26:27] neg_lo:[0,1] neg_hi:[0,1]
	v_cmp_eq_f32_e32 vcc, s3, v34
	v_add_f32_e32 v23, v33, v23
	v_add_f32_e32 v22, v22, v23
	;; [unrolled: 1-line block ×3, first 2 shown]
	v_mul_f32_e32 v33, v32, v23
	v_mul_f32_e32 v24, v31, v33
	v_fma_f32 v26, v33, v31, -v24
	v_fmac_f32_e32 v26, v33, v21
	v_sub_f32_e32 v21, v25, v23
	v_add_f32_e32 v21, v22, v21
	v_add_f32_e32 v22, v24, v26
	v_sub_f32_e32 v25, v23, v22
	v_pk_add_f32 v[28:29], v[22:23], v[24:25] neg_lo:[0,1] neg_hi:[0,1]
	v_mov_b32_e32 v27, v22
	v_pk_add_f32 v[22:23], v[28:29], v[26:27] neg_lo:[0,1] neg_hi:[0,1]
	v_cvt_f32_i32_e32 v24, v30
	v_add_f32_e32 v21, v21, v23
	v_add_f32_e32 v21, v22, v21
	;; [unrolled: 1-line block ×4, first 2 shown]
	v_sub_f32_e32 v23, v22, v36
	v_mul_f32_e32 v21, v32, v21
	v_sub_f32_e32 v23, v33, v23
	v_add_f32_e32 v21, v23, v21
	v_add_f32_e32 v25, v22, v21
	v_mul_f32_e32 v26, v25, v25
	v_mov_b32_e32 v23, 0x3ecc95a3
	v_fmac_f32_e32 v23, 0x3e9b6dac, v26
	v_sub_f32_e32 v22, v25, v22
	v_fmaak_f32 v23, v26, v23, 0x3f2aaada
	v_sub_f32_e32 v21, v21, v22
	v_ldexp_f32 v27, v25, 1
	v_mul_f32_e32 v25, v25, v26
	v_mov_b32_e32 v22, 0x3f317218
	v_pk_mul_f32 v[22:23], v[24:25], v[22:23]
	v_ldexp_f32 v21, v21, 1
	v_fma_f32 v25, v24, s2, -v22
	v_fmamk_f32 v26, v24, 0xb102e308, v25
	v_pk_add_f32 v[24:25], v[22:23], v[26:27]
	v_mov_b32_e32 v28, v22
	v_sub_f32_e32 v27, v25, v27
	v_sub_f32_e32 v27, v23, v27
	v_add_f32_e32 v29, v21, v27
	v_pk_add_f32 v[22:23], v[24:25], v[22:23] neg_lo:[0,1] neg_hi:[0,1]
	v_pk_add_f32 v[30:31], v[24:25], v[28:29]
	v_mov_b32_e32 v27, v24
	v_mov_b32_e32 v23, v31
	v_pk_add_f32 v[32:33], v[26:27], v[22:23] neg_lo:[0,1] neg_hi:[0,1]
	v_pk_add_f32 v[22:23], v[26:27], v[22:23]
	v_mov_b32_e32 v28, v29
	v_mov_b32_e32 v26, v23
	v_pk_add_f32 v[36:37], v[26:27], v[24:25] neg_lo:[0,1] neg_hi:[0,1]
	v_mov_b32_e32 v22, v31
	v_mov_b32_e32 v21, v36
	v_pk_add_f32 v[50:51], v[30:31], v[20:21] neg_lo:[0,1] neg_hi:[0,1]
	v_mov_b32_e32 v30, v25
	v_mov_b32_e32 v31, v36
	;; [unrolled: 1-line block ×3, first 2 shown]
	v_pk_add_f32 v[22:23], v[22:23], v[30:31] neg_lo:[0,1] neg_hi:[0,1]
	v_mov_b32_e32 v29, v24
	v_pk_add_f32 v[22:23], v[28:29], v[22:23] neg_lo:[0,1] neg_hi:[0,1]
	v_mov_b32_e32 v50, v32
	v_pk_add_f32 v[24:25], v[50:51], v[22:23]
	s_mov_b32 s2, 0x33800000
	v_mov_b32_e32 v28, v25
	v_pk_add_f32 v[28:29], v[24:25], v[28:29]
	v_cmp_lt_f32_e64 s[2:3], |v34|, s2
	v_pk_add_f32 v[26:27], v[26:27], v[28:29]
	v_mov_b32_e32 v23, v28
	v_mov_b32_e32 v25, v26
	v_pk_add_f32 v[30:31], v[24:25], v[32:33] neg_lo:[0,1] neg_hi:[0,1]
	s_or_b64 vcc, vcc, s[2:3]
	v_sub_f32_e32 v21, v24, v30
	v_pk_add_f32 v[22:23], v[22:23], v[30:31] neg_lo:[0,1] neg_hi:[0,1]
	v_sub_f32_e32 v21, v32, v21
	v_add_f32_e32 v21, v22, v21
	v_add_f32_e32 v21, v21, v23
	;; [unrolled: 1-line block ×3, first 2 shown]
	v_cndmask_b32_e32 v21, v21, v34, vcc
	v_add_f32_e32 v22, v13, v21
.LBB469_168:
	s_or_b64 exec, exec, s[0:1]
	v_bfe_u32 v13, v22, 16, 1
	v_add3_u32 v13, v22, v13, s48
	v_lshrrev_b32_e32 v13, 16, v13
	v_mov_b32_e32 v21, 0x7fc0
	v_cmp_o_f32_e32 vcc, v22, v22
	s_nop 1
	v_cndmask_b32_e32 v13, v21, v13, vcc
	v_lshlrev_b32_e32 v23, 16, v13
	v_max_f32_e32 v22, v23, v23
	v_min_f32_e32 v24, v22, v39
	v_cmp_u_f32_e32 vcc, v23, v23
	v_max_f32_e32 v22, v22, v39
	s_nop 0
	v_cndmask_b32_e32 v24, v24, v23, vcc
	v_cndmask_b32_e32 v22, v22, v23, vcc
	v_cndmask_b32_e64 v24, v24, v35, s[78:79]
	v_cndmask_b32_e64 v22, v22, v35, s[78:79]
	v_cmp_neq_f32_e32 vcc, v24, v22
	v_cmp_class_f32_e64 s[0:1], v24, s33
	s_or_b64 s[2:3], vcc, s[0:1]
	s_and_saveexec_b64 s[0:1], s[2:3]
	s_cbranch_execz .LBB469_170
; %bb.169:
	v_sub_f32_e32 v23, v24, v22
	s_mov_b32 s2, 0x3fb8aa3b
	v_mul_f32_e32 v24, 0x3fb8aa3b, v23
	v_fma_f32 v25, v23, s2, -v24
	v_rndne_f32_e32 v26, v24
	v_fmamk_f32 v25, v23, 0x32a5705f, v25
	v_sub_f32_e32 v24, v24, v26
	v_add_f32_e32 v24, v24, v25
	v_exp_f32_e32 v24, v24
	v_cvt_i32_f32_e32 v25, v26
	s_mov_b32 s2, 0xc2ce8ed0
	v_cmp_ngt_f32_e32 vcc, s2, v23
	s_mov_b32 s2, 0x42b17218
	v_ldexp_f32 v24, v24, v25
	v_cndmask_b32_e32 v24, 0, v24, vcc
	v_mov_b32_e32 v25, 0x7f800000
	v_cmp_nlt_f32_e32 vcc, s2, v23
	s_mov_b32 s2, 0x3f2aaaab
	s_mov_b32 s3, 0x7f800000
	v_cndmask_b32_e32 v39, v25, v24, vcc
	v_add_f32_e32 v23, 1.0, v39
	v_add_f32_e32 v24, -1.0, v23
	v_sub_f32_e32 v25, v24, v23
	v_add_f32_e32 v25, 1.0, v25
	v_sub_f32_e32 v24, v39, v24
	v_add_f32_e32 v26, v24, v25
	v_frexp_mant_f32_e32 v27, v23
	v_cvt_f64_f32_e32 v[24:25], v23
	v_frexp_exp_i32_f64_e32 v24, v[24:25]
	v_cmp_gt_f32_e32 vcc, s2, v27
	s_mov_b32 s2, 0x3f317218
	s_nop 0
	v_subbrev_co_u32_e32 v32, vcc, 0, v24, vcc
	v_sub_u32_e32 v24, 0, v32
	v_ldexp_f32 v23, v23, v24
	v_ldexp_f32 v24, v26, v24
	v_add_f32_e32 v26, -1.0, v23
	v_add_f32_e32 v25, 1.0, v26
	v_sub_f32_e32 v25, v23, v25
	v_add_f32_e32 v27, v24, v25
	v_add_f32_e32 v25, 1.0, v23
	v_add_f32_e32 v28, -1.0, v25
	v_sub_f32_e32 v23, v23, v28
	v_add_f32_e32 v23, v24, v23
	v_add_f32_e32 v33, v25, v23
	v_rcp_f32_e32 v34, v33
	v_sub_f32_e32 v24, v25, v33
	v_add_f32_e32 v25, v26, v27
	v_add_f32_e32 v23, v23, v24
	v_mul_f32_e32 v36, v25, v34
	v_sub_f32_e32 v24, v26, v25
	v_mul_f32_e32 v26, v33, v36
	v_fma_f32 v28, v36, v33, -v26
	v_fmac_f32_e32 v28, v36, v23
	v_add_f32_e32 v35, v27, v24
	v_add_f32_e32 v24, v26, v28
	v_sub_f32_e32 v27, v25, v24
	v_pk_add_f32 v[30:31], v[24:25], v[26:27] neg_lo:[0,1] neg_hi:[0,1]
	v_mov_b32_e32 v29, v24
	v_pk_add_f32 v[24:25], v[30:31], v[28:29] neg_lo:[0,1] neg_hi:[0,1]
	v_cmp_eq_f32_e32 vcc, s3, v39
	v_add_f32_e32 v25, v35, v25
	v_add_f32_e32 v24, v24, v25
	;; [unrolled: 1-line block ×3, first 2 shown]
	v_mul_f32_e32 v35, v34, v25
	v_mul_f32_e32 v26, v33, v35
	v_fma_f32 v28, v35, v33, -v26
	v_fmac_f32_e32 v28, v35, v23
	v_sub_f32_e32 v23, v27, v25
	v_add_f32_e32 v23, v24, v23
	v_add_f32_e32 v24, v26, v28
	v_sub_f32_e32 v27, v25, v24
	v_pk_add_f32 v[30:31], v[24:25], v[26:27] neg_lo:[0,1] neg_hi:[0,1]
	v_mov_b32_e32 v29, v24
	v_pk_add_f32 v[24:25], v[30:31], v[28:29] neg_lo:[0,1] neg_hi:[0,1]
	v_cvt_f32_i32_e32 v26, v32
	v_add_f32_e32 v23, v23, v25
	v_add_f32_e32 v23, v24, v23
	;; [unrolled: 1-line block ×4, first 2 shown]
	v_sub_f32_e32 v25, v24, v36
	v_mul_f32_e32 v23, v34, v23
	v_sub_f32_e32 v25, v35, v25
	v_add_f32_e32 v23, v25, v23
	v_add_f32_e32 v27, v24, v23
	v_mul_f32_e32 v28, v27, v27
	v_mov_b32_e32 v25, 0x3ecc95a3
	v_fmac_f32_e32 v25, 0x3e9b6dac, v28
	v_sub_f32_e32 v24, v27, v24
	v_fmaak_f32 v25, v28, v25, 0x3f2aaada
	v_sub_f32_e32 v23, v23, v24
	v_ldexp_f32 v29, v27, 1
	v_mul_f32_e32 v27, v27, v28
	v_mov_b32_e32 v24, 0x3f317218
	v_pk_mul_f32 v[24:25], v[26:27], v[24:25]
	v_ldexp_f32 v23, v23, 1
	v_fma_f32 v27, v26, s2, -v24
	v_fmamk_f32 v28, v26, 0xb102e308, v27
	v_pk_add_f32 v[26:27], v[24:25], v[28:29]
	v_mov_b32_e32 v30, v24
	v_sub_f32_e32 v29, v27, v29
	v_sub_f32_e32 v29, v25, v29
	v_add_f32_e32 v31, v23, v29
	v_pk_add_f32 v[24:25], v[26:27], v[24:25] neg_lo:[0,1] neg_hi:[0,1]
	v_pk_add_f32 v[32:33], v[26:27], v[30:31]
	v_mov_b32_e32 v29, v26
	v_mov_b32_e32 v25, v33
	v_pk_add_f32 v[34:35], v[28:29], v[24:25] neg_lo:[0,1] neg_hi:[0,1]
	v_pk_add_f32 v[24:25], v[28:29], v[24:25]
	v_mov_b32_e32 v30, v31
	v_mov_b32_e32 v28, v25
	v_pk_add_f32 v[36:37], v[28:29], v[26:27] neg_lo:[0,1] neg_hi:[0,1]
	v_mov_b32_e32 v24, v33
	v_mov_b32_e32 v23, v36
	v_pk_add_f32 v[50:51], v[32:33], v[22:23] neg_lo:[0,1] neg_hi:[0,1]
	v_mov_b32_e32 v32, v27
	v_mov_b32_e32 v33, v36
	;; [unrolled: 1-line block ×3, first 2 shown]
	v_pk_add_f32 v[24:25], v[24:25], v[32:33] neg_lo:[0,1] neg_hi:[0,1]
	v_mov_b32_e32 v31, v26
	v_pk_add_f32 v[24:25], v[30:31], v[24:25] neg_lo:[0,1] neg_hi:[0,1]
	v_mov_b32_e32 v50, v34
	v_pk_add_f32 v[26:27], v[50:51], v[24:25]
	s_mov_b32 s2, 0x33800000
	v_mov_b32_e32 v30, v27
	v_pk_add_f32 v[30:31], v[26:27], v[30:31]
	v_cmp_lt_f32_e64 s[2:3], |v39|, s2
	v_pk_add_f32 v[28:29], v[28:29], v[30:31]
	v_mov_b32_e32 v25, v30
	v_mov_b32_e32 v27, v28
	v_pk_add_f32 v[32:33], v[26:27], v[34:35] neg_lo:[0,1] neg_hi:[0,1]
	s_or_b64 vcc, vcc, s[2:3]
	v_sub_f32_e32 v23, v26, v32
	v_pk_add_f32 v[24:25], v[24:25], v[32:33] neg_lo:[0,1] neg_hi:[0,1]
	v_sub_f32_e32 v23, v34, v23
	v_add_f32_e32 v23, v24, v23
	v_add_f32_e32 v23, v23, v25
	v_add_f32_e32 v23, v28, v23
	v_cndmask_b32_e32 v23, v23, v39, vcc
	v_add_f32_e32 v23, v22, v23
.LBB469_170:
	s_or_b64 exec, exec, s[0:1]
	v_bfe_u32 v22, v23, 16, 1
	v_add3_u32 v22, v23, v22, s48
	v_lshrrev_b32_e32 v22, 16, v22
	v_cmp_o_f32_e32 vcc, v23, v23
	s_nop 1
	v_cndmask_b32_e32 v21, v21, v22, vcc
	v_lshlrev_b32_e32 v23, 16, v21
	v_max_f32_e32 v24, v23, v23
	v_min_f32_e32 v22, v24, v40
	v_cmp_u_f32_e32 vcc, v23, v23
	v_max_f32_e32 v24, v24, v40
	s_nop 0
	v_cndmask_b32_e32 v22, v22, v23, vcc
	v_cndmask_b32_e32 v24, v24, v23, vcc
	v_cndmask_b32_e64 v22, v22, v6, s[80:81]
	v_cndmask_b32_e64 v6, v24, v6, s[80:81]
	v_cmp_neq_f32_e32 vcc, v22, v6
	v_cmp_class_f32_e64 s[0:1], v22, s33
	s_or_b64 s[2:3], vcc, s[0:1]
	s_and_saveexec_b64 s[0:1], s[2:3]
	s_cbranch_execz .LBB469_172
; %bb.171:
	v_sub_f32_e32 v22, v22, v6
	s_mov_b32 s2, 0x3fb8aa3b
	v_mul_f32_e32 v23, 0x3fb8aa3b, v22
	v_fma_f32 v24, v22, s2, -v23
	v_rndne_f32_e32 v25, v23
	v_fmamk_f32 v24, v22, 0x32a5705f, v24
	v_sub_f32_e32 v23, v23, v25
	v_add_f32_e32 v23, v23, v24
	v_exp_f32_e32 v23, v23
	v_cvt_i32_f32_e32 v24, v25
	s_mov_b32 s2, 0xc2ce8ed0
	v_cmp_ngt_f32_e32 vcc, s2, v22
	s_mov_b32 s2, 0x42b17218
	v_ldexp_f32 v23, v23, v24
	v_cndmask_b32_e32 v23, 0, v23, vcc
	v_mov_b32_e32 v24, 0x7f800000
	v_cmp_nlt_f32_e32 vcc, s2, v22
	s_mov_b32 s2, 0x3f2aaaab
	s_mov_b32 s3, 0x7f800000
	v_cndmask_b32_e32 v39, v24, v23, vcc
	v_add_f32_e32 v24, 1.0, v39
	v_add_f32_e32 v22, -1.0, v24
	v_sub_f32_e32 v23, v22, v24
	v_add_f32_e32 v23, 1.0, v23
	v_sub_f32_e32 v22, v39, v22
	v_add_f32_e32 v25, v22, v23
	v_frexp_mant_f32_e32 v26, v24
	v_cvt_f64_f32_e32 v[22:23], v24
	v_frexp_exp_i32_f64_e32 v22, v[22:23]
	v_cmp_gt_f32_e32 vcc, s2, v26
	s_mov_b32 s2, 0x3f317218
	s_nop 0
	v_subbrev_co_u32_e32 v30, vcc, 0, v22, vcc
	v_sub_u32_e32 v22, 0, v30
	v_ldexp_f32 v23, v24, v22
	v_add_f32_e32 v24, -1.0, v23
	v_add_f32_e32 v26, 1.0, v23
	v_ldexp_f32 v22, v25, v22
	v_add_f32_e32 v25, 1.0, v24
	v_add_f32_e32 v27, -1.0, v26
	v_sub_f32_e32 v25, v23, v25
	v_sub_f32_e32 v23, v23, v27
	v_add_f32_e32 v25, v22, v25
	v_add_f32_e32 v22, v22, v23
	;; [unrolled: 1-line block ×3, first 2 shown]
	v_rcp_f32_e32 v33, v31
	v_sub_f32_e32 v23, v26, v31
	v_add_f32_e32 v32, v22, v23
	v_add_f32_e32 v23, v24, v25
	v_mul_f32_e32 v35, v23, v33
	v_sub_f32_e32 v22, v24, v23
	v_mul_f32_e32 v24, v31, v35
	v_fma_f32 v26, v35, v31, -v24
	v_fmac_f32_e32 v26, v35, v32
	v_add_f32_e32 v34, v25, v22
	v_add_f32_e32 v22, v24, v26
	v_sub_f32_e32 v25, v23, v22
	v_pk_add_f32 v[28:29], v[22:23], v[24:25] neg_lo:[0,1] neg_hi:[0,1]
	v_mov_b32_e32 v27, v22
	v_pk_add_f32 v[22:23], v[28:29], v[26:27] neg_lo:[0,1] neg_hi:[0,1]
	v_cmp_eq_f32_e32 vcc, s3, v39
	v_add_f32_e32 v23, v34, v23
	v_add_f32_e32 v22, v22, v23
	;; [unrolled: 1-line block ×3, first 2 shown]
	v_mul_f32_e32 v34, v33, v23
	v_mul_f32_e32 v24, v31, v34
	v_fma_f32 v26, v34, v31, -v24
	v_fmac_f32_e32 v26, v34, v32
	v_sub_f32_e32 v25, v25, v23
	v_add_f32_e32 v31, v22, v25
	v_add_f32_e32 v22, v24, v26
	v_sub_f32_e32 v25, v23, v22
	v_pk_add_f32 v[28:29], v[22:23], v[24:25] neg_lo:[0,1] neg_hi:[0,1]
	v_mov_b32_e32 v27, v22
	v_pk_add_f32 v[22:23], v[28:29], v[26:27] neg_lo:[0,1] neg_hi:[0,1]
	v_cvt_f32_i32_e32 v24, v30
	v_add_f32_e32 v23, v31, v23
	v_add_f32_e32 v22, v22, v23
	;; [unrolled: 1-line block ×4, first 2 shown]
	v_sub_f32_e32 v23, v25, v35
	v_mul_f32_e32 v22, v33, v22
	v_sub_f32_e32 v23, v34, v23
	v_add_f32_e32 v22, v23, v22
	v_add_f32_e32 v26, v25, v22
	v_mul_f32_e32 v28, v26, v26
	v_mov_b32_e32 v23, 0x3ecc95a3
	v_sub_f32_e32 v25, v26, v25
	v_fmac_f32_e32 v23, 0x3e9b6dac, v28
	v_sub_f32_e32 v22, v22, v25
	v_fmaak_f32 v23, v28, v23, 0x3f2aaada
	v_ldexp_f32 v29, v22, 1
	v_mul_f32_e32 v25, v26, v28
	v_mov_b32_e32 v22, 0x3f317218
	v_pk_mul_f32 v[22:23], v[24:25], v[22:23]
	v_ldexp_f32 v27, v26, 1
	v_fma_f32 v25, v24, s2, -v22
	v_fmamk_f32 v26, v24, 0xb102e308, v25
	v_pk_add_f32 v[24:25], v[22:23], v[26:27]
	v_mov_b32_e32 v28, v22
	v_sub_f32_e32 v27, v25, v27
	v_sub_f32_e32 v27, v23, v27
	v_add_f32_e32 v29, v29, v27
	v_pk_add_f32 v[22:23], v[24:25], v[22:23] neg_lo:[0,1] neg_hi:[0,1]
	v_pk_add_f32 v[30:31], v[24:25], v[28:29]
	v_mov_b32_e32 v27, v24
	v_mov_b32_e32 v23, v31
	v_pk_add_f32 v[32:33], v[26:27], v[22:23] neg_lo:[0,1] neg_hi:[0,1]
	v_pk_add_f32 v[22:23], v[26:27], v[22:23]
	v_mov_b32_e32 v28, v29
	v_mov_b32_e32 v26, v23
	v_pk_add_f32 v[34:35], v[26:27], v[24:25] neg_lo:[0,1] neg_hi:[0,1]
	v_mov_b32_e32 v22, v31
	v_mov_b32_e32 v27, v34
	v_pk_add_f32 v[36:37], v[30:31], v[26:27] neg_lo:[0,1] neg_hi:[0,1]
	v_mov_b32_e32 v30, v25
	v_mov_b32_e32 v31, v34
	;; [unrolled: 1-line block ×3, first 2 shown]
	v_pk_add_f32 v[22:23], v[22:23], v[30:31] neg_lo:[0,1] neg_hi:[0,1]
	v_mov_b32_e32 v29, v24
	v_pk_add_f32 v[22:23], v[28:29], v[22:23] neg_lo:[0,1] neg_hi:[0,1]
	v_mov_b32_e32 v36, v32
	v_pk_add_f32 v[24:25], v[36:37], v[22:23]
	s_mov_b32 s2, 0x33800000
	v_mov_b32_e32 v28, v25
	v_pk_add_f32 v[28:29], v[24:25], v[28:29]
	v_cmp_lt_f32_e64 s[2:3], |v39|, s2
	v_pk_add_f32 v[26:27], v[26:27], v[28:29]
	v_mov_b32_e32 v23, v28
	v_mov_b32_e32 v25, v26
	v_pk_add_f32 v[30:31], v[24:25], v[32:33] neg_lo:[0,1] neg_hi:[0,1]
	s_or_b64 vcc, vcc, s[2:3]
	v_sub_f32_e32 v24, v24, v30
	v_pk_add_f32 v[22:23], v[22:23], v[30:31] neg_lo:[0,1] neg_hi:[0,1]
	v_sub_f32_e32 v24, v32, v24
	v_add_f32_e32 v22, v22, v24
	v_add_f32_e32 v22, v22, v23
	;; [unrolled: 1-line block ×3, first 2 shown]
	v_cndmask_b32_e32 v22, v22, v39, vcc
	v_add_f32_e32 v23, v6, v22
.LBB469_172:
	s_or_b64 exec, exec, s[0:1]
	v_bfe_u32 v6, v23, 16, 1
	v_add3_u32 v6, v23, v6, s48
	v_lshrrev_b32_e32 v6, 16, v6
	v_mov_b32_e32 v22, 0x7fc0
	v_cmp_o_f32_e32 vcc, v23, v23
	s_nop 1
	v_cndmask_b32_e32 v6, v22, v6, vcc
	v_lshlrev_b32_e32 v24, 16, v6
	v_max_f32_e32 v23, v24, v24
	v_min_f32_e32 v25, v23, v42
	v_cmp_u_f32_e32 vcc, v24, v24
	v_max_f32_e32 v23, v23, v42
	s_nop 0
	v_cndmask_b32_e32 v25, v25, v24, vcc
	v_cndmask_b32_e32 v23, v23, v24, vcc
	v_cndmask_b32_e64 v25, v25, v38, s[82:83]
	v_cndmask_b32_e64 v23, v23, v38, s[82:83]
	v_cmp_neq_f32_e32 vcc, v25, v23
	v_cmp_class_f32_e64 s[0:1], v25, s33
	s_or_b64 s[2:3], vcc, s[0:1]
	s_and_saveexec_b64 s[0:1], s[2:3]
	s_cbranch_execz .LBB469_174
; %bb.173:
	v_sub_f32_e32 v24, v25, v23
	s_mov_b32 s2, 0x3fb8aa3b
	v_mul_f32_e32 v25, 0x3fb8aa3b, v24
	v_fma_f32 v26, v24, s2, -v25
	v_rndne_f32_e32 v27, v25
	v_fmamk_f32 v26, v24, 0x32a5705f, v26
	v_sub_f32_e32 v25, v25, v27
	v_add_f32_e32 v25, v25, v26
	v_exp_f32_e32 v25, v25
	v_cvt_i32_f32_e32 v26, v27
	s_mov_b32 s2, 0xc2ce8ed0
	v_cmp_ngt_f32_e32 vcc, s2, v24
	s_mov_b32 s2, 0x42b17218
	v_ldexp_f32 v25, v25, v26
	v_cndmask_b32_e32 v25, 0, v25, vcc
	v_mov_b32_e32 v26, 0x7f800000
	v_cmp_nlt_f32_e32 vcc, s2, v24
	s_mov_b32 s2, 0x3f2aaaab
	s_mov_b32 s3, 0x7f800000
	v_cndmask_b32_e32 v40, v26, v25, vcc
	v_add_f32_e32 v26, 1.0, v40
	v_add_f32_e32 v24, -1.0, v26
	v_sub_f32_e32 v25, v24, v26
	v_add_f32_e32 v25, 1.0, v25
	v_sub_f32_e32 v24, v40, v24
	v_add_f32_e32 v27, v24, v25
	v_frexp_mant_f32_e32 v28, v26
	v_cvt_f64_f32_e32 v[24:25], v26
	v_frexp_exp_i32_f64_e32 v24, v[24:25]
	v_cmp_gt_f32_e32 vcc, s2, v28
	s_mov_b32 s2, 0x3f317218
	s_nop 0
	v_subbrev_co_u32_e32 v32, vcc, 0, v24, vcc
	v_sub_u32_e32 v24, 0, v32
	v_ldexp_f32 v25, v26, v24
	v_add_f32_e32 v26, -1.0, v25
	v_add_f32_e32 v28, 1.0, v25
	v_ldexp_f32 v24, v27, v24
	v_add_f32_e32 v27, 1.0, v26
	v_add_f32_e32 v29, -1.0, v28
	v_sub_f32_e32 v27, v25, v27
	v_sub_f32_e32 v25, v25, v29
	v_add_f32_e32 v27, v24, v27
	v_add_f32_e32 v24, v24, v25
	;; [unrolled: 1-line block ×3, first 2 shown]
	v_rcp_f32_e32 v35, v33
	v_sub_f32_e32 v25, v28, v33
	v_add_f32_e32 v34, v24, v25
	v_add_f32_e32 v25, v26, v27
	v_mul_f32_e32 v37, v25, v35
	v_sub_f32_e32 v24, v26, v25
	v_mul_f32_e32 v26, v33, v37
	v_fma_f32 v28, v37, v33, -v26
	v_fmac_f32_e32 v28, v37, v34
	v_add_f32_e32 v36, v27, v24
	v_add_f32_e32 v24, v26, v28
	v_sub_f32_e32 v27, v25, v24
	v_pk_add_f32 v[30:31], v[24:25], v[26:27] neg_lo:[0,1] neg_hi:[0,1]
	v_mov_b32_e32 v29, v24
	v_pk_add_f32 v[24:25], v[30:31], v[28:29] neg_lo:[0,1] neg_hi:[0,1]
	v_cmp_eq_f32_e32 vcc, s3, v40
	v_add_f32_e32 v25, v36, v25
	v_add_f32_e32 v24, v24, v25
	;; [unrolled: 1-line block ×3, first 2 shown]
	v_mul_f32_e32 v36, v35, v25
	v_mul_f32_e32 v26, v33, v36
	v_fma_f32 v28, v36, v33, -v26
	v_fmac_f32_e32 v28, v36, v34
	v_sub_f32_e32 v27, v27, v25
	v_add_f32_e32 v33, v24, v27
	v_add_f32_e32 v24, v26, v28
	v_sub_f32_e32 v27, v25, v24
	v_pk_add_f32 v[30:31], v[24:25], v[26:27] neg_lo:[0,1] neg_hi:[0,1]
	v_mov_b32_e32 v29, v24
	v_pk_add_f32 v[24:25], v[30:31], v[28:29] neg_lo:[0,1] neg_hi:[0,1]
	v_cvt_f32_i32_e32 v26, v32
	v_add_f32_e32 v25, v33, v25
	v_add_f32_e32 v24, v24, v25
	;; [unrolled: 1-line block ×4, first 2 shown]
	v_sub_f32_e32 v25, v27, v37
	v_mul_f32_e32 v24, v35, v24
	v_sub_f32_e32 v25, v36, v25
	v_add_f32_e32 v24, v25, v24
	v_add_f32_e32 v28, v27, v24
	v_mul_f32_e32 v30, v28, v28
	v_mov_b32_e32 v25, 0x3ecc95a3
	v_sub_f32_e32 v27, v28, v27
	v_fmac_f32_e32 v25, 0x3e9b6dac, v30
	v_sub_f32_e32 v24, v24, v27
	v_fmaak_f32 v25, v30, v25, 0x3f2aaada
	v_ldexp_f32 v31, v24, 1
	v_mul_f32_e32 v27, v28, v30
	v_mov_b32_e32 v24, 0x3f317218
	v_pk_mul_f32 v[24:25], v[26:27], v[24:25]
	v_ldexp_f32 v29, v28, 1
	v_fma_f32 v27, v26, s2, -v24
	v_fmamk_f32 v28, v26, 0xb102e308, v27
	v_pk_add_f32 v[26:27], v[24:25], v[28:29]
	v_mov_b32_e32 v30, v24
	v_sub_f32_e32 v29, v27, v29
	v_sub_f32_e32 v29, v25, v29
	v_add_f32_e32 v31, v31, v29
	v_pk_add_f32 v[24:25], v[26:27], v[24:25] neg_lo:[0,1] neg_hi:[0,1]
	v_pk_add_f32 v[32:33], v[26:27], v[30:31]
	v_mov_b32_e32 v29, v26
	v_mov_b32_e32 v25, v33
	v_pk_add_f32 v[34:35], v[28:29], v[24:25] neg_lo:[0,1] neg_hi:[0,1]
	v_pk_add_f32 v[24:25], v[28:29], v[24:25]
	v_mov_b32_e32 v30, v31
	v_mov_b32_e32 v28, v25
	v_pk_add_f32 v[36:37], v[28:29], v[26:27] neg_lo:[0,1] neg_hi:[0,1]
	v_mov_b32_e32 v24, v33
	v_mov_b32_e32 v29, v36
	v_pk_add_f32 v[38:39], v[32:33], v[28:29] neg_lo:[0,1] neg_hi:[0,1]
	v_mov_b32_e32 v32, v27
	v_mov_b32_e32 v33, v36
	;; [unrolled: 1-line block ×3, first 2 shown]
	v_pk_add_f32 v[24:25], v[24:25], v[32:33] neg_lo:[0,1] neg_hi:[0,1]
	v_mov_b32_e32 v31, v26
	v_pk_add_f32 v[24:25], v[30:31], v[24:25] neg_lo:[0,1] neg_hi:[0,1]
	v_mov_b32_e32 v38, v34
	v_pk_add_f32 v[26:27], v[38:39], v[24:25]
	s_mov_b32 s2, 0x33800000
	v_mov_b32_e32 v30, v27
	v_pk_add_f32 v[30:31], v[26:27], v[30:31]
	v_cmp_lt_f32_e64 s[2:3], |v40|, s2
	v_pk_add_f32 v[28:29], v[28:29], v[30:31]
	v_mov_b32_e32 v25, v30
	v_mov_b32_e32 v27, v28
	v_pk_add_f32 v[32:33], v[26:27], v[34:35] neg_lo:[0,1] neg_hi:[0,1]
	s_or_b64 vcc, vcc, s[2:3]
	v_sub_f32_e32 v26, v26, v32
	v_pk_add_f32 v[24:25], v[24:25], v[32:33] neg_lo:[0,1] neg_hi:[0,1]
	v_sub_f32_e32 v26, v34, v26
	v_add_f32_e32 v24, v24, v26
	v_add_f32_e32 v24, v24, v25
	;; [unrolled: 1-line block ×3, first 2 shown]
	v_cndmask_b32_e32 v24, v24, v40, vcc
	v_add_f32_e32 v24, v23, v24
.LBB469_174:
	s_or_b64 exec, exec, s[0:1]
	v_bfe_u32 v23, v24, 16, 1
	v_add3_u32 v23, v24, v23, s48
	v_lshrrev_b32_e32 v23, 16, v23
	v_cmp_o_f32_e32 vcc, v24, v24
	s_nop 1
	v_cndmask_b32_e32 v22, v22, v23, vcc
	v_lshlrev_b32_e32 v24, 16, v22
	v_max_f32_e32 v25, v24, v24
	v_min_f32_e32 v23, v25, v43
	v_cmp_u_f32_e32 vcc, v24, v24
	v_max_f32_e32 v25, v25, v43
	s_nop 0
	v_cndmask_b32_e32 v23, v23, v24, vcc
	v_cndmask_b32_e32 v25, v25, v24, vcc
	v_cndmask_b32_e64 v23, v23, v7, s[84:85]
	v_cndmask_b32_e64 v7, v25, v7, s[84:85]
	v_cmp_neq_f32_e32 vcc, v23, v7
	v_cmp_class_f32_e64 s[0:1], v23, s33
	s_or_b64 s[2:3], vcc, s[0:1]
	s_and_saveexec_b64 s[0:1], s[2:3]
	s_cbranch_execz .LBB469_176
; %bb.175:
	v_sub_f32_e32 v23, v23, v7
	s_mov_b32 s2, 0x3fb8aa3b
	v_mul_f32_e32 v24, 0x3fb8aa3b, v23
	v_fma_f32 v25, v23, s2, -v24
	v_rndne_f32_e32 v26, v24
	v_fmamk_f32 v25, v23, 0x32a5705f, v25
	v_sub_f32_e32 v24, v24, v26
	v_add_f32_e32 v24, v24, v25
	v_exp_f32_e32 v24, v24
	v_cvt_i32_f32_e32 v25, v26
	s_mov_b32 s2, 0xc2ce8ed0
	v_cmp_ngt_f32_e32 vcc, s2, v23
	s_mov_b32 s2, 0x42b17218
	v_ldexp_f32 v24, v24, v25
	v_cndmask_b32_e32 v24, 0, v24, vcc
	v_mov_b32_e32 v25, 0x7f800000
	v_cmp_nlt_f32_e32 vcc, s2, v23
	s_mov_b32 s2, 0x3f2aaaab
	s_mov_b32 s3, 0x7f800000
	v_cndmask_b32_e32 v40, v25, v24, vcc
	v_add_f32_e32 v23, 1.0, v40
	v_add_f32_e32 v24, -1.0, v23
	v_sub_f32_e32 v25, v24, v23
	v_add_f32_e32 v25, 1.0, v25
	v_sub_f32_e32 v24, v40, v24
	v_add_f32_e32 v26, v24, v25
	v_frexp_mant_f32_e32 v27, v23
	v_cvt_f64_f32_e32 v[24:25], v23
	v_frexp_exp_i32_f64_e32 v24, v[24:25]
	v_cmp_gt_f32_e32 vcc, s2, v27
	s_mov_b32 s2, 0x3f317218
	s_nop 0
	v_subbrev_co_u32_e32 v32, vcc, 0, v24, vcc
	v_sub_u32_e32 v24, 0, v32
	v_ldexp_f32 v23, v23, v24
	v_ldexp_f32 v24, v26, v24
	v_add_f32_e32 v26, -1.0, v23
	v_add_f32_e32 v25, 1.0, v26
	v_sub_f32_e32 v25, v23, v25
	v_add_f32_e32 v27, v24, v25
	v_add_f32_e32 v25, 1.0, v23
	v_add_f32_e32 v28, -1.0, v25
	v_sub_f32_e32 v23, v23, v28
	v_add_f32_e32 v23, v24, v23
	v_add_f32_e32 v33, v25, v23
	v_rcp_f32_e32 v34, v33
	v_sub_f32_e32 v24, v25, v33
	v_add_f32_e32 v25, v26, v27
	v_add_f32_e32 v23, v23, v24
	v_mul_f32_e32 v36, v25, v34
	v_sub_f32_e32 v24, v26, v25
	v_mul_f32_e32 v26, v33, v36
	v_fma_f32 v28, v36, v33, -v26
	v_fmac_f32_e32 v28, v36, v23
	v_add_f32_e32 v35, v27, v24
	v_add_f32_e32 v24, v26, v28
	v_sub_f32_e32 v27, v25, v24
	v_pk_add_f32 v[30:31], v[24:25], v[26:27] neg_lo:[0,1] neg_hi:[0,1]
	v_mov_b32_e32 v29, v24
	v_pk_add_f32 v[24:25], v[30:31], v[28:29] neg_lo:[0,1] neg_hi:[0,1]
	v_cmp_eq_f32_e32 vcc, s3, v40
	v_add_f32_e32 v25, v35, v25
	v_add_f32_e32 v24, v24, v25
	;; [unrolled: 1-line block ×3, first 2 shown]
	v_mul_f32_e32 v35, v34, v25
	v_mul_f32_e32 v26, v33, v35
	v_fma_f32 v28, v35, v33, -v26
	v_fmac_f32_e32 v28, v35, v23
	v_sub_f32_e32 v23, v27, v25
	v_add_f32_e32 v23, v24, v23
	v_add_f32_e32 v24, v26, v28
	v_sub_f32_e32 v27, v25, v24
	v_pk_add_f32 v[30:31], v[24:25], v[26:27] neg_lo:[0,1] neg_hi:[0,1]
	v_mov_b32_e32 v29, v24
	v_pk_add_f32 v[24:25], v[30:31], v[28:29] neg_lo:[0,1] neg_hi:[0,1]
	v_cvt_f32_i32_e32 v26, v32
	v_add_f32_e32 v23, v23, v25
	v_add_f32_e32 v23, v24, v23
	;; [unrolled: 1-line block ×4, first 2 shown]
	v_sub_f32_e32 v25, v24, v36
	v_mul_f32_e32 v23, v34, v23
	v_sub_f32_e32 v25, v35, v25
	v_add_f32_e32 v23, v25, v23
	v_add_f32_e32 v27, v24, v23
	v_mul_f32_e32 v28, v27, v27
	v_mov_b32_e32 v25, 0x3ecc95a3
	v_fmac_f32_e32 v25, 0x3e9b6dac, v28
	v_sub_f32_e32 v24, v27, v24
	v_fmaak_f32 v25, v28, v25, 0x3f2aaada
	v_sub_f32_e32 v23, v23, v24
	v_ldexp_f32 v29, v27, 1
	v_mul_f32_e32 v27, v27, v28
	v_mov_b32_e32 v24, 0x3f317218
	v_pk_mul_f32 v[24:25], v[26:27], v[24:25]
	v_ldexp_f32 v23, v23, 1
	v_fma_f32 v27, v26, s2, -v24
	v_fmamk_f32 v28, v26, 0xb102e308, v27
	v_pk_add_f32 v[26:27], v[24:25], v[28:29]
	v_mov_b32_e32 v30, v24
	v_sub_f32_e32 v29, v27, v29
	v_sub_f32_e32 v29, v25, v29
	v_add_f32_e32 v31, v23, v29
	v_pk_add_f32 v[24:25], v[26:27], v[24:25] neg_lo:[0,1] neg_hi:[0,1]
	v_pk_add_f32 v[32:33], v[26:27], v[30:31]
	v_mov_b32_e32 v29, v26
	v_mov_b32_e32 v25, v33
	v_pk_add_f32 v[34:35], v[28:29], v[24:25] neg_lo:[0,1] neg_hi:[0,1]
	v_pk_add_f32 v[24:25], v[28:29], v[24:25]
	v_mov_b32_e32 v30, v31
	v_mov_b32_e32 v28, v25
	v_pk_add_f32 v[36:37], v[28:29], v[26:27] neg_lo:[0,1] neg_hi:[0,1]
	v_mov_b32_e32 v24, v33
	v_mov_b32_e32 v23, v36
	v_pk_add_f32 v[38:39], v[32:33], v[22:23] neg_lo:[0,1] neg_hi:[0,1]
	v_mov_b32_e32 v32, v27
	v_mov_b32_e32 v33, v36
	;; [unrolled: 1-line block ×3, first 2 shown]
	v_pk_add_f32 v[24:25], v[24:25], v[32:33] neg_lo:[0,1] neg_hi:[0,1]
	v_mov_b32_e32 v31, v26
	v_pk_add_f32 v[24:25], v[30:31], v[24:25] neg_lo:[0,1] neg_hi:[0,1]
	v_mov_b32_e32 v38, v34
	v_pk_add_f32 v[26:27], v[38:39], v[24:25]
	s_mov_b32 s2, 0x33800000
	v_mov_b32_e32 v30, v27
	v_pk_add_f32 v[30:31], v[26:27], v[30:31]
	v_cmp_lt_f32_e64 s[2:3], |v40|, s2
	v_pk_add_f32 v[28:29], v[28:29], v[30:31]
	v_mov_b32_e32 v25, v30
	v_mov_b32_e32 v27, v28
	v_pk_add_f32 v[32:33], v[26:27], v[34:35] neg_lo:[0,1] neg_hi:[0,1]
	s_or_b64 vcc, vcc, s[2:3]
	v_sub_f32_e32 v23, v26, v32
	v_pk_add_f32 v[24:25], v[24:25], v[32:33] neg_lo:[0,1] neg_hi:[0,1]
	v_sub_f32_e32 v23, v34, v23
	v_add_f32_e32 v23, v24, v23
	v_add_f32_e32 v23, v23, v25
	;; [unrolled: 1-line block ×3, first 2 shown]
	v_cndmask_b32_e32 v23, v23, v40, vcc
	v_add_f32_e32 v24, v7, v23
.LBB469_176:
	s_or_b64 exec, exec, s[0:1]
	v_bfe_u32 v7, v24, 16, 1
	v_add3_u32 v7, v24, v7, s48
	v_lshrrev_b32_e32 v7, 16, v7
	v_mov_b32_e32 v23, 0x7fc0
	v_cmp_o_f32_e32 vcc, v24, v24
	s_nop 1
	v_cndmask_b32_e32 v7, v23, v7, vcc
	v_lshlrev_b32_e32 v25, 16, v7
	v_max_f32_e32 v24, v25, v25
	v_min_f32_e32 v26, v24, v45
	v_cmp_u_f32_e32 vcc, v25, v25
	v_max_f32_e32 v24, v24, v45
	s_nop 0
	v_cndmask_b32_e32 v26, v26, v25, vcc
	v_cndmask_b32_e32 v24, v24, v25, vcc
	v_cndmask_b32_e64 v26, v26, v41, s[86:87]
	v_cndmask_b32_e64 v24, v24, v41, s[86:87]
	v_cmp_neq_f32_e32 vcc, v26, v24
	v_cmp_class_f32_e64 s[0:1], v26, s33
	s_or_b64 s[2:3], vcc, s[0:1]
	s_and_saveexec_b64 s[0:1], s[2:3]
	s_cbranch_execz .LBB469_178
; %bb.177:
	v_sub_f32_e32 v25, v26, v24
	s_mov_b32 s2, 0x3fb8aa3b
	v_mul_f32_e32 v26, 0x3fb8aa3b, v25
	v_fma_f32 v27, v25, s2, -v26
	v_rndne_f32_e32 v28, v26
	v_fmamk_f32 v27, v25, 0x32a5705f, v27
	v_sub_f32_e32 v26, v26, v28
	v_add_f32_e32 v26, v26, v27
	v_exp_f32_e32 v26, v26
	v_cvt_i32_f32_e32 v27, v28
	s_mov_b32 s2, 0xc2ce8ed0
	v_cmp_ngt_f32_e32 vcc, s2, v25
	s_mov_b32 s2, 0x42b17218
	v_ldexp_f32 v26, v26, v27
	v_cndmask_b32_e32 v26, 0, v26, vcc
	v_mov_b32_e32 v27, 0x7f800000
	v_cmp_nlt_f32_e32 vcc, s2, v25
	s_mov_b32 s2, 0x3f2aaaab
	s_mov_b32 s3, 0x7f800000
	v_cndmask_b32_e32 v42, v27, v26, vcc
	v_add_f32_e32 v25, 1.0, v42
	v_add_f32_e32 v26, -1.0, v25
	v_sub_f32_e32 v27, v26, v25
	v_add_f32_e32 v27, 1.0, v27
	v_sub_f32_e32 v26, v42, v26
	v_add_f32_e32 v28, v26, v27
	v_frexp_mant_f32_e32 v29, v25
	v_cvt_f64_f32_e32 v[26:27], v25
	v_frexp_exp_i32_f64_e32 v26, v[26:27]
	v_cmp_gt_f32_e32 vcc, s2, v29
	s_mov_b32 s2, 0x3f317218
	s_nop 0
	v_subbrev_co_u32_e32 v34, vcc, 0, v26, vcc
	v_sub_u32_e32 v26, 0, v34
	v_ldexp_f32 v25, v25, v26
	v_ldexp_f32 v26, v28, v26
	v_add_f32_e32 v28, -1.0, v25
	v_add_f32_e32 v27, 1.0, v28
	v_sub_f32_e32 v27, v25, v27
	v_add_f32_e32 v29, v26, v27
	v_add_f32_e32 v27, 1.0, v25
	v_add_f32_e32 v30, -1.0, v27
	v_sub_f32_e32 v25, v25, v30
	v_add_f32_e32 v25, v26, v25
	v_add_f32_e32 v35, v27, v25
	v_rcp_f32_e32 v36, v35
	v_sub_f32_e32 v26, v27, v35
	v_add_f32_e32 v27, v28, v29
	v_add_f32_e32 v25, v25, v26
	v_mul_f32_e32 v38, v27, v36
	v_sub_f32_e32 v26, v28, v27
	v_mul_f32_e32 v28, v35, v38
	v_fma_f32 v30, v38, v35, -v28
	v_fmac_f32_e32 v30, v38, v25
	v_add_f32_e32 v37, v29, v26
	v_add_f32_e32 v26, v28, v30
	v_sub_f32_e32 v29, v27, v26
	v_pk_add_f32 v[32:33], v[26:27], v[28:29] neg_lo:[0,1] neg_hi:[0,1]
	v_mov_b32_e32 v31, v26
	v_pk_add_f32 v[26:27], v[32:33], v[30:31] neg_lo:[0,1] neg_hi:[0,1]
	v_cmp_eq_f32_e32 vcc, s3, v42
	v_add_f32_e32 v27, v37, v27
	v_add_f32_e32 v26, v26, v27
	;; [unrolled: 1-line block ×3, first 2 shown]
	v_mul_f32_e32 v37, v36, v27
	v_mul_f32_e32 v28, v35, v37
	v_fma_f32 v30, v37, v35, -v28
	v_fmac_f32_e32 v30, v37, v25
	v_sub_f32_e32 v25, v29, v27
	v_add_f32_e32 v25, v26, v25
	v_add_f32_e32 v26, v28, v30
	v_sub_f32_e32 v29, v27, v26
	v_pk_add_f32 v[32:33], v[26:27], v[28:29] neg_lo:[0,1] neg_hi:[0,1]
	v_mov_b32_e32 v31, v26
	v_pk_add_f32 v[26:27], v[32:33], v[30:31] neg_lo:[0,1] neg_hi:[0,1]
	v_cvt_f32_i32_e32 v28, v34
	v_add_f32_e32 v25, v25, v27
	v_add_f32_e32 v25, v26, v25
	;; [unrolled: 1-line block ×4, first 2 shown]
	v_sub_f32_e32 v27, v26, v38
	v_mul_f32_e32 v25, v36, v25
	v_sub_f32_e32 v27, v37, v27
	v_add_f32_e32 v25, v27, v25
	v_add_f32_e32 v29, v26, v25
	v_mul_f32_e32 v30, v29, v29
	v_mov_b32_e32 v27, 0x3ecc95a3
	v_fmac_f32_e32 v27, 0x3e9b6dac, v30
	v_sub_f32_e32 v26, v29, v26
	v_fmaak_f32 v27, v30, v27, 0x3f2aaada
	v_sub_f32_e32 v25, v25, v26
	v_ldexp_f32 v31, v29, 1
	v_mul_f32_e32 v29, v29, v30
	v_mov_b32_e32 v26, 0x3f317218
	v_pk_mul_f32 v[26:27], v[28:29], v[26:27]
	v_ldexp_f32 v25, v25, 1
	v_fma_f32 v29, v28, s2, -v26
	v_fmamk_f32 v30, v28, 0xb102e308, v29
	v_pk_add_f32 v[28:29], v[26:27], v[30:31]
	v_mov_b32_e32 v32, v26
	v_sub_f32_e32 v31, v29, v31
	v_sub_f32_e32 v31, v27, v31
	v_add_f32_e32 v33, v25, v31
	v_pk_add_f32 v[26:27], v[28:29], v[26:27] neg_lo:[0,1] neg_hi:[0,1]
	v_pk_add_f32 v[34:35], v[28:29], v[32:33]
	v_mov_b32_e32 v31, v28
	v_mov_b32_e32 v27, v35
	v_pk_add_f32 v[36:37], v[30:31], v[26:27] neg_lo:[0,1] neg_hi:[0,1]
	v_pk_add_f32 v[26:27], v[30:31], v[26:27]
	v_mov_b32_e32 v32, v33
	v_mov_b32_e32 v30, v27
	v_pk_add_f32 v[38:39], v[30:31], v[28:29] neg_lo:[0,1] neg_hi:[0,1]
	v_mov_b32_e32 v26, v35
	v_mov_b32_e32 v25, v38
	v_pk_add_f32 v[40:41], v[34:35], v[24:25] neg_lo:[0,1] neg_hi:[0,1]
	v_mov_b32_e32 v34, v29
	v_mov_b32_e32 v35, v38
	v_mov_b32_e32 v37, v27
	v_pk_add_f32 v[26:27], v[26:27], v[34:35] neg_lo:[0,1] neg_hi:[0,1]
	v_mov_b32_e32 v33, v28
	v_pk_add_f32 v[26:27], v[32:33], v[26:27] neg_lo:[0,1] neg_hi:[0,1]
	v_mov_b32_e32 v40, v36
	v_pk_add_f32 v[28:29], v[40:41], v[26:27]
	s_mov_b32 s2, 0x33800000
	v_mov_b32_e32 v32, v29
	v_pk_add_f32 v[32:33], v[28:29], v[32:33]
	v_cmp_lt_f32_e64 s[2:3], |v42|, s2
	v_pk_add_f32 v[30:31], v[30:31], v[32:33]
	v_mov_b32_e32 v27, v32
	v_mov_b32_e32 v29, v30
	v_pk_add_f32 v[34:35], v[28:29], v[36:37] neg_lo:[0,1] neg_hi:[0,1]
	s_or_b64 vcc, vcc, s[2:3]
	v_sub_f32_e32 v25, v28, v34
	v_pk_add_f32 v[26:27], v[26:27], v[34:35] neg_lo:[0,1] neg_hi:[0,1]
	v_sub_f32_e32 v25, v36, v25
	v_add_f32_e32 v25, v26, v25
	v_add_f32_e32 v25, v25, v27
	;; [unrolled: 1-line block ×3, first 2 shown]
	v_cndmask_b32_e32 v25, v25, v42, vcc
	v_add_f32_e32 v25, v24, v25
.LBB469_178:
	s_or_b64 exec, exec, s[0:1]
	v_bfe_u32 v24, v25, 16, 1
	v_add3_u32 v24, v25, v24, s48
	v_lshrrev_b32_e32 v24, 16, v24
	v_cmp_o_f32_e32 vcc, v25, v25
	s_nop 1
	v_cndmask_b32_e32 v23, v23, v24, vcc
	v_lshlrev_b32_e32 v25, 16, v23
	v_max_f32_e32 v26, v25, v25
	v_min_f32_e32 v24, v26, v46
	v_cmp_u_f32_e32 vcc, v25, v25
	v_max_f32_e32 v26, v26, v46
	s_nop 0
	v_cndmask_b32_e32 v24, v24, v25, vcc
	v_cndmask_b32_e32 v26, v26, v25, vcc
	v_cndmask_b32_e64 v24, v24, v8, s[88:89]
	v_cndmask_b32_e64 v8, v26, v8, s[88:89]
	v_cmp_neq_f32_e32 vcc, v24, v8
	v_cmp_class_f32_e64 s[0:1], v24, s33
	s_or_b64 s[2:3], vcc, s[0:1]
	s_and_saveexec_b64 s[0:1], s[2:3]
	s_cbranch_execz .LBB469_180
; %bb.179:
	v_sub_f32_e32 v24, v24, v8
	s_mov_b32 s2, 0x3fb8aa3b
	v_mul_f32_e32 v25, 0x3fb8aa3b, v24
	v_fma_f32 v26, v24, s2, -v25
	v_rndne_f32_e32 v27, v25
	v_fmamk_f32 v26, v24, 0x32a5705f, v26
	v_sub_f32_e32 v25, v25, v27
	v_add_f32_e32 v25, v25, v26
	v_exp_f32_e32 v25, v25
	v_cvt_i32_f32_e32 v26, v27
	s_mov_b32 s2, 0xc2ce8ed0
	v_cmp_ngt_f32_e32 vcc, s2, v24
	s_mov_b32 s2, 0x42b17218
	v_ldexp_f32 v25, v25, v26
	v_cndmask_b32_e32 v25, 0, v25, vcc
	v_mov_b32_e32 v26, 0x7f800000
	v_cmp_nlt_f32_e32 vcc, s2, v24
	s_mov_b32 s2, 0x3f2aaaab
	s_mov_b32 s3, 0x7f800000
	v_cndmask_b32_e32 v40, v26, v25, vcc
	v_add_f32_e32 v26, 1.0, v40
	v_add_f32_e32 v24, -1.0, v26
	v_sub_f32_e32 v25, v24, v26
	v_add_f32_e32 v25, 1.0, v25
	v_sub_f32_e32 v24, v40, v24
	v_add_f32_e32 v27, v24, v25
	v_frexp_mant_f32_e32 v28, v26
	v_cvt_f64_f32_e32 v[24:25], v26
	v_frexp_exp_i32_f64_e32 v24, v[24:25]
	v_cmp_gt_f32_e32 vcc, s2, v28
	s_mov_b32 s2, 0x3f317218
	s_nop 0
	v_subbrev_co_u32_e32 v32, vcc, 0, v24, vcc
	v_sub_u32_e32 v24, 0, v32
	v_ldexp_f32 v25, v26, v24
	v_add_f32_e32 v26, -1.0, v25
	v_add_f32_e32 v28, 1.0, v25
	v_ldexp_f32 v24, v27, v24
	v_add_f32_e32 v27, 1.0, v26
	v_add_f32_e32 v29, -1.0, v28
	v_sub_f32_e32 v27, v25, v27
	v_sub_f32_e32 v25, v25, v29
	v_add_f32_e32 v27, v24, v27
	v_add_f32_e32 v24, v24, v25
	;; [unrolled: 1-line block ×3, first 2 shown]
	v_rcp_f32_e32 v35, v33
	v_sub_f32_e32 v25, v28, v33
	v_add_f32_e32 v34, v24, v25
	v_add_f32_e32 v25, v26, v27
	v_mul_f32_e32 v37, v25, v35
	v_sub_f32_e32 v24, v26, v25
	v_mul_f32_e32 v26, v33, v37
	v_fma_f32 v28, v37, v33, -v26
	v_fmac_f32_e32 v28, v37, v34
	v_add_f32_e32 v36, v27, v24
	v_add_f32_e32 v24, v26, v28
	v_sub_f32_e32 v27, v25, v24
	v_pk_add_f32 v[30:31], v[24:25], v[26:27] neg_lo:[0,1] neg_hi:[0,1]
	v_mov_b32_e32 v29, v24
	v_pk_add_f32 v[24:25], v[30:31], v[28:29] neg_lo:[0,1] neg_hi:[0,1]
	v_cmp_eq_f32_e32 vcc, s3, v40
	v_add_f32_e32 v25, v36, v25
	v_add_f32_e32 v24, v24, v25
	v_add_f32_e32 v25, v27, v24
	v_mul_f32_e32 v36, v35, v25
	v_mul_f32_e32 v26, v33, v36
	v_fma_f32 v28, v36, v33, -v26
	v_fmac_f32_e32 v28, v36, v34
	v_sub_f32_e32 v27, v27, v25
	v_add_f32_e32 v33, v24, v27
	v_add_f32_e32 v24, v26, v28
	v_sub_f32_e32 v27, v25, v24
	v_pk_add_f32 v[30:31], v[24:25], v[26:27] neg_lo:[0,1] neg_hi:[0,1]
	v_mov_b32_e32 v29, v24
	v_pk_add_f32 v[24:25], v[30:31], v[28:29] neg_lo:[0,1] neg_hi:[0,1]
	v_cvt_f32_i32_e32 v26, v32
	v_add_f32_e32 v25, v33, v25
	v_add_f32_e32 v24, v24, v25
	;; [unrolled: 1-line block ×4, first 2 shown]
	v_sub_f32_e32 v25, v27, v37
	v_mul_f32_e32 v24, v35, v24
	v_sub_f32_e32 v25, v36, v25
	v_add_f32_e32 v24, v25, v24
	v_add_f32_e32 v28, v27, v24
	v_mul_f32_e32 v30, v28, v28
	v_mov_b32_e32 v25, 0x3ecc95a3
	v_sub_f32_e32 v27, v28, v27
	v_fmac_f32_e32 v25, 0x3e9b6dac, v30
	v_sub_f32_e32 v24, v24, v27
	v_fmaak_f32 v25, v30, v25, 0x3f2aaada
	v_ldexp_f32 v31, v24, 1
	v_mul_f32_e32 v27, v28, v30
	v_mov_b32_e32 v24, 0x3f317218
	v_pk_mul_f32 v[24:25], v[26:27], v[24:25]
	v_ldexp_f32 v29, v28, 1
	v_fma_f32 v27, v26, s2, -v24
	v_fmamk_f32 v28, v26, 0xb102e308, v27
	v_pk_add_f32 v[26:27], v[24:25], v[28:29]
	v_mov_b32_e32 v30, v24
	v_sub_f32_e32 v29, v27, v29
	v_sub_f32_e32 v29, v25, v29
	v_add_f32_e32 v31, v31, v29
	v_pk_add_f32 v[24:25], v[26:27], v[24:25] neg_lo:[0,1] neg_hi:[0,1]
	v_pk_add_f32 v[32:33], v[26:27], v[30:31]
	v_mov_b32_e32 v29, v26
	v_mov_b32_e32 v25, v33
	v_pk_add_f32 v[34:35], v[28:29], v[24:25] neg_lo:[0,1] neg_hi:[0,1]
	v_pk_add_f32 v[24:25], v[28:29], v[24:25]
	v_mov_b32_e32 v30, v31
	v_mov_b32_e32 v28, v25
	v_pk_add_f32 v[36:37], v[28:29], v[26:27] neg_lo:[0,1] neg_hi:[0,1]
	v_mov_b32_e32 v24, v33
	v_mov_b32_e32 v29, v36
	v_pk_add_f32 v[38:39], v[32:33], v[28:29] neg_lo:[0,1] neg_hi:[0,1]
	v_mov_b32_e32 v32, v27
	v_mov_b32_e32 v33, v36
	;; [unrolled: 1-line block ×3, first 2 shown]
	v_pk_add_f32 v[24:25], v[24:25], v[32:33] neg_lo:[0,1] neg_hi:[0,1]
	v_mov_b32_e32 v31, v26
	v_pk_add_f32 v[24:25], v[30:31], v[24:25] neg_lo:[0,1] neg_hi:[0,1]
	v_mov_b32_e32 v38, v34
	v_pk_add_f32 v[26:27], v[38:39], v[24:25]
	s_mov_b32 s2, 0x33800000
	v_mov_b32_e32 v30, v27
	v_pk_add_f32 v[30:31], v[26:27], v[30:31]
	v_cmp_lt_f32_e64 s[2:3], |v40|, s2
	v_pk_add_f32 v[28:29], v[28:29], v[30:31]
	v_mov_b32_e32 v25, v30
	v_mov_b32_e32 v27, v28
	v_pk_add_f32 v[32:33], v[26:27], v[34:35] neg_lo:[0,1] neg_hi:[0,1]
	s_or_b64 vcc, vcc, s[2:3]
	v_sub_f32_e32 v26, v26, v32
	v_pk_add_f32 v[24:25], v[24:25], v[32:33] neg_lo:[0,1] neg_hi:[0,1]
	v_sub_f32_e32 v26, v34, v26
	v_add_f32_e32 v24, v24, v26
	v_add_f32_e32 v24, v24, v25
	v_add_f32_e32 v24, v28, v24
	v_cndmask_b32_e32 v24, v24, v40, vcc
	v_add_f32_e32 v25, v8, v24
.LBB469_180:
	s_or_b64 exec, exec, s[0:1]
	v_bfe_u32 v8, v25, 16, 1
	v_add3_u32 v8, v25, v8, s48
	v_lshrrev_b32_e32 v8, 16, v8
	v_mov_b32_e32 v24, 0x7fc0
	v_cmp_o_f32_e32 vcc, v25, v25
	s_nop 1
	v_cndmask_b32_e32 v8, v24, v8, vcc
	v_lshlrev_b32_e32 v26, 16, v8
	v_max_f32_e32 v25, v26, v26
	v_min_f32_e32 v27, v25, v47
	v_cmp_u_f32_e32 vcc, v26, v26
	v_max_f32_e32 v25, v25, v47
	s_nop 0
	v_cndmask_b32_e32 v27, v27, v26, vcc
	v_cndmask_b32_e32 v25, v25, v26, vcc
	v_cndmask_b32_e64 v27, v27, v44, s[90:91]
	v_cndmask_b32_e64 v25, v25, v44, s[90:91]
	v_cmp_neq_f32_e32 vcc, v27, v25
	v_cmp_class_f32_e64 s[0:1], v27, s33
	s_or_b64 s[2:3], vcc, s[0:1]
	s_and_saveexec_b64 s[0:1], s[2:3]
	s_cbranch_execz .LBB469_182
; %bb.181:
	v_sub_f32_e32 v26, v27, v25
	s_mov_b32 s2, 0x3fb8aa3b
	v_mul_f32_e32 v27, 0x3fb8aa3b, v26
	v_fma_f32 v28, v26, s2, -v27
	v_rndne_f32_e32 v29, v27
	v_fmamk_f32 v28, v26, 0x32a5705f, v28
	v_sub_f32_e32 v27, v27, v29
	v_add_f32_e32 v27, v27, v28
	v_exp_f32_e32 v27, v27
	v_cvt_i32_f32_e32 v28, v29
	s_mov_b32 s2, 0xc2ce8ed0
	v_cmp_ngt_f32_e32 vcc, s2, v26
	s_mov_b32 s2, 0x42b17218
	v_ldexp_f32 v27, v27, v28
	v_cndmask_b32_e32 v27, 0, v27, vcc
	v_mov_b32_e32 v28, 0x7f800000
	v_cmp_nlt_f32_e32 vcc, s2, v26
	s_mov_b32 s2, 0x3f2aaaab
	s_mov_b32 s3, 0x7f800000
	v_cndmask_b32_e32 v42, v28, v27, vcc
	v_add_f32_e32 v28, 1.0, v42
	v_add_f32_e32 v26, -1.0, v28
	v_sub_f32_e32 v27, v26, v28
	v_add_f32_e32 v27, 1.0, v27
	v_sub_f32_e32 v26, v42, v26
	v_add_f32_e32 v29, v26, v27
	v_frexp_mant_f32_e32 v30, v28
	v_cvt_f64_f32_e32 v[26:27], v28
	v_frexp_exp_i32_f64_e32 v26, v[26:27]
	v_cmp_gt_f32_e32 vcc, s2, v30
	s_mov_b32 s2, 0x3f317218
	s_nop 0
	v_subbrev_co_u32_e32 v34, vcc, 0, v26, vcc
	v_sub_u32_e32 v26, 0, v34
	v_ldexp_f32 v27, v28, v26
	v_add_f32_e32 v28, -1.0, v27
	v_add_f32_e32 v30, 1.0, v27
	v_ldexp_f32 v26, v29, v26
	v_add_f32_e32 v29, 1.0, v28
	v_add_f32_e32 v31, -1.0, v30
	v_sub_f32_e32 v29, v27, v29
	v_sub_f32_e32 v27, v27, v31
	v_add_f32_e32 v29, v26, v29
	v_add_f32_e32 v26, v26, v27
	v_add_f32_e32 v35, v30, v26
	v_rcp_f32_e32 v37, v35
	v_sub_f32_e32 v27, v30, v35
	v_add_f32_e32 v36, v26, v27
	v_add_f32_e32 v27, v28, v29
	v_mul_f32_e32 v39, v27, v37
	v_sub_f32_e32 v26, v28, v27
	v_mul_f32_e32 v28, v35, v39
	v_fma_f32 v30, v39, v35, -v28
	v_fmac_f32_e32 v30, v39, v36
	v_add_f32_e32 v38, v29, v26
	v_add_f32_e32 v26, v28, v30
	v_sub_f32_e32 v29, v27, v26
	v_pk_add_f32 v[32:33], v[26:27], v[28:29] neg_lo:[0,1] neg_hi:[0,1]
	v_mov_b32_e32 v31, v26
	v_pk_add_f32 v[26:27], v[32:33], v[30:31] neg_lo:[0,1] neg_hi:[0,1]
	v_cmp_eq_f32_e32 vcc, s3, v42
	v_add_f32_e32 v27, v38, v27
	v_add_f32_e32 v26, v26, v27
	;; [unrolled: 1-line block ×3, first 2 shown]
	v_mul_f32_e32 v38, v37, v27
	v_mul_f32_e32 v28, v35, v38
	v_fma_f32 v30, v38, v35, -v28
	v_fmac_f32_e32 v30, v38, v36
	v_sub_f32_e32 v29, v29, v27
	v_add_f32_e32 v35, v26, v29
	v_add_f32_e32 v26, v28, v30
	v_sub_f32_e32 v29, v27, v26
	v_pk_add_f32 v[32:33], v[26:27], v[28:29] neg_lo:[0,1] neg_hi:[0,1]
	v_mov_b32_e32 v31, v26
	v_pk_add_f32 v[26:27], v[32:33], v[30:31] neg_lo:[0,1] neg_hi:[0,1]
	v_cvt_f32_i32_e32 v28, v34
	v_add_f32_e32 v27, v35, v27
	v_add_f32_e32 v26, v26, v27
	;; [unrolled: 1-line block ×4, first 2 shown]
	v_sub_f32_e32 v27, v29, v39
	v_mul_f32_e32 v26, v37, v26
	v_sub_f32_e32 v27, v38, v27
	v_add_f32_e32 v26, v27, v26
	v_add_f32_e32 v30, v29, v26
	v_mul_f32_e32 v32, v30, v30
	v_mov_b32_e32 v27, 0x3ecc95a3
	v_sub_f32_e32 v29, v30, v29
	v_fmac_f32_e32 v27, 0x3e9b6dac, v32
	v_sub_f32_e32 v26, v26, v29
	v_fmaak_f32 v27, v32, v27, 0x3f2aaada
	v_ldexp_f32 v33, v26, 1
	v_mul_f32_e32 v29, v30, v32
	v_mov_b32_e32 v26, 0x3f317218
	v_pk_mul_f32 v[26:27], v[28:29], v[26:27]
	v_ldexp_f32 v31, v30, 1
	v_fma_f32 v29, v28, s2, -v26
	v_fmamk_f32 v30, v28, 0xb102e308, v29
	v_pk_add_f32 v[28:29], v[26:27], v[30:31]
	v_mov_b32_e32 v32, v26
	v_sub_f32_e32 v31, v29, v31
	v_sub_f32_e32 v31, v27, v31
	v_add_f32_e32 v33, v33, v31
	v_pk_add_f32 v[26:27], v[28:29], v[26:27] neg_lo:[0,1] neg_hi:[0,1]
	v_pk_add_f32 v[34:35], v[28:29], v[32:33]
	v_mov_b32_e32 v31, v28
	v_mov_b32_e32 v27, v35
	v_pk_add_f32 v[36:37], v[30:31], v[26:27] neg_lo:[0,1] neg_hi:[0,1]
	v_pk_add_f32 v[26:27], v[30:31], v[26:27]
	v_mov_b32_e32 v32, v33
	v_mov_b32_e32 v30, v27
	v_pk_add_f32 v[38:39], v[30:31], v[28:29] neg_lo:[0,1] neg_hi:[0,1]
	v_mov_b32_e32 v26, v35
	v_mov_b32_e32 v31, v38
	v_pk_add_f32 v[40:41], v[34:35], v[30:31] neg_lo:[0,1] neg_hi:[0,1]
	v_mov_b32_e32 v34, v29
	v_mov_b32_e32 v35, v38
	;; [unrolled: 1-line block ×3, first 2 shown]
	v_pk_add_f32 v[26:27], v[26:27], v[34:35] neg_lo:[0,1] neg_hi:[0,1]
	v_mov_b32_e32 v33, v28
	v_pk_add_f32 v[26:27], v[32:33], v[26:27] neg_lo:[0,1] neg_hi:[0,1]
	v_mov_b32_e32 v40, v36
	v_pk_add_f32 v[28:29], v[40:41], v[26:27]
	s_mov_b32 s2, 0x33800000
	v_mov_b32_e32 v32, v29
	v_pk_add_f32 v[32:33], v[28:29], v[32:33]
	v_cmp_lt_f32_e64 s[2:3], |v42|, s2
	v_pk_add_f32 v[30:31], v[30:31], v[32:33]
	v_mov_b32_e32 v27, v32
	v_mov_b32_e32 v29, v30
	v_pk_add_f32 v[34:35], v[28:29], v[36:37] neg_lo:[0,1] neg_hi:[0,1]
	s_or_b64 vcc, vcc, s[2:3]
	v_sub_f32_e32 v28, v28, v34
	v_pk_add_f32 v[26:27], v[26:27], v[34:35] neg_lo:[0,1] neg_hi:[0,1]
	v_sub_f32_e32 v28, v36, v28
	v_add_f32_e32 v26, v26, v28
	v_add_f32_e32 v26, v26, v27
	;; [unrolled: 1-line block ×3, first 2 shown]
	v_cndmask_b32_e32 v26, v26, v42, vcc
	v_add_f32_e32 v26, v25, v26
.LBB469_182:
	s_or_b64 exec, exec, s[0:1]
	v_bfe_u32 v25, v26, 16, 1
	v_add3_u32 v25, v26, v25, s48
	v_lshrrev_b32_e32 v25, 16, v25
	v_cmp_o_f32_e32 vcc, v26, v26
	s_movk_i32 s0, 0x1f8
	s_nop 0
	v_cndmask_b32_e32 v24, v24, v25, vcc
	v_lshlrev_b32_e32 v25, 16, v24
	v_max_f32_e32 v27, v25, v25
	v_min_f32_e32 v26, v27, v48
	v_cmp_u_f32_e32 vcc, v25, v25
	v_max_f32_e32 v27, v27, v48
	s_nop 0
	v_cndmask_b32_e32 v26, v26, v25, vcc
	v_cndmask_b32_e32 v27, v27, v25, vcc
	v_cndmask_b32_e64 v26, v26, v9, s[92:93]
	v_cndmask_b32_e64 v9, v27, v9, s[92:93]
	v_cmp_neq_f32_e32 vcc, v26, v9
	v_cmp_class_f32_e64 s[0:1], v26, s0
	s_or_b64 s[2:3], vcc, s[0:1]
	s_and_saveexec_b64 s[0:1], s[2:3]
	s_cbranch_execz .LBB469_184
; %bb.183:
	v_sub_f32_e32 v25, v26, v9
	s_mov_b32 s2, 0x3fb8aa3b
	v_mul_f32_e32 v26, 0x3fb8aa3b, v25
	v_fma_f32 v27, v25, s2, -v26
	v_rndne_f32_e32 v28, v26
	v_fmamk_f32 v27, v25, 0x32a5705f, v27
	v_sub_f32_e32 v26, v26, v28
	v_add_f32_e32 v26, v26, v27
	v_exp_f32_e32 v26, v26
	v_cvt_i32_f32_e32 v27, v28
	s_mov_b32 s2, 0xc2ce8ed0
	v_cmp_ngt_f32_e32 vcc, s2, v25
	s_mov_b32 s2, 0x42b17218
	v_ldexp_f32 v26, v26, v27
	v_cndmask_b32_e32 v26, 0, v26, vcc
	v_mov_b32_e32 v27, 0x7f800000
	v_cmp_nlt_f32_e32 vcc, s2, v25
	s_mov_b32 s2, 0x3f2aaaab
	s_mov_b32 s3, 0x7f800000
	v_cndmask_b32_e32 v42, v27, v26, vcc
	v_add_f32_e32 v25, 1.0, v42
	v_add_f32_e32 v26, -1.0, v25
	v_sub_f32_e32 v27, v26, v25
	v_add_f32_e32 v27, 1.0, v27
	v_sub_f32_e32 v26, v42, v26
	v_add_f32_e32 v28, v26, v27
	v_frexp_mant_f32_e32 v29, v25
	v_cvt_f64_f32_e32 v[26:27], v25
	v_frexp_exp_i32_f64_e32 v26, v[26:27]
	v_cmp_gt_f32_e32 vcc, s2, v29
	s_mov_b32 s2, 0x3f317218
	s_nop 0
	v_subbrev_co_u32_e32 v34, vcc, 0, v26, vcc
	v_sub_u32_e32 v26, 0, v34
	v_ldexp_f32 v25, v25, v26
	v_ldexp_f32 v26, v28, v26
	v_add_f32_e32 v28, -1.0, v25
	v_add_f32_e32 v27, 1.0, v28
	v_sub_f32_e32 v27, v25, v27
	v_add_f32_e32 v29, v26, v27
	v_add_f32_e32 v27, 1.0, v25
	v_add_f32_e32 v30, -1.0, v27
	v_sub_f32_e32 v25, v25, v30
	v_add_f32_e32 v25, v26, v25
	v_add_f32_e32 v35, v27, v25
	v_rcp_f32_e32 v36, v35
	v_sub_f32_e32 v26, v27, v35
	v_add_f32_e32 v27, v28, v29
	v_add_f32_e32 v25, v25, v26
	v_mul_f32_e32 v38, v27, v36
	v_sub_f32_e32 v26, v28, v27
	v_mul_f32_e32 v28, v35, v38
	v_fma_f32 v30, v38, v35, -v28
	v_fmac_f32_e32 v30, v38, v25
	v_add_f32_e32 v37, v29, v26
	v_add_f32_e32 v26, v28, v30
	v_sub_f32_e32 v29, v27, v26
	v_pk_add_f32 v[32:33], v[26:27], v[28:29] neg_lo:[0,1] neg_hi:[0,1]
	v_mov_b32_e32 v31, v26
	v_pk_add_f32 v[26:27], v[32:33], v[30:31] neg_lo:[0,1] neg_hi:[0,1]
	v_cmp_eq_f32_e32 vcc, s3, v42
	v_add_f32_e32 v27, v37, v27
	v_add_f32_e32 v26, v26, v27
	;; [unrolled: 1-line block ×3, first 2 shown]
	v_mul_f32_e32 v37, v36, v27
	v_mul_f32_e32 v28, v35, v37
	v_fma_f32 v30, v37, v35, -v28
	v_fmac_f32_e32 v30, v37, v25
	v_sub_f32_e32 v25, v29, v27
	v_add_f32_e32 v25, v26, v25
	v_add_f32_e32 v26, v28, v30
	v_sub_f32_e32 v29, v27, v26
	v_pk_add_f32 v[32:33], v[26:27], v[28:29] neg_lo:[0,1] neg_hi:[0,1]
	v_mov_b32_e32 v31, v26
	v_pk_add_f32 v[26:27], v[32:33], v[30:31] neg_lo:[0,1] neg_hi:[0,1]
	v_cvt_f32_i32_e32 v28, v34
	v_add_f32_e32 v25, v25, v27
	v_add_f32_e32 v25, v26, v25
	;; [unrolled: 1-line block ×4, first 2 shown]
	v_sub_f32_e32 v27, v26, v38
	v_mul_f32_e32 v25, v36, v25
	v_sub_f32_e32 v27, v37, v27
	v_add_f32_e32 v25, v27, v25
	v_add_f32_e32 v29, v26, v25
	v_mul_f32_e32 v30, v29, v29
	v_mov_b32_e32 v27, 0x3ecc95a3
	v_fmac_f32_e32 v27, 0x3e9b6dac, v30
	v_sub_f32_e32 v26, v29, v26
	v_fmaak_f32 v27, v30, v27, 0x3f2aaada
	v_sub_f32_e32 v25, v25, v26
	v_ldexp_f32 v31, v29, 1
	v_mul_f32_e32 v29, v29, v30
	v_mov_b32_e32 v26, 0x3f317218
	v_pk_mul_f32 v[26:27], v[28:29], v[26:27]
	v_ldexp_f32 v25, v25, 1
	v_fma_f32 v29, v28, s2, -v26
	v_fmamk_f32 v30, v28, 0xb102e308, v29
	v_pk_add_f32 v[28:29], v[26:27], v[30:31]
	v_mov_b32_e32 v32, v26
	v_sub_f32_e32 v31, v29, v31
	v_sub_f32_e32 v31, v27, v31
	v_add_f32_e32 v33, v25, v31
	v_pk_add_f32 v[26:27], v[28:29], v[26:27] neg_lo:[0,1] neg_hi:[0,1]
	v_pk_add_f32 v[34:35], v[28:29], v[32:33]
	v_mov_b32_e32 v31, v28
	v_mov_b32_e32 v27, v35
	v_pk_add_f32 v[36:37], v[30:31], v[26:27] neg_lo:[0,1] neg_hi:[0,1]
	v_pk_add_f32 v[26:27], v[30:31], v[26:27]
	v_mov_b32_e32 v32, v33
	v_mov_b32_e32 v30, v27
	v_pk_add_f32 v[38:39], v[30:31], v[28:29] neg_lo:[0,1] neg_hi:[0,1]
	v_mov_b32_e32 v26, v35
	v_mov_b32_e32 v25, v38
	v_pk_add_f32 v[40:41], v[34:35], v[24:25] neg_lo:[0,1] neg_hi:[0,1]
	v_mov_b32_e32 v34, v29
	v_mov_b32_e32 v35, v38
	;; [unrolled: 1-line block ×3, first 2 shown]
	v_pk_add_f32 v[26:27], v[26:27], v[34:35] neg_lo:[0,1] neg_hi:[0,1]
	v_mov_b32_e32 v33, v28
	v_pk_add_f32 v[26:27], v[32:33], v[26:27] neg_lo:[0,1] neg_hi:[0,1]
	v_mov_b32_e32 v40, v36
	v_pk_add_f32 v[28:29], v[40:41], v[26:27]
	s_mov_b32 s2, 0x33800000
	v_mov_b32_e32 v32, v29
	v_pk_add_f32 v[32:33], v[28:29], v[32:33]
	v_cmp_lt_f32_e64 s[2:3], |v42|, s2
	v_pk_add_f32 v[30:31], v[30:31], v[32:33]
	v_mov_b32_e32 v27, v32
	v_mov_b32_e32 v29, v30
	v_pk_add_f32 v[34:35], v[28:29], v[36:37] neg_lo:[0,1] neg_hi:[0,1]
	s_or_b64 vcc, vcc, s[2:3]
	v_sub_f32_e32 v25, v28, v34
	v_pk_add_f32 v[26:27], v[26:27], v[34:35] neg_lo:[0,1] neg_hi:[0,1]
	v_sub_f32_e32 v25, v36, v25
	v_add_f32_e32 v25, v26, v25
	v_add_f32_e32 v25, v25, v27
	v_add_f32_e32 v25, v30, v25
	v_cndmask_b32_e32 v25, v25, v42, vcc
	v_add_f32_e32 v25, v9, v25
.LBB469_184:
	s_or_b64 exec, exec, s[0:1]
	v_bfe_u32 v9, v25, 16, 1
	s_movk_i32 s0, 0x7fff
	v_add3_u32 v9, v25, v9, s0
	s_mov_b32 s0, 0x5040100
	v_lshrrev_b32_e32 v9, 16, v9
	v_mov_b32_e32 v26, 0x7fc0
	v_cmp_o_f32_e32 vcc, v25, v25
	v_add_u32_e32 v25, v14, v53
	v_perm_b32 v5, v5, v16, s0
	v_perm_b32 v4, v4, v15, s0
	;; [unrolled: 1-line block ×4, first 2 shown]
	v_cndmask_b32_e32 v9, v26, v9, vcc
	s_waitcnt lgkmcnt(0)
	s_barrier
	ds_write_b128 v25, v[2:5]
	v_perm_b32 v3, v13, v20, s0
	v_perm_b32 v2, v12, v19, s0
	;; [unrolled: 1-line block ×4, first 2 shown]
	ds_write_b128 v25, v[0:3] offset:16
	v_perm_b32 v2, v8, v23, s0
	v_perm_b32 v1, v7, v22, s0
	;; [unrolled: 1-line block ×4, first 2 shown]
	ds_write_b128 v25, v[0:3] offset:32
	s_waitcnt lgkmcnt(0)
	s_barrier
	ds_read_u16 v26, v14 offset:512
	ds_read_u16 v25, v14 offset:1024
	;; [unrolled: 1-line block ×23, first 2 shown]
	v_readlane_b32 s0, v77, 6
	v_mov_b32_e32 v15, 0
	v_readlane_b32 s1, v77, 7
	s_nop 1
	v_lshl_add_u64 v[0:1], s[0:1], 0, v[14:15]
	s_mov_b64 s[0:1], exec
	v_readlane_b32 s2, v77, 0
	v_readlane_b32 s3, v77, 1
	s_and_b64 s[2:3], s[0:1], s[2:3]
	s_mov_b64 exec, s[2:3]
	s_cbranch_execz .LBB469_186
; %bb.185:
	ds_read_u16 v14, v14
	s_waitcnt lgkmcnt(0)
	global_store_short v[0:1], v14, off
.LBB469_186:
	s_or_b64 exec, exec, s[0:1]
	s_mov_b64 s[0:1], exec
	v_readlane_b32 s2, v77, 2
	v_readlane_b32 s3, v77, 3
	s_and_b64 s[2:3], s[0:1], s[2:3]
	s_mov_b64 exec, s[2:3]
	s_cbranch_execz .LBB469_188
; %bb.187:
	s_waitcnt lgkmcnt(14)
	global_store_short v[0:1], v26, off offset:512
.LBB469_188:
	s_or_b64 exec, exec, s[0:1]
	s_mov_b64 s[0:1], exec
	v_readlane_b32 s2, v77, 4
	v_readlane_b32 s3, v77, 5
	s_and_b64 s[2:3], s[0:1], s[2:3]
	s_mov_b64 exec, s[2:3]
	s_cbranch_execnz .LBB469_211
; %bb.189:
	s_or_b64 exec, exec, s[0:1]
	s_and_saveexec_b64 s[0:1], s[4:5]
	s_cbranch_execnz .LBB469_212
.LBB469_190:
	s_or_b64 exec, exec, s[0:1]
	s_and_saveexec_b64 s[0:1], s[6:7]
	s_cbranch_execnz .LBB469_213
.LBB469_191:
	s_or_b64 exec, exec, s[0:1]
	s_and_saveexec_b64 s[0:1], s[8:9]
	s_cbranch_execnz .LBB469_214
.LBB469_192:
	s_or_b64 exec, exec, s[0:1]
	s_and_saveexec_b64 s[0:1], s[10:11]
	s_cbranch_execnz .LBB469_215
.LBB469_193:
	s_or_b64 exec, exec, s[0:1]
	s_and_saveexec_b64 s[0:1], s[12:13]
	s_cbranch_execnz .LBB469_216
.LBB469_194:
	s_or_b64 exec, exec, s[0:1]
	s_and_saveexec_b64 s[0:1], s[14:15]
	s_cbranch_execnz .LBB469_217
.LBB469_195:
	s_or_b64 exec, exec, s[0:1]
	s_and_saveexec_b64 s[0:1], s[16:17]
	s_cbranch_execnz .LBB469_218
.LBB469_196:
	s_or_b64 exec, exec, s[0:1]
	s_and_saveexec_b64 s[0:1], s[18:19]
	s_cbranch_execnz .LBB469_219
.LBB469_197:
	s_or_b64 exec, exec, s[0:1]
	s_and_saveexec_b64 s[0:1], s[20:21]
	s_cbranch_execnz .LBB469_220
.LBB469_198:
	s_or_b64 exec, exec, s[0:1]
	s_and_saveexec_b64 s[0:1], s[22:23]
	s_cbranch_execnz .LBB469_221
.LBB469_199:
	s_or_b64 exec, exec, s[0:1]
	s_and_saveexec_b64 s[0:1], s[24:25]
	s_cbranch_execnz .LBB469_222
.LBB469_200:
	s_or_b64 exec, exec, s[0:1]
	s_and_saveexec_b64 s[0:1], s[26:27]
	s_cbranch_execnz .LBB469_223
.LBB469_201:
	s_or_b64 exec, exec, s[0:1]
	s_and_saveexec_b64 s[0:1], s[28:29]
	s_cbranch_execnz .LBB469_224
.LBB469_202:
	s_or_b64 exec, exec, s[0:1]
	s_and_saveexec_b64 s[0:1], s[30:31]
	s_cbranch_execnz .LBB469_225
.LBB469_203:
	s_or_b64 exec, exec, s[0:1]
	s_and_saveexec_b64 s[0:1], s[34:35]
	s_cbranch_execnz .LBB469_226
.LBB469_204:
	s_or_b64 exec, exec, s[0:1]
	s_and_saveexec_b64 s[0:1], s[36:37]
	s_cbranch_execnz .LBB469_227
.LBB469_205:
	s_or_b64 exec, exec, s[0:1]
	s_and_saveexec_b64 s[0:1], s[38:39]
	s_cbranch_execnz .LBB469_228
.LBB469_206:
	s_or_b64 exec, exec, s[0:1]
	s_and_saveexec_b64 s[0:1], s[40:41]
	s_cbranch_execnz .LBB469_229
.LBB469_207:
	s_or_b64 exec, exec, s[0:1]
	s_and_saveexec_b64 s[0:1], s[42:43]
	s_cbranch_execnz .LBB469_230
.LBB469_208:
	s_or_b64 exec, exec, s[0:1]
	s_and_saveexec_b64 s[0:1], s[44:45]
	s_cbranch_execnz .LBB469_231
.LBB469_209:
	s_or_b64 exec, exec, s[0:1]
	s_and_saveexec_b64 s[0:1], s[46:47]
	s_cbranch_execnz .LBB469_232
.LBB469_210:
	s_endpgm
.LBB469_211:
	s_waitcnt lgkmcnt(14)
	global_store_short v[0:1], v25, off offset:1024
	s_or_b64 exec, exec, s[0:1]
	s_and_saveexec_b64 s[0:1], s[4:5]
	s_cbranch_execz .LBB469_190
.LBB469_212:
	s_waitcnt lgkmcnt(14)
	global_store_short v[0:1], v24, off offset:1536
	s_or_b64 exec, exec, s[0:1]
	s_and_saveexec_b64 s[0:1], s[6:7]
	s_cbranch_execz .LBB469_191
.LBB469_213:
	s_waitcnt lgkmcnt(14)
	global_store_short v[0:1], v23, off offset:2048
	s_or_b64 exec, exec, s[0:1]
	s_and_saveexec_b64 s[0:1], s[8:9]
	s_cbranch_execz .LBB469_192
.LBB469_214:
	s_waitcnt lgkmcnt(14)
	global_store_short v[0:1], v22, off offset:2560
	s_or_b64 exec, exec, s[0:1]
	s_and_saveexec_b64 s[0:1], s[10:11]
	s_cbranch_execz .LBB469_193
.LBB469_215:
	s_waitcnt lgkmcnt(14)
	global_store_short v[0:1], v21, off offset:3072
	s_or_b64 exec, exec, s[0:1]
	s_and_saveexec_b64 s[0:1], s[12:13]
	s_cbranch_execz .LBB469_194
.LBB469_216:
	s_waitcnt lgkmcnt(14)
	global_store_short v[0:1], v20, off offset:3584
	s_or_b64 exec, exec, s[0:1]
	s_and_saveexec_b64 s[0:1], s[14:15]
	s_cbranch_execz .LBB469_195
.LBB469_217:
	v_add_co_u32_e32 v14, vcc, 0x1000, v0
	s_nop 1
	v_addc_co_u32_e32 v15, vcc, 0, v1, vcc
	s_waitcnt lgkmcnt(14)
	global_store_short v[14:15], v19, off
	s_or_b64 exec, exec, s[0:1]
	s_and_saveexec_b64 s[0:1], s[16:17]
	s_cbranch_execz .LBB469_196
.LBB469_218:
	v_add_co_u32_e32 v14, vcc, 0x1000, v0
	s_nop 1
	v_addc_co_u32_e32 v15, vcc, 0, v1, vcc
	s_waitcnt lgkmcnt(14)
	global_store_short v[14:15], v18, off offset:512
	s_or_b64 exec, exec, s[0:1]
	s_and_saveexec_b64 s[0:1], s[18:19]
	s_cbranch_execz .LBB469_197
.LBB469_219:
	v_add_co_u32_e32 v14, vcc, 0x1000, v0
	s_nop 1
	v_addc_co_u32_e32 v15, vcc, 0, v1, vcc
	s_waitcnt lgkmcnt(13)
	global_store_short v[14:15], v17, off offset:1024
	s_or_b64 exec, exec, s[0:1]
	s_and_saveexec_b64 s[0:1], s[20:21]
	s_cbranch_execz .LBB469_198
.LBB469_220:
	v_add_co_u32_e32 v14, vcc, 0x1000, v0
	s_nop 1
	v_addc_co_u32_e32 v15, vcc, 0, v1, vcc
	s_waitcnt lgkmcnt(12)
	global_store_short v[14:15], v16, off offset:1536
	s_or_b64 exec, exec, s[0:1]
	s_and_saveexec_b64 s[0:1], s[22:23]
	s_cbranch_execz .LBB469_199
.LBB469_221:
	v_add_co_u32_e32 v14, vcc, 0x1000, v0
	s_nop 1
	v_addc_co_u32_e32 v15, vcc, 0, v1, vcc
	s_waitcnt lgkmcnt(11)
	global_store_short v[14:15], v13, off offset:2048
	s_or_b64 exec, exec, s[0:1]
	s_and_saveexec_b64 s[0:1], s[24:25]
	s_cbranch_execz .LBB469_200
.LBB469_222:
	v_add_co_u32_e32 v14, vcc, 0x1000, v0
	s_nop 1
	v_addc_co_u32_e32 v15, vcc, 0, v1, vcc
	s_waitcnt lgkmcnt(10)
	global_store_short v[14:15], v12, off offset:2560
	s_or_b64 exec, exec, s[0:1]
	s_and_saveexec_b64 s[0:1], s[26:27]
	s_cbranch_execz .LBB469_201
.LBB469_223:
	s_waitcnt lgkmcnt(10)
	v_add_co_u32_e32 v12, vcc, 0x1000, v0
	s_nop 1
	v_addc_co_u32_e32 v13, vcc, 0, v1, vcc
	s_waitcnt lgkmcnt(9)
	global_store_short v[12:13], v11, off offset:3072
	s_or_b64 exec, exec, s[0:1]
	s_and_saveexec_b64 s[0:1], s[28:29]
	s_cbranch_execz .LBB469_202
.LBB469_224:
	s_waitcnt lgkmcnt(10)
	v_add_co_u32_e32 v12, vcc, 0x1000, v0
	s_nop 1
	v_addc_co_u32_e32 v13, vcc, 0, v1, vcc
	s_waitcnt lgkmcnt(8)
	global_store_short v[12:13], v10, off offset:3584
	s_or_b64 exec, exec, s[0:1]
	s_and_saveexec_b64 s[0:1], s[30:31]
	s_cbranch_execz .LBB469_203
.LBB469_225:
	s_waitcnt lgkmcnt(8)
	v_add_co_u32_e32 v10, vcc, 0x2000, v0
	s_nop 1
	v_addc_co_u32_e32 v11, vcc, 0, v1, vcc
	s_waitcnt lgkmcnt(7)
	global_store_short v[10:11], v9, off
	s_or_b64 exec, exec, s[0:1]
	s_and_saveexec_b64 s[0:1], s[34:35]
	s_cbranch_execz .LBB469_204
.LBB469_226:
	s_waitcnt lgkmcnt(8)
	v_add_co_u32_e32 v10, vcc, 0x2000, v0
	s_nop 1
	v_addc_co_u32_e32 v11, vcc, 0, v1, vcc
	s_waitcnt lgkmcnt(6)
	global_store_short v[10:11], v8, off offset:512
	s_or_b64 exec, exec, s[0:1]
	s_and_saveexec_b64 s[0:1], s[36:37]
	s_cbranch_execz .LBB469_205
.LBB469_227:
	s_waitcnt lgkmcnt(6)
	v_add_co_u32_e32 v8, vcc, 0x2000, v0
	s_nop 1
	v_addc_co_u32_e32 v9, vcc, 0, v1, vcc
	s_waitcnt lgkmcnt(5)
	global_store_short v[8:9], v7, off offset:1024
	s_or_b64 exec, exec, s[0:1]
	s_and_saveexec_b64 s[0:1], s[38:39]
	s_cbranch_execz .LBB469_206
.LBB469_228:
	s_waitcnt lgkmcnt(6)
	v_add_co_u32_e32 v8, vcc, 0x2000, v0
	s_nop 1
	v_addc_co_u32_e32 v9, vcc, 0, v1, vcc
	s_waitcnt lgkmcnt(4)
	global_store_short v[8:9], v6, off offset:1536
	s_or_b64 exec, exec, s[0:1]
	s_and_saveexec_b64 s[0:1], s[40:41]
	s_cbranch_execz .LBB469_207
.LBB469_229:
	s_waitcnt lgkmcnt(4)
	v_add_co_u32_e32 v6, vcc, 0x2000, v0
	s_nop 1
	v_addc_co_u32_e32 v7, vcc, 0, v1, vcc
	s_waitcnt lgkmcnt(3)
	global_store_short v[6:7], v5, off offset:2048
	s_or_b64 exec, exec, s[0:1]
	s_and_saveexec_b64 s[0:1], s[42:43]
	s_cbranch_execz .LBB469_208
.LBB469_230:
	s_waitcnt lgkmcnt(4)
	v_add_co_u32_e32 v6, vcc, 0x2000, v0
	s_nop 1
	v_addc_co_u32_e32 v7, vcc, 0, v1, vcc
	s_waitcnt lgkmcnt(2)
	global_store_short v[6:7], v4, off offset:2560
	s_or_b64 exec, exec, s[0:1]
	s_and_saveexec_b64 s[0:1], s[44:45]
	s_cbranch_execz .LBB469_209
.LBB469_231:
	s_waitcnt lgkmcnt(2)
	v_add_co_u32_e32 v4, vcc, 0x2000, v0
	s_nop 1
	v_addc_co_u32_e32 v5, vcc, 0, v1, vcc
	s_waitcnt lgkmcnt(1)
	global_store_short v[4:5], v3, off offset:3072
	s_or_b64 exec, exec, s[0:1]
	s_and_saveexec_b64 s[0:1], s[46:47]
	s_cbranch_execz .LBB469_210
.LBB469_232:
	v_add_co_u32_e32 v0, vcc, 0x2000, v0
	s_nop 1
	v_addc_co_u32_e32 v1, vcc, 0, v1, vcc
	s_waitcnt lgkmcnt(0)
	global_store_short v[0:1], v2, off offset:3584
	s_endpgm
	.section	.rodata,"a",@progbits
	.p2align	6, 0x0
	.amdhsa_kernel _ZN7rocprim17ROCPRIM_400000_NS6detail17trampoline_kernelINS0_14default_configENS1_20scan_config_selectorIN3c108BFloat16EEEZZNS1_9scan_implILNS1_25lookback_scan_determinismE0ELb0ELb0ES3_PKS6_PS6_S6_ZZZN2at6native31launch_logcumsumexp_cuda_kernelERKNSD_10TensorBaseESH_lENKUlvE_clEvENKUlvE4_clEvEUlS6_S6_E_S6_EEDaPvRmT3_T4_T5_mT6_P12ihipStream_tbENKUlT_T0_E_clISt17integral_constantIbLb0EESY_EEDaST_SU_EUlST_E0_NS1_11comp_targetILNS1_3genE5ELNS1_11target_archE942ELNS1_3gpuE9ELNS1_3repE0EEENS1_30default_config_static_selectorELNS0_4arch9wavefront6targetE1EEEvT1_
		.amdhsa_group_segment_fixed_size 12288
		.amdhsa_private_segment_fixed_size 0
		.amdhsa_kernarg_size 32
		.amdhsa_user_sgpr_count 2
		.amdhsa_user_sgpr_dispatch_ptr 0
		.amdhsa_user_sgpr_queue_ptr 0
		.amdhsa_user_sgpr_kernarg_segment_ptr 1
		.amdhsa_user_sgpr_dispatch_id 0
		.amdhsa_user_sgpr_kernarg_preload_length 0
		.amdhsa_user_sgpr_kernarg_preload_offset 0
		.amdhsa_user_sgpr_private_segment_size 0
		.amdhsa_uses_dynamic_stack 0
		.amdhsa_enable_private_segment 0
		.amdhsa_system_sgpr_workgroup_id_x 1
		.amdhsa_system_sgpr_workgroup_id_y 0
		.amdhsa_system_sgpr_workgroup_id_z 0
		.amdhsa_system_sgpr_workgroup_info 0
		.amdhsa_system_vgpr_workitem_id 0
		.amdhsa_next_free_vgpr 78
		.amdhsa_next_free_sgpr 100
		.amdhsa_accum_offset 80
		.amdhsa_reserve_vcc 1
		.amdhsa_float_round_mode_32 0
		.amdhsa_float_round_mode_16_64 0
		.amdhsa_float_denorm_mode_32 3
		.amdhsa_float_denorm_mode_16_64 3
		.amdhsa_dx10_clamp 1
		.amdhsa_ieee_mode 1
		.amdhsa_fp16_overflow 0
		.amdhsa_tg_split 0
		.amdhsa_exception_fp_ieee_invalid_op 0
		.amdhsa_exception_fp_denorm_src 0
		.amdhsa_exception_fp_ieee_div_zero 0
		.amdhsa_exception_fp_ieee_overflow 0
		.amdhsa_exception_fp_ieee_underflow 0
		.amdhsa_exception_fp_ieee_inexact 0
		.amdhsa_exception_int_div_zero 0
	.end_amdhsa_kernel
	.section	.text._ZN7rocprim17ROCPRIM_400000_NS6detail17trampoline_kernelINS0_14default_configENS1_20scan_config_selectorIN3c108BFloat16EEEZZNS1_9scan_implILNS1_25lookback_scan_determinismE0ELb0ELb0ES3_PKS6_PS6_S6_ZZZN2at6native31launch_logcumsumexp_cuda_kernelERKNSD_10TensorBaseESH_lENKUlvE_clEvENKUlvE4_clEvEUlS6_S6_E_S6_EEDaPvRmT3_T4_T5_mT6_P12ihipStream_tbENKUlT_T0_E_clISt17integral_constantIbLb0EESY_EEDaST_SU_EUlST_E0_NS1_11comp_targetILNS1_3genE5ELNS1_11target_archE942ELNS1_3gpuE9ELNS1_3repE0EEENS1_30default_config_static_selectorELNS0_4arch9wavefront6targetE1EEEvT1_,"axG",@progbits,_ZN7rocprim17ROCPRIM_400000_NS6detail17trampoline_kernelINS0_14default_configENS1_20scan_config_selectorIN3c108BFloat16EEEZZNS1_9scan_implILNS1_25lookback_scan_determinismE0ELb0ELb0ES3_PKS6_PS6_S6_ZZZN2at6native31launch_logcumsumexp_cuda_kernelERKNSD_10TensorBaseESH_lENKUlvE_clEvENKUlvE4_clEvEUlS6_S6_E_S6_EEDaPvRmT3_T4_T5_mT6_P12ihipStream_tbENKUlT_T0_E_clISt17integral_constantIbLb0EESY_EEDaST_SU_EUlST_E0_NS1_11comp_targetILNS1_3genE5ELNS1_11target_archE942ELNS1_3gpuE9ELNS1_3repE0EEENS1_30default_config_static_selectorELNS0_4arch9wavefront6targetE1EEEvT1_,comdat
.Lfunc_end469:
	.size	_ZN7rocprim17ROCPRIM_400000_NS6detail17trampoline_kernelINS0_14default_configENS1_20scan_config_selectorIN3c108BFloat16EEEZZNS1_9scan_implILNS1_25lookback_scan_determinismE0ELb0ELb0ES3_PKS6_PS6_S6_ZZZN2at6native31launch_logcumsumexp_cuda_kernelERKNSD_10TensorBaseESH_lENKUlvE_clEvENKUlvE4_clEvEUlS6_S6_E_S6_EEDaPvRmT3_T4_T5_mT6_P12ihipStream_tbENKUlT_T0_E_clISt17integral_constantIbLb0EESY_EEDaST_SU_EUlST_E0_NS1_11comp_targetILNS1_3genE5ELNS1_11target_archE942ELNS1_3gpuE9ELNS1_3repE0EEENS1_30default_config_static_selectorELNS0_4arch9wavefront6targetE1EEEvT1_, .Lfunc_end469-_ZN7rocprim17ROCPRIM_400000_NS6detail17trampoline_kernelINS0_14default_configENS1_20scan_config_selectorIN3c108BFloat16EEEZZNS1_9scan_implILNS1_25lookback_scan_determinismE0ELb0ELb0ES3_PKS6_PS6_S6_ZZZN2at6native31launch_logcumsumexp_cuda_kernelERKNSD_10TensorBaseESH_lENKUlvE_clEvENKUlvE4_clEvEUlS6_S6_E_S6_EEDaPvRmT3_T4_T5_mT6_P12ihipStream_tbENKUlT_T0_E_clISt17integral_constantIbLb0EESY_EEDaST_SU_EUlST_E0_NS1_11comp_targetILNS1_3genE5ELNS1_11target_archE942ELNS1_3gpuE9ELNS1_3repE0EEENS1_30default_config_static_selectorELNS0_4arch9wavefront6targetE1EEEvT1_
                                        ; -- End function
	.section	.AMDGPU.csdata,"",@progbits
; Kernel info:
; codeLenInByte = 52992
; NumSgprs: 106
; NumVgprs: 78
; NumAgprs: 0
; TotalNumVgprs: 78
; ScratchSize: 0
; MemoryBound: 0
; FloatMode: 240
; IeeeMode: 1
; LDSByteSize: 12288 bytes/workgroup (compile time only)
; SGPRBlocks: 13
; VGPRBlocks: 9
; NumSGPRsForWavesPerEU: 106
; NumVGPRsForWavesPerEU: 78
; AccumOffset: 80
; Occupancy: 5
; WaveLimiterHint : 0
; COMPUTE_PGM_RSRC2:SCRATCH_EN: 0
; COMPUTE_PGM_RSRC2:USER_SGPR: 2
; COMPUTE_PGM_RSRC2:TRAP_HANDLER: 0
; COMPUTE_PGM_RSRC2:TGID_X_EN: 1
; COMPUTE_PGM_RSRC2:TGID_Y_EN: 0
; COMPUTE_PGM_RSRC2:TGID_Z_EN: 0
; COMPUTE_PGM_RSRC2:TIDIG_COMP_CNT: 0
; COMPUTE_PGM_RSRC3_GFX90A:ACCUM_OFFSET: 19
; COMPUTE_PGM_RSRC3_GFX90A:TG_SPLIT: 0
	.section	.text._ZN7rocprim17ROCPRIM_400000_NS6detail17trampoline_kernelINS0_14default_configENS1_20scan_config_selectorIN3c108BFloat16EEEZZNS1_9scan_implILNS1_25lookback_scan_determinismE0ELb0ELb0ES3_PKS6_PS6_S6_ZZZN2at6native31launch_logcumsumexp_cuda_kernelERKNSD_10TensorBaseESH_lENKUlvE_clEvENKUlvE4_clEvEUlS6_S6_E_S6_EEDaPvRmT3_T4_T5_mT6_P12ihipStream_tbENKUlT_T0_E_clISt17integral_constantIbLb0EESY_EEDaST_SU_EUlST_E0_NS1_11comp_targetILNS1_3genE4ELNS1_11target_archE910ELNS1_3gpuE8ELNS1_3repE0EEENS1_30default_config_static_selectorELNS0_4arch9wavefront6targetE1EEEvT1_,"axG",@progbits,_ZN7rocprim17ROCPRIM_400000_NS6detail17trampoline_kernelINS0_14default_configENS1_20scan_config_selectorIN3c108BFloat16EEEZZNS1_9scan_implILNS1_25lookback_scan_determinismE0ELb0ELb0ES3_PKS6_PS6_S6_ZZZN2at6native31launch_logcumsumexp_cuda_kernelERKNSD_10TensorBaseESH_lENKUlvE_clEvENKUlvE4_clEvEUlS6_S6_E_S6_EEDaPvRmT3_T4_T5_mT6_P12ihipStream_tbENKUlT_T0_E_clISt17integral_constantIbLb0EESY_EEDaST_SU_EUlST_E0_NS1_11comp_targetILNS1_3genE4ELNS1_11target_archE910ELNS1_3gpuE8ELNS1_3repE0EEENS1_30default_config_static_selectorELNS0_4arch9wavefront6targetE1EEEvT1_,comdat
	.globl	_ZN7rocprim17ROCPRIM_400000_NS6detail17trampoline_kernelINS0_14default_configENS1_20scan_config_selectorIN3c108BFloat16EEEZZNS1_9scan_implILNS1_25lookback_scan_determinismE0ELb0ELb0ES3_PKS6_PS6_S6_ZZZN2at6native31launch_logcumsumexp_cuda_kernelERKNSD_10TensorBaseESH_lENKUlvE_clEvENKUlvE4_clEvEUlS6_S6_E_S6_EEDaPvRmT3_T4_T5_mT6_P12ihipStream_tbENKUlT_T0_E_clISt17integral_constantIbLb0EESY_EEDaST_SU_EUlST_E0_NS1_11comp_targetILNS1_3genE4ELNS1_11target_archE910ELNS1_3gpuE8ELNS1_3repE0EEENS1_30default_config_static_selectorELNS0_4arch9wavefront6targetE1EEEvT1_ ; -- Begin function _ZN7rocprim17ROCPRIM_400000_NS6detail17trampoline_kernelINS0_14default_configENS1_20scan_config_selectorIN3c108BFloat16EEEZZNS1_9scan_implILNS1_25lookback_scan_determinismE0ELb0ELb0ES3_PKS6_PS6_S6_ZZZN2at6native31launch_logcumsumexp_cuda_kernelERKNSD_10TensorBaseESH_lENKUlvE_clEvENKUlvE4_clEvEUlS6_S6_E_S6_EEDaPvRmT3_T4_T5_mT6_P12ihipStream_tbENKUlT_T0_E_clISt17integral_constantIbLb0EESY_EEDaST_SU_EUlST_E0_NS1_11comp_targetILNS1_3genE4ELNS1_11target_archE910ELNS1_3gpuE8ELNS1_3repE0EEENS1_30default_config_static_selectorELNS0_4arch9wavefront6targetE1EEEvT1_
	.p2align	8
	.type	_ZN7rocprim17ROCPRIM_400000_NS6detail17trampoline_kernelINS0_14default_configENS1_20scan_config_selectorIN3c108BFloat16EEEZZNS1_9scan_implILNS1_25lookback_scan_determinismE0ELb0ELb0ES3_PKS6_PS6_S6_ZZZN2at6native31launch_logcumsumexp_cuda_kernelERKNSD_10TensorBaseESH_lENKUlvE_clEvENKUlvE4_clEvEUlS6_S6_E_S6_EEDaPvRmT3_T4_T5_mT6_P12ihipStream_tbENKUlT_T0_E_clISt17integral_constantIbLb0EESY_EEDaST_SU_EUlST_E0_NS1_11comp_targetILNS1_3genE4ELNS1_11target_archE910ELNS1_3gpuE8ELNS1_3repE0EEENS1_30default_config_static_selectorELNS0_4arch9wavefront6targetE1EEEvT1_,@function
_ZN7rocprim17ROCPRIM_400000_NS6detail17trampoline_kernelINS0_14default_configENS1_20scan_config_selectorIN3c108BFloat16EEEZZNS1_9scan_implILNS1_25lookback_scan_determinismE0ELb0ELb0ES3_PKS6_PS6_S6_ZZZN2at6native31launch_logcumsumexp_cuda_kernelERKNSD_10TensorBaseESH_lENKUlvE_clEvENKUlvE4_clEvEUlS6_S6_E_S6_EEDaPvRmT3_T4_T5_mT6_P12ihipStream_tbENKUlT_T0_E_clISt17integral_constantIbLb0EESY_EEDaST_SU_EUlST_E0_NS1_11comp_targetILNS1_3genE4ELNS1_11target_archE910ELNS1_3gpuE8ELNS1_3repE0EEENS1_30default_config_static_selectorELNS0_4arch9wavefront6targetE1EEEvT1_: ; @_ZN7rocprim17ROCPRIM_400000_NS6detail17trampoline_kernelINS0_14default_configENS1_20scan_config_selectorIN3c108BFloat16EEEZZNS1_9scan_implILNS1_25lookback_scan_determinismE0ELb0ELb0ES3_PKS6_PS6_S6_ZZZN2at6native31launch_logcumsumexp_cuda_kernelERKNSD_10TensorBaseESH_lENKUlvE_clEvENKUlvE4_clEvEUlS6_S6_E_S6_EEDaPvRmT3_T4_T5_mT6_P12ihipStream_tbENKUlT_T0_E_clISt17integral_constantIbLb0EESY_EEDaST_SU_EUlST_E0_NS1_11comp_targetILNS1_3genE4ELNS1_11target_archE910ELNS1_3gpuE8ELNS1_3repE0EEENS1_30default_config_static_selectorELNS0_4arch9wavefront6targetE1EEEvT1_
; %bb.0:
	.section	.rodata,"a",@progbits
	.p2align	6, 0x0
	.amdhsa_kernel _ZN7rocprim17ROCPRIM_400000_NS6detail17trampoline_kernelINS0_14default_configENS1_20scan_config_selectorIN3c108BFloat16EEEZZNS1_9scan_implILNS1_25lookback_scan_determinismE0ELb0ELb0ES3_PKS6_PS6_S6_ZZZN2at6native31launch_logcumsumexp_cuda_kernelERKNSD_10TensorBaseESH_lENKUlvE_clEvENKUlvE4_clEvEUlS6_S6_E_S6_EEDaPvRmT3_T4_T5_mT6_P12ihipStream_tbENKUlT_T0_E_clISt17integral_constantIbLb0EESY_EEDaST_SU_EUlST_E0_NS1_11comp_targetILNS1_3genE4ELNS1_11target_archE910ELNS1_3gpuE8ELNS1_3repE0EEENS1_30default_config_static_selectorELNS0_4arch9wavefront6targetE1EEEvT1_
		.amdhsa_group_segment_fixed_size 0
		.amdhsa_private_segment_fixed_size 0
		.amdhsa_kernarg_size 32
		.amdhsa_user_sgpr_count 2
		.amdhsa_user_sgpr_dispatch_ptr 0
		.amdhsa_user_sgpr_queue_ptr 0
		.amdhsa_user_sgpr_kernarg_segment_ptr 1
		.amdhsa_user_sgpr_dispatch_id 0
		.amdhsa_user_sgpr_kernarg_preload_length 0
		.amdhsa_user_sgpr_kernarg_preload_offset 0
		.amdhsa_user_sgpr_private_segment_size 0
		.amdhsa_uses_dynamic_stack 0
		.amdhsa_enable_private_segment 0
		.amdhsa_system_sgpr_workgroup_id_x 1
		.amdhsa_system_sgpr_workgroup_id_y 0
		.amdhsa_system_sgpr_workgroup_id_z 0
		.amdhsa_system_sgpr_workgroup_info 0
		.amdhsa_system_vgpr_workitem_id 0
		.amdhsa_next_free_vgpr 1
		.amdhsa_next_free_sgpr 0
		.amdhsa_accum_offset 4
		.amdhsa_reserve_vcc 0
		.amdhsa_float_round_mode_32 0
		.amdhsa_float_round_mode_16_64 0
		.amdhsa_float_denorm_mode_32 3
		.amdhsa_float_denorm_mode_16_64 3
		.amdhsa_dx10_clamp 1
		.amdhsa_ieee_mode 1
		.amdhsa_fp16_overflow 0
		.amdhsa_tg_split 0
		.amdhsa_exception_fp_ieee_invalid_op 0
		.amdhsa_exception_fp_denorm_src 0
		.amdhsa_exception_fp_ieee_div_zero 0
		.amdhsa_exception_fp_ieee_overflow 0
		.amdhsa_exception_fp_ieee_underflow 0
		.amdhsa_exception_fp_ieee_inexact 0
		.amdhsa_exception_int_div_zero 0
	.end_amdhsa_kernel
	.section	.text._ZN7rocprim17ROCPRIM_400000_NS6detail17trampoline_kernelINS0_14default_configENS1_20scan_config_selectorIN3c108BFloat16EEEZZNS1_9scan_implILNS1_25lookback_scan_determinismE0ELb0ELb0ES3_PKS6_PS6_S6_ZZZN2at6native31launch_logcumsumexp_cuda_kernelERKNSD_10TensorBaseESH_lENKUlvE_clEvENKUlvE4_clEvEUlS6_S6_E_S6_EEDaPvRmT3_T4_T5_mT6_P12ihipStream_tbENKUlT_T0_E_clISt17integral_constantIbLb0EESY_EEDaST_SU_EUlST_E0_NS1_11comp_targetILNS1_3genE4ELNS1_11target_archE910ELNS1_3gpuE8ELNS1_3repE0EEENS1_30default_config_static_selectorELNS0_4arch9wavefront6targetE1EEEvT1_,"axG",@progbits,_ZN7rocprim17ROCPRIM_400000_NS6detail17trampoline_kernelINS0_14default_configENS1_20scan_config_selectorIN3c108BFloat16EEEZZNS1_9scan_implILNS1_25lookback_scan_determinismE0ELb0ELb0ES3_PKS6_PS6_S6_ZZZN2at6native31launch_logcumsumexp_cuda_kernelERKNSD_10TensorBaseESH_lENKUlvE_clEvENKUlvE4_clEvEUlS6_S6_E_S6_EEDaPvRmT3_T4_T5_mT6_P12ihipStream_tbENKUlT_T0_E_clISt17integral_constantIbLb0EESY_EEDaST_SU_EUlST_E0_NS1_11comp_targetILNS1_3genE4ELNS1_11target_archE910ELNS1_3gpuE8ELNS1_3repE0EEENS1_30default_config_static_selectorELNS0_4arch9wavefront6targetE1EEEvT1_,comdat
.Lfunc_end470:
	.size	_ZN7rocprim17ROCPRIM_400000_NS6detail17trampoline_kernelINS0_14default_configENS1_20scan_config_selectorIN3c108BFloat16EEEZZNS1_9scan_implILNS1_25lookback_scan_determinismE0ELb0ELb0ES3_PKS6_PS6_S6_ZZZN2at6native31launch_logcumsumexp_cuda_kernelERKNSD_10TensorBaseESH_lENKUlvE_clEvENKUlvE4_clEvEUlS6_S6_E_S6_EEDaPvRmT3_T4_T5_mT6_P12ihipStream_tbENKUlT_T0_E_clISt17integral_constantIbLb0EESY_EEDaST_SU_EUlST_E0_NS1_11comp_targetILNS1_3genE4ELNS1_11target_archE910ELNS1_3gpuE8ELNS1_3repE0EEENS1_30default_config_static_selectorELNS0_4arch9wavefront6targetE1EEEvT1_, .Lfunc_end470-_ZN7rocprim17ROCPRIM_400000_NS6detail17trampoline_kernelINS0_14default_configENS1_20scan_config_selectorIN3c108BFloat16EEEZZNS1_9scan_implILNS1_25lookback_scan_determinismE0ELb0ELb0ES3_PKS6_PS6_S6_ZZZN2at6native31launch_logcumsumexp_cuda_kernelERKNSD_10TensorBaseESH_lENKUlvE_clEvENKUlvE4_clEvEUlS6_S6_E_S6_EEDaPvRmT3_T4_T5_mT6_P12ihipStream_tbENKUlT_T0_E_clISt17integral_constantIbLb0EESY_EEDaST_SU_EUlST_E0_NS1_11comp_targetILNS1_3genE4ELNS1_11target_archE910ELNS1_3gpuE8ELNS1_3repE0EEENS1_30default_config_static_selectorELNS0_4arch9wavefront6targetE1EEEvT1_
                                        ; -- End function
	.section	.AMDGPU.csdata,"",@progbits
; Kernel info:
; codeLenInByte = 0
; NumSgprs: 6
; NumVgprs: 0
; NumAgprs: 0
; TotalNumVgprs: 0
; ScratchSize: 0
; MemoryBound: 0
; FloatMode: 240
; IeeeMode: 1
; LDSByteSize: 0 bytes/workgroup (compile time only)
; SGPRBlocks: 0
; VGPRBlocks: 0
; NumSGPRsForWavesPerEU: 6
; NumVGPRsForWavesPerEU: 1
; AccumOffset: 4
; Occupancy: 8
; WaveLimiterHint : 0
; COMPUTE_PGM_RSRC2:SCRATCH_EN: 0
; COMPUTE_PGM_RSRC2:USER_SGPR: 2
; COMPUTE_PGM_RSRC2:TRAP_HANDLER: 0
; COMPUTE_PGM_RSRC2:TGID_X_EN: 1
; COMPUTE_PGM_RSRC2:TGID_Y_EN: 0
; COMPUTE_PGM_RSRC2:TGID_Z_EN: 0
; COMPUTE_PGM_RSRC2:TIDIG_COMP_CNT: 0
; COMPUTE_PGM_RSRC3_GFX90A:ACCUM_OFFSET: 0
; COMPUTE_PGM_RSRC3_GFX90A:TG_SPLIT: 0
	.section	.text._ZN7rocprim17ROCPRIM_400000_NS6detail17trampoline_kernelINS0_14default_configENS1_20scan_config_selectorIN3c108BFloat16EEEZZNS1_9scan_implILNS1_25lookback_scan_determinismE0ELb0ELb0ES3_PKS6_PS6_S6_ZZZN2at6native31launch_logcumsumexp_cuda_kernelERKNSD_10TensorBaseESH_lENKUlvE_clEvENKUlvE4_clEvEUlS6_S6_E_S6_EEDaPvRmT3_T4_T5_mT6_P12ihipStream_tbENKUlT_T0_E_clISt17integral_constantIbLb0EESY_EEDaST_SU_EUlST_E0_NS1_11comp_targetILNS1_3genE3ELNS1_11target_archE908ELNS1_3gpuE7ELNS1_3repE0EEENS1_30default_config_static_selectorELNS0_4arch9wavefront6targetE1EEEvT1_,"axG",@progbits,_ZN7rocprim17ROCPRIM_400000_NS6detail17trampoline_kernelINS0_14default_configENS1_20scan_config_selectorIN3c108BFloat16EEEZZNS1_9scan_implILNS1_25lookback_scan_determinismE0ELb0ELb0ES3_PKS6_PS6_S6_ZZZN2at6native31launch_logcumsumexp_cuda_kernelERKNSD_10TensorBaseESH_lENKUlvE_clEvENKUlvE4_clEvEUlS6_S6_E_S6_EEDaPvRmT3_T4_T5_mT6_P12ihipStream_tbENKUlT_T0_E_clISt17integral_constantIbLb0EESY_EEDaST_SU_EUlST_E0_NS1_11comp_targetILNS1_3genE3ELNS1_11target_archE908ELNS1_3gpuE7ELNS1_3repE0EEENS1_30default_config_static_selectorELNS0_4arch9wavefront6targetE1EEEvT1_,comdat
	.globl	_ZN7rocprim17ROCPRIM_400000_NS6detail17trampoline_kernelINS0_14default_configENS1_20scan_config_selectorIN3c108BFloat16EEEZZNS1_9scan_implILNS1_25lookback_scan_determinismE0ELb0ELb0ES3_PKS6_PS6_S6_ZZZN2at6native31launch_logcumsumexp_cuda_kernelERKNSD_10TensorBaseESH_lENKUlvE_clEvENKUlvE4_clEvEUlS6_S6_E_S6_EEDaPvRmT3_T4_T5_mT6_P12ihipStream_tbENKUlT_T0_E_clISt17integral_constantIbLb0EESY_EEDaST_SU_EUlST_E0_NS1_11comp_targetILNS1_3genE3ELNS1_11target_archE908ELNS1_3gpuE7ELNS1_3repE0EEENS1_30default_config_static_selectorELNS0_4arch9wavefront6targetE1EEEvT1_ ; -- Begin function _ZN7rocprim17ROCPRIM_400000_NS6detail17trampoline_kernelINS0_14default_configENS1_20scan_config_selectorIN3c108BFloat16EEEZZNS1_9scan_implILNS1_25lookback_scan_determinismE0ELb0ELb0ES3_PKS6_PS6_S6_ZZZN2at6native31launch_logcumsumexp_cuda_kernelERKNSD_10TensorBaseESH_lENKUlvE_clEvENKUlvE4_clEvEUlS6_S6_E_S6_EEDaPvRmT3_T4_T5_mT6_P12ihipStream_tbENKUlT_T0_E_clISt17integral_constantIbLb0EESY_EEDaST_SU_EUlST_E0_NS1_11comp_targetILNS1_3genE3ELNS1_11target_archE908ELNS1_3gpuE7ELNS1_3repE0EEENS1_30default_config_static_selectorELNS0_4arch9wavefront6targetE1EEEvT1_
	.p2align	8
	.type	_ZN7rocprim17ROCPRIM_400000_NS6detail17trampoline_kernelINS0_14default_configENS1_20scan_config_selectorIN3c108BFloat16EEEZZNS1_9scan_implILNS1_25lookback_scan_determinismE0ELb0ELb0ES3_PKS6_PS6_S6_ZZZN2at6native31launch_logcumsumexp_cuda_kernelERKNSD_10TensorBaseESH_lENKUlvE_clEvENKUlvE4_clEvEUlS6_S6_E_S6_EEDaPvRmT3_T4_T5_mT6_P12ihipStream_tbENKUlT_T0_E_clISt17integral_constantIbLb0EESY_EEDaST_SU_EUlST_E0_NS1_11comp_targetILNS1_3genE3ELNS1_11target_archE908ELNS1_3gpuE7ELNS1_3repE0EEENS1_30default_config_static_selectorELNS0_4arch9wavefront6targetE1EEEvT1_,@function
_ZN7rocprim17ROCPRIM_400000_NS6detail17trampoline_kernelINS0_14default_configENS1_20scan_config_selectorIN3c108BFloat16EEEZZNS1_9scan_implILNS1_25lookback_scan_determinismE0ELb0ELb0ES3_PKS6_PS6_S6_ZZZN2at6native31launch_logcumsumexp_cuda_kernelERKNSD_10TensorBaseESH_lENKUlvE_clEvENKUlvE4_clEvEUlS6_S6_E_S6_EEDaPvRmT3_T4_T5_mT6_P12ihipStream_tbENKUlT_T0_E_clISt17integral_constantIbLb0EESY_EEDaST_SU_EUlST_E0_NS1_11comp_targetILNS1_3genE3ELNS1_11target_archE908ELNS1_3gpuE7ELNS1_3repE0EEENS1_30default_config_static_selectorELNS0_4arch9wavefront6targetE1EEEvT1_: ; @_ZN7rocprim17ROCPRIM_400000_NS6detail17trampoline_kernelINS0_14default_configENS1_20scan_config_selectorIN3c108BFloat16EEEZZNS1_9scan_implILNS1_25lookback_scan_determinismE0ELb0ELb0ES3_PKS6_PS6_S6_ZZZN2at6native31launch_logcumsumexp_cuda_kernelERKNSD_10TensorBaseESH_lENKUlvE_clEvENKUlvE4_clEvEUlS6_S6_E_S6_EEDaPvRmT3_T4_T5_mT6_P12ihipStream_tbENKUlT_T0_E_clISt17integral_constantIbLb0EESY_EEDaST_SU_EUlST_E0_NS1_11comp_targetILNS1_3genE3ELNS1_11target_archE908ELNS1_3gpuE7ELNS1_3repE0EEENS1_30default_config_static_selectorELNS0_4arch9wavefront6targetE1EEEvT1_
; %bb.0:
	.section	.rodata,"a",@progbits
	.p2align	6, 0x0
	.amdhsa_kernel _ZN7rocprim17ROCPRIM_400000_NS6detail17trampoline_kernelINS0_14default_configENS1_20scan_config_selectorIN3c108BFloat16EEEZZNS1_9scan_implILNS1_25lookback_scan_determinismE0ELb0ELb0ES3_PKS6_PS6_S6_ZZZN2at6native31launch_logcumsumexp_cuda_kernelERKNSD_10TensorBaseESH_lENKUlvE_clEvENKUlvE4_clEvEUlS6_S6_E_S6_EEDaPvRmT3_T4_T5_mT6_P12ihipStream_tbENKUlT_T0_E_clISt17integral_constantIbLb0EESY_EEDaST_SU_EUlST_E0_NS1_11comp_targetILNS1_3genE3ELNS1_11target_archE908ELNS1_3gpuE7ELNS1_3repE0EEENS1_30default_config_static_selectorELNS0_4arch9wavefront6targetE1EEEvT1_
		.amdhsa_group_segment_fixed_size 0
		.amdhsa_private_segment_fixed_size 0
		.amdhsa_kernarg_size 32
		.amdhsa_user_sgpr_count 2
		.amdhsa_user_sgpr_dispatch_ptr 0
		.amdhsa_user_sgpr_queue_ptr 0
		.amdhsa_user_sgpr_kernarg_segment_ptr 1
		.amdhsa_user_sgpr_dispatch_id 0
		.amdhsa_user_sgpr_kernarg_preload_length 0
		.amdhsa_user_sgpr_kernarg_preload_offset 0
		.amdhsa_user_sgpr_private_segment_size 0
		.amdhsa_uses_dynamic_stack 0
		.amdhsa_enable_private_segment 0
		.amdhsa_system_sgpr_workgroup_id_x 1
		.amdhsa_system_sgpr_workgroup_id_y 0
		.amdhsa_system_sgpr_workgroup_id_z 0
		.amdhsa_system_sgpr_workgroup_info 0
		.amdhsa_system_vgpr_workitem_id 0
		.amdhsa_next_free_vgpr 1
		.amdhsa_next_free_sgpr 0
		.amdhsa_accum_offset 4
		.amdhsa_reserve_vcc 0
		.amdhsa_float_round_mode_32 0
		.amdhsa_float_round_mode_16_64 0
		.amdhsa_float_denorm_mode_32 3
		.amdhsa_float_denorm_mode_16_64 3
		.amdhsa_dx10_clamp 1
		.amdhsa_ieee_mode 1
		.amdhsa_fp16_overflow 0
		.amdhsa_tg_split 0
		.amdhsa_exception_fp_ieee_invalid_op 0
		.amdhsa_exception_fp_denorm_src 0
		.amdhsa_exception_fp_ieee_div_zero 0
		.amdhsa_exception_fp_ieee_overflow 0
		.amdhsa_exception_fp_ieee_underflow 0
		.amdhsa_exception_fp_ieee_inexact 0
		.amdhsa_exception_int_div_zero 0
	.end_amdhsa_kernel
	.section	.text._ZN7rocprim17ROCPRIM_400000_NS6detail17trampoline_kernelINS0_14default_configENS1_20scan_config_selectorIN3c108BFloat16EEEZZNS1_9scan_implILNS1_25lookback_scan_determinismE0ELb0ELb0ES3_PKS6_PS6_S6_ZZZN2at6native31launch_logcumsumexp_cuda_kernelERKNSD_10TensorBaseESH_lENKUlvE_clEvENKUlvE4_clEvEUlS6_S6_E_S6_EEDaPvRmT3_T4_T5_mT6_P12ihipStream_tbENKUlT_T0_E_clISt17integral_constantIbLb0EESY_EEDaST_SU_EUlST_E0_NS1_11comp_targetILNS1_3genE3ELNS1_11target_archE908ELNS1_3gpuE7ELNS1_3repE0EEENS1_30default_config_static_selectorELNS0_4arch9wavefront6targetE1EEEvT1_,"axG",@progbits,_ZN7rocprim17ROCPRIM_400000_NS6detail17trampoline_kernelINS0_14default_configENS1_20scan_config_selectorIN3c108BFloat16EEEZZNS1_9scan_implILNS1_25lookback_scan_determinismE0ELb0ELb0ES3_PKS6_PS6_S6_ZZZN2at6native31launch_logcumsumexp_cuda_kernelERKNSD_10TensorBaseESH_lENKUlvE_clEvENKUlvE4_clEvEUlS6_S6_E_S6_EEDaPvRmT3_T4_T5_mT6_P12ihipStream_tbENKUlT_T0_E_clISt17integral_constantIbLb0EESY_EEDaST_SU_EUlST_E0_NS1_11comp_targetILNS1_3genE3ELNS1_11target_archE908ELNS1_3gpuE7ELNS1_3repE0EEENS1_30default_config_static_selectorELNS0_4arch9wavefront6targetE1EEEvT1_,comdat
.Lfunc_end471:
	.size	_ZN7rocprim17ROCPRIM_400000_NS6detail17trampoline_kernelINS0_14default_configENS1_20scan_config_selectorIN3c108BFloat16EEEZZNS1_9scan_implILNS1_25lookback_scan_determinismE0ELb0ELb0ES3_PKS6_PS6_S6_ZZZN2at6native31launch_logcumsumexp_cuda_kernelERKNSD_10TensorBaseESH_lENKUlvE_clEvENKUlvE4_clEvEUlS6_S6_E_S6_EEDaPvRmT3_T4_T5_mT6_P12ihipStream_tbENKUlT_T0_E_clISt17integral_constantIbLb0EESY_EEDaST_SU_EUlST_E0_NS1_11comp_targetILNS1_3genE3ELNS1_11target_archE908ELNS1_3gpuE7ELNS1_3repE0EEENS1_30default_config_static_selectorELNS0_4arch9wavefront6targetE1EEEvT1_, .Lfunc_end471-_ZN7rocprim17ROCPRIM_400000_NS6detail17trampoline_kernelINS0_14default_configENS1_20scan_config_selectorIN3c108BFloat16EEEZZNS1_9scan_implILNS1_25lookback_scan_determinismE0ELb0ELb0ES3_PKS6_PS6_S6_ZZZN2at6native31launch_logcumsumexp_cuda_kernelERKNSD_10TensorBaseESH_lENKUlvE_clEvENKUlvE4_clEvEUlS6_S6_E_S6_EEDaPvRmT3_T4_T5_mT6_P12ihipStream_tbENKUlT_T0_E_clISt17integral_constantIbLb0EESY_EEDaST_SU_EUlST_E0_NS1_11comp_targetILNS1_3genE3ELNS1_11target_archE908ELNS1_3gpuE7ELNS1_3repE0EEENS1_30default_config_static_selectorELNS0_4arch9wavefront6targetE1EEEvT1_
                                        ; -- End function
	.section	.AMDGPU.csdata,"",@progbits
; Kernel info:
; codeLenInByte = 0
; NumSgprs: 6
; NumVgprs: 0
; NumAgprs: 0
; TotalNumVgprs: 0
; ScratchSize: 0
; MemoryBound: 0
; FloatMode: 240
; IeeeMode: 1
; LDSByteSize: 0 bytes/workgroup (compile time only)
; SGPRBlocks: 0
; VGPRBlocks: 0
; NumSGPRsForWavesPerEU: 6
; NumVGPRsForWavesPerEU: 1
; AccumOffset: 4
; Occupancy: 8
; WaveLimiterHint : 0
; COMPUTE_PGM_RSRC2:SCRATCH_EN: 0
; COMPUTE_PGM_RSRC2:USER_SGPR: 2
; COMPUTE_PGM_RSRC2:TRAP_HANDLER: 0
; COMPUTE_PGM_RSRC2:TGID_X_EN: 1
; COMPUTE_PGM_RSRC2:TGID_Y_EN: 0
; COMPUTE_PGM_RSRC2:TGID_Z_EN: 0
; COMPUTE_PGM_RSRC2:TIDIG_COMP_CNT: 0
; COMPUTE_PGM_RSRC3_GFX90A:ACCUM_OFFSET: 0
; COMPUTE_PGM_RSRC3_GFX90A:TG_SPLIT: 0
	.section	.text._ZN7rocprim17ROCPRIM_400000_NS6detail17trampoline_kernelINS0_14default_configENS1_20scan_config_selectorIN3c108BFloat16EEEZZNS1_9scan_implILNS1_25lookback_scan_determinismE0ELb0ELb0ES3_PKS6_PS6_S6_ZZZN2at6native31launch_logcumsumexp_cuda_kernelERKNSD_10TensorBaseESH_lENKUlvE_clEvENKUlvE4_clEvEUlS6_S6_E_S6_EEDaPvRmT3_T4_T5_mT6_P12ihipStream_tbENKUlT_T0_E_clISt17integral_constantIbLb0EESY_EEDaST_SU_EUlST_E0_NS1_11comp_targetILNS1_3genE2ELNS1_11target_archE906ELNS1_3gpuE6ELNS1_3repE0EEENS1_30default_config_static_selectorELNS0_4arch9wavefront6targetE1EEEvT1_,"axG",@progbits,_ZN7rocprim17ROCPRIM_400000_NS6detail17trampoline_kernelINS0_14default_configENS1_20scan_config_selectorIN3c108BFloat16EEEZZNS1_9scan_implILNS1_25lookback_scan_determinismE0ELb0ELb0ES3_PKS6_PS6_S6_ZZZN2at6native31launch_logcumsumexp_cuda_kernelERKNSD_10TensorBaseESH_lENKUlvE_clEvENKUlvE4_clEvEUlS6_S6_E_S6_EEDaPvRmT3_T4_T5_mT6_P12ihipStream_tbENKUlT_T0_E_clISt17integral_constantIbLb0EESY_EEDaST_SU_EUlST_E0_NS1_11comp_targetILNS1_3genE2ELNS1_11target_archE906ELNS1_3gpuE6ELNS1_3repE0EEENS1_30default_config_static_selectorELNS0_4arch9wavefront6targetE1EEEvT1_,comdat
	.globl	_ZN7rocprim17ROCPRIM_400000_NS6detail17trampoline_kernelINS0_14default_configENS1_20scan_config_selectorIN3c108BFloat16EEEZZNS1_9scan_implILNS1_25lookback_scan_determinismE0ELb0ELb0ES3_PKS6_PS6_S6_ZZZN2at6native31launch_logcumsumexp_cuda_kernelERKNSD_10TensorBaseESH_lENKUlvE_clEvENKUlvE4_clEvEUlS6_S6_E_S6_EEDaPvRmT3_T4_T5_mT6_P12ihipStream_tbENKUlT_T0_E_clISt17integral_constantIbLb0EESY_EEDaST_SU_EUlST_E0_NS1_11comp_targetILNS1_3genE2ELNS1_11target_archE906ELNS1_3gpuE6ELNS1_3repE0EEENS1_30default_config_static_selectorELNS0_4arch9wavefront6targetE1EEEvT1_ ; -- Begin function _ZN7rocprim17ROCPRIM_400000_NS6detail17trampoline_kernelINS0_14default_configENS1_20scan_config_selectorIN3c108BFloat16EEEZZNS1_9scan_implILNS1_25lookback_scan_determinismE0ELb0ELb0ES3_PKS6_PS6_S6_ZZZN2at6native31launch_logcumsumexp_cuda_kernelERKNSD_10TensorBaseESH_lENKUlvE_clEvENKUlvE4_clEvEUlS6_S6_E_S6_EEDaPvRmT3_T4_T5_mT6_P12ihipStream_tbENKUlT_T0_E_clISt17integral_constantIbLb0EESY_EEDaST_SU_EUlST_E0_NS1_11comp_targetILNS1_3genE2ELNS1_11target_archE906ELNS1_3gpuE6ELNS1_3repE0EEENS1_30default_config_static_selectorELNS0_4arch9wavefront6targetE1EEEvT1_
	.p2align	8
	.type	_ZN7rocprim17ROCPRIM_400000_NS6detail17trampoline_kernelINS0_14default_configENS1_20scan_config_selectorIN3c108BFloat16EEEZZNS1_9scan_implILNS1_25lookback_scan_determinismE0ELb0ELb0ES3_PKS6_PS6_S6_ZZZN2at6native31launch_logcumsumexp_cuda_kernelERKNSD_10TensorBaseESH_lENKUlvE_clEvENKUlvE4_clEvEUlS6_S6_E_S6_EEDaPvRmT3_T4_T5_mT6_P12ihipStream_tbENKUlT_T0_E_clISt17integral_constantIbLb0EESY_EEDaST_SU_EUlST_E0_NS1_11comp_targetILNS1_3genE2ELNS1_11target_archE906ELNS1_3gpuE6ELNS1_3repE0EEENS1_30default_config_static_selectorELNS0_4arch9wavefront6targetE1EEEvT1_,@function
_ZN7rocprim17ROCPRIM_400000_NS6detail17trampoline_kernelINS0_14default_configENS1_20scan_config_selectorIN3c108BFloat16EEEZZNS1_9scan_implILNS1_25lookback_scan_determinismE0ELb0ELb0ES3_PKS6_PS6_S6_ZZZN2at6native31launch_logcumsumexp_cuda_kernelERKNSD_10TensorBaseESH_lENKUlvE_clEvENKUlvE4_clEvEUlS6_S6_E_S6_EEDaPvRmT3_T4_T5_mT6_P12ihipStream_tbENKUlT_T0_E_clISt17integral_constantIbLb0EESY_EEDaST_SU_EUlST_E0_NS1_11comp_targetILNS1_3genE2ELNS1_11target_archE906ELNS1_3gpuE6ELNS1_3repE0EEENS1_30default_config_static_selectorELNS0_4arch9wavefront6targetE1EEEvT1_: ; @_ZN7rocprim17ROCPRIM_400000_NS6detail17trampoline_kernelINS0_14default_configENS1_20scan_config_selectorIN3c108BFloat16EEEZZNS1_9scan_implILNS1_25lookback_scan_determinismE0ELb0ELb0ES3_PKS6_PS6_S6_ZZZN2at6native31launch_logcumsumexp_cuda_kernelERKNSD_10TensorBaseESH_lENKUlvE_clEvENKUlvE4_clEvEUlS6_S6_E_S6_EEDaPvRmT3_T4_T5_mT6_P12ihipStream_tbENKUlT_T0_E_clISt17integral_constantIbLb0EESY_EEDaST_SU_EUlST_E0_NS1_11comp_targetILNS1_3genE2ELNS1_11target_archE906ELNS1_3gpuE6ELNS1_3repE0EEENS1_30default_config_static_selectorELNS0_4arch9wavefront6targetE1EEEvT1_
; %bb.0:
	.section	.rodata,"a",@progbits
	.p2align	6, 0x0
	.amdhsa_kernel _ZN7rocprim17ROCPRIM_400000_NS6detail17trampoline_kernelINS0_14default_configENS1_20scan_config_selectorIN3c108BFloat16EEEZZNS1_9scan_implILNS1_25lookback_scan_determinismE0ELb0ELb0ES3_PKS6_PS6_S6_ZZZN2at6native31launch_logcumsumexp_cuda_kernelERKNSD_10TensorBaseESH_lENKUlvE_clEvENKUlvE4_clEvEUlS6_S6_E_S6_EEDaPvRmT3_T4_T5_mT6_P12ihipStream_tbENKUlT_T0_E_clISt17integral_constantIbLb0EESY_EEDaST_SU_EUlST_E0_NS1_11comp_targetILNS1_3genE2ELNS1_11target_archE906ELNS1_3gpuE6ELNS1_3repE0EEENS1_30default_config_static_selectorELNS0_4arch9wavefront6targetE1EEEvT1_
		.amdhsa_group_segment_fixed_size 0
		.amdhsa_private_segment_fixed_size 0
		.amdhsa_kernarg_size 32
		.amdhsa_user_sgpr_count 2
		.amdhsa_user_sgpr_dispatch_ptr 0
		.amdhsa_user_sgpr_queue_ptr 0
		.amdhsa_user_sgpr_kernarg_segment_ptr 1
		.amdhsa_user_sgpr_dispatch_id 0
		.amdhsa_user_sgpr_kernarg_preload_length 0
		.amdhsa_user_sgpr_kernarg_preload_offset 0
		.amdhsa_user_sgpr_private_segment_size 0
		.amdhsa_uses_dynamic_stack 0
		.amdhsa_enable_private_segment 0
		.amdhsa_system_sgpr_workgroup_id_x 1
		.amdhsa_system_sgpr_workgroup_id_y 0
		.amdhsa_system_sgpr_workgroup_id_z 0
		.amdhsa_system_sgpr_workgroup_info 0
		.amdhsa_system_vgpr_workitem_id 0
		.amdhsa_next_free_vgpr 1
		.amdhsa_next_free_sgpr 0
		.amdhsa_accum_offset 4
		.amdhsa_reserve_vcc 0
		.amdhsa_float_round_mode_32 0
		.amdhsa_float_round_mode_16_64 0
		.amdhsa_float_denorm_mode_32 3
		.amdhsa_float_denorm_mode_16_64 3
		.amdhsa_dx10_clamp 1
		.amdhsa_ieee_mode 1
		.amdhsa_fp16_overflow 0
		.amdhsa_tg_split 0
		.amdhsa_exception_fp_ieee_invalid_op 0
		.amdhsa_exception_fp_denorm_src 0
		.amdhsa_exception_fp_ieee_div_zero 0
		.amdhsa_exception_fp_ieee_overflow 0
		.amdhsa_exception_fp_ieee_underflow 0
		.amdhsa_exception_fp_ieee_inexact 0
		.amdhsa_exception_int_div_zero 0
	.end_amdhsa_kernel
	.section	.text._ZN7rocprim17ROCPRIM_400000_NS6detail17trampoline_kernelINS0_14default_configENS1_20scan_config_selectorIN3c108BFloat16EEEZZNS1_9scan_implILNS1_25lookback_scan_determinismE0ELb0ELb0ES3_PKS6_PS6_S6_ZZZN2at6native31launch_logcumsumexp_cuda_kernelERKNSD_10TensorBaseESH_lENKUlvE_clEvENKUlvE4_clEvEUlS6_S6_E_S6_EEDaPvRmT3_T4_T5_mT6_P12ihipStream_tbENKUlT_T0_E_clISt17integral_constantIbLb0EESY_EEDaST_SU_EUlST_E0_NS1_11comp_targetILNS1_3genE2ELNS1_11target_archE906ELNS1_3gpuE6ELNS1_3repE0EEENS1_30default_config_static_selectorELNS0_4arch9wavefront6targetE1EEEvT1_,"axG",@progbits,_ZN7rocprim17ROCPRIM_400000_NS6detail17trampoline_kernelINS0_14default_configENS1_20scan_config_selectorIN3c108BFloat16EEEZZNS1_9scan_implILNS1_25lookback_scan_determinismE0ELb0ELb0ES3_PKS6_PS6_S6_ZZZN2at6native31launch_logcumsumexp_cuda_kernelERKNSD_10TensorBaseESH_lENKUlvE_clEvENKUlvE4_clEvEUlS6_S6_E_S6_EEDaPvRmT3_T4_T5_mT6_P12ihipStream_tbENKUlT_T0_E_clISt17integral_constantIbLb0EESY_EEDaST_SU_EUlST_E0_NS1_11comp_targetILNS1_3genE2ELNS1_11target_archE906ELNS1_3gpuE6ELNS1_3repE0EEENS1_30default_config_static_selectorELNS0_4arch9wavefront6targetE1EEEvT1_,comdat
.Lfunc_end472:
	.size	_ZN7rocprim17ROCPRIM_400000_NS6detail17trampoline_kernelINS0_14default_configENS1_20scan_config_selectorIN3c108BFloat16EEEZZNS1_9scan_implILNS1_25lookback_scan_determinismE0ELb0ELb0ES3_PKS6_PS6_S6_ZZZN2at6native31launch_logcumsumexp_cuda_kernelERKNSD_10TensorBaseESH_lENKUlvE_clEvENKUlvE4_clEvEUlS6_S6_E_S6_EEDaPvRmT3_T4_T5_mT6_P12ihipStream_tbENKUlT_T0_E_clISt17integral_constantIbLb0EESY_EEDaST_SU_EUlST_E0_NS1_11comp_targetILNS1_3genE2ELNS1_11target_archE906ELNS1_3gpuE6ELNS1_3repE0EEENS1_30default_config_static_selectorELNS0_4arch9wavefront6targetE1EEEvT1_, .Lfunc_end472-_ZN7rocprim17ROCPRIM_400000_NS6detail17trampoline_kernelINS0_14default_configENS1_20scan_config_selectorIN3c108BFloat16EEEZZNS1_9scan_implILNS1_25lookback_scan_determinismE0ELb0ELb0ES3_PKS6_PS6_S6_ZZZN2at6native31launch_logcumsumexp_cuda_kernelERKNSD_10TensorBaseESH_lENKUlvE_clEvENKUlvE4_clEvEUlS6_S6_E_S6_EEDaPvRmT3_T4_T5_mT6_P12ihipStream_tbENKUlT_T0_E_clISt17integral_constantIbLb0EESY_EEDaST_SU_EUlST_E0_NS1_11comp_targetILNS1_3genE2ELNS1_11target_archE906ELNS1_3gpuE6ELNS1_3repE0EEENS1_30default_config_static_selectorELNS0_4arch9wavefront6targetE1EEEvT1_
                                        ; -- End function
	.section	.AMDGPU.csdata,"",@progbits
; Kernel info:
; codeLenInByte = 0
; NumSgprs: 6
; NumVgprs: 0
; NumAgprs: 0
; TotalNumVgprs: 0
; ScratchSize: 0
; MemoryBound: 0
; FloatMode: 240
; IeeeMode: 1
; LDSByteSize: 0 bytes/workgroup (compile time only)
; SGPRBlocks: 0
; VGPRBlocks: 0
; NumSGPRsForWavesPerEU: 6
; NumVGPRsForWavesPerEU: 1
; AccumOffset: 4
; Occupancy: 8
; WaveLimiterHint : 0
; COMPUTE_PGM_RSRC2:SCRATCH_EN: 0
; COMPUTE_PGM_RSRC2:USER_SGPR: 2
; COMPUTE_PGM_RSRC2:TRAP_HANDLER: 0
; COMPUTE_PGM_RSRC2:TGID_X_EN: 1
; COMPUTE_PGM_RSRC2:TGID_Y_EN: 0
; COMPUTE_PGM_RSRC2:TGID_Z_EN: 0
; COMPUTE_PGM_RSRC2:TIDIG_COMP_CNT: 0
; COMPUTE_PGM_RSRC3_GFX90A:ACCUM_OFFSET: 0
; COMPUTE_PGM_RSRC3_GFX90A:TG_SPLIT: 0
	.section	.text._ZN7rocprim17ROCPRIM_400000_NS6detail17trampoline_kernelINS0_14default_configENS1_20scan_config_selectorIN3c108BFloat16EEEZZNS1_9scan_implILNS1_25lookback_scan_determinismE0ELb0ELb0ES3_PKS6_PS6_S6_ZZZN2at6native31launch_logcumsumexp_cuda_kernelERKNSD_10TensorBaseESH_lENKUlvE_clEvENKUlvE4_clEvEUlS6_S6_E_S6_EEDaPvRmT3_T4_T5_mT6_P12ihipStream_tbENKUlT_T0_E_clISt17integral_constantIbLb0EESY_EEDaST_SU_EUlST_E0_NS1_11comp_targetILNS1_3genE10ELNS1_11target_archE1201ELNS1_3gpuE5ELNS1_3repE0EEENS1_30default_config_static_selectorELNS0_4arch9wavefront6targetE1EEEvT1_,"axG",@progbits,_ZN7rocprim17ROCPRIM_400000_NS6detail17trampoline_kernelINS0_14default_configENS1_20scan_config_selectorIN3c108BFloat16EEEZZNS1_9scan_implILNS1_25lookback_scan_determinismE0ELb0ELb0ES3_PKS6_PS6_S6_ZZZN2at6native31launch_logcumsumexp_cuda_kernelERKNSD_10TensorBaseESH_lENKUlvE_clEvENKUlvE4_clEvEUlS6_S6_E_S6_EEDaPvRmT3_T4_T5_mT6_P12ihipStream_tbENKUlT_T0_E_clISt17integral_constantIbLb0EESY_EEDaST_SU_EUlST_E0_NS1_11comp_targetILNS1_3genE10ELNS1_11target_archE1201ELNS1_3gpuE5ELNS1_3repE0EEENS1_30default_config_static_selectorELNS0_4arch9wavefront6targetE1EEEvT1_,comdat
	.globl	_ZN7rocprim17ROCPRIM_400000_NS6detail17trampoline_kernelINS0_14default_configENS1_20scan_config_selectorIN3c108BFloat16EEEZZNS1_9scan_implILNS1_25lookback_scan_determinismE0ELb0ELb0ES3_PKS6_PS6_S6_ZZZN2at6native31launch_logcumsumexp_cuda_kernelERKNSD_10TensorBaseESH_lENKUlvE_clEvENKUlvE4_clEvEUlS6_S6_E_S6_EEDaPvRmT3_T4_T5_mT6_P12ihipStream_tbENKUlT_T0_E_clISt17integral_constantIbLb0EESY_EEDaST_SU_EUlST_E0_NS1_11comp_targetILNS1_3genE10ELNS1_11target_archE1201ELNS1_3gpuE5ELNS1_3repE0EEENS1_30default_config_static_selectorELNS0_4arch9wavefront6targetE1EEEvT1_ ; -- Begin function _ZN7rocprim17ROCPRIM_400000_NS6detail17trampoline_kernelINS0_14default_configENS1_20scan_config_selectorIN3c108BFloat16EEEZZNS1_9scan_implILNS1_25lookback_scan_determinismE0ELb0ELb0ES3_PKS6_PS6_S6_ZZZN2at6native31launch_logcumsumexp_cuda_kernelERKNSD_10TensorBaseESH_lENKUlvE_clEvENKUlvE4_clEvEUlS6_S6_E_S6_EEDaPvRmT3_T4_T5_mT6_P12ihipStream_tbENKUlT_T0_E_clISt17integral_constantIbLb0EESY_EEDaST_SU_EUlST_E0_NS1_11comp_targetILNS1_3genE10ELNS1_11target_archE1201ELNS1_3gpuE5ELNS1_3repE0EEENS1_30default_config_static_selectorELNS0_4arch9wavefront6targetE1EEEvT1_
	.p2align	8
	.type	_ZN7rocprim17ROCPRIM_400000_NS6detail17trampoline_kernelINS0_14default_configENS1_20scan_config_selectorIN3c108BFloat16EEEZZNS1_9scan_implILNS1_25lookback_scan_determinismE0ELb0ELb0ES3_PKS6_PS6_S6_ZZZN2at6native31launch_logcumsumexp_cuda_kernelERKNSD_10TensorBaseESH_lENKUlvE_clEvENKUlvE4_clEvEUlS6_S6_E_S6_EEDaPvRmT3_T4_T5_mT6_P12ihipStream_tbENKUlT_T0_E_clISt17integral_constantIbLb0EESY_EEDaST_SU_EUlST_E0_NS1_11comp_targetILNS1_3genE10ELNS1_11target_archE1201ELNS1_3gpuE5ELNS1_3repE0EEENS1_30default_config_static_selectorELNS0_4arch9wavefront6targetE1EEEvT1_,@function
_ZN7rocprim17ROCPRIM_400000_NS6detail17trampoline_kernelINS0_14default_configENS1_20scan_config_selectorIN3c108BFloat16EEEZZNS1_9scan_implILNS1_25lookback_scan_determinismE0ELb0ELb0ES3_PKS6_PS6_S6_ZZZN2at6native31launch_logcumsumexp_cuda_kernelERKNSD_10TensorBaseESH_lENKUlvE_clEvENKUlvE4_clEvEUlS6_S6_E_S6_EEDaPvRmT3_T4_T5_mT6_P12ihipStream_tbENKUlT_T0_E_clISt17integral_constantIbLb0EESY_EEDaST_SU_EUlST_E0_NS1_11comp_targetILNS1_3genE10ELNS1_11target_archE1201ELNS1_3gpuE5ELNS1_3repE0EEENS1_30default_config_static_selectorELNS0_4arch9wavefront6targetE1EEEvT1_: ; @_ZN7rocprim17ROCPRIM_400000_NS6detail17trampoline_kernelINS0_14default_configENS1_20scan_config_selectorIN3c108BFloat16EEEZZNS1_9scan_implILNS1_25lookback_scan_determinismE0ELb0ELb0ES3_PKS6_PS6_S6_ZZZN2at6native31launch_logcumsumexp_cuda_kernelERKNSD_10TensorBaseESH_lENKUlvE_clEvENKUlvE4_clEvEUlS6_S6_E_S6_EEDaPvRmT3_T4_T5_mT6_P12ihipStream_tbENKUlT_T0_E_clISt17integral_constantIbLb0EESY_EEDaST_SU_EUlST_E0_NS1_11comp_targetILNS1_3genE10ELNS1_11target_archE1201ELNS1_3gpuE5ELNS1_3repE0EEENS1_30default_config_static_selectorELNS0_4arch9wavefront6targetE1EEEvT1_
; %bb.0:
	.section	.rodata,"a",@progbits
	.p2align	6, 0x0
	.amdhsa_kernel _ZN7rocprim17ROCPRIM_400000_NS6detail17trampoline_kernelINS0_14default_configENS1_20scan_config_selectorIN3c108BFloat16EEEZZNS1_9scan_implILNS1_25lookback_scan_determinismE0ELb0ELb0ES3_PKS6_PS6_S6_ZZZN2at6native31launch_logcumsumexp_cuda_kernelERKNSD_10TensorBaseESH_lENKUlvE_clEvENKUlvE4_clEvEUlS6_S6_E_S6_EEDaPvRmT3_T4_T5_mT6_P12ihipStream_tbENKUlT_T0_E_clISt17integral_constantIbLb0EESY_EEDaST_SU_EUlST_E0_NS1_11comp_targetILNS1_3genE10ELNS1_11target_archE1201ELNS1_3gpuE5ELNS1_3repE0EEENS1_30default_config_static_selectorELNS0_4arch9wavefront6targetE1EEEvT1_
		.amdhsa_group_segment_fixed_size 0
		.amdhsa_private_segment_fixed_size 0
		.amdhsa_kernarg_size 32
		.amdhsa_user_sgpr_count 2
		.amdhsa_user_sgpr_dispatch_ptr 0
		.amdhsa_user_sgpr_queue_ptr 0
		.amdhsa_user_sgpr_kernarg_segment_ptr 1
		.amdhsa_user_sgpr_dispatch_id 0
		.amdhsa_user_sgpr_kernarg_preload_length 0
		.amdhsa_user_sgpr_kernarg_preload_offset 0
		.amdhsa_user_sgpr_private_segment_size 0
		.amdhsa_uses_dynamic_stack 0
		.amdhsa_enable_private_segment 0
		.amdhsa_system_sgpr_workgroup_id_x 1
		.amdhsa_system_sgpr_workgroup_id_y 0
		.amdhsa_system_sgpr_workgroup_id_z 0
		.amdhsa_system_sgpr_workgroup_info 0
		.amdhsa_system_vgpr_workitem_id 0
		.amdhsa_next_free_vgpr 1
		.amdhsa_next_free_sgpr 0
		.amdhsa_accum_offset 4
		.amdhsa_reserve_vcc 0
		.amdhsa_float_round_mode_32 0
		.amdhsa_float_round_mode_16_64 0
		.amdhsa_float_denorm_mode_32 3
		.amdhsa_float_denorm_mode_16_64 3
		.amdhsa_dx10_clamp 1
		.amdhsa_ieee_mode 1
		.amdhsa_fp16_overflow 0
		.amdhsa_tg_split 0
		.amdhsa_exception_fp_ieee_invalid_op 0
		.amdhsa_exception_fp_denorm_src 0
		.amdhsa_exception_fp_ieee_div_zero 0
		.amdhsa_exception_fp_ieee_overflow 0
		.amdhsa_exception_fp_ieee_underflow 0
		.amdhsa_exception_fp_ieee_inexact 0
		.amdhsa_exception_int_div_zero 0
	.end_amdhsa_kernel
	.section	.text._ZN7rocprim17ROCPRIM_400000_NS6detail17trampoline_kernelINS0_14default_configENS1_20scan_config_selectorIN3c108BFloat16EEEZZNS1_9scan_implILNS1_25lookback_scan_determinismE0ELb0ELb0ES3_PKS6_PS6_S6_ZZZN2at6native31launch_logcumsumexp_cuda_kernelERKNSD_10TensorBaseESH_lENKUlvE_clEvENKUlvE4_clEvEUlS6_S6_E_S6_EEDaPvRmT3_T4_T5_mT6_P12ihipStream_tbENKUlT_T0_E_clISt17integral_constantIbLb0EESY_EEDaST_SU_EUlST_E0_NS1_11comp_targetILNS1_3genE10ELNS1_11target_archE1201ELNS1_3gpuE5ELNS1_3repE0EEENS1_30default_config_static_selectorELNS0_4arch9wavefront6targetE1EEEvT1_,"axG",@progbits,_ZN7rocprim17ROCPRIM_400000_NS6detail17trampoline_kernelINS0_14default_configENS1_20scan_config_selectorIN3c108BFloat16EEEZZNS1_9scan_implILNS1_25lookback_scan_determinismE0ELb0ELb0ES3_PKS6_PS6_S6_ZZZN2at6native31launch_logcumsumexp_cuda_kernelERKNSD_10TensorBaseESH_lENKUlvE_clEvENKUlvE4_clEvEUlS6_S6_E_S6_EEDaPvRmT3_T4_T5_mT6_P12ihipStream_tbENKUlT_T0_E_clISt17integral_constantIbLb0EESY_EEDaST_SU_EUlST_E0_NS1_11comp_targetILNS1_3genE10ELNS1_11target_archE1201ELNS1_3gpuE5ELNS1_3repE0EEENS1_30default_config_static_selectorELNS0_4arch9wavefront6targetE1EEEvT1_,comdat
.Lfunc_end473:
	.size	_ZN7rocprim17ROCPRIM_400000_NS6detail17trampoline_kernelINS0_14default_configENS1_20scan_config_selectorIN3c108BFloat16EEEZZNS1_9scan_implILNS1_25lookback_scan_determinismE0ELb0ELb0ES3_PKS6_PS6_S6_ZZZN2at6native31launch_logcumsumexp_cuda_kernelERKNSD_10TensorBaseESH_lENKUlvE_clEvENKUlvE4_clEvEUlS6_S6_E_S6_EEDaPvRmT3_T4_T5_mT6_P12ihipStream_tbENKUlT_T0_E_clISt17integral_constantIbLb0EESY_EEDaST_SU_EUlST_E0_NS1_11comp_targetILNS1_3genE10ELNS1_11target_archE1201ELNS1_3gpuE5ELNS1_3repE0EEENS1_30default_config_static_selectorELNS0_4arch9wavefront6targetE1EEEvT1_, .Lfunc_end473-_ZN7rocprim17ROCPRIM_400000_NS6detail17trampoline_kernelINS0_14default_configENS1_20scan_config_selectorIN3c108BFloat16EEEZZNS1_9scan_implILNS1_25lookback_scan_determinismE0ELb0ELb0ES3_PKS6_PS6_S6_ZZZN2at6native31launch_logcumsumexp_cuda_kernelERKNSD_10TensorBaseESH_lENKUlvE_clEvENKUlvE4_clEvEUlS6_S6_E_S6_EEDaPvRmT3_T4_T5_mT6_P12ihipStream_tbENKUlT_T0_E_clISt17integral_constantIbLb0EESY_EEDaST_SU_EUlST_E0_NS1_11comp_targetILNS1_3genE10ELNS1_11target_archE1201ELNS1_3gpuE5ELNS1_3repE0EEENS1_30default_config_static_selectorELNS0_4arch9wavefront6targetE1EEEvT1_
                                        ; -- End function
	.section	.AMDGPU.csdata,"",@progbits
; Kernel info:
; codeLenInByte = 0
; NumSgprs: 6
; NumVgprs: 0
; NumAgprs: 0
; TotalNumVgprs: 0
; ScratchSize: 0
; MemoryBound: 0
; FloatMode: 240
; IeeeMode: 1
; LDSByteSize: 0 bytes/workgroup (compile time only)
; SGPRBlocks: 0
; VGPRBlocks: 0
; NumSGPRsForWavesPerEU: 6
; NumVGPRsForWavesPerEU: 1
; AccumOffset: 4
; Occupancy: 8
; WaveLimiterHint : 0
; COMPUTE_PGM_RSRC2:SCRATCH_EN: 0
; COMPUTE_PGM_RSRC2:USER_SGPR: 2
; COMPUTE_PGM_RSRC2:TRAP_HANDLER: 0
; COMPUTE_PGM_RSRC2:TGID_X_EN: 1
; COMPUTE_PGM_RSRC2:TGID_Y_EN: 0
; COMPUTE_PGM_RSRC2:TGID_Z_EN: 0
; COMPUTE_PGM_RSRC2:TIDIG_COMP_CNT: 0
; COMPUTE_PGM_RSRC3_GFX90A:ACCUM_OFFSET: 0
; COMPUTE_PGM_RSRC3_GFX90A:TG_SPLIT: 0
	.section	.text._ZN7rocprim17ROCPRIM_400000_NS6detail17trampoline_kernelINS0_14default_configENS1_20scan_config_selectorIN3c108BFloat16EEEZZNS1_9scan_implILNS1_25lookback_scan_determinismE0ELb0ELb0ES3_PKS6_PS6_S6_ZZZN2at6native31launch_logcumsumexp_cuda_kernelERKNSD_10TensorBaseESH_lENKUlvE_clEvENKUlvE4_clEvEUlS6_S6_E_S6_EEDaPvRmT3_T4_T5_mT6_P12ihipStream_tbENKUlT_T0_E_clISt17integral_constantIbLb0EESY_EEDaST_SU_EUlST_E0_NS1_11comp_targetILNS1_3genE10ELNS1_11target_archE1200ELNS1_3gpuE4ELNS1_3repE0EEENS1_30default_config_static_selectorELNS0_4arch9wavefront6targetE1EEEvT1_,"axG",@progbits,_ZN7rocprim17ROCPRIM_400000_NS6detail17trampoline_kernelINS0_14default_configENS1_20scan_config_selectorIN3c108BFloat16EEEZZNS1_9scan_implILNS1_25lookback_scan_determinismE0ELb0ELb0ES3_PKS6_PS6_S6_ZZZN2at6native31launch_logcumsumexp_cuda_kernelERKNSD_10TensorBaseESH_lENKUlvE_clEvENKUlvE4_clEvEUlS6_S6_E_S6_EEDaPvRmT3_T4_T5_mT6_P12ihipStream_tbENKUlT_T0_E_clISt17integral_constantIbLb0EESY_EEDaST_SU_EUlST_E0_NS1_11comp_targetILNS1_3genE10ELNS1_11target_archE1200ELNS1_3gpuE4ELNS1_3repE0EEENS1_30default_config_static_selectorELNS0_4arch9wavefront6targetE1EEEvT1_,comdat
	.globl	_ZN7rocprim17ROCPRIM_400000_NS6detail17trampoline_kernelINS0_14default_configENS1_20scan_config_selectorIN3c108BFloat16EEEZZNS1_9scan_implILNS1_25lookback_scan_determinismE0ELb0ELb0ES3_PKS6_PS6_S6_ZZZN2at6native31launch_logcumsumexp_cuda_kernelERKNSD_10TensorBaseESH_lENKUlvE_clEvENKUlvE4_clEvEUlS6_S6_E_S6_EEDaPvRmT3_T4_T5_mT6_P12ihipStream_tbENKUlT_T0_E_clISt17integral_constantIbLb0EESY_EEDaST_SU_EUlST_E0_NS1_11comp_targetILNS1_3genE10ELNS1_11target_archE1200ELNS1_3gpuE4ELNS1_3repE0EEENS1_30default_config_static_selectorELNS0_4arch9wavefront6targetE1EEEvT1_ ; -- Begin function _ZN7rocprim17ROCPRIM_400000_NS6detail17trampoline_kernelINS0_14default_configENS1_20scan_config_selectorIN3c108BFloat16EEEZZNS1_9scan_implILNS1_25lookback_scan_determinismE0ELb0ELb0ES3_PKS6_PS6_S6_ZZZN2at6native31launch_logcumsumexp_cuda_kernelERKNSD_10TensorBaseESH_lENKUlvE_clEvENKUlvE4_clEvEUlS6_S6_E_S6_EEDaPvRmT3_T4_T5_mT6_P12ihipStream_tbENKUlT_T0_E_clISt17integral_constantIbLb0EESY_EEDaST_SU_EUlST_E0_NS1_11comp_targetILNS1_3genE10ELNS1_11target_archE1200ELNS1_3gpuE4ELNS1_3repE0EEENS1_30default_config_static_selectorELNS0_4arch9wavefront6targetE1EEEvT1_
	.p2align	8
	.type	_ZN7rocprim17ROCPRIM_400000_NS6detail17trampoline_kernelINS0_14default_configENS1_20scan_config_selectorIN3c108BFloat16EEEZZNS1_9scan_implILNS1_25lookback_scan_determinismE0ELb0ELb0ES3_PKS6_PS6_S6_ZZZN2at6native31launch_logcumsumexp_cuda_kernelERKNSD_10TensorBaseESH_lENKUlvE_clEvENKUlvE4_clEvEUlS6_S6_E_S6_EEDaPvRmT3_T4_T5_mT6_P12ihipStream_tbENKUlT_T0_E_clISt17integral_constantIbLb0EESY_EEDaST_SU_EUlST_E0_NS1_11comp_targetILNS1_3genE10ELNS1_11target_archE1200ELNS1_3gpuE4ELNS1_3repE0EEENS1_30default_config_static_selectorELNS0_4arch9wavefront6targetE1EEEvT1_,@function
_ZN7rocprim17ROCPRIM_400000_NS6detail17trampoline_kernelINS0_14default_configENS1_20scan_config_selectorIN3c108BFloat16EEEZZNS1_9scan_implILNS1_25lookback_scan_determinismE0ELb0ELb0ES3_PKS6_PS6_S6_ZZZN2at6native31launch_logcumsumexp_cuda_kernelERKNSD_10TensorBaseESH_lENKUlvE_clEvENKUlvE4_clEvEUlS6_S6_E_S6_EEDaPvRmT3_T4_T5_mT6_P12ihipStream_tbENKUlT_T0_E_clISt17integral_constantIbLb0EESY_EEDaST_SU_EUlST_E0_NS1_11comp_targetILNS1_3genE10ELNS1_11target_archE1200ELNS1_3gpuE4ELNS1_3repE0EEENS1_30default_config_static_selectorELNS0_4arch9wavefront6targetE1EEEvT1_: ; @_ZN7rocprim17ROCPRIM_400000_NS6detail17trampoline_kernelINS0_14default_configENS1_20scan_config_selectorIN3c108BFloat16EEEZZNS1_9scan_implILNS1_25lookback_scan_determinismE0ELb0ELb0ES3_PKS6_PS6_S6_ZZZN2at6native31launch_logcumsumexp_cuda_kernelERKNSD_10TensorBaseESH_lENKUlvE_clEvENKUlvE4_clEvEUlS6_S6_E_S6_EEDaPvRmT3_T4_T5_mT6_P12ihipStream_tbENKUlT_T0_E_clISt17integral_constantIbLb0EESY_EEDaST_SU_EUlST_E0_NS1_11comp_targetILNS1_3genE10ELNS1_11target_archE1200ELNS1_3gpuE4ELNS1_3repE0EEENS1_30default_config_static_selectorELNS0_4arch9wavefront6targetE1EEEvT1_
; %bb.0:
	.section	.rodata,"a",@progbits
	.p2align	6, 0x0
	.amdhsa_kernel _ZN7rocprim17ROCPRIM_400000_NS6detail17trampoline_kernelINS0_14default_configENS1_20scan_config_selectorIN3c108BFloat16EEEZZNS1_9scan_implILNS1_25lookback_scan_determinismE0ELb0ELb0ES3_PKS6_PS6_S6_ZZZN2at6native31launch_logcumsumexp_cuda_kernelERKNSD_10TensorBaseESH_lENKUlvE_clEvENKUlvE4_clEvEUlS6_S6_E_S6_EEDaPvRmT3_T4_T5_mT6_P12ihipStream_tbENKUlT_T0_E_clISt17integral_constantIbLb0EESY_EEDaST_SU_EUlST_E0_NS1_11comp_targetILNS1_3genE10ELNS1_11target_archE1200ELNS1_3gpuE4ELNS1_3repE0EEENS1_30default_config_static_selectorELNS0_4arch9wavefront6targetE1EEEvT1_
		.amdhsa_group_segment_fixed_size 0
		.amdhsa_private_segment_fixed_size 0
		.amdhsa_kernarg_size 32
		.amdhsa_user_sgpr_count 2
		.amdhsa_user_sgpr_dispatch_ptr 0
		.amdhsa_user_sgpr_queue_ptr 0
		.amdhsa_user_sgpr_kernarg_segment_ptr 1
		.amdhsa_user_sgpr_dispatch_id 0
		.amdhsa_user_sgpr_kernarg_preload_length 0
		.amdhsa_user_sgpr_kernarg_preload_offset 0
		.amdhsa_user_sgpr_private_segment_size 0
		.amdhsa_uses_dynamic_stack 0
		.amdhsa_enable_private_segment 0
		.amdhsa_system_sgpr_workgroup_id_x 1
		.amdhsa_system_sgpr_workgroup_id_y 0
		.amdhsa_system_sgpr_workgroup_id_z 0
		.amdhsa_system_sgpr_workgroup_info 0
		.amdhsa_system_vgpr_workitem_id 0
		.amdhsa_next_free_vgpr 1
		.amdhsa_next_free_sgpr 0
		.amdhsa_accum_offset 4
		.amdhsa_reserve_vcc 0
		.amdhsa_float_round_mode_32 0
		.amdhsa_float_round_mode_16_64 0
		.amdhsa_float_denorm_mode_32 3
		.amdhsa_float_denorm_mode_16_64 3
		.amdhsa_dx10_clamp 1
		.amdhsa_ieee_mode 1
		.amdhsa_fp16_overflow 0
		.amdhsa_tg_split 0
		.amdhsa_exception_fp_ieee_invalid_op 0
		.amdhsa_exception_fp_denorm_src 0
		.amdhsa_exception_fp_ieee_div_zero 0
		.amdhsa_exception_fp_ieee_overflow 0
		.amdhsa_exception_fp_ieee_underflow 0
		.amdhsa_exception_fp_ieee_inexact 0
		.amdhsa_exception_int_div_zero 0
	.end_amdhsa_kernel
	.section	.text._ZN7rocprim17ROCPRIM_400000_NS6detail17trampoline_kernelINS0_14default_configENS1_20scan_config_selectorIN3c108BFloat16EEEZZNS1_9scan_implILNS1_25lookback_scan_determinismE0ELb0ELb0ES3_PKS6_PS6_S6_ZZZN2at6native31launch_logcumsumexp_cuda_kernelERKNSD_10TensorBaseESH_lENKUlvE_clEvENKUlvE4_clEvEUlS6_S6_E_S6_EEDaPvRmT3_T4_T5_mT6_P12ihipStream_tbENKUlT_T0_E_clISt17integral_constantIbLb0EESY_EEDaST_SU_EUlST_E0_NS1_11comp_targetILNS1_3genE10ELNS1_11target_archE1200ELNS1_3gpuE4ELNS1_3repE0EEENS1_30default_config_static_selectorELNS0_4arch9wavefront6targetE1EEEvT1_,"axG",@progbits,_ZN7rocprim17ROCPRIM_400000_NS6detail17trampoline_kernelINS0_14default_configENS1_20scan_config_selectorIN3c108BFloat16EEEZZNS1_9scan_implILNS1_25lookback_scan_determinismE0ELb0ELb0ES3_PKS6_PS6_S6_ZZZN2at6native31launch_logcumsumexp_cuda_kernelERKNSD_10TensorBaseESH_lENKUlvE_clEvENKUlvE4_clEvEUlS6_S6_E_S6_EEDaPvRmT3_T4_T5_mT6_P12ihipStream_tbENKUlT_T0_E_clISt17integral_constantIbLb0EESY_EEDaST_SU_EUlST_E0_NS1_11comp_targetILNS1_3genE10ELNS1_11target_archE1200ELNS1_3gpuE4ELNS1_3repE0EEENS1_30default_config_static_selectorELNS0_4arch9wavefront6targetE1EEEvT1_,comdat
.Lfunc_end474:
	.size	_ZN7rocprim17ROCPRIM_400000_NS6detail17trampoline_kernelINS0_14default_configENS1_20scan_config_selectorIN3c108BFloat16EEEZZNS1_9scan_implILNS1_25lookback_scan_determinismE0ELb0ELb0ES3_PKS6_PS6_S6_ZZZN2at6native31launch_logcumsumexp_cuda_kernelERKNSD_10TensorBaseESH_lENKUlvE_clEvENKUlvE4_clEvEUlS6_S6_E_S6_EEDaPvRmT3_T4_T5_mT6_P12ihipStream_tbENKUlT_T0_E_clISt17integral_constantIbLb0EESY_EEDaST_SU_EUlST_E0_NS1_11comp_targetILNS1_3genE10ELNS1_11target_archE1200ELNS1_3gpuE4ELNS1_3repE0EEENS1_30default_config_static_selectorELNS0_4arch9wavefront6targetE1EEEvT1_, .Lfunc_end474-_ZN7rocprim17ROCPRIM_400000_NS6detail17trampoline_kernelINS0_14default_configENS1_20scan_config_selectorIN3c108BFloat16EEEZZNS1_9scan_implILNS1_25lookback_scan_determinismE0ELb0ELb0ES3_PKS6_PS6_S6_ZZZN2at6native31launch_logcumsumexp_cuda_kernelERKNSD_10TensorBaseESH_lENKUlvE_clEvENKUlvE4_clEvEUlS6_S6_E_S6_EEDaPvRmT3_T4_T5_mT6_P12ihipStream_tbENKUlT_T0_E_clISt17integral_constantIbLb0EESY_EEDaST_SU_EUlST_E0_NS1_11comp_targetILNS1_3genE10ELNS1_11target_archE1200ELNS1_3gpuE4ELNS1_3repE0EEENS1_30default_config_static_selectorELNS0_4arch9wavefront6targetE1EEEvT1_
                                        ; -- End function
	.section	.AMDGPU.csdata,"",@progbits
; Kernel info:
; codeLenInByte = 0
; NumSgprs: 6
; NumVgprs: 0
; NumAgprs: 0
; TotalNumVgprs: 0
; ScratchSize: 0
; MemoryBound: 0
; FloatMode: 240
; IeeeMode: 1
; LDSByteSize: 0 bytes/workgroup (compile time only)
; SGPRBlocks: 0
; VGPRBlocks: 0
; NumSGPRsForWavesPerEU: 6
; NumVGPRsForWavesPerEU: 1
; AccumOffset: 4
; Occupancy: 8
; WaveLimiterHint : 0
; COMPUTE_PGM_RSRC2:SCRATCH_EN: 0
; COMPUTE_PGM_RSRC2:USER_SGPR: 2
; COMPUTE_PGM_RSRC2:TRAP_HANDLER: 0
; COMPUTE_PGM_RSRC2:TGID_X_EN: 1
; COMPUTE_PGM_RSRC2:TGID_Y_EN: 0
; COMPUTE_PGM_RSRC2:TGID_Z_EN: 0
; COMPUTE_PGM_RSRC2:TIDIG_COMP_CNT: 0
; COMPUTE_PGM_RSRC3_GFX90A:ACCUM_OFFSET: 0
; COMPUTE_PGM_RSRC3_GFX90A:TG_SPLIT: 0
	.section	.text._ZN7rocprim17ROCPRIM_400000_NS6detail17trampoline_kernelINS0_14default_configENS1_20scan_config_selectorIN3c108BFloat16EEEZZNS1_9scan_implILNS1_25lookback_scan_determinismE0ELb0ELb0ES3_PKS6_PS6_S6_ZZZN2at6native31launch_logcumsumexp_cuda_kernelERKNSD_10TensorBaseESH_lENKUlvE_clEvENKUlvE4_clEvEUlS6_S6_E_S6_EEDaPvRmT3_T4_T5_mT6_P12ihipStream_tbENKUlT_T0_E_clISt17integral_constantIbLb0EESY_EEDaST_SU_EUlST_E0_NS1_11comp_targetILNS1_3genE9ELNS1_11target_archE1100ELNS1_3gpuE3ELNS1_3repE0EEENS1_30default_config_static_selectorELNS0_4arch9wavefront6targetE1EEEvT1_,"axG",@progbits,_ZN7rocprim17ROCPRIM_400000_NS6detail17trampoline_kernelINS0_14default_configENS1_20scan_config_selectorIN3c108BFloat16EEEZZNS1_9scan_implILNS1_25lookback_scan_determinismE0ELb0ELb0ES3_PKS6_PS6_S6_ZZZN2at6native31launch_logcumsumexp_cuda_kernelERKNSD_10TensorBaseESH_lENKUlvE_clEvENKUlvE4_clEvEUlS6_S6_E_S6_EEDaPvRmT3_T4_T5_mT6_P12ihipStream_tbENKUlT_T0_E_clISt17integral_constantIbLb0EESY_EEDaST_SU_EUlST_E0_NS1_11comp_targetILNS1_3genE9ELNS1_11target_archE1100ELNS1_3gpuE3ELNS1_3repE0EEENS1_30default_config_static_selectorELNS0_4arch9wavefront6targetE1EEEvT1_,comdat
	.globl	_ZN7rocprim17ROCPRIM_400000_NS6detail17trampoline_kernelINS0_14default_configENS1_20scan_config_selectorIN3c108BFloat16EEEZZNS1_9scan_implILNS1_25lookback_scan_determinismE0ELb0ELb0ES3_PKS6_PS6_S6_ZZZN2at6native31launch_logcumsumexp_cuda_kernelERKNSD_10TensorBaseESH_lENKUlvE_clEvENKUlvE4_clEvEUlS6_S6_E_S6_EEDaPvRmT3_T4_T5_mT6_P12ihipStream_tbENKUlT_T0_E_clISt17integral_constantIbLb0EESY_EEDaST_SU_EUlST_E0_NS1_11comp_targetILNS1_3genE9ELNS1_11target_archE1100ELNS1_3gpuE3ELNS1_3repE0EEENS1_30default_config_static_selectorELNS0_4arch9wavefront6targetE1EEEvT1_ ; -- Begin function _ZN7rocprim17ROCPRIM_400000_NS6detail17trampoline_kernelINS0_14default_configENS1_20scan_config_selectorIN3c108BFloat16EEEZZNS1_9scan_implILNS1_25lookback_scan_determinismE0ELb0ELb0ES3_PKS6_PS6_S6_ZZZN2at6native31launch_logcumsumexp_cuda_kernelERKNSD_10TensorBaseESH_lENKUlvE_clEvENKUlvE4_clEvEUlS6_S6_E_S6_EEDaPvRmT3_T4_T5_mT6_P12ihipStream_tbENKUlT_T0_E_clISt17integral_constantIbLb0EESY_EEDaST_SU_EUlST_E0_NS1_11comp_targetILNS1_3genE9ELNS1_11target_archE1100ELNS1_3gpuE3ELNS1_3repE0EEENS1_30default_config_static_selectorELNS0_4arch9wavefront6targetE1EEEvT1_
	.p2align	8
	.type	_ZN7rocprim17ROCPRIM_400000_NS6detail17trampoline_kernelINS0_14default_configENS1_20scan_config_selectorIN3c108BFloat16EEEZZNS1_9scan_implILNS1_25lookback_scan_determinismE0ELb0ELb0ES3_PKS6_PS6_S6_ZZZN2at6native31launch_logcumsumexp_cuda_kernelERKNSD_10TensorBaseESH_lENKUlvE_clEvENKUlvE4_clEvEUlS6_S6_E_S6_EEDaPvRmT3_T4_T5_mT6_P12ihipStream_tbENKUlT_T0_E_clISt17integral_constantIbLb0EESY_EEDaST_SU_EUlST_E0_NS1_11comp_targetILNS1_3genE9ELNS1_11target_archE1100ELNS1_3gpuE3ELNS1_3repE0EEENS1_30default_config_static_selectorELNS0_4arch9wavefront6targetE1EEEvT1_,@function
_ZN7rocprim17ROCPRIM_400000_NS6detail17trampoline_kernelINS0_14default_configENS1_20scan_config_selectorIN3c108BFloat16EEEZZNS1_9scan_implILNS1_25lookback_scan_determinismE0ELb0ELb0ES3_PKS6_PS6_S6_ZZZN2at6native31launch_logcumsumexp_cuda_kernelERKNSD_10TensorBaseESH_lENKUlvE_clEvENKUlvE4_clEvEUlS6_S6_E_S6_EEDaPvRmT3_T4_T5_mT6_P12ihipStream_tbENKUlT_T0_E_clISt17integral_constantIbLb0EESY_EEDaST_SU_EUlST_E0_NS1_11comp_targetILNS1_3genE9ELNS1_11target_archE1100ELNS1_3gpuE3ELNS1_3repE0EEENS1_30default_config_static_selectorELNS0_4arch9wavefront6targetE1EEEvT1_: ; @_ZN7rocprim17ROCPRIM_400000_NS6detail17trampoline_kernelINS0_14default_configENS1_20scan_config_selectorIN3c108BFloat16EEEZZNS1_9scan_implILNS1_25lookback_scan_determinismE0ELb0ELb0ES3_PKS6_PS6_S6_ZZZN2at6native31launch_logcumsumexp_cuda_kernelERKNSD_10TensorBaseESH_lENKUlvE_clEvENKUlvE4_clEvEUlS6_S6_E_S6_EEDaPvRmT3_T4_T5_mT6_P12ihipStream_tbENKUlT_T0_E_clISt17integral_constantIbLb0EESY_EEDaST_SU_EUlST_E0_NS1_11comp_targetILNS1_3genE9ELNS1_11target_archE1100ELNS1_3gpuE3ELNS1_3repE0EEENS1_30default_config_static_selectorELNS0_4arch9wavefront6targetE1EEEvT1_
; %bb.0:
	.section	.rodata,"a",@progbits
	.p2align	6, 0x0
	.amdhsa_kernel _ZN7rocprim17ROCPRIM_400000_NS6detail17trampoline_kernelINS0_14default_configENS1_20scan_config_selectorIN3c108BFloat16EEEZZNS1_9scan_implILNS1_25lookback_scan_determinismE0ELb0ELb0ES3_PKS6_PS6_S6_ZZZN2at6native31launch_logcumsumexp_cuda_kernelERKNSD_10TensorBaseESH_lENKUlvE_clEvENKUlvE4_clEvEUlS6_S6_E_S6_EEDaPvRmT3_T4_T5_mT6_P12ihipStream_tbENKUlT_T0_E_clISt17integral_constantIbLb0EESY_EEDaST_SU_EUlST_E0_NS1_11comp_targetILNS1_3genE9ELNS1_11target_archE1100ELNS1_3gpuE3ELNS1_3repE0EEENS1_30default_config_static_selectorELNS0_4arch9wavefront6targetE1EEEvT1_
		.amdhsa_group_segment_fixed_size 0
		.amdhsa_private_segment_fixed_size 0
		.amdhsa_kernarg_size 32
		.amdhsa_user_sgpr_count 2
		.amdhsa_user_sgpr_dispatch_ptr 0
		.amdhsa_user_sgpr_queue_ptr 0
		.amdhsa_user_sgpr_kernarg_segment_ptr 1
		.amdhsa_user_sgpr_dispatch_id 0
		.amdhsa_user_sgpr_kernarg_preload_length 0
		.amdhsa_user_sgpr_kernarg_preload_offset 0
		.amdhsa_user_sgpr_private_segment_size 0
		.amdhsa_uses_dynamic_stack 0
		.amdhsa_enable_private_segment 0
		.amdhsa_system_sgpr_workgroup_id_x 1
		.amdhsa_system_sgpr_workgroup_id_y 0
		.amdhsa_system_sgpr_workgroup_id_z 0
		.amdhsa_system_sgpr_workgroup_info 0
		.amdhsa_system_vgpr_workitem_id 0
		.amdhsa_next_free_vgpr 1
		.amdhsa_next_free_sgpr 0
		.amdhsa_accum_offset 4
		.amdhsa_reserve_vcc 0
		.amdhsa_float_round_mode_32 0
		.amdhsa_float_round_mode_16_64 0
		.amdhsa_float_denorm_mode_32 3
		.amdhsa_float_denorm_mode_16_64 3
		.amdhsa_dx10_clamp 1
		.amdhsa_ieee_mode 1
		.amdhsa_fp16_overflow 0
		.amdhsa_tg_split 0
		.amdhsa_exception_fp_ieee_invalid_op 0
		.amdhsa_exception_fp_denorm_src 0
		.amdhsa_exception_fp_ieee_div_zero 0
		.amdhsa_exception_fp_ieee_overflow 0
		.amdhsa_exception_fp_ieee_underflow 0
		.amdhsa_exception_fp_ieee_inexact 0
		.amdhsa_exception_int_div_zero 0
	.end_amdhsa_kernel
	.section	.text._ZN7rocprim17ROCPRIM_400000_NS6detail17trampoline_kernelINS0_14default_configENS1_20scan_config_selectorIN3c108BFloat16EEEZZNS1_9scan_implILNS1_25lookback_scan_determinismE0ELb0ELb0ES3_PKS6_PS6_S6_ZZZN2at6native31launch_logcumsumexp_cuda_kernelERKNSD_10TensorBaseESH_lENKUlvE_clEvENKUlvE4_clEvEUlS6_S6_E_S6_EEDaPvRmT3_T4_T5_mT6_P12ihipStream_tbENKUlT_T0_E_clISt17integral_constantIbLb0EESY_EEDaST_SU_EUlST_E0_NS1_11comp_targetILNS1_3genE9ELNS1_11target_archE1100ELNS1_3gpuE3ELNS1_3repE0EEENS1_30default_config_static_selectorELNS0_4arch9wavefront6targetE1EEEvT1_,"axG",@progbits,_ZN7rocprim17ROCPRIM_400000_NS6detail17trampoline_kernelINS0_14default_configENS1_20scan_config_selectorIN3c108BFloat16EEEZZNS1_9scan_implILNS1_25lookback_scan_determinismE0ELb0ELb0ES3_PKS6_PS6_S6_ZZZN2at6native31launch_logcumsumexp_cuda_kernelERKNSD_10TensorBaseESH_lENKUlvE_clEvENKUlvE4_clEvEUlS6_S6_E_S6_EEDaPvRmT3_T4_T5_mT6_P12ihipStream_tbENKUlT_T0_E_clISt17integral_constantIbLb0EESY_EEDaST_SU_EUlST_E0_NS1_11comp_targetILNS1_3genE9ELNS1_11target_archE1100ELNS1_3gpuE3ELNS1_3repE0EEENS1_30default_config_static_selectorELNS0_4arch9wavefront6targetE1EEEvT1_,comdat
.Lfunc_end475:
	.size	_ZN7rocprim17ROCPRIM_400000_NS6detail17trampoline_kernelINS0_14default_configENS1_20scan_config_selectorIN3c108BFloat16EEEZZNS1_9scan_implILNS1_25lookback_scan_determinismE0ELb0ELb0ES3_PKS6_PS6_S6_ZZZN2at6native31launch_logcumsumexp_cuda_kernelERKNSD_10TensorBaseESH_lENKUlvE_clEvENKUlvE4_clEvEUlS6_S6_E_S6_EEDaPvRmT3_T4_T5_mT6_P12ihipStream_tbENKUlT_T0_E_clISt17integral_constantIbLb0EESY_EEDaST_SU_EUlST_E0_NS1_11comp_targetILNS1_3genE9ELNS1_11target_archE1100ELNS1_3gpuE3ELNS1_3repE0EEENS1_30default_config_static_selectorELNS0_4arch9wavefront6targetE1EEEvT1_, .Lfunc_end475-_ZN7rocprim17ROCPRIM_400000_NS6detail17trampoline_kernelINS0_14default_configENS1_20scan_config_selectorIN3c108BFloat16EEEZZNS1_9scan_implILNS1_25lookback_scan_determinismE0ELb0ELb0ES3_PKS6_PS6_S6_ZZZN2at6native31launch_logcumsumexp_cuda_kernelERKNSD_10TensorBaseESH_lENKUlvE_clEvENKUlvE4_clEvEUlS6_S6_E_S6_EEDaPvRmT3_T4_T5_mT6_P12ihipStream_tbENKUlT_T0_E_clISt17integral_constantIbLb0EESY_EEDaST_SU_EUlST_E0_NS1_11comp_targetILNS1_3genE9ELNS1_11target_archE1100ELNS1_3gpuE3ELNS1_3repE0EEENS1_30default_config_static_selectorELNS0_4arch9wavefront6targetE1EEEvT1_
                                        ; -- End function
	.section	.AMDGPU.csdata,"",@progbits
; Kernel info:
; codeLenInByte = 0
; NumSgprs: 6
; NumVgprs: 0
; NumAgprs: 0
; TotalNumVgprs: 0
; ScratchSize: 0
; MemoryBound: 0
; FloatMode: 240
; IeeeMode: 1
; LDSByteSize: 0 bytes/workgroup (compile time only)
; SGPRBlocks: 0
; VGPRBlocks: 0
; NumSGPRsForWavesPerEU: 6
; NumVGPRsForWavesPerEU: 1
; AccumOffset: 4
; Occupancy: 8
; WaveLimiterHint : 0
; COMPUTE_PGM_RSRC2:SCRATCH_EN: 0
; COMPUTE_PGM_RSRC2:USER_SGPR: 2
; COMPUTE_PGM_RSRC2:TRAP_HANDLER: 0
; COMPUTE_PGM_RSRC2:TGID_X_EN: 1
; COMPUTE_PGM_RSRC2:TGID_Y_EN: 0
; COMPUTE_PGM_RSRC2:TGID_Z_EN: 0
; COMPUTE_PGM_RSRC2:TIDIG_COMP_CNT: 0
; COMPUTE_PGM_RSRC3_GFX90A:ACCUM_OFFSET: 0
; COMPUTE_PGM_RSRC3_GFX90A:TG_SPLIT: 0
	.section	.text._ZN7rocprim17ROCPRIM_400000_NS6detail17trampoline_kernelINS0_14default_configENS1_20scan_config_selectorIN3c108BFloat16EEEZZNS1_9scan_implILNS1_25lookback_scan_determinismE0ELb0ELb0ES3_PKS6_PS6_S6_ZZZN2at6native31launch_logcumsumexp_cuda_kernelERKNSD_10TensorBaseESH_lENKUlvE_clEvENKUlvE4_clEvEUlS6_S6_E_S6_EEDaPvRmT3_T4_T5_mT6_P12ihipStream_tbENKUlT_T0_E_clISt17integral_constantIbLb0EESY_EEDaST_SU_EUlST_E0_NS1_11comp_targetILNS1_3genE8ELNS1_11target_archE1030ELNS1_3gpuE2ELNS1_3repE0EEENS1_30default_config_static_selectorELNS0_4arch9wavefront6targetE1EEEvT1_,"axG",@progbits,_ZN7rocprim17ROCPRIM_400000_NS6detail17trampoline_kernelINS0_14default_configENS1_20scan_config_selectorIN3c108BFloat16EEEZZNS1_9scan_implILNS1_25lookback_scan_determinismE0ELb0ELb0ES3_PKS6_PS6_S6_ZZZN2at6native31launch_logcumsumexp_cuda_kernelERKNSD_10TensorBaseESH_lENKUlvE_clEvENKUlvE4_clEvEUlS6_S6_E_S6_EEDaPvRmT3_T4_T5_mT6_P12ihipStream_tbENKUlT_T0_E_clISt17integral_constantIbLb0EESY_EEDaST_SU_EUlST_E0_NS1_11comp_targetILNS1_3genE8ELNS1_11target_archE1030ELNS1_3gpuE2ELNS1_3repE0EEENS1_30default_config_static_selectorELNS0_4arch9wavefront6targetE1EEEvT1_,comdat
	.globl	_ZN7rocprim17ROCPRIM_400000_NS6detail17trampoline_kernelINS0_14default_configENS1_20scan_config_selectorIN3c108BFloat16EEEZZNS1_9scan_implILNS1_25lookback_scan_determinismE0ELb0ELb0ES3_PKS6_PS6_S6_ZZZN2at6native31launch_logcumsumexp_cuda_kernelERKNSD_10TensorBaseESH_lENKUlvE_clEvENKUlvE4_clEvEUlS6_S6_E_S6_EEDaPvRmT3_T4_T5_mT6_P12ihipStream_tbENKUlT_T0_E_clISt17integral_constantIbLb0EESY_EEDaST_SU_EUlST_E0_NS1_11comp_targetILNS1_3genE8ELNS1_11target_archE1030ELNS1_3gpuE2ELNS1_3repE0EEENS1_30default_config_static_selectorELNS0_4arch9wavefront6targetE1EEEvT1_ ; -- Begin function _ZN7rocprim17ROCPRIM_400000_NS6detail17trampoline_kernelINS0_14default_configENS1_20scan_config_selectorIN3c108BFloat16EEEZZNS1_9scan_implILNS1_25lookback_scan_determinismE0ELb0ELb0ES3_PKS6_PS6_S6_ZZZN2at6native31launch_logcumsumexp_cuda_kernelERKNSD_10TensorBaseESH_lENKUlvE_clEvENKUlvE4_clEvEUlS6_S6_E_S6_EEDaPvRmT3_T4_T5_mT6_P12ihipStream_tbENKUlT_T0_E_clISt17integral_constantIbLb0EESY_EEDaST_SU_EUlST_E0_NS1_11comp_targetILNS1_3genE8ELNS1_11target_archE1030ELNS1_3gpuE2ELNS1_3repE0EEENS1_30default_config_static_selectorELNS0_4arch9wavefront6targetE1EEEvT1_
	.p2align	8
	.type	_ZN7rocprim17ROCPRIM_400000_NS6detail17trampoline_kernelINS0_14default_configENS1_20scan_config_selectorIN3c108BFloat16EEEZZNS1_9scan_implILNS1_25lookback_scan_determinismE0ELb0ELb0ES3_PKS6_PS6_S6_ZZZN2at6native31launch_logcumsumexp_cuda_kernelERKNSD_10TensorBaseESH_lENKUlvE_clEvENKUlvE4_clEvEUlS6_S6_E_S6_EEDaPvRmT3_T4_T5_mT6_P12ihipStream_tbENKUlT_T0_E_clISt17integral_constantIbLb0EESY_EEDaST_SU_EUlST_E0_NS1_11comp_targetILNS1_3genE8ELNS1_11target_archE1030ELNS1_3gpuE2ELNS1_3repE0EEENS1_30default_config_static_selectorELNS0_4arch9wavefront6targetE1EEEvT1_,@function
_ZN7rocprim17ROCPRIM_400000_NS6detail17trampoline_kernelINS0_14default_configENS1_20scan_config_selectorIN3c108BFloat16EEEZZNS1_9scan_implILNS1_25lookback_scan_determinismE0ELb0ELb0ES3_PKS6_PS6_S6_ZZZN2at6native31launch_logcumsumexp_cuda_kernelERKNSD_10TensorBaseESH_lENKUlvE_clEvENKUlvE4_clEvEUlS6_S6_E_S6_EEDaPvRmT3_T4_T5_mT6_P12ihipStream_tbENKUlT_T0_E_clISt17integral_constantIbLb0EESY_EEDaST_SU_EUlST_E0_NS1_11comp_targetILNS1_3genE8ELNS1_11target_archE1030ELNS1_3gpuE2ELNS1_3repE0EEENS1_30default_config_static_selectorELNS0_4arch9wavefront6targetE1EEEvT1_: ; @_ZN7rocprim17ROCPRIM_400000_NS6detail17trampoline_kernelINS0_14default_configENS1_20scan_config_selectorIN3c108BFloat16EEEZZNS1_9scan_implILNS1_25lookback_scan_determinismE0ELb0ELb0ES3_PKS6_PS6_S6_ZZZN2at6native31launch_logcumsumexp_cuda_kernelERKNSD_10TensorBaseESH_lENKUlvE_clEvENKUlvE4_clEvEUlS6_S6_E_S6_EEDaPvRmT3_T4_T5_mT6_P12ihipStream_tbENKUlT_T0_E_clISt17integral_constantIbLb0EESY_EEDaST_SU_EUlST_E0_NS1_11comp_targetILNS1_3genE8ELNS1_11target_archE1030ELNS1_3gpuE2ELNS1_3repE0EEENS1_30default_config_static_selectorELNS0_4arch9wavefront6targetE1EEEvT1_
; %bb.0:
	.section	.rodata,"a",@progbits
	.p2align	6, 0x0
	.amdhsa_kernel _ZN7rocprim17ROCPRIM_400000_NS6detail17trampoline_kernelINS0_14default_configENS1_20scan_config_selectorIN3c108BFloat16EEEZZNS1_9scan_implILNS1_25lookback_scan_determinismE0ELb0ELb0ES3_PKS6_PS6_S6_ZZZN2at6native31launch_logcumsumexp_cuda_kernelERKNSD_10TensorBaseESH_lENKUlvE_clEvENKUlvE4_clEvEUlS6_S6_E_S6_EEDaPvRmT3_T4_T5_mT6_P12ihipStream_tbENKUlT_T0_E_clISt17integral_constantIbLb0EESY_EEDaST_SU_EUlST_E0_NS1_11comp_targetILNS1_3genE8ELNS1_11target_archE1030ELNS1_3gpuE2ELNS1_3repE0EEENS1_30default_config_static_selectorELNS0_4arch9wavefront6targetE1EEEvT1_
		.amdhsa_group_segment_fixed_size 0
		.amdhsa_private_segment_fixed_size 0
		.amdhsa_kernarg_size 32
		.amdhsa_user_sgpr_count 2
		.amdhsa_user_sgpr_dispatch_ptr 0
		.amdhsa_user_sgpr_queue_ptr 0
		.amdhsa_user_sgpr_kernarg_segment_ptr 1
		.amdhsa_user_sgpr_dispatch_id 0
		.amdhsa_user_sgpr_kernarg_preload_length 0
		.amdhsa_user_sgpr_kernarg_preload_offset 0
		.amdhsa_user_sgpr_private_segment_size 0
		.amdhsa_uses_dynamic_stack 0
		.amdhsa_enable_private_segment 0
		.amdhsa_system_sgpr_workgroup_id_x 1
		.amdhsa_system_sgpr_workgroup_id_y 0
		.amdhsa_system_sgpr_workgroup_id_z 0
		.amdhsa_system_sgpr_workgroup_info 0
		.amdhsa_system_vgpr_workitem_id 0
		.amdhsa_next_free_vgpr 1
		.amdhsa_next_free_sgpr 0
		.amdhsa_accum_offset 4
		.amdhsa_reserve_vcc 0
		.amdhsa_float_round_mode_32 0
		.amdhsa_float_round_mode_16_64 0
		.amdhsa_float_denorm_mode_32 3
		.amdhsa_float_denorm_mode_16_64 3
		.amdhsa_dx10_clamp 1
		.amdhsa_ieee_mode 1
		.amdhsa_fp16_overflow 0
		.amdhsa_tg_split 0
		.amdhsa_exception_fp_ieee_invalid_op 0
		.amdhsa_exception_fp_denorm_src 0
		.amdhsa_exception_fp_ieee_div_zero 0
		.amdhsa_exception_fp_ieee_overflow 0
		.amdhsa_exception_fp_ieee_underflow 0
		.amdhsa_exception_fp_ieee_inexact 0
		.amdhsa_exception_int_div_zero 0
	.end_amdhsa_kernel
	.section	.text._ZN7rocprim17ROCPRIM_400000_NS6detail17trampoline_kernelINS0_14default_configENS1_20scan_config_selectorIN3c108BFloat16EEEZZNS1_9scan_implILNS1_25lookback_scan_determinismE0ELb0ELb0ES3_PKS6_PS6_S6_ZZZN2at6native31launch_logcumsumexp_cuda_kernelERKNSD_10TensorBaseESH_lENKUlvE_clEvENKUlvE4_clEvEUlS6_S6_E_S6_EEDaPvRmT3_T4_T5_mT6_P12ihipStream_tbENKUlT_T0_E_clISt17integral_constantIbLb0EESY_EEDaST_SU_EUlST_E0_NS1_11comp_targetILNS1_3genE8ELNS1_11target_archE1030ELNS1_3gpuE2ELNS1_3repE0EEENS1_30default_config_static_selectorELNS0_4arch9wavefront6targetE1EEEvT1_,"axG",@progbits,_ZN7rocprim17ROCPRIM_400000_NS6detail17trampoline_kernelINS0_14default_configENS1_20scan_config_selectorIN3c108BFloat16EEEZZNS1_9scan_implILNS1_25lookback_scan_determinismE0ELb0ELb0ES3_PKS6_PS6_S6_ZZZN2at6native31launch_logcumsumexp_cuda_kernelERKNSD_10TensorBaseESH_lENKUlvE_clEvENKUlvE4_clEvEUlS6_S6_E_S6_EEDaPvRmT3_T4_T5_mT6_P12ihipStream_tbENKUlT_T0_E_clISt17integral_constantIbLb0EESY_EEDaST_SU_EUlST_E0_NS1_11comp_targetILNS1_3genE8ELNS1_11target_archE1030ELNS1_3gpuE2ELNS1_3repE0EEENS1_30default_config_static_selectorELNS0_4arch9wavefront6targetE1EEEvT1_,comdat
.Lfunc_end476:
	.size	_ZN7rocprim17ROCPRIM_400000_NS6detail17trampoline_kernelINS0_14default_configENS1_20scan_config_selectorIN3c108BFloat16EEEZZNS1_9scan_implILNS1_25lookback_scan_determinismE0ELb0ELb0ES3_PKS6_PS6_S6_ZZZN2at6native31launch_logcumsumexp_cuda_kernelERKNSD_10TensorBaseESH_lENKUlvE_clEvENKUlvE4_clEvEUlS6_S6_E_S6_EEDaPvRmT3_T4_T5_mT6_P12ihipStream_tbENKUlT_T0_E_clISt17integral_constantIbLb0EESY_EEDaST_SU_EUlST_E0_NS1_11comp_targetILNS1_3genE8ELNS1_11target_archE1030ELNS1_3gpuE2ELNS1_3repE0EEENS1_30default_config_static_selectorELNS0_4arch9wavefront6targetE1EEEvT1_, .Lfunc_end476-_ZN7rocprim17ROCPRIM_400000_NS6detail17trampoline_kernelINS0_14default_configENS1_20scan_config_selectorIN3c108BFloat16EEEZZNS1_9scan_implILNS1_25lookback_scan_determinismE0ELb0ELb0ES3_PKS6_PS6_S6_ZZZN2at6native31launch_logcumsumexp_cuda_kernelERKNSD_10TensorBaseESH_lENKUlvE_clEvENKUlvE4_clEvEUlS6_S6_E_S6_EEDaPvRmT3_T4_T5_mT6_P12ihipStream_tbENKUlT_T0_E_clISt17integral_constantIbLb0EESY_EEDaST_SU_EUlST_E0_NS1_11comp_targetILNS1_3genE8ELNS1_11target_archE1030ELNS1_3gpuE2ELNS1_3repE0EEENS1_30default_config_static_selectorELNS0_4arch9wavefront6targetE1EEEvT1_
                                        ; -- End function
	.section	.AMDGPU.csdata,"",@progbits
; Kernel info:
; codeLenInByte = 0
; NumSgprs: 6
; NumVgprs: 0
; NumAgprs: 0
; TotalNumVgprs: 0
; ScratchSize: 0
; MemoryBound: 0
; FloatMode: 240
; IeeeMode: 1
; LDSByteSize: 0 bytes/workgroup (compile time only)
; SGPRBlocks: 0
; VGPRBlocks: 0
; NumSGPRsForWavesPerEU: 6
; NumVGPRsForWavesPerEU: 1
; AccumOffset: 4
; Occupancy: 8
; WaveLimiterHint : 0
; COMPUTE_PGM_RSRC2:SCRATCH_EN: 0
; COMPUTE_PGM_RSRC2:USER_SGPR: 2
; COMPUTE_PGM_RSRC2:TRAP_HANDLER: 0
; COMPUTE_PGM_RSRC2:TGID_X_EN: 1
; COMPUTE_PGM_RSRC2:TGID_Y_EN: 0
; COMPUTE_PGM_RSRC2:TGID_Z_EN: 0
; COMPUTE_PGM_RSRC2:TIDIG_COMP_CNT: 0
; COMPUTE_PGM_RSRC3_GFX90A:ACCUM_OFFSET: 0
; COMPUTE_PGM_RSRC3_GFX90A:TG_SPLIT: 0
	.section	.text._ZN7rocprim17ROCPRIM_400000_NS6detail31init_lookback_scan_state_kernelINS1_19lookback_scan_stateIN3c108BFloat16ELb1ELb1EEENS1_16block_id_wrapperIjLb1EEEEEvT_jT0_jPNS9_10value_typeE,"axG",@progbits,_ZN7rocprim17ROCPRIM_400000_NS6detail31init_lookback_scan_state_kernelINS1_19lookback_scan_stateIN3c108BFloat16ELb1ELb1EEENS1_16block_id_wrapperIjLb1EEEEEvT_jT0_jPNS9_10value_typeE,comdat
	.protected	_ZN7rocprim17ROCPRIM_400000_NS6detail31init_lookback_scan_state_kernelINS1_19lookback_scan_stateIN3c108BFloat16ELb1ELb1EEENS1_16block_id_wrapperIjLb1EEEEEvT_jT0_jPNS9_10value_typeE ; -- Begin function _ZN7rocprim17ROCPRIM_400000_NS6detail31init_lookback_scan_state_kernelINS1_19lookback_scan_stateIN3c108BFloat16ELb1ELb1EEENS1_16block_id_wrapperIjLb1EEEEEvT_jT0_jPNS9_10value_typeE
	.globl	_ZN7rocprim17ROCPRIM_400000_NS6detail31init_lookback_scan_state_kernelINS1_19lookback_scan_stateIN3c108BFloat16ELb1ELb1EEENS1_16block_id_wrapperIjLb1EEEEEvT_jT0_jPNS9_10value_typeE
	.p2align	8
	.type	_ZN7rocprim17ROCPRIM_400000_NS6detail31init_lookback_scan_state_kernelINS1_19lookback_scan_stateIN3c108BFloat16ELb1ELb1EEENS1_16block_id_wrapperIjLb1EEEEEvT_jT0_jPNS9_10value_typeE,@function
_ZN7rocprim17ROCPRIM_400000_NS6detail31init_lookback_scan_state_kernelINS1_19lookback_scan_stateIN3c108BFloat16ELb1ELb1EEENS1_16block_id_wrapperIjLb1EEEEEvT_jT0_jPNS9_10value_typeE: ; @_ZN7rocprim17ROCPRIM_400000_NS6detail31init_lookback_scan_state_kernelINS1_19lookback_scan_stateIN3c108BFloat16ELb1ELb1EEENS1_16block_id_wrapperIjLb1EEEEEvT_jT0_jPNS9_10value_typeE
; %bb.0:
	s_load_dword s3, s[0:1], 0x34
	s_load_dwordx2 s[6:7], s[0:1], 0x20
	s_load_dwordx2 s[4:5], s[0:1], 0x0
	s_load_dword s10, s[0:1], 0x8
	s_waitcnt lgkmcnt(0)
	s_and_b32 s3, s3, 0xffff
	s_mul_i32 s2, s2, s3
	s_cmp_eq_u64 s[6:7], 0
	v_add_u32_e32 v0, s2, v0
	s_cbranch_scc1 .LBB477_9
; %bb.1:
	s_load_dword s8, s[0:1], 0x18
	s_mov_b32 s9, 0
	s_waitcnt lgkmcnt(0)
	s_cmp_lt_u32 s8, s10
	s_cselect_b32 s2, s8, 0
	v_cmp_eq_u32_e32 vcc, s2, v0
	s_and_saveexec_b64 s[2:3], vcc
	s_cbranch_execz .LBB477_8
; %bb.2:
	s_add_i32 s8, s8, 64
	s_lshl_b64 s[8:9], s[8:9], 2
	s_add_u32 s8, s4, s8
	s_addc_u32 s9, s5, s9
	v_mov_b32_e32 v1, 0
	global_load_dword v2, v1, s[8:9] sc1
	s_waitcnt vmcnt(0)
	v_and_b32_e32 v3, 0xff0000, v2
	v_cmp_ne_u32_e32 vcc, 0, v3
	s_cbranch_vccnz .LBB477_7
; %bb.3:
	s_mov_b32 s11, 1
.LBB477_4:                              ; =>This Loop Header: Depth=1
                                        ;     Child Loop BB477_5 Depth 2
	s_max_u32 s12, s11, 1
.LBB477_5:                              ;   Parent Loop BB477_4 Depth=1
                                        ; =>  This Inner Loop Header: Depth=2
	s_add_i32 s12, s12, -1
	s_cmp_eq_u32 s12, 0
	s_sleep 1
	s_cbranch_scc0 .LBB477_5
; %bb.6:                                ;   in Loop: Header=BB477_4 Depth=1
	global_load_dword v2, v1, s[8:9] sc1
	s_cmp_lt_u32 s11, 32
	s_cselect_b64 s[12:13], -1, 0
	s_cmp_lg_u64 s[12:13], 0
	s_addc_u32 s11, s11, 0
	s_waitcnt vmcnt(0)
	v_and_b32_e32 v3, 0xff0000, v2
	v_cmp_ne_u32_e32 vcc, 0, v3
	s_cbranch_vccz .LBB477_4
.LBB477_7:
	v_mov_b32_e32 v1, 0
	global_store_short v1, v2, s[6:7]
.LBB477_8:
	s_or_b64 exec, exec, s[2:3]
.LBB477_9:
	v_cmp_eq_u32_e32 vcc, 0, v0
	s_and_saveexec_b64 s[2:3], vcc
	s_cbranch_execnz .LBB477_13
; %bb.10:
	s_or_b64 exec, exec, s[2:3]
	v_cmp_gt_u32_e32 vcc, s10, v0
	s_and_saveexec_b64 s[0:1], vcc
	s_cbranch_execnz .LBB477_14
.LBB477_11:
	s_or_b64 exec, exec, s[0:1]
	v_cmp_gt_u32_e32 vcc, 64, v0
	s_and_saveexec_b64 s[0:1], vcc
	s_cbranch_execnz .LBB477_15
.LBB477_12:
	s_endpgm
.LBB477_13:
	s_load_dwordx2 s[0:1], s[0:1], 0x10
	v_mov_b32_e32 v1, 0
	s_waitcnt lgkmcnt(0)
	global_store_dword v1, v1, s[0:1]
	s_or_b64 exec, exec, s[2:3]
	v_cmp_gt_u32_e32 vcc, s10, v0
	s_and_saveexec_b64 s[0:1], vcc
	s_cbranch_execz .LBB477_11
.LBB477_14:
	v_add_u32_e32 v2, 64, v0
	v_mov_b32_e32 v3, 0
	v_lshl_add_u64 v[4:5], v[2:3], 2, s[4:5]
	global_store_dword v[4:5], v3, off
	s_or_b64 exec, exec, s[0:1]
	v_cmp_gt_u32_e32 vcc, 64, v0
	s_and_saveexec_b64 s[0:1], vcc
	s_cbranch_execz .LBB477_12
.LBB477_15:
	v_mov_b32_e32 v1, 0
	v_lshl_add_u64 v[0:1], v[0:1], 2, s[4:5]
	v_mov_b32_e32 v2, 0xff0000
	global_store_dword v[0:1], v2, off
	s_endpgm
	.section	.rodata,"a",@progbits
	.p2align	6, 0x0
	.amdhsa_kernel _ZN7rocprim17ROCPRIM_400000_NS6detail31init_lookback_scan_state_kernelINS1_19lookback_scan_stateIN3c108BFloat16ELb1ELb1EEENS1_16block_id_wrapperIjLb1EEEEEvT_jT0_jPNS9_10value_typeE
		.amdhsa_group_segment_fixed_size 0
		.amdhsa_private_segment_fixed_size 0
		.amdhsa_kernarg_size 296
		.amdhsa_user_sgpr_count 2
		.amdhsa_user_sgpr_dispatch_ptr 0
		.amdhsa_user_sgpr_queue_ptr 0
		.amdhsa_user_sgpr_kernarg_segment_ptr 1
		.amdhsa_user_sgpr_dispatch_id 0
		.amdhsa_user_sgpr_kernarg_preload_length 0
		.amdhsa_user_sgpr_kernarg_preload_offset 0
		.amdhsa_user_sgpr_private_segment_size 0
		.amdhsa_uses_dynamic_stack 0
		.amdhsa_enable_private_segment 0
		.amdhsa_system_sgpr_workgroup_id_x 1
		.amdhsa_system_sgpr_workgroup_id_y 0
		.amdhsa_system_sgpr_workgroup_id_z 0
		.amdhsa_system_sgpr_workgroup_info 0
		.amdhsa_system_vgpr_workitem_id 0
		.amdhsa_next_free_vgpr 6
		.amdhsa_next_free_sgpr 14
		.amdhsa_accum_offset 8
		.amdhsa_reserve_vcc 1
		.amdhsa_float_round_mode_32 0
		.amdhsa_float_round_mode_16_64 0
		.amdhsa_float_denorm_mode_32 3
		.amdhsa_float_denorm_mode_16_64 3
		.amdhsa_dx10_clamp 1
		.amdhsa_ieee_mode 1
		.amdhsa_fp16_overflow 0
		.amdhsa_tg_split 0
		.amdhsa_exception_fp_ieee_invalid_op 0
		.amdhsa_exception_fp_denorm_src 0
		.amdhsa_exception_fp_ieee_div_zero 0
		.amdhsa_exception_fp_ieee_overflow 0
		.amdhsa_exception_fp_ieee_underflow 0
		.amdhsa_exception_fp_ieee_inexact 0
		.amdhsa_exception_int_div_zero 0
	.end_amdhsa_kernel
	.section	.text._ZN7rocprim17ROCPRIM_400000_NS6detail31init_lookback_scan_state_kernelINS1_19lookback_scan_stateIN3c108BFloat16ELb1ELb1EEENS1_16block_id_wrapperIjLb1EEEEEvT_jT0_jPNS9_10value_typeE,"axG",@progbits,_ZN7rocprim17ROCPRIM_400000_NS6detail31init_lookback_scan_state_kernelINS1_19lookback_scan_stateIN3c108BFloat16ELb1ELb1EEENS1_16block_id_wrapperIjLb1EEEEEvT_jT0_jPNS9_10value_typeE,comdat
.Lfunc_end477:
	.size	_ZN7rocprim17ROCPRIM_400000_NS6detail31init_lookback_scan_state_kernelINS1_19lookback_scan_stateIN3c108BFloat16ELb1ELb1EEENS1_16block_id_wrapperIjLb1EEEEEvT_jT0_jPNS9_10value_typeE, .Lfunc_end477-_ZN7rocprim17ROCPRIM_400000_NS6detail31init_lookback_scan_state_kernelINS1_19lookback_scan_stateIN3c108BFloat16ELb1ELb1EEENS1_16block_id_wrapperIjLb1EEEEEvT_jT0_jPNS9_10value_typeE
                                        ; -- End function
	.section	.AMDGPU.csdata,"",@progbits
; Kernel info:
; codeLenInByte = 388
; NumSgprs: 20
; NumVgprs: 6
; NumAgprs: 0
; TotalNumVgprs: 6
; ScratchSize: 0
; MemoryBound: 0
; FloatMode: 240
; IeeeMode: 1
; LDSByteSize: 0 bytes/workgroup (compile time only)
; SGPRBlocks: 2
; VGPRBlocks: 0
; NumSGPRsForWavesPerEU: 20
; NumVGPRsForWavesPerEU: 6
; AccumOffset: 8
; Occupancy: 8
; WaveLimiterHint : 0
; COMPUTE_PGM_RSRC2:SCRATCH_EN: 0
; COMPUTE_PGM_RSRC2:USER_SGPR: 2
; COMPUTE_PGM_RSRC2:TRAP_HANDLER: 0
; COMPUTE_PGM_RSRC2:TGID_X_EN: 1
; COMPUTE_PGM_RSRC2:TGID_Y_EN: 0
; COMPUTE_PGM_RSRC2:TGID_Z_EN: 0
; COMPUTE_PGM_RSRC2:TIDIG_COMP_CNT: 0
; COMPUTE_PGM_RSRC3_GFX90A:ACCUM_OFFSET: 1
; COMPUTE_PGM_RSRC3_GFX90A:TG_SPLIT: 0
	.section	.text._ZN7rocprim17ROCPRIM_400000_NS6detail17trampoline_kernelINS0_14default_configENS1_20scan_config_selectorIN3c108BFloat16EEEZZNS1_9scan_implILNS1_25lookback_scan_determinismE0ELb0ELb0ES3_PKS6_PS6_S6_ZZZN2at6native31launch_logcumsumexp_cuda_kernelERKNSD_10TensorBaseESH_lENKUlvE_clEvENKUlvE4_clEvEUlS6_S6_E_S6_EEDaPvRmT3_T4_T5_mT6_P12ihipStream_tbENKUlT_T0_E_clISt17integral_constantIbLb1EESY_EEDaST_SU_EUlST_E_NS1_11comp_targetILNS1_3genE0ELNS1_11target_archE4294967295ELNS1_3gpuE0ELNS1_3repE0EEENS1_30default_config_static_selectorELNS0_4arch9wavefront6targetE1EEEvT1_,"axG",@progbits,_ZN7rocprim17ROCPRIM_400000_NS6detail17trampoline_kernelINS0_14default_configENS1_20scan_config_selectorIN3c108BFloat16EEEZZNS1_9scan_implILNS1_25lookback_scan_determinismE0ELb0ELb0ES3_PKS6_PS6_S6_ZZZN2at6native31launch_logcumsumexp_cuda_kernelERKNSD_10TensorBaseESH_lENKUlvE_clEvENKUlvE4_clEvEUlS6_S6_E_S6_EEDaPvRmT3_T4_T5_mT6_P12ihipStream_tbENKUlT_T0_E_clISt17integral_constantIbLb1EESY_EEDaST_SU_EUlST_E_NS1_11comp_targetILNS1_3genE0ELNS1_11target_archE4294967295ELNS1_3gpuE0ELNS1_3repE0EEENS1_30default_config_static_selectorELNS0_4arch9wavefront6targetE1EEEvT1_,comdat
	.globl	_ZN7rocprim17ROCPRIM_400000_NS6detail17trampoline_kernelINS0_14default_configENS1_20scan_config_selectorIN3c108BFloat16EEEZZNS1_9scan_implILNS1_25lookback_scan_determinismE0ELb0ELb0ES3_PKS6_PS6_S6_ZZZN2at6native31launch_logcumsumexp_cuda_kernelERKNSD_10TensorBaseESH_lENKUlvE_clEvENKUlvE4_clEvEUlS6_S6_E_S6_EEDaPvRmT3_T4_T5_mT6_P12ihipStream_tbENKUlT_T0_E_clISt17integral_constantIbLb1EESY_EEDaST_SU_EUlST_E_NS1_11comp_targetILNS1_3genE0ELNS1_11target_archE4294967295ELNS1_3gpuE0ELNS1_3repE0EEENS1_30default_config_static_selectorELNS0_4arch9wavefront6targetE1EEEvT1_ ; -- Begin function _ZN7rocprim17ROCPRIM_400000_NS6detail17trampoline_kernelINS0_14default_configENS1_20scan_config_selectorIN3c108BFloat16EEEZZNS1_9scan_implILNS1_25lookback_scan_determinismE0ELb0ELb0ES3_PKS6_PS6_S6_ZZZN2at6native31launch_logcumsumexp_cuda_kernelERKNSD_10TensorBaseESH_lENKUlvE_clEvENKUlvE4_clEvEUlS6_S6_E_S6_EEDaPvRmT3_T4_T5_mT6_P12ihipStream_tbENKUlT_T0_E_clISt17integral_constantIbLb1EESY_EEDaST_SU_EUlST_E_NS1_11comp_targetILNS1_3genE0ELNS1_11target_archE4294967295ELNS1_3gpuE0ELNS1_3repE0EEENS1_30default_config_static_selectorELNS0_4arch9wavefront6targetE1EEEvT1_
	.p2align	8
	.type	_ZN7rocprim17ROCPRIM_400000_NS6detail17trampoline_kernelINS0_14default_configENS1_20scan_config_selectorIN3c108BFloat16EEEZZNS1_9scan_implILNS1_25lookback_scan_determinismE0ELb0ELb0ES3_PKS6_PS6_S6_ZZZN2at6native31launch_logcumsumexp_cuda_kernelERKNSD_10TensorBaseESH_lENKUlvE_clEvENKUlvE4_clEvEUlS6_S6_E_S6_EEDaPvRmT3_T4_T5_mT6_P12ihipStream_tbENKUlT_T0_E_clISt17integral_constantIbLb1EESY_EEDaST_SU_EUlST_E_NS1_11comp_targetILNS1_3genE0ELNS1_11target_archE4294967295ELNS1_3gpuE0ELNS1_3repE0EEENS1_30default_config_static_selectorELNS0_4arch9wavefront6targetE1EEEvT1_,@function
_ZN7rocprim17ROCPRIM_400000_NS6detail17trampoline_kernelINS0_14default_configENS1_20scan_config_selectorIN3c108BFloat16EEEZZNS1_9scan_implILNS1_25lookback_scan_determinismE0ELb0ELb0ES3_PKS6_PS6_S6_ZZZN2at6native31launch_logcumsumexp_cuda_kernelERKNSD_10TensorBaseESH_lENKUlvE_clEvENKUlvE4_clEvEUlS6_S6_E_S6_EEDaPvRmT3_T4_T5_mT6_P12ihipStream_tbENKUlT_T0_E_clISt17integral_constantIbLb1EESY_EEDaST_SU_EUlST_E_NS1_11comp_targetILNS1_3genE0ELNS1_11target_archE4294967295ELNS1_3gpuE0ELNS1_3repE0EEENS1_30default_config_static_selectorELNS0_4arch9wavefront6targetE1EEEvT1_: ; @_ZN7rocprim17ROCPRIM_400000_NS6detail17trampoline_kernelINS0_14default_configENS1_20scan_config_selectorIN3c108BFloat16EEEZZNS1_9scan_implILNS1_25lookback_scan_determinismE0ELb0ELb0ES3_PKS6_PS6_S6_ZZZN2at6native31launch_logcumsumexp_cuda_kernelERKNSD_10TensorBaseESH_lENKUlvE_clEvENKUlvE4_clEvEUlS6_S6_E_S6_EEDaPvRmT3_T4_T5_mT6_P12ihipStream_tbENKUlT_T0_E_clISt17integral_constantIbLb1EESY_EEDaST_SU_EUlST_E_NS1_11comp_targetILNS1_3genE0ELNS1_11target_archE4294967295ELNS1_3gpuE0ELNS1_3repE0EEENS1_30default_config_static_selectorELNS0_4arch9wavefront6targetE1EEEvT1_
; %bb.0:
	.section	.rodata,"a",@progbits
	.p2align	6, 0x0
	.amdhsa_kernel _ZN7rocprim17ROCPRIM_400000_NS6detail17trampoline_kernelINS0_14default_configENS1_20scan_config_selectorIN3c108BFloat16EEEZZNS1_9scan_implILNS1_25lookback_scan_determinismE0ELb0ELb0ES3_PKS6_PS6_S6_ZZZN2at6native31launch_logcumsumexp_cuda_kernelERKNSD_10TensorBaseESH_lENKUlvE_clEvENKUlvE4_clEvEUlS6_S6_E_S6_EEDaPvRmT3_T4_T5_mT6_P12ihipStream_tbENKUlT_T0_E_clISt17integral_constantIbLb1EESY_EEDaST_SU_EUlST_E_NS1_11comp_targetILNS1_3genE0ELNS1_11target_archE4294967295ELNS1_3gpuE0ELNS1_3repE0EEENS1_30default_config_static_selectorELNS0_4arch9wavefront6targetE1EEEvT1_
		.amdhsa_group_segment_fixed_size 0
		.amdhsa_private_segment_fixed_size 0
		.amdhsa_kernarg_size 96
		.amdhsa_user_sgpr_count 2
		.amdhsa_user_sgpr_dispatch_ptr 0
		.amdhsa_user_sgpr_queue_ptr 0
		.amdhsa_user_sgpr_kernarg_segment_ptr 1
		.amdhsa_user_sgpr_dispatch_id 0
		.amdhsa_user_sgpr_kernarg_preload_length 0
		.amdhsa_user_sgpr_kernarg_preload_offset 0
		.amdhsa_user_sgpr_private_segment_size 0
		.amdhsa_uses_dynamic_stack 0
		.amdhsa_enable_private_segment 0
		.amdhsa_system_sgpr_workgroup_id_x 1
		.amdhsa_system_sgpr_workgroup_id_y 0
		.amdhsa_system_sgpr_workgroup_id_z 0
		.amdhsa_system_sgpr_workgroup_info 0
		.amdhsa_system_vgpr_workitem_id 0
		.amdhsa_next_free_vgpr 1
		.amdhsa_next_free_sgpr 0
		.amdhsa_accum_offset 4
		.amdhsa_reserve_vcc 0
		.amdhsa_float_round_mode_32 0
		.amdhsa_float_round_mode_16_64 0
		.amdhsa_float_denorm_mode_32 3
		.amdhsa_float_denorm_mode_16_64 3
		.amdhsa_dx10_clamp 1
		.amdhsa_ieee_mode 1
		.amdhsa_fp16_overflow 0
		.amdhsa_tg_split 0
		.amdhsa_exception_fp_ieee_invalid_op 0
		.amdhsa_exception_fp_denorm_src 0
		.amdhsa_exception_fp_ieee_div_zero 0
		.amdhsa_exception_fp_ieee_overflow 0
		.amdhsa_exception_fp_ieee_underflow 0
		.amdhsa_exception_fp_ieee_inexact 0
		.amdhsa_exception_int_div_zero 0
	.end_amdhsa_kernel
	.section	.text._ZN7rocprim17ROCPRIM_400000_NS6detail17trampoline_kernelINS0_14default_configENS1_20scan_config_selectorIN3c108BFloat16EEEZZNS1_9scan_implILNS1_25lookback_scan_determinismE0ELb0ELb0ES3_PKS6_PS6_S6_ZZZN2at6native31launch_logcumsumexp_cuda_kernelERKNSD_10TensorBaseESH_lENKUlvE_clEvENKUlvE4_clEvEUlS6_S6_E_S6_EEDaPvRmT3_T4_T5_mT6_P12ihipStream_tbENKUlT_T0_E_clISt17integral_constantIbLb1EESY_EEDaST_SU_EUlST_E_NS1_11comp_targetILNS1_3genE0ELNS1_11target_archE4294967295ELNS1_3gpuE0ELNS1_3repE0EEENS1_30default_config_static_selectorELNS0_4arch9wavefront6targetE1EEEvT1_,"axG",@progbits,_ZN7rocprim17ROCPRIM_400000_NS6detail17trampoline_kernelINS0_14default_configENS1_20scan_config_selectorIN3c108BFloat16EEEZZNS1_9scan_implILNS1_25lookback_scan_determinismE0ELb0ELb0ES3_PKS6_PS6_S6_ZZZN2at6native31launch_logcumsumexp_cuda_kernelERKNSD_10TensorBaseESH_lENKUlvE_clEvENKUlvE4_clEvEUlS6_S6_E_S6_EEDaPvRmT3_T4_T5_mT6_P12ihipStream_tbENKUlT_T0_E_clISt17integral_constantIbLb1EESY_EEDaST_SU_EUlST_E_NS1_11comp_targetILNS1_3genE0ELNS1_11target_archE4294967295ELNS1_3gpuE0ELNS1_3repE0EEENS1_30default_config_static_selectorELNS0_4arch9wavefront6targetE1EEEvT1_,comdat
.Lfunc_end478:
	.size	_ZN7rocprim17ROCPRIM_400000_NS6detail17trampoline_kernelINS0_14default_configENS1_20scan_config_selectorIN3c108BFloat16EEEZZNS1_9scan_implILNS1_25lookback_scan_determinismE0ELb0ELb0ES3_PKS6_PS6_S6_ZZZN2at6native31launch_logcumsumexp_cuda_kernelERKNSD_10TensorBaseESH_lENKUlvE_clEvENKUlvE4_clEvEUlS6_S6_E_S6_EEDaPvRmT3_T4_T5_mT6_P12ihipStream_tbENKUlT_T0_E_clISt17integral_constantIbLb1EESY_EEDaST_SU_EUlST_E_NS1_11comp_targetILNS1_3genE0ELNS1_11target_archE4294967295ELNS1_3gpuE0ELNS1_3repE0EEENS1_30default_config_static_selectorELNS0_4arch9wavefront6targetE1EEEvT1_, .Lfunc_end478-_ZN7rocprim17ROCPRIM_400000_NS6detail17trampoline_kernelINS0_14default_configENS1_20scan_config_selectorIN3c108BFloat16EEEZZNS1_9scan_implILNS1_25lookback_scan_determinismE0ELb0ELb0ES3_PKS6_PS6_S6_ZZZN2at6native31launch_logcumsumexp_cuda_kernelERKNSD_10TensorBaseESH_lENKUlvE_clEvENKUlvE4_clEvEUlS6_S6_E_S6_EEDaPvRmT3_T4_T5_mT6_P12ihipStream_tbENKUlT_T0_E_clISt17integral_constantIbLb1EESY_EEDaST_SU_EUlST_E_NS1_11comp_targetILNS1_3genE0ELNS1_11target_archE4294967295ELNS1_3gpuE0ELNS1_3repE0EEENS1_30default_config_static_selectorELNS0_4arch9wavefront6targetE1EEEvT1_
                                        ; -- End function
	.section	.AMDGPU.csdata,"",@progbits
; Kernel info:
; codeLenInByte = 0
; NumSgprs: 6
; NumVgprs: 0
; NumAgprs: 0
; TotalNumVgprs: 0
; ScratchSize: 0
; MemoryBound: 0
; FloatMode: 240
; IeeeMode: 1
; LDSByteSize: 0 bytes/workgroup (compile time only)
; SGPRBlocks: 0
; VGPRBlocks: 0
; NumSGPRsForWavesPerEU: 6
; NumVGPRsForWavesPerEU: 1
; AccumOffset: 4
; Occupancy: 8
; WaveLimiterHint : 0
; COMPUTE_PGM_RSRC2:SCRATCH_EN: 0
; COMPUTE_PGM_RSRC2:USER_SGPR: 2
; COMPUTE_PGM_RSRC2:TRAP_HANDLER: 0
; COMPUTE_PGM_RSRC2:TGID_X_EN: 1
; COMPUTE_PGM_RSRC2:TGID_Y_EN: 0
; COMPUTE_PGM_RSRC2:TGID_Z_EN: 0
; COMPUTE_PGM_RSRC2:TIDIG_COMP_CNT: 0
; COMPUTE_PGM_RSRC3_GFX90A:ACCUM_OFFSET: 0
; COMPUTE_PGM_RSRC3_GFX90A:TG_SPLIT: 0
	.text
	.p2align	2                               ; -- Begin function _ZZZN7rocprim17ROCPRIM_400000_NS6detail9scan_implILNS1_25lookback_scan_determinismE0ELb0ELb0ENS0_14default_configEPKN3c108BFloat16EPS6_S6_ZZZN2at6native31launch_logcumsumexp_cuda_kernelERKNSA_10TensorBaseESE_lENKUlvE_clEvENKUlvE4_clEvEUlS6_S6_E_S6_EEDaPvRmT3_T4_T5_mT6_P12ihipStream_tbENKUlT_T0_E_clISt17integral_constantIbLb1EESV_EEDaSQ_SR_ENKUlSQ_E_clINS1_13target_configIS4_NS1_20scan_config_selectorIS6_EENS1_11comp_targetILNS1_3genE5ELNS1_11target_archE942ELNS1_3gpuE9ELNS1_3repE0EEELNS0_4arch9wavefront6targetE1EEEEEDaSQ_
	.type	_ZZZN7rocprim17ROCPRIM_400000_NS6detail9scan_implILNS1_25lookback_scan_determinismE0ELb0ELb0ENS0_14default_configEPKN3c108BFloat16EPS6_S6_ZZZN2at6native31launch_logcumsumexp_cuda_kernelERKNSA_10TensorBaseESE_lENKUlvE_clEvENKUlvE4_clEvEUlS6_S6_E_S6_EEDaPvRmT3_T4_T5_mT6_P12ihipStream_tbENKUlT_T0_E_clISt17integral_constantIbLb1EESV_EEDaSQ_SR_ENKUlSQ_E_clINS1_13target_configIS4_NS1_20scan_config_selectorIS6_EENS1_11comp_targetILNS1_3genE5ELNS1_11target_archE942ELNS1_3gpuE9ELNS1_3repE0EEELNS0_4arch9wavefront6targetE1EEEEEDaSQ_,@function
_ZZZN7rocprim17ROCPRIM_400000_NS6detail9scan_implILNS1_25lookback_scan_determinismE0ELb0ELb0ENS0_14default_configEPKN3c108BFloat16EPS6_S6_ZZZN2at6native31launch_logcumsumexp_cuda_kernelERKNSA_10TensorBaseESE_lENKUlvE_clEvENKUlvE4_clEvEUlS6_S6_E_S6_EEDaPvRmT3_T4_T5_mT6_P12ihipStream_tbENKUlT_T0_E_clISt17integral_constantIbLb1EESV_EEDaSQ_SR_ENKUlSQ_E_clINS1_13target_configIS4_NS1_20scan_config_selectorIS6_EENS1_11comp_targetILNS1_3genE5ELNS1_11target_archE942ELNS1_3gpuE9ELNS1_3repE0EEELNS0_4arch9wavefront6targetE1EEEEEDaSQ_: ; @_ZZZN7rocprim17ROCPRIM_400000_NS6detail9scan_implILNS1_25lookback_scan_determinismE0ELb0ELb0ENS0_14default_configEPKN3c108BFloat16EPS6_S6_ZZZN2at6native31launch_logcumsumexp_cuda_kernelERKNSA_10TensorBaseESE_lENKUlvE_clEvENKUlvE4_clEvEUlS6_S6_E_S6_EEDaPvRmT3_T4_T5_mT6_P12ihipStream_tbENKUlT_T0_E_clISt17integral_constantIbLb1EESV_EEDaSQ_SR_ENKUlSQ_E_clINS1_13target_configIS4_NS1_20scan_config_selectorIS6_EENS1_11comp_targetILNS1_3genE5ELNS1_11target_archE942ELNS1_3gpuE9ELNS1_3repE0EEELNS0_4arch9wavefront6targetE1EEEEEDaSQ_
; %bb.0:
	s_waitcnt vmcnt(0) expcnt(0) lgkmcnt(0)
	s_or_saveexec_b64 s[0:1], -1
	scratch_store_dword off, v40, s32       ; 4-byte Folded Spill
	s_mov_b64 exec, s[0:1]
	v_writelane_b32 v40, s30, 0
	s_nop 1
	v_writelane_b32 v40, s31, 1
	flat_load_dwordx4 v[10:13], v[0:1]
	flat_load_dwordx4 v[14:17], v[0:1] offset:16
	flat_load_dwordx3 v[28:30], v[0:1] offset:40
	flat_load_dwordx4 v[2:5], v[0:1] offset:56
	flat_load_dwordx4 v[6:9], v[0:1] offset:72
	v_and_b32_e32 v32, 0x3ff, v31
	v_cmp_ne_u32_e64 s[2:3], 0, v32
	v_cmp_eq_u32_e64 s[4:5], 0, v32
	s_and_saveexec_b64 s[0:1], s[4:5]
	s_cbranch_execz .LBB479_2
; %bb.1:
	flat_load_dwordx2 v[0:1], v[0:1] offset:88
	v_mov_b32_e32 v18, 1
	s_waitcnt vmcnt(0) lgkmcnt(0)
	flat_atomic_add v0, v[0:1], v18 sc0
	v_mov_b32_e32 v1, 0
	s_waitcnt vmcnt(0) lgkmcnt(0)
	ds_write_b32 v1, v0
.LBB479_2:
	s_or_b64 exec, exec, s[0:1]
	v_mov_b32_e32 v35, 0
	s_waitcnt lgkmcnt(0)
	s_barrier
	ds_read_b32 v36, v35
	s_movk_i32 s0, 0x1800
	s_waitcnt vmcnt(0)
	v_add_u32_e32 v18, -1, v30
	v_lshl_add_u64 v[0:1], v[12:13], 1, v[10:11]
	v_mul_lo_u32 v10, v18, s0
	s_waitcnt lgkmcnt(0)
	v_mul_lo_u32 v34, v36, s0
	v_sub_co_u32_e32 v10, vcc, v16, v10
	v_cmp_ne_u32_e64 s[0:1], v36, v18
	s_nop 0
	v_subbrev_co_u32_e32 v11, vcc, 0, v17, vcc
	v_lshl_add_u64 v[16:17], v[34:35], 1, v[0:1]
	v_lshlrev_b32_e32 v0, 1, v32
	s_barrier
	s_and_saveexec_b64 s[6:7], s[0:1]
	s_xor_b64 s[6:7], exec, s[6:7]
	s_cbranch_execz .LBB479_4
; %bb.3:
	v_mov_b32_e32 v1, v35
	v_lshl_add_u64 v[16:17], v[16:17], 0, v[0:1]
	v_add_co_u32_e32 v18, vcc, 0x1000, v16
	flat_load_ushort v1, v[16:17]
	flat_load_ushort v20, v[16:17] offset:512
	flat_load_ushort v21, v[16:17] offset:1024
	;; [unrolled: 1-line block ×7, first 2 shown]
	v_addc_co_u32_e32 v19, vcc, 0, v17, vcc
	v_add_co_u32_e32 v16, vcc, 0x2000, v16
	flat_load_ushort v27, v[18:19]
	flat_load_ushort v30, v[18:19] offset:512
	flat_load_ushort v31, v[18:19] offset:1024
	flat_load_ushort v33, v[18:19] offset:1536
	flat_load_ushort v37, v[18:19] offset:2048
	flat_load_ushort v38, v[18:19] offset:2560
	flat_load_ushort v39, v[18:19] offset:3072
	flat_load_ushort v48, v[18:19] offset:3584
	v_addc_co_u32_e32 v17, vcc, 0, v17, vcc
	flat_load_ushort v18, v[16:17]
	flat_load_ushort v19, v[16:17] offset:512
	flat_load_ushort v49, v[16:17] offset:1024
	;; [unrolled: 1-line block ×7, first 2 shown]
                                        ; implicit-def: $vgpr16_vgpr17
	s_waitcnt vmcnt(0) lgkmcnt(0)
	ds_write_b16 v0, v1
	ds_write_b16 v0, v20 offset:512
	ds_write_b16 v0, v21 offset:1024
	;; [unrolled: 1-line block ×23, first 2 shown]
	s_waitcnt lgkmcnt(0)
	s_barrier
.LBB479_4:
	s_andn2_saveexec_b64 s[6:7], s[6:7]
	s_cbranch_execz .LBB479_54
; %bb.5:
	flat_load_ushort v18, v[16:17]
	v_cmp_lt_u32_e32 vcc, v32, v10
	s_waitcnt vmcnt(0) lgkmcnt(0)
	v_mov_b32_e32 v19, v18
	s_and_saveexec_b64 s[8:9], vcc
	s_cbranch_execz .LBB479_7
; %bb.6:
	v_mov_b32_e32 v1, 0
	v_lshl_add_u64 v[20:21], v[16:17], 0, v[0:1]
	flat_load_ushort v19, v[20:21]
.LBB479_7:
	s_or_b64 exec, exec, s[8:9]
	v_add_u32_e32 v1, 0x100, v32
	v_cmp_lt_u32_e32 vcc, v1, v10
	v_mov_b32_e32 v20, v18
	s_and_saveexec_b64 s[8:9], vcc
	s_cbranch_execz .LBB479_9
; %bb.8:
	v_mov_b32_e32 v1, 0
	v_lshl_add_u64 v[20:21], v[16:17], 0, v[0:1]
	flat_load_ushort v20, v[20:21] offset:512
.LBB479_9:
	s_or_b64 exec, exec, s[8:9]
	v_add_u32_e32 v1, 0x200, v32
	v_cmp_lt_u32_e32 vcc, v1, v10
	v_mov_b32_e32 v21, v18
	s_and_saveexec_b64 s[8:9], vcc
	s_cbranch_execz .LBB479_11
; %bb.10:
	v_mov_b32_e32 v1, 0
	v_lshl_add_u64 v[22:23], v[16:17], 0, v[0:1]
	flat_load_ushort v21, v[22:23] offset:1024
.LBB479_11:
	;; [unrolled: 11-line block ×3, first 2 shown]
	s_or_b64 exec, exec, s[8:9]
	v_or_b32_e32 v1, 0x400, v32
	v_cmp_lt_u32_e32 vcc, v1, v10
	v_mov_b32_e32 v23, v18
	s_and_saveexec_b64 s[8:9], vcc
	s_cbranch_execz .LBB479_15
; %bb.14:
	v_mov_b32_e32 v1, 0
	v_lshl_add_u64 v[24:25], v[16:17], 0, v[0:1]
	flat_load_ushort v23, v[24:25] offset:2048
.LBB479_15:
	s_or_b64 exec, exec, s[8:9]
	v_add_u32_e32 v1, 0x500, v32
	v_cmp_lt_u32_e32 vcc, v1, v10
	v_mov_b32_e32 v24, v18
	s_and_saveexec_b64 s[8:9], vcc
	s_cbranch_execz .LBB479_17
; %bb.16:
	v_mov_b32_e32 v1, 0
	v_lshl_add_u64 v[24:25], v[16:17], 0, v[0:1]
	flat_load_ushort v24, v[24:25] offset:2560
.LBB479_17:
	s_or_b64 exec, exec, s[8:9]
	v_add_u32_e32 v1, 0x600, v32
	;; [unrolled: 11-line block ×3, first 2 shown]
	v_cmp_lt_u32_e32 vcc, v1, v10
	v_mov_b32_e32 v1, v18
	s_and_saveexec_b64 s[8:9], vcc
	s_cbranch_execz .LBB479_21
; %bb.20:
	v_mov_b32_e32 v1, 0
	v_lshl_add_u64 v[26:27], v[16:17], 0, v[0:1]
	flat_load_ushort v1, v[26:27] offset:3584
.LBB479_21:
	s_or_b64 exec, exec, s[8:9]
	v_or_b32_e32 v27, 0x800, v32
	v_cmp_lt_u32_e32 vcc, v27, v10
	v_mov_b32_e32 v26, v18
	s_and_saveexec_b64 s[8:9], vcc
	s_cbranch_execz .LBB479_23
; %bb.22:
	v_lshlrev_b32_e32 v26, 1, v27
	v_mov_b32_e32 v27, 0
	v_lshl_add_u64 v[26:27], v[16:17], 0, v[26:27]
	flat_load_ushort v26, v[26:27]
.LBB479_23:
	s_or_b64 exec, exec, s[8:9]
	v_add_u32_e32 v30, 0x900, v32
	v_cmp_lt_u32_e32 vcc, v30, v10
	v_mov_b32_e32 v27, v18
	s_and_saveexec_b64 s[8:9], vcc
	s_cbranch_execz .LBB479_25
; %bb.24:
	v_lshlrev_b32_e32 v30, 1, v30
	v_mov_b32_e32 v31, 0
	v_lshl_add_u64 v[30:31], v[16:17], 0, v[30:31]
	flat_load_ushort v27, v[30:31]
.LBB479_25:
	s_or_b64 exec, exec, s[8:9]
	v_add_u32_e32 v31, 0xa00, v32
	v_cmp_lt_u32_e32 vcc, v31, v10
	v_mov_b32_e32 v30, v18
	s_and_saveexec_b64 s[8:9], vcc
	s_cbranch_execz .LBB479_27
; %bb.26:
	v_lshlrev_b32_e32 v30, 1, v31
	v_mov_b32_e32 v31, 0
	v_lshl_add_u64 v[30:31], v[16:17], 0, v[30:31]
	flat_load_ushort v30, v[30:31]
.LBB479_27:
	s_or_b64 exec, exec, s[8:9]
	v_add_u32_e32 v33, 0xb00, v32
	v_cmp_lt_u32_e32 vcc, v33, v10
	v_mov_b32_e32 v31, v18
	s_and_saveexec_b64 s[8:9], vcc
	s_cbranch_execz .LBB479_29
; %bb.28:
	v_lshlrev_b32_e32 v38, 1, v33
	v_mov_b32_e32 v39, 0
	v_lshl_add_u64 v[38:39], v[16:17], 0, v[38:39]
	flat_load_ushort v31, v[38:39]
.LBB479_29:
	s_or_b64 exec, exec, s[8:9]
	v_or_b32_e32 v37, 0xc00, v32
	v_cmp_lt_u32_e32 vcc, v37, v10
	v_mov_b32_e32 v33, v18
	s_and_saveexec_b64 s[8:9], vcc
	s_cbranch_execz .LBB479_31
; %bb.30:
	v_lshlrev_b32_e32 v38, 1, v37
	v_mov_b32_e32 v39, 0
	v_lshl_add_u64 v[38:39], v[16:17], 0, v[38:39]
	flat_load_ushort v33, v[38:39]
.LBB479_31:
	s_or_b64 exec, exec, s[8:9]
	v_add_u32_e32 v38, 0xd00, v32
	v_cmp_lt_u32_e32 vcc, v38, v10
	v_mov_b32_e32 v37, v18
	s_and_saveexec_b64 s[8:9], vcc
	s_cbranch_execz .LBB479_33
; %bb.32:
	v_lshlrev_b32_e32 v38, 1, v38
	v_mov_b32_e32 v39, 0
	v_lshl_add_u64 v[38:39], v[16:17], 0, v[38:39]
	flat_load_ushort v37, v[38:39]
.LBB479_33:
	s_or_b64 exec, exec, s[8:9]
	v_add_u32_e32 v39, 0xe00, v32
	v_cmp_lt_u32_e32 vcc, v39, v10
	v_mov_b32_e32 v38, v18
	s_and_saveexec_b64 s[8:9], vcc
	s_cbranch_execz .LBB479_35
; %bb.34:
	v_lshlrev_b32_e32 v38, 1, v39
	v_mov_b32_e32 v39, 0
	v_lshl_add_u64 v[38:39], v[16:17], 0, v[38:39]
	flat_load_ushort v38, v[38:39]
.LBB479_35:
	s_or_b64 exec, exec, s[8:9]
	v_add_u32_e32 v48, 0xf00, v32
	v_cmp_lt_u32_e32 vcc, v48, v10
	v_mov_b32_e32 v39, v18
	s_and_saveexec_b64 s[8:9], vcc
	s_cbranch_execz .LBB479_37
; %bb.36:
	v_lshlrev_b32_e32 v48, 1, v48
	v_mov_b32_e32 v49, 0
	v_lshl_add_u64 v[48:49], v[16:17], 0, v[48:49]
	flat_load_ushort v39, v[48:49]
.LBB479_37:
	;; [unrolled: 48-line block ×3, first 2 shown]
	s_or_b64 exec, exec, s[8:9]
	v_or_b32_e32 v53, 0x1400, v32
	v_cmp_lt_u32_e32 vcc, v53, v10
	v_mov_b32_e32 v52, v18
	s_and_saveexec_b64 s[8:9], vcc
	s_cbranch_execz .LBB479_47
; %bb.46:
	v_lshlrev_b32_e32 v52, 1, v53
	v_mov_b32_e32 v53, 0
	v_lshl_add_u64 v[52:53], v[16:17], 0, v[52:53]
	flat_load_ushort v52, v[52:53]
.LBB479_47:
	s_or_b64 exec, exec, s[8:9]
	v_add_u32_e32 v54, 0x1500, v32
	v_cmp_lt_u32_e32 vcc, v54, v10
	v_mov_b32_e32 v53, v18
	s_and_saveexec_b64 s[8:9], vcc
	s_cbranch_execz .LBB479_49
; %bb.48:
	v_lshlrev_b32_e32 v54, 1, v54
	v_mov_b32_e32 v55, 0
	v_lshl_add_u64 v[54:55], v[16:17], 0, v[54:55]
	flat_load_ushort v53, v[54:55]
.LBB479_49:
	s_or_b64 exec, exec, s[8:9]
	v_add_u32_e32 v55, 0x1600, v32
	;; [unrolled: 12-line block ×3, first 2 shown]
	v_cmp_lt_u32_e32 vcc, v55, v10
	s_and_saveexec_b64 s[8:9], vcc
	s_cbranch_execz .LBB479_53
; %bb.52:
	v_lshlrev_b32_e32 v64, 1, v55
	v_mov_b32_e32 v65, 0
	v_lshl_add_u64 v[16:17], v[16:17], 0, v[64:65]
	flat_load_ushort v18, v[16:17]
.LBB479_53:
	s_or_b64 exec, exec, s[8:9]
	s_waitcnt vmcnt(0) lgkmcnt(0)
	ds_write_b16 v0, v19
	ds_write_b16 v0, v20 offset:512
	ds_write_b16 v0, v21 offset:1024
	;; [unrolled: 1-line block ×23, first 2 shown]
	s_waitcnt lgkmcnt(0)
	s_barrier
.LBB479_54:
	s_or_b64 exec, exec, s[6:7]
	v_mul_u32_u24_e32 v52, 24, v32
	v_lshlrev_b32_e32 v1, 1, v52
	ds_read_b128 v[24:27], v1
	ds_read_b128 v[20:23], v1 offset:16
	ds_read_b128 v[16:19], v1 offset:32
	v_cmp_ne_u32_e32 vcc, 0, v36
	s_waitcnt lgkmcnt(0)
	s_barrier
	s_cbranch_vccz .LBB479_269
; %bb.55:
	v_mov_b32_e32 v30, 16
	v_lshlrev_b32_e32 v146, 16, v24
	v_lshlrev_b32_sdwa v33, v30, v24 dst_sel:DWORD dst_unused:UNUSED_PAD src0_sel:DWORD src1_sel:WORD_1
	v_max_f32_e32 v53, v33, v33
	v_max_f32_e32 v147, v146, v146
	v_min_f32_e32 v31, v147, v53
	v_cmp_u_f32_e64 s[54:55], v146, v146
	v_cmp_u_f32_e64 s[6:7], v33, v33
	s_movk_i32 s10, 0x1f8
	v_cndmask_b32_e64 v31, v31, v146, s[54:55]
	v_cndmask_b32_e64 v38, v31, v33, s[6:7]
	v_max_f32_e32 v31, v147, v53
	v_cndmask_b32_e64 v31, v31, v146, s[54:55]
	v_cndmask_b32_e64 v31, v31, v33, s[6:7]
	v_cmp_neq_f32_e32 vcc, v38, v31
	v_cmp_class_f32_e64 s[8:9], v38, s10
	s_or_b64 s[12:13], vcc, s[8:9]
	v_mov_b32_e32 v37, v146
	s_and_saveexec_b64 s[8:9], s[12:13]
	s_cbranch_execz .LBB479_57
; %bb.56:
	v_sub_f32_e32 v37, v38, v31
	s_mov_b32 s11, 0x3fb8aa3b
	v_mul_f32_e32 v38, 0x3fb8aa3b, v37
	v_fma_f32 v39, v37, s11, -v38
	v_rndne_f32_e32 v48, v38
	v_fmamk_f32 v39, v37, 0x32a5705f, v39
	v_sub_f32_e32 v38, v38, v48
	v_add_f32_e32 v38, v38, v39
	v_exp_f32_e32 v38, v38
	v_cvt_i32_f32_e32 v39, v48
	s_mov_b32 s11, 0xc2ce8ed0
	v_cmp_ngt_f32_e32 vcc, s11, v37
	s_mov_b32 s11, 0x42b17218
	v_ldexp_f32 v38, v38, v39
	v_cndmask_b32_e32 v38, 0, v38, vcc
	v_mov_b32_e32 v39, 0x7f800000
	v_cmp_nlt_f32_e32 vcc, s11, v37
	s_mov_b32 s11, 0x3f2aaaab
	s_mov_b32 s12, 0x7f800000
	v_cndmask_b32_e32 v80, v39, v38, vcc
	v_add_f32_e32 v37, 1.0, v80
	v_add_f32_e32 v38, -1.0, v37
	v_sub_f32_e32 v39, v38, v37
	v_add_f32_e32 v39, 1.0, v39
	v_sub_f32_e32 v38, v80, v38
	v_add_f32_e32 v48, v38, v39
	v_frexp_mant_f32_e32 v49, v37
	v_cvt_f64_f32_e32 v[38:39], v37
	v_frexp_exp_i32_f64_e32 v38, v[38:39]
	v_cmp_gt_f32_e32 vcc, s11, v49
	s_mov_b32 s11, 0x3f317218
	s_nop 0
	v_subbrev_co_u32_e32 v64, vcc, 0, v38, vcc
	v_sub_u32_e32 v38, 0, v64
	v_ldexp_f32 v37, v37, v38
	v_ldexp_f32 v38, v48, v38
	v_add_f32_e32 v48, -1.0, v37
	v_add_f32_e32 v39, 1.0, v48
	v_sub_f32_e32 v39, v37, v39
	v_add_f32_e32 v49, v38, v39
	v_add_f32_e32 v39, 1.0, v37
	v_add_f32_e32 v50, -1.0, v39
	v_sub_f32_e32 v37, v37, v50
	v_add_f32_e32 v37, v38, v37
	v_add_f32_e32 v65, v39, v37
	v_rcp_f32_e32 v66, v65
	v_sub_f32_e32 v38, v39, v65
	v_add_f32_e32 v39, v48, v49
	v_add_f32_e32 v37, v37, v38
	v_mul_f32_e32 v68, v39, v66
	v_sub_f32_e32 v38, v48, v39
	v_mul_f32_e32 v48, v65, v68
	v_fma_f32 v50, v68, v65, -v48
	v_fmac_f32_e32 v50, v68, v37
	v_add_f32_e32 v67, v49, v38
	v_add_f32_e32 v38, v48, v50
	v_sub_f32_e32 v49, v39, v38
	v_pk_add_f32 v[54:55], v[38:39], v[48:49] neg_lo:[0,1] neg_hi:[0,1]
	v_mov_b32_e32 v51, v38
	v_pk_add_f32 v[38:39], v[54:55], v[50:51] neg_lo:[0,1] neg_hi:[0,1]
	v_cmp_eq_f32_e32 vcc, s12, v80
	v_add_f32_e32 v39, v67, v39
	v_add_f32_e32 v38, v38, v39
	;; [unrolled: 1-line block ×3, first 2 shown]
	v_mul_f32_e32 v67, v66, v39
	v_mul_f32_e32 v48, v65, v67
	v_fma_f32 v50, v67, v65, -v48
	v_fmac_f32_e32 v50, v67, v37
	v_sub_f32_e32 v37, v49, v39
	v_add_f32_e32 v37, v38, v37
	v_add_f32_e32 v38, v48, v50
	v_sub_f32_e32 v49, v39, v38
	v_pk_add_f32 v[54:55], v[38:39], v[48:49] neg_lo:[0,1] neg_hi:[0,1]
	v_mov_b32_e32 v51, v38
	v_pk_add_f32 v[38:39], v[54:55], v[50:51] neg_lo:[0,1] neg_hi:[0,1]
	v_cvt_f32_i32_e32 v48, v64
	v_add_f32_e32 v37, v37, v39
	v_add_f32_e32 v37, v38, v37
	;; [unrolled: 1-line block ×4, first 2 shown]
	v_sub_f32_e32 v39, v38, v68
	v_mul_f32_e32 v37, v66, v37
	v_sub_f32_e32 v39, v67, v39
	v_add_f32_e32 v37, v39, v37
	v_add_f32_e32 v49, v38, v37
	v_mul_f32_e32 v50, v49, v49
	v_mov_b32_e32 v39, 0x3ecc95a3
	v_fmac_f32_e32 v39, 0x3e9b6dac, v50
	v_sub_f32_e32 v38, v49, v38
	v_fmaak_f32 v39, v50, v39, 0x3f2aaada
	v_sub_f32_e32 v37, v37, v38
	v_ldexp_f32 v51, v49, 1
	v_mul_f32_e32 v49, v49, v50
	v_mov_b32_e32 v38, 0x3f317218
	v_pk_mul_f32 v[38:39], v[48:49], v[38:39]
	v_ldexp_f32 v37, v37, 1
	v_fma_f32 v49, v48, s11, -v38
	v_fmamk_f32 v50, v48, 0xb102e308, v49
	v_pk_add_f32 v[48:49], v[38:39], v[50:51]
	v_mov_b32_e32 v54, v38
	v_sub_f32_e32 v51, v49, v51
	v_sub_f32_e32 v51, v39, v51
	v_add_f32_e32 v55, v37, v51
	v_pk_add_f32 v[38:39], v[48:49], v[38:39] neg_lo:[0,1] neg_hi:[0,1]
	v_pk_add_f32 v[64:65], v[48:49], v[54:55]
	v_mov_b32_e32 v51, v48
	v_mov_b32_e32 v39, v65
	v_pk_add_f32 v[66:67], v[50:51], v[38:39] neg_lo:[0,1] neg_hi:[0,1]
	v_pk_add_f32 v[38:39], v[50:51], v[38:39]
	v_mov_b32_e32 v54, v55
	v_mov_b32_e32 v50, v39
	v_pk_add_f32 v[68:69], v[50:51], v[48:49] neg_lo:[0,1] neg_hi:[0,1]
	v_mov_b32_e32 v38, v65
	v_mov_b32_e32 v37, v68
	v_pk_add_f32 v[70:71], v[64:65], v[36:37] neg_lo:[0,1] neg_hi:[0,1]
	v_mov_b32_e32 v64, v49
	v_mov_b32_e32 v65, v68
	;; [unrolled: 1-line block ×3, first 2 shown]
	v_pk_add_f32 v[38:39], v[38:39], v[64:65] neg_lo:[0,1] neg_hi:[0,1]
	v_mov_b32_e32 v55, v48
	v_pk_add_f32 v[38:39], v[54:55], v[38:39] neg_lo:[0,1] neg_hi:[0,1]
	v_mov_b32_e32 v70, v66
	v_pk_add_f32 v[48:49], v[70:71], v[38:39]
	s_mov_b32 s11, 0x33800000
	v_mov_b32_e32 v54, v49
	v_pk_add_f32 v[54:55], v[48:49], v[54:55]
	v_cmp_lt_f32_e64 s[12:13], |v80|, s11
	v_pk_add_f32 v[50:51], v[50:51], v[54:55]
	v_mov_b32_e32 v39, v54
	v_mov_b32_e32 v49, v50
	v_pk_add_f32 v[64:65], v[48:49], v[66:67] neg_lo:[0,1] neg_hi:[0,1]
	s_or_b64 vcc, vcc, s[12:13]
	v_sub_f32_e32 v37, v48, v64
	v_pk_add_f32 v[38:39], v[38:39], v[64:65] neg_lo:[0,1] neg_hi:[0,1]
	v_sub_f32_e32 v37, v66, v37
	v_add_f32_e32 v37, v38, v37
	v_add_f32_e32 v37, v37, v39
	;; [unrolled: 1-line block ×3, first 2 shown]
	v_cndmask_b32_e32 v37, v37, v80, vcc
	v_add_f32_e32 v37, v31, v37
.LBB479_57:
	s_or_b64 exec, exec, s[8:9]
	v_bfe_u32 v31, v37, 16, 1
	s_movk_i32 s12, 0x7fff
	v_add3_u32 v31, v37, v31, s12
	v_and_b32_e32 v38, 0xffff0000, v31
	v_mov_b32_e32 v31, 0x7fc00000
	v_cmp_o_f32_e32 vcc, v37, v37
	v_lshlrev_b32_sdwa v54, v30, v25 dst_sel:DWORD dst_unused:UNUSED_PAD src0_sel:DWORD src1_sel:WORD_0
	v_max_f32_e32 v66, v54, v54
	v_cndmask_b32_e32 v37, v31, v38, vcc
	v_max_f32_e32 v30, v37, v37
	v_min_f32_e32 v38, v30, v66
	v_cmp_u_f32_e32 vcc, v37, v37
	v_max_f32_e32 v30, v30, v66
	v_cmp_u_f32_e64 s[8:9], v54, v54
	v_cndmask_b32_e32 v38, v38, v37, vcc
	v_cndmask_b32_e32 v30, v30, v37, vcc
	v_cndmask_b32_e64 v38, v38, v54, s[8:9]
	v_cndmask_b32_e64 v30, v30, v54, s[8:9]
	v_cmp_neq_f32_e32 vcc, v38, v30
	v_cmp_class_f32_e64 s[10:11], v38, s10
	s_or_b64 s[14:15], vcc, s[10:11]
	s_and_saveexec_b64 s[10:11], s[14:15]
	s_cbranch_execz .LBB479_59
; %bb.58:
	v_sub_f32_e32 v37, v38, v30
	s_mov_b32 s13, 0x3fb8aa3b
	v_mul_f32_e32 v38, 0x3fb8aa3b, v37
	v_fma_f32 v39, v37, s13, -v38
	v_rndne_f32_e32 v48, v38
	v_fmamk_f32 v39, v37, 0x32a5705f, v39
	v_sub_f32_e32 v38, v38, v48
	v_add_f32_e32 v38, v38, v39
	v_exp_f32_e32 v38, v38
	v_cvt_i32_f32_e32 v39, v48
	s_mov_b32 s13, 0xc2ce8ed0
	v_cmp_ngt_f32_e32 vcc, s13, v37
	s_mov_b32 s13, 0x42b17218
	v_ldexp_f32 v38, v38, v39
	v_cndmask_b32_e32 v38, 0, v38, vcc
	v_mov_b32_e32 v39, 0x7f800000
	v_cmp_nlt_f32_e32 vcc, s13, v37
	s_mov_b32 s13, 0x3f2aaaab
	s_mov_b32 s14, 0x7f800000
	v_cndmask_b32_e32 v55, v39, v38, vcc
	v_add_f32_e32 v37, 1.0, v55
	v_add_f32_e32 v38, -1.0, v37
	v_sub_f32_e32 v39, v38, v37
	v_add_f32_e32 v39, 1.0, v39
	v_sub_f32_e32 v38, v55, v38
	v_add_f32_e32 v48, v38, v39
	v_frexp_mant_f32_e32 v49, v37
	v_cvt_f64_f32_e32 v[38:39], v37
	v_frexp_exp_i32_f64_e32 v38, v[38:39]
	v_cmp_gt_f32_e32 vcc, s13, v49
	s_mov_b32 s13, 0x3f317218
	s_nop 0
	v_subbrev_co_u32_e32 v67, vcc, 0, v38, vcc
	v_sub_u32_e32 v38, 0, v67
	v_ldexp_f32 v37, v37, v38
	v_ldexp_f32 v38, v48, v38
	v_add_f32_e32 v48, -1.0, v37
	v_add_f32_e32 v39, 1.0, v48
	v_sub_f32_e32 v39, v37, v39
	v_add_f32_e32 v49, v38, v39
	v_add_f32_e32 v39, 1.0, v37
	v_add_f32_e32 v50, -1.0, v39
	v_sub_f32_e32 v37, v37, v50
	v_add_f32_e32 v37, v38, v37
	v_add_f32_e32 v68, v39, v37
	v_rcp_f32_e32 v69, v68
	v_sub_f32_e32 v38, v39, v68
	v_add_f32_e32 v39, v48, v49
	v_add_f32_e32 v37, v37, v38
	v_mul_f32_e32 v71, v39, v69
	v_sub_f32_e32 v38, v48, v39
	v_mul_f32_e32 v48, v68, v71
	v_fma_f32 v50, v71, v68, -v48
	v_fmac_f32_e32 v50, v71, v37
	v_add_f32_e32 v70, v49, v38
	v_add_f32_e32 v38, v48, v50
	v_sub_f32_e32 v49, v39, v38
	v_pk_add_f32 v[64:65], v[38:39], v[48:49] neg_lo:[0,1] neg_hi:[0,1]
	v_mov_b32_e32 v51, v38
	v_pk_add_f32 v[38:39], v[64:65], v[50:51] neg_lo:[0,1] neg_hi:[0,1]
	v_cmp_eq_f32_e32 vcc, s14, v55
	v_add_f32_e32 v39, v70, v39
	v_add_f32_e32 v38, v38, v39
	;; [unrolled: 1-line block ×3, first 2 shown]
	v_mul_f32_e32 v70, v69, v39
	v_mul_f32_e32 v48, v68, v70
	v_fma_f32 v50, v70, v68, -v48
	v_fmac_f32_e32 v50, v70, v37
	v_sub_f32_e32 v37, v49, v39
	v_add_f32_e32 v37, v38, v37
	v_add_f32_e32 v38, v48, v50
	v_sub_f32_e32 v49, v39, v38
	v_pk_add_f32 v[64:65], v[38:39], v[48:49] neg_lo:[0,1] neg_hi:[0,1]
	v_mov_b32_e32 v51, v38
	v_pk_add_f32 v[38:39], v[64:65], v[50:51] neg_lo:[0,1] neg_hi:[0,1]
	v_cvt_f32_i32_e32 v48, v67
	v_add_f32_e32 v37, v37, v39
	v_add_f32_e32 v37, v38, v37
	;; [unrolled: 1-line block ×4, first 2 shown]
	v_sub_f32_e32 v39, v38, v71
	v_mul_f32_e32 v37, v69, v37
	v_sub_f32_e32 v39, v70, v39
	v_add_f32_e32 v37, v39, v37
	v_add_f32_e32 v49, v38, v37
	v_mul_f32_e32 v50, v49, v49
	v_mov_b32_e32 v39, 0x3ecc95a3
	v_fmac_f32_e32 v39, 0x3e9b6dac, v50
	v_sub_f32_e32 v38, v49, v38
	v_fmaak_f32 v39, v50, v39, 0x3f2aaada
	v_sub_f32_e32 v37, v37, v38
	v_ldexp_f32 v51, v49, 1
	v_mul_f32_e32 v49, v49, v50
	v_mov_b32_e32 v38, 0x3f317218
	v_pk_mul_f32 v[38:39], v[48:49], v[38:39]
	v_ldexp_f32 v37, v37, 1
	v_fma_f32 v49, v48, s13, -v38
	v_fmamk_f32 v50, v48, 0xb102e308, v49
	v_pk_add_f32 v[48:49], v[38:39], v[50:51]
	v_mov_b32_e32 v64, v38
	v_sub_f32_e32 v51, v49, v51
	v_sub_f32_e32 v51, v39, v51
	v_add_f32_e32 v65, v37, v51
	v_pk_add_f32 v[38:39], v[48:49], v[38:39] neg_lo:[0,1] neg_hi:[0,1]
	v_pk_add_f32 v[68:69], v[48:49], v[64:65]
	v_mov_b32_e32 v51, v48
	v_mov_b32_e32 v39, v69
	v_pk_add_f32 v[70:71], v[50:51], v[38:39] neg_lo:[0,1] neg_hi:[0,1]
	v_pk_add_f32 v[38:39], v[50:51], v[38:39]
	v_mov_b32_e32 v64, v65
	v_mov_b32_e32 v50, v39
	v_pk_add_f32 v[80:81], v[50:51], v[48:49] neg_lo:[0,1] neg_hi:[0,1]
	v_mov_b32_e32 v38, v69
	v_mov_b32_e32 v37, v80
	v_pk_add_f32 v[82:83], v[68:69], v[36:37] neg_lo:[0,1] neg_hi:[0,1]
	v_mov_b32_e32 v68, v49
	v_mov_b32_e32 v69, v80
	;; [unrolled: 1-line block ×3, first 2 shown]
	v_pk_add_f32 v[38:39], v[38:39], v[68:69] neg_lo:[0,1] neg_hi:[0,1]
	v_mov_b32_e32 v65, v48
	v_pk_add_f32 v[38:39], v[64:65], v[38:39] neg_lo:[0,1] neg_hi:[0,1]
	v_mov_b32_e32 v82, v70
	v_pk_add_f32 v[48:49], v[82:83], v[38:39]
	s_mov_b32 s13, 0x33800000
	v_mov_b32_e32 v64, v49
	v_pk_add_f32 v[64:65], v[48:49], v[64:65]
	v_cmp_lt_f32_e64 s[14:15], |v55|, s13
	v_pk_add_f32 v[50:51], v[50:51], v[64:65]
	v_mov_b32_e32 v39, v64
	v_mov_b32_e32 v49, v50
	v_pk_add_f32 v[68:69], v[48:49], v[70:71] neg_lo:[0,1] neg_hi:[0,1]
	s_or_b64 vcc, vcc, s[14:15]
	v_sub_f32_e32 v37, v48, v68
	v_pk_add_f32 v[38:39], v[38:39], v[68:69] neg_lo:[0,1] neg_hi:[0,1]
	v_sub_f32_e32 v37, v70, v37
	v_add_f32_e32 v37, v38, v37
	v_add_f32_e32 v37, v37, v39
	v_add_f32_e32 v37, v50, v37
	v_cndmask_b32_e32 v37, v37, v55, vcc
	v_add_f32_e32 v37, v30, v37
.LBB479_59:
	s_or_b64 exec, exec, s[10:11]
	v_bfe_u32 v30, v37, 16, 1
	v_add3_u32 v30, v37, v30, s12
	v_and_b32_e32 v30, 0xffff0000, v30
	v_cmp_o_f32_e32 vcc, v37, v37
	s_movk_i32 s14, 0x1f8
	s_nop 0
	v_cndmask_b32_e32 v37, v31, v30, vcc
	v_mov_b32_e32 v30, 16
	v_lshlrev_b32_sdwa v55, v30, v25 dst_sel:DWORD dst_unused:UNUSED_PAD src0_sel:DWORD src1_sel:WORD_1
	v_max_f32_e32 v31, v37, v37
	v_max_f32_e32 v67, v55, v55
	v_min_f32_e32 v38, v31, v67
	v_cmp_u_f32_e32 vcc, v37, v37
	v_max_f32_e32 v31, v31, v67
	v_cmp_u_f32_e64 s[10:11], v55, v55
	v_cndmask_b32_e32 v38, v38, v37, vcc
	v_cndmask_b32_e32 v31, v31, v37, vcc
	v_cndmask_b32_e64 v38, v38, v55, s[10:11]
	v_cndmask_b32_e64 v31, v31, v55, s[10:11]
	v_cmp_neq_f32_e32 vcc, v38, v31
	v_cmp_class_f32_e64 s[12:13], v38, s14
	s_or_b64 s[16:17], vcc, s[12:13]
	s_and_saveexec_b64 s[12:13], s[16:17]
	s_cbranch_execz .LBB479_61
; %bb.60:
	v_sub_f32_e32 v37, v38, v31
	s_mov_b32 s15, 0x3fb8aa3b
	v_mul_f32_e32 v38, 0x3fb8aa3b, v37
	v_fma_f32 v39, v37, s15, -v38
	v_rndne_f32_e32 v48, v38
	v_fmamk_f32 v39, v37, 0x32a5705f, v39
	v_sub_f32_e32 v38, v38, v48
	v_add_f32_e32 v38, v38, v39
	v_exp_f32_e32 v38, v38
	v_cvt_i32_f32_e32 v39, v48
	s_mov_b32 s15, 0xc2ce8ed0
	v_cmp_ngt_f32_e32 vcc, s15, v37
	s_mov_b32 s15, 0x42b17218
	v_ldexp_f32 v38, v38, v39
	v_cndmask_b32_e32 v38, 0, v38, vcc
	v_mov_b32_e32 v39, 0x7f800000
	v_cmp_nlt_f32_e32 vcc, s15, v37
	s_mov_b32 s15, 0x3f2aaaab
	s_mov_b32 s16, 0x7f800000
	v_cndmask_b32_e32 v84, v39, v38, vcc
	v_add_f32_e32 v37, 1.0, v84
	v_add_f32_e32 v38, -1.0, v37
	v_sub_f32_e32 v39, v38, v37
	v_add_f32_e32 v39, 1.0, v39
	v_sub_f32_e32 v38, v84, v38
	v_add_f32_e32 v48, v38, v39
	v_frexp_mant_f32_e32 v49, v37
	v_cvt_f64_f32_e32 v[38:39], v37
	v_frexp_exp_i32_f64_e32 v38, v[38:39]
	v_cmp_gt_f32_e32 vcc, s15, v49
	s_mov_b32 s15, 0x3f317218
	s_nop 0
	v_subbrev_co_u32_e32 v68, vcc, 0, v38, vcc
	v_sub_u32_e32 v38, 0, v68
	v_ldexp_f32 v37, v37, v38
	v_ldexp_f32 v38, v48, v38
	v_add_f32_e32 v48, -1.0, v37
	v_add_f32_e32 v39, 1.0, v48
	v_sub_f32_e32 v39, v37, v39
	v_add_f32_e32 v49, v38, v39
	v_add_f32_e32 v39, 1.0, v37
	v_add_f32_e32 v50, -1.0, v39
	v_sub_f32_e32 v37, v37, v50
	v_add_f32_e32 v37, v38, v37
	v_add_f32_e32 v69, v39, v37
	v_rcp_f32_e32 v70, v69
	v_sub_f32_e32 v38, v39, v69
	v_add_f32_e32 v39, v48, v49
	v_add_f32_e32 v37, v37, v38
	v_mul_f32_e32 v80, v39, v70
	v_sub_f32_e32 v38, v48, v39
	v_mul_f32_e32 v48, v69, v80
	v_fma_f32 v50, v80, v69, -v48
	v_fmac_f32_e32 v50, v80, v37
	v_add_f32_e32 v71, v49, v38
	v_add_f32_e32 v38, v48, v50
	v_sub_f32_e32 v49, v39, v38
	v_pk_add_f32 v[64:65], v[38:39], v[48:49] neg_lo:[0,1] neg_hi:[0,1]
	v_mov_b32_e32 v51, v38
	v_pk_add_f32 v[38:39], v[64:65], v[50:51] neg_lo:[0,1] neg_hi:[0,1]
	v_cmp_eq_f32_e32 vcc, s16, v84
	v_add_f32_e32 v39, v71, v39
	v_add_f32_e32 v38, v38, v39
	;; [unrolled: 1-line block ×3, first 2 shown]
	v_mul_f32_e32 v71, v70, v39
	v_mul_f32_e32 v48, v69, v71
	v_fma_f32 v50, v71, v69, -v48
	v_fmac_f32_e32 v50, v71, v37
	v_sub_f32_e32 v37, v49, v39
	v_add_f32_e32 v37, v38, v37
	v_add_f32_e32 v38, v48, v50
	v_sub_f32_e32 v49, v39, v38
	v_pk_add_f32 v[64:65], v[38:39], v[48:49] neg_lo:[0,1] neg_hi:[0,1]
	v_mov_b32_e32 v51, v38
	v_pk_add_f32 v[38:39], v[64:65], v[50:51] neg_lo:[0,1] neg_hi:[0,1]
	v_cvt_f32_i32_e32 v48, v68
	v_add_f32_e32 v37, v37, v39
	v_add_f32_e32 v37, v38, v37
	;; [unrolled: 1-line block ×4, first 2 shown]
	v_sub_f32_e32 v39, v38, v80
	v_mul_f32_e32 v37, v70, v37
	v_sub_f32_e32 v39, v71, v39
	v_add_f32_e32 v37, v39, v37
	v_add_f32_e32 v49, v38, v37
	v_mul_f32_e32 v50, v49, v49
	v_mov_b32_e32 v39, 0x3ecc95a3
	v_fmac_f32_e32 v39, 0x3e9b6dac, v50
	v_sub_f32_e32 v38, v49, v38
	v_fmaak_f32 v39, v50, v39, 0x3f2aaada
	v_sub_f32_e32 v37, v37, v38
	v_ldexp_f32 v51, v49, 1
	v_mul_f32_e32 v49, v49, v50
	v_mov_b32_e32 v38, 0x3f317218
	v_pk_mul_f32 v[38:39], v[48:49], v[38:39]
	v_ldexp_f32 v37, v37, 1
	v_fma_f32 v49, v48, s15, -v38
	v_fmamk_f32 v50, v48, 0xb102e308, v49
	v_pk_add_f32 v[48:49], v[38:39], v[50:51]
	v_mov_b32_e32 v64, v38
	v_sub_f32_e32 v51, v49, v51
	v_sub_f32_e32 v51, v39, v51
	v_add_f32_e32 v65, v37, v51
	v_pk_add_f32 v[38:39], v[48:49], v[38:39] neg_lo:[0,1] neg_hi:[0,1]
	v_pk_add_f32 v[68:69], v[48:49], v[64:65]
	v_mov_b32_e32 v51, v48
	v_mov_b32_e32 v39, v69
	v_pk_add_f32 v[70:71], v[50:51], v[38:39] neg_lo:[0,1] neg_hi:[0,1]
	v_pk_add_f32 v[38:39], v[50:51], v[38:39]
	v_mov_b32_e32 v64, v65
	v_mov_b32_e32 v50, v39
	v_pk_add_f32 v[80:81], v[50:51], v[48:49] neg_lo:[0,1] neg_hi:[0,1]
	v_mov_b32_e32 v38, v69
	v_mov_b32_e32 v37, v80
	v_pk_add_f32 v[82:83], v[68:69], v[36:37] neg_lo:[0,1] neg_hi:[0,1]
	v_mov_b32_e32 v68, v49
	v_mov_b32_e32 v69, v80
	;; [unrolled: 1-line block ×3, first 2 shown]
	v_pk_add_f32 v[38:39], v[38:39], v[68:69] neg_lo:[0,1] neg_hi:[0,1]
	v_mov_b32_e32 v65, v48
	v_pk_add_f32 v[38:39], v[64:65], v[38:39] neg_lo:[0,1] neg_hi:[0,1]
	v_mov_b32_e32 v82, v70
	v_pk_add_f32 v[48:49], v[82:83], v[38:39]
	s_mov_b32 s15, 0x33800000
	v_mov_b32_e32 v64, v49
	v_pk_add_f32 v[64:65], v[48:49], v[64:65]
	v_cmp_lt_f32_e64 s[16:17], |v84|, s15
	v_pk_add_f32 v[50:51], v[50:51], v[64:65]
	v_mov_b32_e32 v39, v64
	v_mov_b32_e32 v49, v50
	v_pk_add_f32 v[68:69], v[48:49], v[70:71] neg_lo:[0,1] neg_hi:[0,1]
	s_or_b64 vcc, vcc, s[16:17]
	v_sub_f32_e32 v37, v48, v68
	v_pk_add_f32 v[38:39], v[38:39], v[68:69] neg_lo:[0,1] neg_hi:[0,1]
	v_sub_f32_e32 v37, v70, v37
	v_add_f32_e32 v37, v38, v37
	v_add_f32_e32 v37, v37, v39
	;; [unrolled: 1-line block ×3, first 2 shown]
	v_cndmask_b32_e32 v37, v37, v84, vcc
	v_add_f32_e32 v37, v31, v37
.LBB479_61:
	s_or_b64 exec, exec, s[12:13]
	v_bfe_u32 v31, v37, 16, 1
	s_movk_i32 s16, 0x7fff
	v_add3_u32 v31, v37, v31, s16
	v_and_b32_e32 v38, 0xffff0000, v31
	v_mov_b32_e32 v31, 0x7fc00000
	v_cmp_o_f32_e32 vcc, v37, v37
	v_lshlrev_b32_sdwa v64, v30, v26 dst_sel:DWORD dst_unused:UNUSED_PAD src0_sel:DWORD src1_sel:WORD_0
	v_max_f32_e32 v70, v64, v64
	v_cndmask_b32_e32 v37, v31, v38, vcc
	v_max_f32_e32 v30, v37, v37
	v_min_f32_e32 v38, v30, v70
	v_cmp_u_f32_e32 vcc, v37, v37
	v_max_f32_e32 v30, v30, v70
	v_cmp_u_f32_e64 s[12:13], v64, v64
	v_cndmask_b32_e32 v38, v38, v37, vcc
	v_cndmask_b32_e32 v30, v30, v37, vcc
	v_cndmask_b32_e64 v38, v38, v64, s[12:13]
	v_cndmask_b32_e64 v30, v30, v64, s[12:13]
	v_cmp_neq_f32_e32 vcc, v38, v30
	v_cmp_class_f32_e64 s[14:15], v38, s14
	s_or_b64 s[18:19], vcc, s[14:15]
	s_and_saveexec_b64 s[14:15], s[18:19]
	s_cbranch_execz .LBB479_63
; %bb.62:
	v_sub_f32_e32 v37, v38, v30
	s_mov_b32 s17, 0x3fb8aa3b
	v_mul_f32_e32 v38, 0x3fb8aa3b, v37
	v_fma_f32 v39, v37, s17, -v38
	v_rndne_f32_e32 v48, v38
	v_fmamk_f32 v39, v37, 0x32a5705f, v39
	v_sub_f32_e32 v38, v38, v48
	v_add_f32_e32 v38, v38, v39
	v_exp_f32_e32 v38, v38
	v_cvt_i32_f32_e32 v39, v48
	s_mov_b32 s17, 0xc2ce8ed0
	v_cmp_ngt_f32_e32 vcc, s17, v37
	s_mov_b32 s17, 0x42b17218
	v_ldexp_f32 v38, v38, v39
	v_cndmask_b32_e32 v38, 0, v38, vcc
	v_mov_b32_e32 v39, 0x7f800000
	v_cmp_nlt_f32_e32 vcc, s17, v37
	s_mov_b32 s17, 0x3f2aaaab
	s_mov_b32 s18, 0x7f800000
	v_cndmask_b32_e32 v65, v39, v38, vcc
	v_add_f32_e32 v37, 1.0, v65
	v_add_f32_e32 v38, -1.0, v37
	v_sub_f32_e32 v39, v38, v37
	v_add_f32_e32 v39, 1.0, v39
	v_sub_f32_e32 v38, v65, v38
	v_add_f32_e32 v48, v38, v39
	v_frexp_mant_f32_e32 v49, v37
	v_cvt_f64_f32_e32 v[38:39], v37
	v_frexp_exp_i32_f64_e32 v38, v[38:39]
	v_cmp_gt_f32_e32 vcc, s17, v49
	s_mov_b32 s17, 0x3f317218
	s_nop 0
	v_subbrev_co_u32_e32 v71, vcc, 0, v38, vcc
	v_sub_u32_e32 v38, 0, v71
	v_ldexp_f32 v37, v37, v38
	v_ldexp_f32 v38, v48, v38
	v_add_f32_e32 v48, -1.0, v37
	v_add_f32_e32 v39, 1.0, v48
	v_sub_f32_e32 v39, v37, v39
	v_add_f32_e32 v49, v38, v39
	v_add_f32_e32 v39, 1.0, v37
	v_add_f32_e32 v50, -1.0, v39
	v_sub_f32_e32 v37, v37, v50
	v_add_f32_e32 v37, v38, v37
	v_add_f32_e32 v80, v39, v37
	v_rcp_f32_e32 v81, v80
	v_sub_f32_e32 v38, v39, v80
	v_add_f32_e32 v39, v48, v49
	v_add_f32_e32 v37, v37, v38
	v_mul_f32_e32 v83, v39, v81
	v_sub_f32_e32 v38, v48, v39
	v_mul_f32_e32 v48, v80, v83
	v_fma_f32 v50, v83, v80, -v48
	v_fmac_f32_e32 v50, v83, v37
	v_add_f32_e32 v82, v49, v38
	v_add_f32_e32 v38, v48, v50
	v_sub_f32_e32 v49, v39, v38
	v_pk_add_f32 v[68:69], v[38:39], v[48:49] neg_lo:[0,1] neg_hi:[0,1]
	v_mov_b32_e32 v51, v38
	v_pk_add_f32 v[38:39], v[68:69], v[50:51] neg_lo:[0,1] neg_hi:[0,1]
	v_cmp_eq_f32_e32 vcc, s18, v65
	v_add_f32_e32 v39, v82, v39
	v_add_f32_e32 v38, v38, v39
	;; [unrolled: 1-line block ×3, first 2 shown]
	v_mul_f32_e32 v82, v81, v39
	v_mul_f32_e32 v48, v80, v82
	v_fma_f32 v50, v82, v80, -v48
	v_fmac_f32_e32 v50, v82, v37
	v_sub_f32_e32 v37, v49, v39
	v_add_f32_e32 v37, v38, v37
	v_add_f32_e32 v38, v48, v50
	v_sub_f32_e32 v49, v39, v38
	v_pk_add_f32 v[68:69], v[38:39], v[48:49] neg_lo:[0,1] neg_hi:[0,1]
	v_mov_b32_e32 v51, v38
	v_pk_add_f32 v[38:39], v[68:69], v[50:51] neg_lo:[0,1] neg_hi:[0,1]
	v_cvt_f32_i32_e32 v48, v71
	v_add_f32_e32 v37, v37, v39
	v_add_f32_e32 v37, v38, v37
	;; [unrolled: 1-line block ×4, first 2 shown]
	v_sub_f32_e32 v39, v38, v83
	v_mul_f32_e32 v37, v81, v37
	v_sub_f32_e32 v39, v82, v39
	v_add_f32_e32 v37, v39, v37
	v_add_f32_e32 v49, v38, v37
	v_mul_f32_e32 v50, v49, v49
	v_mov_b32_e32 v39, 0x3ecc95a3
	v_fmac_f32_e32 v39, 0x3e9b6dac, v50
	v_sub_f32_e32 v38, v49, v38
	v_fmaak_f32 v39, v50, v39, 0x3f2aaada
	v_sub_f32_e32 v37, v37, v38
	v_ldexp_f32 v51, v49, 1
	v_mul_f32_e32 v49, v49, v50
	v_mov_b32_e32 v38, 0x3f317218
	v_pk_mul_f32 v[38:39], v[48:49], v[38:39]
	v_ldexp_f32 v37, v37, 1
	v_fma_f32 v49, v48, s17, -v38
	v_fmamk_f32 v50, v48, 0xb102e308, v49
	v_pk_add_f32 v[48:49], v[38:39], v[50:51]
	v_mov_b32_e32 v68, v38
	v_sub_f32_e32 v51, v49, v51
	v_sub_f32_e32 v51, v39, v51
	v_add_f32_e32 v69, v37, v51
	v_pk_add_f32 v[38:39], v[48:49], v[38:39] neg_lo:[0,1] neg_hi:[0,1]
	v_pk_add_f32 v[80:81], v[48:49], v[68:69]
	v_mov_b32_e32 v51, v48
	v_mov_b32_e32 v39, v81
	v_pk_add_f32 v[82:83], v[50:51], v[38:39] neg_lo:[0,1] neg_hi:[0,1]
	v_pk_add_f32 v[38:39], v[50:51], v[38:39]
	v_mov_b32_e32 v68, v69
	v_mov_b32_e32 v50, v39
	v_pk_add_f32 v[84:85], v[50:51], v[48:49] neg_lo:[0,1] neg_hi:[0,1]
	v_mov_b32_e32 v38, v81
	v_mov_b32_e32 v37, v84
	v_pk_add_f32 v[86:87], v[80:81], v[36:37] neg_lo:[0,1] neg_hi:[0,1]
	v_mov_b32_e32 v80, v49
	v_mov_b32_e32 v81, v84
	;; [unrolled: 1-line block ×3, first 2 shown]
	v_pk_add_f32 v[38:39], v[38:39], v[80:81] neg_lo:[0,1] neg_hi:[0,1]
	v_mov_b32_e32 v69, v48
	v_pk_add_f32 v[38:39], v[68:69], v[38:39] neg_lo:[0,1] neg_hi:[0,1]
	v_mov_b32_e32 v86, v82
	v_pk_add_f32 v[48:49], v[86:87], v[38:39]
	s_mov_b32 s17, 0x33800000
	v_mov_b32_e32 v68, v49
	v_pk_add_f32 v[68:69], v[48:49], v[68:69]
	v_cmp_lt_f32_e64 s[18:19], |v65|, s17
	v_pk_add_f32 v[50:51], v[50:51], v[68:69]
	v_mov_b32_e32 v39, v68
	v_mov_b32_e32 v49, v50
	v_pk_add_f32 v[80:81], v[48:49], v[82:83] neg_lo:[0,1] neg_hi:[0,1]
	s_or_b64 vcc, vcc, s[18:19]
	v_sub_f32_e32 v37, v48, v80
	v_pk_add_f32 v[38:39], v[38:39], v[80:81] neg_lo:[0,1] neg_hi:[0,1]
	v_sub_f32_e32 v37, v82, v37
	v_add_f32_e32 v37, v38, v37
	v_add_f32_e32 v37, v37, v39
	;; [unrolled: 1-line block ×3, first 2 shown]
	v_cndmask_b32_e32 v37, v37, v65, vcc
	v_add_f32_e32 v37, v30, v37
.LBB479_63:
	s_or_b64 exec, exec, s[14:15]
	v_bfe_u32 v30, v37, 16, 1
	v_add3_u32 v30, v37, v30, s16
	v_and_b32_e32 v30, 0xffff0000, v30
	v_cmp_o_f32_e32 vcc, v37, v37
	s_movk_i32 s18, 0x1f8
	s_nop 0
	v_cndmask_b32_e32 v37, v31, v30, vcc
	v_mov_b32_e32 v30, 16
	v_lshlrev_b32_sdwa v65, v30, v26 dst_sel:DWORD dst_unused:UNUSED_PAD src0_sel:DWORD src1_sel:WORD_1
	v_max_f32_e32 v31, v37, v37
	v_max_f32_e32 v71, v65, v65
	v_min_f32_e32 v38, v31, v71
	v_cmp_u_f32_e32 vcc, v37, v37
	v_max_f32_e32 v31, v31, v71
	v_cmp_u_f32_e64 s[14:15], v65, v65
	v_cndmask_b32_e32 v38, v38, v37, vcc
	v_cndmask_b32_e32 v31, v31, v37, vcc
	v_cndmask_b32_e64 v38, v38, v65, s[14:15]
	v_cndmask_b32_e64 v31, v31, v65, s[14:15]
	v_cmp_neq_f32_e32 vcc, v38, v31
	v_cmp_class_f32_e64 s[16:17], v38, s18
	s_or_b64 s[20:21], vcc, s[16:17]
	s_and_saveexec_b64 s[16:17], s[20:21]
	s_cbranch_execz .LBB479_65
; %bb.64:
	v_sub_f32_e32 v37, v38, v31
	s_mov_b32 s19, 0x3fb8aa3b
	v_mul_f32_e32 v38, 0x3fb8aa3b, v37
	v_fma_f32 v39, v37, s19, -v38
	v_rndne_f32_e32 v48, v38
	v_fmamk_f32 v39, v37, 0x32a5705f, v39
	v_sub_f32_e32 v38, v38, v48
	v_add_f32_e32 v38, v38, v39
	v_exp_f32_e32 v38, v38
	v_cvt_i32_f32_e32 v39, v48
	s_mov_b32 s19, 0xc2ce8ed0
	v_cmp_ngt_f32_e32 vcc, s19, v37
	s_mov_b32 s19, 0x42b17218
	v_ldexp_f32 v38, v38, v39
	v_cndmask_b32_e32 v38, 0, v38, vcc
	v_mov_b32_e32 v39, 0x7f800000
	v_cmp_nlt_f32_e32 vcc, s19, v37
	s_mov_b32 s19, 0x3f2aaaab
	s_mov_b32 s20, 0x7f800000
	v_cndmask_b32_e32 v96, v39, v38, vcc
	v_add_f32_e32 v37, 1.0, v96
	v_add_f32_e32 v38, -1.0, v37
	v_sub_f32_e32 v39, v38, v37
	v_add_f32_e32 v39, 1.0, v39
	v_sub_f32_e32 v38, v96, v38
	v_add_f32_e32 v48, v38, v39
	v_frexp_mant_f32_e32 v49, v37
	v_cvt_f64_f32_e32 v[38:39], v37
	v_frexp_exp_i32_f64_e32 v38, v[38:39]
	v_cmp_gt_f32_e32 vcc, s19, v49
	s_mov_b32 s19, 0x3f317218
	s_nop 0
	v_subbrev_co_u32_e32 v80, vcc, 0, v38, vcc
	v_sub_u32_e32 v38, 0, v80
	v_ldexp_f32 v37, v37, v38
	v_ldexp_f32 v38, v48, v38
	v_add_f32_e32 v48, -1.0, v37
	v_add_f32_e32 v39, 1.0, v48
	v_sub_f32_e32 v39, v37, v39
	v_add_f32_e32 v49, v38, v39
	v_add_f32_e32 v39, 1.0, v37
	v_add_f32_e32 v50, -1.0, v39
	v_sub_f32_e32 v37, v37, v50
	v_add_f32_e32 v37, v38, v37
	v_add_f32_e32 v81, v39, v37
	v_rcp_f32_e32 v82, v81
	v_sub_f32_e32 v38, v39, v81
	v_add_f32_e32 v39, v48, v49
	v_add_f32_e32 v37, v37, v38
	v_mul_f32_e32 v84, v39, v82
	v_sub_f32_e32 v38, v48, v39
	v_mul_f32_e32 v48, v81, v84
	v_fma_f32 v50, v84, v81, -v48
	v_fmac_f32_e32 v50, v84, v37
	v_add_f32_e32 v83, v49, v38
	v_add_f32_e32 v38, v48, v50
	v_sub_f32_e32 v49, v39, v38
	v_pk_add_f32 v[68:69], v[38:39], v[48:49] neg_lo:[0,1] neg_hi:[0,1]
	v_mov_b32_e32 v51, v38
	v_pk_add_f32 v[38:39], v[68:69], v[50:51] neg_lo:[0,1] neg_hi:[0,1]
	v_cmp_eq_f32_e32 vcc, s20, v96
	v_add_f32_e32 v39, v83, v39
	v_add_f32_e32 v38, v38, v39
	;; [unrolled: 1-line block ×3, first 2 shown]
	v_mul_f32_e32 v83, v82, v39
	v_mul_f32_e32 v48, v81, v83
	v_fma_f32 v50, v83, v81, -v48
	v_fmac_f32_e32 v50, v83, v37
	v_sub_f32_e32 v37, v49, v39
	v_add_f32_e32 v37, v38, v37
	v_add_f32_e32 v38, v48, v50
	v_sub_f32_e32 v49, v39, v38
	v_pk_add_f32 v[68:69], v[38:39], v[48:49] neg_lo:[0,1] neg_hi:[0,1]
	v_mov_b32_e32 v51, v38
	v_pk_add_f32 v[38:39], v[68:69], v[50:51] neg_lo:[0,1] neg_hi:[0,1]
	v_cvt_f32_i32_e32 v48, v80
	v_add_f32_e32 v37, v37, v39
	v_add_f32_e32 v37, v38, v37
	;; [unrolled: 1-line block ×4, first 2 shown]
	v_sub_f32_e32 v39, v38, v84
	v_mul_f32_e32 v37, v82, v37
	v_sub_f32_e32 v39, v83, v39
	v_add_f32_e32 v37, v39, v37
	v_add_f32_e32 v49, v38, v37
	v_mul_f32_e32 v50, v49, v49
	v_mov_b32_e32 v39, 0x3ecc95a3
	v_fmac_f32_e32 v39, 0x3e9b6dac, v50
	v_sub_f32_e32 v38, v49, v38
	v_fmaak_f32 v39, v50, v39, 0x3f2aaada
	v_sub_f32_e32 v37, v37, v38
	v_ldexp_f32 v51, v49, 1
	v_mul_f32_e32 v49, v49, v50
	v_mov_b32_e32 v38, 0x3f317218
	v_pk_mul_f32 v[38:39], v[48:49], v[38:39]
	v_ldexp_f32 v37, v37, 1
	v_fma_f32 v49, v48, s19, -v38
	v_fmamk_f32 v50, v48, 0xb102e308, v49
	v_pk_add_f32 v[48:49], v[38:39], v[50:51]
	v_mov_b32_e32 v68, v38
	v_sub_f32_e32 v51, v49, v51
	v_sub_f32_e32 v51, v39, v51
	v_add_f32_e32 v69, v37, v51
	v_pk_add_f32 v[38:39], v[48:49], v[38:39] neg_lo:[0,1] neg_hi:[0,1]
	v_pk_add_f32 v[80:81], v[48:49], v[68:69]
	v_mov_b32_e32 v51, v48
	v_mov_b32_e32 v39, v81
	v_pk_add_f32 v[82:83], v[50:51], v[38:39] neg_lo:[0,1] neg_hi:[0,1]
	v_pk_add_f32 v[38:39], v[50:51], v[38:39]
	v_mov_b32_e32 v68, v69
	v_mov_b32_e32 v50, v39
	v_pk_add_f32 v[84:85], v[50:51], v[48:49] neg_lo:[0,1] neg_hi:[0,1]
	v_mov_b32_e32 v38, v81
	v_mov_b32_e32 v37, v84
	v_pk_add_f32 v[86:87], v[80:81], v[36:37] neg_lo:[0,1] neg_hi:[0,1]
	v_mov_b32_e32 v80, v49
	v_mov_b32_e32 v81, v84
	;; [unrolled: 1-line block ×3, first 2 shown]
	v_pk_add_f32 v[38:39], v[38:39], v[80:81] neg_lo:[0,1] neg_hi:[0,1]
	v_mov_b32_e32 v69, v48
	v_pk_add_f32 v[38:39], v[68:69], v[38:39] neg_lo:[0,1] neg_hi:[0,1]
	v_mov_b32_e32 v86, v82
	v_pk_add_f32 v[48:49], v[86:87], v[38:39]
	s_mov_b32 s19, 0x33800000
	v_mov_b32_e32 v68, v49
	v_pk_add_f32 v[68:69], v[48:49], v[68:69]
	v_cmp_lt_f32_e64 s[20:21], |v96|, s19
	v_pk_add_f32 v[50:51], v[50:51], v[68:69]
	v_mov_b32_e32 v39, v68
	v_mov_b32_e32 v49, v50
	v_pk_add_f32 v[80:81], v[48:49], v[82:83] neg_lo:[0,1] neg_hi:[0,1]
	s_or_b64 vcc, vcc, s[20:21]
	v_sub_f32_e32 v37, v48, v80
	v_pk_add_f32 v[38:39], v[38:39], v[80:81] neg_lo:[0,1] neg_hi:[0,1]
	v_sub_f32_e32 v37, v82, v37
	v_add_f32_e32 v37, v38, v37
	v_add_f32_e32 v37, v37, v39
	v_add_f32_e32 v37, v50, v37
	v_cndmask_b32_e32 v37, v37, v96, vcc
	v_add_f32_e32 v37, v31, v37
.LBB479_65:
	s_or_b64 exec, exec, s[16:17]
	v_bfe_u32 v31, v37, 16, 1
	s_movk_i32 s20, 0x7fff
	v_add3_u32 v31, v37, v31, s20
	v_and_b32_e32 v38, 0xffff0000, v31
	v_mov_b32_e32 v31, 0x7fc00000
	v_cmp_o_f32_e32 vcc, v37, v37
	v_lshlrev_b32_sdwa v68, v30, v27 dst_sel:DWORD dst_unused:UNUSED_PAD src0_sel:DWORD src1_sel:WORD_0
	v_max_f32_e32 v82, v68, v68
	v_cndmask_b32_e32 v37, v31, v38, vcc
	v_max_f32_e32 v30, v37, v37
	v_min_f32_e32 v38, v30, v82
	v_cmp_u_f32_e32 vcc, v37, v37
	v_max_f32_e32 v30, v30, v82
	v_cmp_u_f32_e64 s[16:17], v68, v68
	v_cndmask_b32_e32 v38, v38, v37, vcc
	v_cndmask_b32_e32 v30, v30, v37, vcc
	v_cndmask_b32_e64 v38, v38, v68, s[16:17]
	v_cndmask_b32_e64 v30, v30, v68, s[16:17]
	v_cmp_neq_f32_e32 vcc, v38, v30
	v_cmp_class_f32_e64 s[18:19], v38, s18
	s_or_b64 s[22:23], vcc, s[18:19]
	s_and_saveexec_b64 s[18:19], s[22:23]
	s_cbranch_execz .LBB479_67
; %bb.66:
	v_sub_f32_e32 v37, v38, v30
	s_mov_b32 s21, 0x3fb8aa3b
	v_mul_f32_e32 v38, 0x3fb8aa3b, v37
	v_fma_f32 v39, v37, s21, -v38
	v_rndne_f32_e32 v48, v38
	v_fmamk_f32 v39, v37, 0x32a5705f, v39
	v_sub_f32_e32 v38, v38, v48
	v_add_f32_e32 v38, v38, v39
	v_exp_f32_e32 v38, v38
	v_cvt_i32_f32_e32 v39, v48
	s_mov_b32 s21, 0xc2ce8ed0
	v_cmp_ngt_f32_e32 vcc, s21, v37
	s_mov_b32 s21, 0x42b17218
	v_ldexp_f32 v38, v38, v39
	v_cndmask_b32_e32 v38, 0, v38, vcc
	v_mov_b32_e32 v39, 0x7f800000
	v_cmp_nlt_f32_e32 vcc, s21, v37
	s_mov_b32 s21, 0x3f2aaaab
	s_mov_b32 s22, 0x7f800000
	v_cndmask_b32_e32 v69, v39, v38, vcc
	v_add_f32_e32 v37, 1.0, v69
	v_add_f32_e32 v38, -1.0, v37
	v_sub_f32_e32 v39, v38, v37
	v_add_f32_e32 v39, 1.0, v39
	v_sub_f32_e32 v38, v69, v38
	v_add_f32_e32 v48, v38, v39
	v_frexp_mant_f32_e32 v49, v37
	v_cvt_f64_f32_e32 v[38:39], v37
	v_frexp_exp_i32_f64_e32 v38, v[38:39]
	v_cmp_gt_f32_e32 vcc, s21, v49
	s_mov_b32 s21, 0x3f317218
	s_nop 0
	v_subbrev_co_u32_e32 v83, vcc, 0, v38, vcc
	v_sub_u32_e32 v38, 0, v83
	v_ldexp_f32 v37, v37, v38
	v_ldexp_f32 v38, v48, v38
	v_add_f32_e32 v48, -1.0, v37
	v_add_f32_e32 v39, 1.0, v48
	v_sub_f32_e32 v39, v37, v39
	v_add_f32_e32 v49, v38, v39
	v_add_f32_e32 v39, 1.0, v37
	v_add_f32_e32 v50, -1.0, v39
	v_sub_f32_e32 v37, v37, v50
	v_add_f32_e32 v37, v38, v37
	v_add_f32_e32 v84, v39, v37
	v_rcp_f32_e32 v85, v84
	v_sub_f32_e32 v38, v39, v84
	v_add_f32_e32 v39, v48, v49
	v_add_f32_e32 v37, v37, v38
	v_mul_f32_e32 v87, v39, v85
	v_sub_f32_e32 v38, v48, v39
	v_mul_f32_e32 v48, v84, v87
	v_fma_f32 v50, v87, v84, -v48
	v_fmac_f32_e32 v50, v87, v37
	v_add_f32_e32 v86, v49, v38
	v_add_f32_e32 v38, v48, v50
	v_sub_f32_e32 v49, v39, v38
	v_pk_add_f32 v[80:81], v[38:39], v[48:49] neg_lo:[0,1] neg_hi:[0,1]
	v_mov_b32_e32 v51, v38
	v_pk_add_f32 v[38:39], v[80:81], v[50:51] neg_lo:[0,1] neg_hi:[0,1]
	v_cmp_eq_f32_e32 vcc, s22, v69
	v_add_f32_e32 v39, v86, v39
	v_add_f32_e32 v38, v38, v39
	;; [unrolled: 1-line block ×3, first 2 shown]
	v_mul_f32_e32 v86, v85, v39
	v_mul_f32_e32 v48, v84, v86
	v_fma_f32 v50, v86, v84, -v48
	v_fmac_f32_e32 v50, v86, v37
	v_sub_f32_e32 v37, v49, v39
	v_add_f32_e32 v37, v38, v37
	v_add_f32_e32 v38, v48, v50
	v_sub_f32_e32 v49, v39, v38
	v_pk_add_f32 v[80:81], v[38:39], v[48:49] neg_lo:[0,1] neg_hi:[0,1]
	v_mov_b32_e32 v51, v38
	v_pk_add_f32 v[38:39], v[80:81], v[50:51] neg_lo:[0,1] neg_hi:[0,1]
	v_cvt_f32_i32_e32 v48, v83
	v_add_f32_e32 v37, v37, v39
	v_add_f32_e32 v37, v38, v37
	;; [unrolled: 1-line block ×4, first 2 shown]
	v_sub_f32_e32 v39, v38, v87
	v_mul_f32_e32 v37, v85, v37
	v_sub_f32_e32 v39, v86, v39
	v_add_f32_e32 v37, v39, v37
	v_add_f32_e32 v49, v38, v37
	v_mul_f32_e32 v50, v49, v49
	v_mov_b32_e32 v39, 0x3ecc95a3
	v_fmac_f32_e32 v39, 0x3e9b6dac, v50
	v_sub_f32_e32 v38, v49, v38
	v_fmaak_f32 v39, v50, v39, 0x3f2aaada
	v_sub_f32_e32 v37, v37, v38
	v_ldexp_f32 v51, v49, 1
	v_mul_f32_e32 v49, v49, v50
	v_mov_b32_e32 v38, 0x3f317218
	v_pk_mul_f32 v[38:39], v[48:49], v[38:39]
	v_ldexp_f32 v37, v37, 1
	v_fma_f32 v49, v48, s21, -v38
	v_fmamk_f32 v50, v48, 0xb102e308, v49
	v_pk_add_f32 v[48:49], v[38:39], v[50:51]
	v_mov_b32_e32 v80, v38
	v_sub_f32_e32 v51, v49, v51
	v_sub_f32_e32 v51, v39, v51
	v_add_f32_e32 v81, v37, v51
	v_pk_add_f32 v[38:39], v[48:49], v[38:39] neg_lo:[0,1] neg_hi:[0,1]
	v_pk_add_f32 v[84:85], v[48:49], v[80:81]
	v_mov_b32_e32 v51, v48
	v_mov_b32_e32 v39, v85
	v_pk_add_f32 v[86:87], v[50:51], v[38:39] neg_lo:[0,1] neg_hi:[0,1]
	v_pk_add_f32 v[38:39], v[50:51], v[38:39]
	v_mov_b32_e32 v80, v81
	v_mov_b32_e32 v50, v39
	v_pk_add_f32 v[96:97], v[50:51], v[48:49] neg_lo:[0,1] neg_hi:[0,1]
	v_mov_b32_e32 v38, v85
	v_mov_b32_e32 v37, v96
	v_pk_add_f32 v[98:99], v[84:85], v[36:37] neg_lo:[0,1] neg_hi:[0,1]
	v_mov_b32_e32 v84, v49
	v_mov_b32_e32 v85, v96
	;; [unrolled: 1-line block ×3, first 2 shown]
	v_pk_add_f32 v[38:39], v[38:39], v[84:85] neg_lo:[0,1] neg_hi:[0,1]
	v_mov_b32_e32 v81, v48
	v_pk_add_f32 v[38:39], v[80:81], v[38:39] neg_lo:[0,1] neg_hi:[0,1]
	v_mov_b32_e32 v98, v86
	v_pk_add_f32 v[48:49], v[98:99], v[38:39]
	s_mov_b32 s21, 0x33800000
	v_mov_b32_e32 v80, v49
	v_pk_add_f32 v[80:81], v[48:49], v[80:81]
	v_cmp_lt_f32_e64 s[22:23], |v69|, s21
	v_pk_add_f32 v[50:51], v[50:51], v[80:81]
	v_mov_b32_e32 v39, v80
	v_mov_b32_e32 v49, v50
	v_pk_add_f32 v[84:85], v[48:49], v[86:87] neg_lo:[0,1] neg_hi:[0,1]
	s_or_b64 vcc, vcc, s[22:23]
	v_sub_f32_e32 v37, v48, v84
	v_pk_add_f32 v[38:39], v[38:39], v[84:85] neg_lo:[0,1] neg_hi:[0,1]
	v_sub_f32_e32 v37, v86, v37
	v_add_f32_e32 v37, v38, v37
	v_add_f32_e32 v37, v37, v39
	;; [unrolled: 1-line block ×3, first 2 shown]
	v_cndmask_b32_e32 v37, v37, v69, vcc
	v_add_f32_e32 v37, v30, v37
.LBB479_67:
	s_or_b64 exec, exec, s[18:19]
	v_bfe_u32 v30, v37, 16, 1
	v_add3_u32 v30, v37, v30, s20
	v_and_b32_e32 v30, 0xffff0000, v30
	v_cmp_o_f32_e32 vcc, v37, v37
	s_movk_i32 s22, 0x1f8
	s_nop 0
	v_cndmask_b32_e32 v37, v31, v30, vcc
	v_mov_b32_e32 v30, 16
	v_lshlrev_b32_sdwa v69, v30, v27 dst_sel:DWORD dst_unused:UNUSED_PAD src0_sel:DWORD src1_sel:WORD_1
	v_max_f32_e32 v31, v37, v37
	v_max_f32_e32 v83, v69, v69
	v_min_f32_e32 v38, v31, v83
	v_cmp_u_f32_e32 vcc, v37, v37
	v_max_f32_e32 v31, v31, v83
	v_cmp_u_f32_e64 s[18:19], v69, v69
	v_cndmask_b32_e32 v38, v38, v37, vcc
	v_cndmask_b32_e32 v31, v31, v37, vcc
	v_cndmask_b32_e64 v38, v38, v69, s[18:19]
	v_cndmask_b32_e64 v31, v31, v69, s[18:19]
	v_cmp_neq_f32_e32 vcc, v38, v31
	v_cmp_class_f32_e64 s[20:21], v38, s22
	s_or_b64 s[24:25], vcc, s[20:21]
	s_and_saveexec_b64 s[20:21], s[24:25]
	s_cbranch_execz .LBB479_69
; %bb.68:
	v_sub_f32_e32 v37, v38, v31
	s_mov_b32 s23, 0x3fb8aa3b
	v_mul_f32_e32 v38, 0x3fb8aa3b, v37
	v_fma_f32 v39, v37, s23, -v38
	v_rndne_f32_e32 v48, v38
	v_fmamk_f32 v39, v37, 0x32a5705f, v39
	v_sub_f32_e32 v38, v38, v48
	v_add_f32_e32 v38, v38, v39
	v_exp_f32_e32 v38, v38
	v_cvt_i32_f32_e32 v39, v48
	s_mov_b32 s23, 0xc2ce8ed0
	v_cmp_ngt_f32_e32 vcc, s23, v37
	s_mov_b32 s23, 0x42b17218
	v_ldexp_f32 v38, v38, v39
	v_cndmask_b32_e32 v38, 0, v38, vcc
	v_mov_b32_e32 v39, 0x7f800000
	v_cmp_nlt_f32_e32 vcc, s23, v37
	s_mov_b32 s23, 0x3f2aaaab
	s_mov_b32 s24, 0x7f800000
	v_cndmask_b32_e32 v100, v39, v38, vcc
	v_add_f32_e32 v37, 1.0, v100
	v_add_f32_e32 v38, -1.0, v37
	v_sub_f32_e32 v39, v38, v37
	v_add_f32_e32 v39, 1.0, v39
	v_sub_f32_e32 v38, v100, v38
	v_add_f32_e32 v48, v38, v39
	v_frexp_mant_f32_e32 v49, v37
	v_cvt_f64_f32_e32 v[38:39], v37
	v_frexp_exp_i32_f64_e32 v38, v[38:39]
	v_cmp_gt_f32_e32 vcc, s23, v49
	s_mov_b32 s23, 0x3f317218
	s_nop 0
	v_subbrev_co_u32_e32 v84, vcc, 0, v38, vcc
	v_sub_u32_e32 v38, 0, v84
	v_ldexp_f32 v37, v37, v38
	v_ldexp_f32 v38, v48, v38
	v_add_f32_e32 v48, -1.0, v37
	v_add_f32_e32 v39, 1.0, v48
	v_sub_f32_e32 v39, v37, v39
	v_add_f32_e32 v49, v38, v39
	v_add_f32_e32 v39, 1.0, v37
	v_add_f32_e32 v50, -1.0, v39
	v_sub_f32_e32 v37, v37, v50
	v_add_f32_e32 v37, v38, v37
	v_add_f32_e32 v85, v39, v37
	v_rcp_f32_e32 v86, v85
	v_sub_f32_e32 v38, v39, v85
	v_add_f32_e32 v39, v48, v49
	v_add_f32_e32 v37, v37, v38
	v_mul_f32_e32 v96, v39, v86
	v_sub_f32_e32 v38, v48, v39
	v_mul_f32_e32 v48, v85, v96
	v_fma_f32 v50, v96, v85, -v48
	v_fmac_f32_e32 v50, v96, v37
	v_add_f32_e32 v87, v49, v38
	v_add_f32_e32 v38, v48, v50
	v_sub_f32_e32 v49, v39, v38
	v_pk_add_f32 v[80:81], v[38:39], v[48:49] neg_lo:[0,1] neg_hi:[0,1]
	v_mov_b32_e32 v51, v38
	v_pk_add_f32 v[38:39], v[80:81], v[50:51] neg_lo:[0,1] neg_hi:[0,1]
	v_cmp_eq_f32_e32 vcc, s24, v100
	v_add_f32_e32 v39, v87, v39
	v_add_f32_e32 v38, v38, v39
	;; [unrolled: 1-line block ×3, first 2 shown]
	v_mul_f32_e32 v87, v86, v39
	v_mul_f32_e32 v48, v85, v87
	v_fma_f32 v50, v87, v85, -v48
	v_fmac_f32_e32 v50, v87, v37
	v_sub_f32_e32 v37, v49, v39
	v_add_f32_e32 v37, v38, v37
	v_add_f32_e32 v38, v48, v50
	v_sub_f32_e32 v49, v39, v38
	v_pk_add_f32 v[80:81], v[38:39], v[48:49] neg_lo:[0,1] neg_hi:[0,1]
	v_mov_b32_e32 v51, v38
	v_pk_add_f32 v[38:39], v[80:81], v[50:51] neg_lo:[0,1] neg_hi:[0,1]
	v_cvt_f32_i32_e32 v48, v84
	v_add_f32_e32 v37, v37, v39
	v_add_f32_e32 v37, v38, v37
	;; [unrolled: 1-line block ×4, first 2 shown]
	v_sub_f32_e32 v39, v38, v96
	v_mul_f32_e32 v37, v86, v37
	v_sub_f32_e32 v39, v87, v39
	v_add_f32_e32 v37, v39, v37
	v_add_f32_e32 v49, v38, v37
	v_mul_f32_e32 v50, v49, v49
	v_mov_b32_e32 v39, 0x3ecc95a3
	v_fmac_f32_e32 v39, 0x3e9b6dac, v50
	v_sub_f32_e32 v38, v49, v38
	v_fmaak_f32 v39, v50, v39, 0x3f2aaada
	v_sub_f32_e32 v37, v37, v38
	v_ldexp_f32 v51, v49, 1
	v_mul_f32_e32 v49, v49, v50
	v_mov_b32_e32 v38, 0x3f317218
	v_pk_mul_f32 v[38:39], v[48:49], v[38:39]
	v_ldexp_f32 v37, v37, 1
	v_fma_f32 v49, v48, s23, -v38
	v_fmamk_f32 v50, v48, 0xb102e308, v49
	v_pk_add_f32 v[48:49], v[38:39], v[50:51]
	v_mov_b32_e32 v80, v38
	v_sub_f32_e32 v51, v49, v51
	v_sub_f32_e32 v51, v39, v51
	v_add_f32_e32 v81, v37, v51
	v_pk_add_f32 v[38:39], v[48:49], v[38:39] neg_lo:[0,1] neg_hi:[0,1]
	v_pk_add_f32 v[84:85], v[48:49], v[80:81]
	v_mov_b32_e32 v51, v48
	v_mov_b32_e32 v39, v85
	v_pk_add_f32 v[86:87], v[50:51], v[38:39] neg_lo:[0,1] neg_hi:[0,1]
	v_pk_add_f32 v[38:39], v[50:51], v[38:39]
	v_mov_b32_e32 v80, v81
	v_mov_b32_e32 v50, v39
	v_pk_add_f32 v[96:97], v[50:51], v[48:49] neg_lo:[0,1] neg_hi:[0,1]
	v_mov_b32_e32 v38, v85
	v_mov_b32_e32 v37, v96
	v_pk_add_f32 v[98:99], v[84:85], v[36:37] neg_lo:[0,1] neg_hi:[0,1]
	v_mov_b32_e32 v84, v49
	v_mov_b32_e32 v85, v96
	;; [unrolled: 1-line block ×3, first 2 shown]
	v_pk_add_f32 v[38:39], v[38:39], v[84:85] neg_lo:[0,1] neg_hi:[0,1]
	v_mov_b32_e32 v81, v48
	v_pk_add_f32 v[38:39], v[80:81], v[38:39] neg_lo:[0,1] neg_hi:[0,1]
	v_mov_b32_e32 v98, v86
	v_pk_add_f32 v[48:49], v[98:99], v[38:39]
	s_mov_b32 s23, 0x33800000
	v_mov_b32_e32 v80, v49
	v_pk_add_f32 v[80:81], v[48:49], v[80:81]
	v_cmp_lt_f32_e64 s[24:25], |v100|, s23
	v_pk_add_f32 v[50:51], v[50:51], v[80:81]
	v_mov_b32_e32 v39, v80
	v_mov_b32_e32 v49, v50
	v_pk_add_f32 v[84:85], v[48:49], v[86:87] neg_lo:[0,1] neg_hi:[0,1]
	s_or_b64 vcc, vcc, s[24:25]
	v_sub_f32_e32 v37, v48, v84
	v_pk_add_f32 v[38:39], v[38:39], v[84:85] neg_lo:[0,1] neg_hi:[0,1]
	v_sub_f32_e32 v37, v86, v37
	v_add_f32_e32 v37, v38, v37
	v_add_f32_e32 v37, v37, v39
	;; [unrolled: 1-line block ×3, first 2 shown]
	v_cndmask_b32_e32 v37, v37, v100, vcc
	v_add_f32_e32 v37, v31, v37
.LBB479_69:
	s_or_b64 exec, exec, s[20:21]
	v_bfe_u32 v31, v37, 16, 1
	s_movk_i32 s24, 0x7fff
	v_add3_u32 v31, v37, v31, s24
	v_and_b32_e32 v38, 0xffff0000, v31
	v_mov_b32_e32 v31, 0x7fc00000
	v_cmp_o_f32_e32 vcc, v37, v37
	v_lshlrev_b32_sdwa v80, v30, v20 dst_sel:DWORD dst_unused:UNUSED_PAD src0_sel:DWORD src1_sel:WORD_0
	v_max_f32_e32 v86, v80, v80
	v_cndmask_b32_e32 v37, v31, v38, vcc
	v_max_f32_e32 v30, v37, v37
	v_min_f32_e32 v38, v30, v86
	v_cmp_u_f32_e32 vcc, v37, v37
	v_max_f32_e32 v30, v30, v86
	v_cmp_u_f32_e64 s[20:21], v80, v80
	v_cndmask_b32_e32 v38, v38, v37, vcc
	v_cndmask_b32_e32 v30, v30, v37, vcc
	v_cndmask_b32_e64 v38, v38, v80, s[20:21]
	v_cndmask_b32_e64 v30, v30, v80, s[20:21]
	v_cmp_neq_f32_e32 vcc, v38, v30
	v_cmp_class_f32_e64 s[22:23], v38, s22
	s_or_b64 s[26:27], vcc, s[22:23]
	s_and_saveexec_b64 s[22:23], s[26:27]
	s_cbranch_execz .LBB479_71
; %bb.70:
	v_sub_f32_e32 v37, v38, v30
	s_mov_b32 s25, 0x3fb8aa3b
	v_mul_f32_e32 v38, 0x3fb8aa3b, v37
	v_fma_f32 v39, v37, s25, -v38
	v_rndne_f32_e32 v48, v38
	v_fmamk_f32 v39, v37, 0x32a5705f, v39
	v_sub_f32_e32 v38, v38, v48
	v_add_f32_e32 v38, v38, v39
	v_exp_f32_e32 v38, v38
	v_cvt_i32_f32_e32 v39, v48
	s_mov_b32 s25, 0xc2ce8ed0
	v_cmp_ngt_f32_e32 vcc, s25, v37
	s_mov_b32 s25, 0x42b17218
	v_ldexp_f32 v38, v38, v39
	v_cndmask_b32_e32 v38, 0, v38, vcc
	v_mov_b32_e32 v39, 0x7f800000
	v_cmp_nlt_f32_e32 vcc, s25, v37
	s_mov_b32 s25, 0x3f2aaaab
	s_mov_b32 s26, 0x7f800000
	v_cndmask_b32_e32 v81, v39, v38, vcc
	v_add_f32_e32 v37, 1.0, v81
	v_add_f32_e32 v38, -1.0, v37
	v_sub_f32_e32 v39, v38, v37
	v_add_f32_e32 v39, 1.0, v39
	v_sub_f32_e32 v38, v81, v38
	v_add_f32_e32 v48, v38, v39
	v_frexp_mant_f32_e32 v49, v37
	v_cvt_f64_f32_e32 v[38:39], v37
	v_frexp_exp_i32_f64_e32 v38, v[38:39]
	v_cmp_gt_f32_e32 vcc, s25, v49
	s_mov_b32 s25, 0x3f317218
	s_nop 0
	v_subbrev_co_u32_e32 v87, vcc, 0, v38, vcc
	v_sub_u32_e32 v38, 0, v87
	v_ldexp_f32 v37, v37, v38
	v_ldexp_f32 v38, v48, v38
	v_add_f32_e32 v48, -1.0, v37
	v_add_f32_e32 v39, 1.0, v48
	v_sub_f32_e32 v39, v37, v39
	v_add_f32_e32 v49, v38, v39
	v_add_f32_e32 v39, 1.0, v37
	v_add_f32_e32 v50, -1.0, v39
	v_sub_f32_e32 v37, v37, v50
	v_add_f32_e32 v37, v38, v37
	v_add_f32_e32 v96, v39, v37
	v_rcp_f32_e32 v97, v96
	v_sub_f32_e32 v38, v39, v96
	v_add_f32_e32 v39, v48, v49
	v_add_f32_e32 v37, v37, v38
	v_mul_f32_e32 v99, v39, v97
	v_sub_f32_e32 v38, v48, v39
	v_mul_f32_e32 v48, v96, v99
	v_fma_f32 v50, v99, v96, -v48
	v_fmac_f32_e32 v50, v99, v37
	v_add_f32_e32 v98, v49, v38
	v_add_f32_e32 v38, v48, v50
	v_sub_f32_e32 v49, v39, v38
	v_pk_add_f32 v[84:85], v[38:39], v[48:49] neg_lo:[0,1] neg_hi:[0,1]
	v_mov_b32_e32 v51, v38
	v_pk_add_f32 v[38:39], v[84:85], v[50:51] neg_lo:[0,1] neg_hi:[0,1]
	v_cmp_eq_f32_e32 vcc, s26, v81
	v_add_f32_e32 v39, v98, v39
	v_add_f32_e32 v38, v38, v39
	;; [unrolled: 1-line block ×3, first 2 shown]
	v_mul_f32_e32 v98, v97, v39
	v_mul_f32_e32 v48, v96, v98
	v_fma_f32 v50, v98, v96, -v48
	v_fmac_f32_e32 v50, v98, v37
	v_sub_f32_e32 v37, v49, v39
	v_add_f32_e32 v37, v38, v37
	v_add_f32_e32 v38, v48, v50
	v_sub_f32_e32 v49, v39, v38
	v_pk_add_f32 v[84:85], v[38:39], v[48:49] neg_lo:[0,1] neg_hi:[0,1]
	v_mov_b32_e32 v51, v38
	v_pk_add_f32 v[38:39], v[84:85], v[50:51] neg_lo:[0,1] neg_hi:[0,1]
	v_cvt_f32_i32_e32 v48, v87
	v_add_f32_e32 v37, v37, v39
	v_add_f32_e32 v37, v38, v37
	v_add_f32_e32 v38, v99, v98
	v_add_f32_e32 v37, v49, v37
	v_sub_f32_e32 v39, v38, v99
	v_mul_f32_e32 v37, v97, v37
	v_sub_f32_e32 v39, v98, v39
	v_add_f32_e32 v37, v39, v37
	v_add_f32_e32 v49, v38, v37
	v_mul_f32_e32 v50, v49, v49
	v_mov_b32_e32 v39, 0x3ecc95a3
	v_fmac_f32_e32 v39, 0x3e9b6dac, v50
	v_sub_f32_e32 v38, v49, v38
	v_fmaak_f32 v39, v50, v39, 0x3f2aaada
	v_sub_f32_e32 v37, v37, v38
	v_ldexp_f32 v51, v49, 1
	v_mul_f32_e32 v49, v49, v50
	v_mov_b32_e32 v38, 0x3f317218
	v_pk_mul_f32 v[38:39], v[48:49], v[38:39]
	v_ldexp_f32 v37, v37, 1
	v_fma_f32 v49, v48, s25, -v38
	v_fmamk_f32 v50, v48, 0xb102e308, v49
	v_pk_add_f32 v[48:49], v[38:39], v[50:51]
	v_mov_b32_e32 v84, v38
	v_sub_f32_e32 v51, v49, v51
	v_sub_f32_e32 v51, v39, v51
	v_add_f32_e32 v85, v37, v51
	v_pk_add_f32 v[38:39], v[48:49], v[38:39] neg_lo:[0,1] neg_hi:[0,1]
	v_pk_add_f32 v[96:97], v[48:49], v[84:85]
	v_mov_b32_e32 v51, v48
	v_mov_b32_e32 v39, v97
	v_pk_add_f32 v[98:99], v[50:51], v[38:39] neg_lo:[0,1] neg_hi:[0,1]
	v_pk_add_f32 v[38:39], v[50:51], v[38:39]
	v_mov_b32_e32 v84, v85
	v_mov_b32_e32 v50, v39
	v_pk_add_f32 v[100:101], v[50:51], v[48:49] neg_lo:[0,1] neg_hi:[0,1]
	v_mov_b32_e32 v38, v97
	v_mov_b32_e32 v37, v100
	v_pk_add_f32 v[102:103], v[96:97], v[36:37] neg_lo:[0,1] neg_hi:[0,1]
	v_mov_b32_e32 v96, v49
	v_mov_b32_e32 v97, v100
	;; [unrolled: 1-line block ×3, first 2 shown]
	v_pk_add_f32 v[38:39], v[38:39], v[96:97] neg_lo:[0,1] neg_hi:[0,1]
	v_mov_b32_e32 v85, v48
	v_pk_add_f32 v[38:39], v[84:85], v[38:39] neg_lo:[0,1] neg_hi:[0,1]
	v_mov_b32_e32 v102, v98
	v_pk_add_f32 v[48:49], v[102:103], v[38:39]
	s_mov_b32 s25, 0x33800000
	v_mov_b32_e32 v84, v49
	v_pk_add_f32 v[84:85], v[48:49], v[84:85]
	v_cmp_lt_f32_e64 s[26:27], |v81|, s25
	v_pk_add_f32 v[50:51], v[50:51], v[84:85]
	v_mov_b32_e32 v39, v84
	v_mov_b32_e32 v49, v50
	v_pk_add_f32 v[96:97], v[48:49], v[98:99] neg_lo:[0,1] neg_hi:[0,1]
	s_or_b64 vcc, vcc, s[26:27]
	v_sub_f32_e32 v37, v48, v96
	v_pk_add_f32 v[38:39], v[38:39], v[96:97] neg_lo:[0,1] neg_hi:[0,1]
	v_sub_f32_e32 v37, v98, v37
	v_add_f32_e32 v37, v38, v37
	v_add_f32_e32 v37, v37, v39
	;; [unrolled: 1-line block ×3, first 2 shown]
	v_cndmask_b32_e32 v37, v37, v81, vcc
	v_add_f32_e32 v37, v30, v37
.LBB479_71:
	s_or_b64 exec, exec, s[22:23]
	v_bfe_u32 v30, v37, 16, 1
	v_add3_u32 v30, v37, v30, s24
	v_and_b32_e32 v30, 0xffff0000, v30
	v_cmp_o_f32_e32 vcc, v37, v37
	s_movk_i32 s26, 0x1f8
	s_nop 0
	v_cndmask_b32_e32 v37, v31, v30, vcc
	v_mov_b32_e32 v30, 16
	v_lshlrev_b32_sdwa v81, v30, v20 dst_sel:DWORD dst_unused:UNUSED_PAD src0_sel:DWORD src1_sel:WORD_1
	v_max_f32_e32 v31, v37, v37
	v_max_f32_e32 v87, v81, v81
	v_min_f32_e32 v38, v31, v87
	v_cmp_u_f32_e32 vcc, v37, v37
	v_max_f32_e32 v31, v31, v87
	v_cmp_u_f32_e64 s[22:23], v81, v81
	v_cndmask_b32_e32 v38, v38, v37, vcc
	v_cndmask_b32_e32 v31, v31, v37, vcc
	v_cndmask_b32_e64 v38, v38, v81, s[22:23]
	v_cndmask_b32_e64 v31, v31, v81, s[22:23]
	v_cmp_neq_f32_e32 vcc, v38, v31
	v_cmp_class_f32_e64 s[24:25], v38, s26
	s_or_b64 s[28:29], vcc, s[24:25]
	s_and_saveexec_b64 s[24:25], s[28:29]
	s_cbranch_execz .LBB479_73
; %bb.72:
	v_sub_f32_e32 v37, v38, v31
	s_mov_b32 s27, 0x3fb8aa3b
	v_mul_f32_e32 v38, 0x3fb8aa3b, v37
	v_fma_f32 v39, v37, s27, -v38
	v_rndne_f32_e32 v48, v38
	v_fmamk_f32 v39, v37, 0x32a5705f, v39
	v_sub_f32_e32 v38, v38, v48
	v_add_f32_e32 v38, v38, v39
	v_exp_f32_e32 v38, v38
	v_cvt_i32_f32_e32 v39, v48
	s_mov_b32 s27, 0xc2ce8ed0
	v_cmp_ngt_f32_e32 vcc, s27, v37
	s_mov_b32 s27, 0x42b17218
	v_ldexp_f32 v38, v38, v39
	v_cndmask_b32_e32 v38, 0, v38, vcc
	v_mov_b32_e32 v39, 0x7f800000
	v_cmp_nlt_f32_e32 vcc, s27, v37
	s_mov_b32 s27, 0x3f2aaaab
	s_mov_b32 s28, 0x7f800000
	v_cndmask_b32_e32 v112, v39, v38, vcc
	v_add_f32_e32 v37, 1.0, v112
	v_add_f32_e32 v38, -1.0, v37
	v_sub_f32_e32 v39, v38, v37
	v_add_f32_e32 v39, 1.0, v39
	v_sub_f32_e32 v38, v112, v38
	v_add_f32_e32 v48, v38, v39
	v_frexp_mant_f32_e32 v49, v37
	v_cvt_f64_f32_e32 v[38:39], v37
	v_frexp_exp_i32_f64_e32 v38, v[38:39]
	v_cmp_gt_f32_e32 vcc, s27, v49
	s_mov_b32 s27, 0x3f317218
	s_nop 0
	v_subbrev_co_u32_e32 v96, vcc, 0, v38, vcc
	v_sub_u32_e32 v38, 0, v96
	v_ldexp_f32 v37, v37, v38
	v_ldexp_f32 v38, v48, v38
	v_add_f32_e32 v48, -1.0, v37
	v_add_f32_e32 v39, 1.0, v48
	v_sub_f32_e32 v39, v37, v39
	v_add_f32_e32 v49, v38, v39
	v_add_f32_e32 v39, 1.0, v37
	v_add_f32_e32 v50, -1.0, v39
	v_sub_f32_e32 v37, v37, v50
	v_add_f32_e32 v37, v38, v37
	v_add_f32_e32 v97, v39, v37
	v_rcp_f32_e32 v98, v97
	v_sub_f32_e32 v38, v39, v97
	v_add_f32_e32 v39, v48, v49
	v_add_f32_e32 v37, v37, v38
	v_mul_f32_e32 v100, v39, v98
	v_sub_f32_e32 v38, v48, v39
	v_mul_f32_e32 v48, v97, v100
	v_fma_f32 v50, v100, v97, -v48
	v_fmac_f32_e32 v50, v100, v37
	v_add_f32_e32 v99, v49, v38
	v_add_f32_e32 v38, v48, v50
	v_sub_f32_e32 v49, v39, v38
	v_pk_add_f32 v[84:85], v[38:39], v[48:49] neg_lo:[0,1] neg_hi:[0,1]
	v_mov_b32_e32 v51, v38
	v_pk_add_f32 v[38:39], v[84:85], v[50:51] neg_lo:[0,1] neg_hi:[0,1]
	v_cmp_eq_f32_e32 vcc, s28, v112
	v_add_f32_e32 v39, v99, v39
	v_add_f32_e32 v38, v38, v39
	;; [unrolled: 1-line block ×3, first 2 shown]
	v_mul_f32_e32 v99, v98, v39
	v_mul_f32_e32 v48, v97, v99
	v_fma_f32 v50, v99, v97, -v48
	v_fmac_f32_e32 v50, v99, v37
	v_sub_f32_e32 v37, v49, v39
	v_add_f32_e32 v37, v38, v37
	v_add_f32_e32 v38, v48, v50
	v_sub_f32_e32 v49, v39, v38
	v_pk_add_f32 v[84:85], v[38:39], v[48:49] neg_lo:[0,1] neg_hi:[0,1]
	v_mov_b32_e32 v51, v38
	v_pk_add_f32 v[38:39], v[84:85], v[50:51] neg_lo:[0,1] neg_hi:[0,1]
	v_cvt_f32_i32_e32 v48, v96
	v_add_f32_e32 v37, v37, v39
	v_add_f32_e32 v37, v38, v37
	;; [unrolled: 1-line block ×4, first 2 shown]
	v_sub_f32_e32 v39, v38, v100
	v_mul_f32_e32 v37, v98, v37
	v_sub_f32_e32 v39, v99, v39
	v_add_f32_e32 v37, v39, v37
	v_add_f32_e32 v49, v38, v37
	v_mul_f32_e32 v50, v49, v49
	v_mov_b32_e32 v39, 0x3ecc95a3
	v_fmac_f32_e32 v39, 0x3e9b6dac, v50
	v_sub_f32_e32 v38, v49, v38
	v_fmaak_f32 v39, v50, v39, 0x3f2aaada
	v_sub_f32_e32 v37, v37, v38
	v_ldexp_f32 v51, v49, 1
	v_mul_f32_e32 v49, v49, v50
	v_mov_b32_e32 v38, 0x3f317218
	v_pk_mul_f32 v[38:39], v[48:49], v[38:39]
	v_ldexp_f32 v37, v37, 1
	v_fma_f32 v49, v48, s27, -v38
	v_fmamk_f32 v50, v48, 0xb102e308, v49
	v_pk_add_f32 v[48:49], v[38:39], v[50:51]
	v_mov_b32_e32 v84, v38
	v_sub_f32_e32 v51, v49, v51
	v_sub_f32_e32 v51, v39, v51
	v_add_f32_e32 v85, v37, v51
	v_pk_add_f32 v[38:39], v[48:49], v[38:39] neg_lo:[0,1] neg_hi:[0,1]
	v_pk_add_f32 v[96:97], v[48:49], v[84:85]
	v_mov_b32_e32 v51, v48
	v_mov_b32_e32 v39, v97
	v_pk_add_f32 v[98:99], v[50:51], v[38:39] neg_lo:[0,1] neg_hi:[0,1]
	v_pk_add_f32 v[38:39], v[50:51], v[38:39]
	v_mov_b32_e32 v84, v85
	v_mov_b32_e32 v50, v39
	v_pk_add_f32 v[100:101], v[50:51], v[48:49] neg_lo:[0,1] neg_hi:[0,1]
	v_mov_b32_e32 v38, v97
	v_mov_b32_e32 v37, v100
	v_pk_add_f32 v[102:103], v[96:97], v[36:37] neg_lo:[0,1] neg_hi:[0,1]
	v_mov_b32_e32 v96, v49
	v_mov_b32_e32 v97, v100
	;; [unrolled: 1-line block ×3, first 2 shown]
	v_pk_add_f32 v[38:39], v[38:39], v[96:97] neg_lo:[0,1] neg_hi:[0,1]
	v_mov_b32_e32 v85, v48
	v_pk_add_f32 v[38:39], v[84:85], v[38:39] neg_lo:[0,1] neg_hi:[0,1]
	v_mov_b32_e32 v102, v98
	v_pk_add_f32 v[48:49], v[102:103], v[38:39]
	s_mov_b32 s27, 0x33800000
	v_mov_b32_e32 v84, v49
	v_pk_add_f32 v[84:85], v[48:49], v[84:85]
	v_cmp_lt_f32_e64 s[28:29], |v112|, s27
	v_pk_add_f32 v[50:51], v[50:51], v[84:85]
	v_mov_b32_e32 v39, v84
	v_mov_b32_e32 v49, v50
	v_pk_add_f32 v[96:97], v[48:49], v[98:99] neg_lo:[0,1] neg_hi:[0,1]
	s_or_b64 vcc, vcc, s[28:29]
	v_sub_f32_e32 v37, v48, v96
	v_pk_add_f32 v[38:39], v[38:39], v[96:97] neg_lo:[0,1] neg_hi:[0,1]
	v_sub_f32_e32 v37, v98, v37
	v_add_f32_e32 v37, v38, v37
	v_add_f32_e32 v37, v37, v39
	;; [unrolled: 1-line block ×3, first 2 shown]
	v_cndmask_b32_e32 v37, v37, v112, vcc
	v_add_f32_e32 v37, v31, v37
.LBB479_73:
	s_or_b64 exec, exec, s[24:25]
	v_bfe_u32 v31, v37, 16, 1
	s_movk_i32 s28, 0x7fff
	v_add3_u32 v31, v37, v31, s28
	v_and_b32_e32 v38, 0xffff0000, v31
	v_mov_b32_e32 v31, 0x7fc00000
	v_cmp_o_f32_e32 vcc, v37, v37
	v_lshlrev_b32_sdwa v84, v30, v21 dst_sel:DWORD dst_unused:UNUSED_PAD src0_sel:DWORD src1_sel:WORD_0
	v_max_f32_e32 v98, v84, v84
	v_cndmask_b32_e32 v37, v31, v38, vcc
	v_max_f32_e32 v30, v37, v37
	v_min_f32_e32 v38, v30, v98
	v_cmp_u_f32_e32 vcc, v37, v37
	v_max_f32_e32 v30, v30, v98
	v_cmp_u_f32_e64 s[24:25], v84, v84
	v_cndmask_b32_e32 v38, v38, v37, vcc
	v_cndmask_b32_e32 v30, v30, v37, vcc
	v_cndmask_b32_e64 v38, v38, v84, s[24:25]
	v_cndmask_b32_e64 v30, v30, v84, s[24:25]
	v_cmp_neq_f32_e32 vcc, v38, v30
	v_cmp_class_f32_e64 s[26:27], v38, s26
	s_or_b64 vcc, vcc, s[26:27]
	s_and_saveexec_b64 s[26:27], vcc
	s_cbranch_execz .LBB479_75
; %bb.74:
	v_sub_f32_e32 v37, v38, v30
	s_mov_b32 s29, 0x3fb8aa3b
	v_mul_f32_e32 v38, 0x3fb8aa3b, v37
	v_fma_f32 v39, v37, s29, -v38
	v_rndne_f32_e32 v48, v38
	v_fmamk_f32 v39, v37, 0x32a5705f, v39
	v_sub_f32_e32 v38, v38, v48
	v_add_f32_e32 v38, v38, v39
	v_exp_f32_e32 v38, v38
	v_cvt_i32_f32_e32 v39, v48
	s_mov_b32 s29, 0xc2ce8ed0
	v_cmp_ngt_f32_e32 vcc, s29, v37
	s_mov_b32 s29, 0x42b17218
	v_ldexp_f32 v38, v38, v39
	v_cndmask_b32_e32 v38, 0, v38, vcc
	v_mov_b32_e32 v39, 0x7f800000
	v_cmp_nlt_f32_e32 vcc, s29, v37
	s_mov_b32 s29, 0x3f2aaaab
	s_mov_b32 s30, 0x7f800000
	v_cndmask_b32_e32 v85, v39, v38, vcc
	v_add_f32_e32 v37, 1.0, v85
	v_add_f32_e32 v38, -1.0, v37
	v_sub_f32_e32 v39, v38, v37
	v_add_f32_e32 v39, 1.0, v39
	v_sub_f32_e32 v38, v85, v38
	v_add_f32_e32 v48, v38, v39
	v_frexp_mant_f32_e32 v49, v37
	v_cvt_f64_f32_e32 v[38:39], v37
	v_frexp_exp_i32_f64_e32 v38, v[38:39]
	v_cmp_gt_f32_e32 vcc, s29, v49
	s_mov_b32 s29, 0x3f317218
	s_nop 0
	v_subbrev_co_u32_e32 v99, vcc, 0, v38, vcc
	v_sub_u32_e32 v38, 0, v99
	v_ldexp_f32 v37, v37, v38
	v_ldexp_f32 v38, v48, v38
	v_add_f32_e32 v48, -1.0, v37
	v_add_f32_e32 v39, 1.0, v48
	v_sub_f32_e32 v39, v37, v39
	v_add_f32_e32 v49, v38, v39
	v_add_f32_e32 v39, 1.0, v37
	v_add_f32_e32 v50, -1.0, v39
	v_sub_f32_e32 v37, v37, v50
	v_add_f32_e32 v37, v38, v37
	v_add_f32_e32 v100, v39, v37
	v_rcp_f32_e32 v101, v100
	v_sub_f32_e32 v38, v39, v100
	v_add_f32_e32 v39, v48, v49
	v_add_f32_e32 v37, v37, v38
	v_mul_f32_e32 v103, v39, v101
	v_sub_f32_e32 v38, v48, v39
	v_mul_f32_e32 v48, v100, v103
	v_fma_f32 v50, v103, v100, -v48
	v_fmac_f32_e32 v50, v103, v37
	v_add_f32_e32 v102, v49, v38
	v_add_f32_e32 v38, v48, v50
	v_sub_f32_e32 v49, v39, v38
	v_pk_add_f32 v[96:97], v[38:39], v[48:49] neg_lo:[0,1] neg_hi:[0,1]
	v_mov_b32_e32 v51, v38
	v_pk_add_f32 v[38:39], v[96:97], v[50:51] neg_lo:[0,1] neg_hi:[0,1]
	v_cmp_eq_f32_e32 vcc, s30, v85
	v_add_f32_e32 v39, v102, v39
	v_add_f32_e32 v38, v38, v39
	;; [unrolled: 1-line block ×3, first 2 shown]
	v_mul_f32_e32 v102, v101, v39
	v_mul_f32_e32 v48, v100, v102
	v_fma_f32 v50, v102, v100, -v48
	v_fmac_f32_e32 v50, v102, v37
	v_sub_f32_e32 v37, v49, v39
	v_add_f32_e32 v37, v38, v37
	v_add_f32_e32 v38, v48, v50
	v_sub_f32_e32 v49, v39, v38
	v_pk_add_f32 v[96:97], v[38:39], v[48:49] neg_lo:[0,1] neg_hi:[0,1]
	v_mov_b32_e32 v51, v38
	v_pk_add_f32 v[38:39], v[96:97], v[50:51] neg_lo:[0,1] neg_hi:[0,1]
	v_cvt_f32_i32_e32 v48, v99
	v_add_f32_e32 v37, v37, v39
	v_add_f32_e32 v37, v38, v37
	;; [unrolled: 1-line block ×4, first 2 shown]
	v_sub_f32_e32 v39, v38, v103
	v_mul_f32_e32 v37, v101, v37
	v_sub_f32_e32 v39, v102, v39
	v_add_f32_e32 v37, v39, v37
	v_add_f32_e32 v49, v38, v37
	v_mul_f32_e32 v50, v49, v49
	v_mov_b32_e32 v39, 0x3ecc95a3
	v_fmac_f32_e32 v39, 0x3e9b6dac, v50
	v_sub_f32_e32 v38, v49, v38
	v_fmaak_f32 v39, v50, v39, 0x3f2aaada
	v_sub_f32_e32 v37, v37, v38
	v_ldexp_f32 v51, v49, 1
	v_mul_f32_e32 v49, v49, v50
	v_mov_b32_e32 v38, 0x3f317218
	v_pk_mul_f32 v[38:39], v[48:49], v[38:39]
	v_ldexp_f32 v37, v37, 1
	v_fma_f32 v49, v48, s29, -v38
	v_fmamk_f32 v50, v48, 0xb102e308, v49
	v_pk_add_f32 v[48:49], v[38:39], v[50:51]
	v_mov_b32_e32 v96, v38
	v_sub_f32_e32 v51, v49, v51
	v_sub_f32_e32 v51, v39, v51
	v_add_f32_e32 v97, v37, v51
	v_pk_add_f32 v[38:39], v[48:49], v[38:39] neg_lo:[0,1] neg_hi:[0,1]
	v_pk_add_f32 v[100:101], v[48:49], v[96:97]
	v_mov_b32_e32 v51, v48
	v_mov_b32_e32 v39, v101
	v_pk_add_f32 v[102:103], v[50:51], v[38:39] neg_lo:[0,1] neg_hi:[0,1]
	v_pk_add_f32 v[38:39], v[50:51], v[38:39]
	v_mov_b32_e32 v96, v97
	v_mov_b32_e32 v50, v39
	v_pk_add_f32 v[112:113], v[50:51], v[48:49] neg_lo:[0,1] neg_hi:[0,1]
	v_mov_b32_e32 v38, v101
	v_mov_b32_e32 v37, v112
	v_pk_add_f32 v[114:115], v[100:101], v[36:37] neg_lo:[0,1] neg_hi:[0,1]
	v_mov_b32_e32 v100, v49
	v_mov_b32_e32 v101, v112
	;; [unrolled: 1-line block ×3, first 2 shown]
	v_pk_add_f32 v[38:39], v[38:39], v[100:101] neg_lo:[0,1] neg_hi:[0,1]
	v_mov_b32_e32 v97, v48
	v_pk_add_f32 v[38:39], v[96:97], v[38:39] neg_lo:[0,1] neg_hi:[0,1]
	v_mov_b32_e32 v114, v102
	v_pk_add_f32 v[48:49], v[114:115], v[38:39]
	s_mov_b32 s29, 0x33800000
	v_mov_b32_e32 v96, v49
	v_pk_add_f32 v[96:97], v[48:49], v[96:97]
	v_cmp_lt_f32_e64 s[30:31], |v85|, s29
	v_pk_add_f32 v[50:51], v[50:51], v[96:97]
	v_mov_b32_e32 v39, v96
	v_mov_b32_e32 v49, v50
	v_pk_add_f32 v[100:101], v[48:49], v[102:103] neg_lo:[0,1] neg_hi:[0,1]
	s_or_b64 vcc, vcc, s[30:31]
	v_sub_f32_e32 v37, v48, v100
	v_pk_add_f32 v[38:39], v[38:39], v[100:101] neg_lo:[0,1] neg_hi:[0,1]
	v_sub_f32_e32 v37, v102, v37
	v_add_f32_e32 v37, v38, v37
	v_add_f32_e32 v37, v37, v39
	;; [unrolled: 1-line block ×3, first 2 shown]
	v_cndmask_b32_e32 v37, v37, v85, vcc
	v_add_f32_e32 v37, v30, v37
.LBB479_75:
	s_or_b64 exec, exec, s[26:27]
	v_bfe_u32 v30, v37, 16, 1
	v_add3_u32 v30, v37, v30, s28
	v_and_b32_e32 v30, 0xffff0000, v30
	v_cmp_o_f32_e32 vcc, v37, v37
	s_movk_i32 s30, 0x1f8
	s_nop 0
	v_cndmask_b32_e32 v37, v31, v30, vcc
	v_mov_b32_e32 v30, 16
	v_lshlrev_b32_sdwa v85, v30, v21 dst_sel:DWORD dst_unused:UNUSED_PAD src0_sel:DWORD src1_sel:WORD_1
	v_max_f32_e32 v31, v37, v37
	v_max_f32_e32 v99, v85, v85
	v_min_f32_e32 v38, v31, v99
	v_cmp_u_f32_e32 vcc, v37, v37
	v_max_f32_e32 v31, v31, v99
	v_cmp_u_f32_e64 s[26:27], v85, v85
	v_cndmask_b32_e32 v38, v38, v37, vcc
	v_cndmask_b32_e32 v31, v31, v37, vcc
	v_cndmask_b32_e64 v38, v38, v85, s[26:27]
	v_cndmask_b32_e64 v31, v31, v85, s[26:27]
	v_cmp_neq_f32_e32 vcc, v38, v31
	v_cmp_class_f32_e64 s[28:29], v38, s30
	s_or_b64 vcc, vcc, s[28:29]
	s_and_saveexec_b64 s[28:29], vcc
	s_cbranch_execz .LBB479_77
; %bb.76:
	v_sub_f32_e32 v37, v38, v31
	s_mov_b32 s31, 0x3fb8aa3b
	v_mul_f32_e32 v38, 0x3fb8aa3b, v37
	v_fma_f32 v39, v37, s31, -v38
	v_rndne_f32_e32 v48, v38
	v_fmamk_f32 v39, v37, 0x32a5705f, v39
	v_sub_f32_e32 v38, v38, v48
	v_add_f32_e32 v38, v38, v39
	v_exp_f32_e32 v38, v38
	v_cvt_i32_f32_e32 v39, v48
	s_mov_b32 s31, 0xc2ce8ed0
	v_cmp_ngt_f32_e32 vcc, s31, v37
	s_mov_b32 s31, 0x42b17218
	v_ldexp_f32 v38, v38, v39
	v_cndmask_b32_e32 v38, 0, v38, vcc
	v_mov_b32_e32 v39, 0x7f800000
	v_cmp_nlt_f32_e32 vcc, s31, v37
	s_mov_b32 s31, 0x3f2aaaab
	s_mov_b32 s34, 0x7f800000
	v_cndmask_b32_e32 v116, v39, v38, vcc
	v_add_f32_e32 v37, 1.0, v116
	v_add_f32_e32 v38, -1.0, v37
	v_sub_f32_e32 v39, v38, v37
	v_add_f32_e32 v39, 1.0, v39
	v_sub_f32_e32 v38, v116, v38
	v_add_f32_e32 v48, v38, v39
	v_frexp_mant_f32_e32 v49, v37
	v_cvt_f64_f32_e32 v[38:39], v37
	v_frexp_exp_i32_f64_e32 v38, v[38:39]
	v_cmp_gt_f32_e32 vcc, s31, v49
	s_mov_b32 s31, 0x3f317218
	s_nop 0
	v_subbrev_co_u32_e32 v100, vcc, 0, v38, vcc
	v_sub_u32_e32 v38, 0, v100
	v_ldexp_f32 v37, v37, v38
	v_ldexp_f32 v38, v48, v38
	v_add_f32_e32 v48, -1.0, v37
	v_add_f32_e32 v39, 1.0, v48
	v_sub_f32_e32 v39, v37, v39
	v_add_f32_e32 v49, v38, v39
	v_add_f32_e32 v39, 1.0, v37
	v_add_f32_e32 v50, -1.0, v39
	v_sub_f32_e32 v37, v37, v50
	v_add_f32_e32 v37, v38, v37
	v_add_f32_e32 v101, v39, v37
	v_rcp_f32_e32 v102, v101
	v_sub_f32_e32 v38, v39, v101
	v_add_f32_e32 v39, v48, v49
	v_add_f32_e32 v37, v37, v38
	v_mul_f32_e32 v112, v39, v102
	v_sub_f32_e32 v38, v48, v39
	v_mul_f32_e32 v48, v101, v112
	v_fma_f32 v50, v112, v101, -v48
	v_fmac_f32_e32 v50, v112, v37
	v_add_f32_e32 v103, v49, v38
	v_add_f32_e32 v38, v48, v50
	v_sub_f32_e32 v49, v39, v38
	v_pk_add_f32 v[96:97], v[38:39], v[48:49] neg_lo:[0,1] neg_hi:[0,1]
	v_mov_b32_e32 v51, v38
	v_pk_add_f32 v[38:39], v[96:97], v[50:51] neg_lo:[0,1] neg_hi:[0,1]
	v_cmp_eq_f32_e32 vcc, s34, v116
	v_add_f32_e32 v39, v103, v39
	v_add_f32_e32 v38, v38, v39
	v_add_f32_e32 v39, v49, v38
	v_mul_f32_e32 v103, v102, v39
	v_mul_f32_e32 v48, v101, v103
	v_fma_f32 v50, v103, v101, -v48
	v_fmac_f32_e32 v50, v103, v37
	v_sub_f32_e32 v37, v49, v39
	v_add_f32_e32 v37, v38, v37
	v_add_f32_e32 v38, v48, v50
	v_sub_f32_e32 v49, v39, v38
	v_pk_add_f32 v[96:97], v[38:39], v[48:49] neg_lo:[0,1] neg_hi:[0,1]
	v_mov_b32_e32 v51, v38
	v_pk_add_f32 v[38:39], v[96:97], v[50:51] neg_lo:[0,1] neg_hi:[0,1]
	v_cvt_f32_i32_e32 v48, v100
	v_add_f32_e32 v37, v37, v39
	v_add_f32_e32 v37, v38, v37
	;; [unrolled: 1-line block ×4, first 2 shown]
	v_sub_f32_e32 v39, v38, v112
	v_mul_f32_e32 v37, v102, v37
	v_sub_f32_e32 v39, v103, v39
	v_add_f32_e32 v37, v39, v37
	v_add_f32_e32 v49, v38, v37
	v_mul_f32_e32 v50, v49, v49
	v_mov_b32_e32 v39, 0x3ecc95a3
	v_fmac_f32_e32 v39, 0x3e9b6dac, v50
	v_sub_f32_e32 v38, v49, v38
	v_fmaak_f32 v39, v50, v39, 0x3f2aaada
	v_sub_f32_e32 v37, v37, v38
	v_ldexp_f32 v51, v49, 1
	v_mul_f32_e32 v49, v49, v50
	v_mov_b32_e32 v38, 0x3f317218
	v_pk_mul_f32 v[38:39], v[48:49], v[38:39]
	v_ldexp_f32 v37, v37, 1
	v_fma_f32 v49, v48, s31, -v38
	v_fmamk_f32 v50, v48, 0xb102e308, v49
	v_pk_add_f32 v[48:49], v[38:39], v[50:51]
	v_mov_b32_e32 v96, v38
	v_sub_f32_e32 v51, v49, v51
	v_sub_f32_e32 v51, v39, v51
	v_add_f32_e32 v97, v37, v51
	v_pk_add_f32 v[38:39], v[48:49], v[38:39] neg_lo:[0,1] neg_hi:[0,1]
	v_pk_add_f32 v[100:101], v[48:49], v[96:97]
	v_mov_b32_e32 v51, v48
	v_mov_b32_e32 v39, v101
	v_pk_add_f32 v[102:103], v[50:51], v[38:39] neg_lo:[0,1] neg_hi:[0,1]
	v_pk_add_f32 v[38:39], v[50:51], v[38:39]
	v_mov_b32_e32 v96, v97
	v_mov_b32_e32 v50, v39
	v_pk_add_f32 v[112:113], v[50:51], v[48:49] neg_lo:[0,1] neg_hi:[0,1]
	v_mov_b32_e32 v38, v101
	v_mov_b32_e32 v37, v112
	v_pk_add_f32 v[114:115], v[100:101], v[36:37] neg_lo:[0,1] neg_hi:[0,1]
	v_mov_b32_e32 v100, v49
	v_mov_b32_e32 v101, v112
	;; [unrolled: 1-line block ×3, first 2 shown]
	v_pk_add_f32 v[38:39], v[38:39], v[100:101] neg_lo:[0,1] neg_hi:[0,1]
	v_mov_b32_e32 v97, v48
	v_pk_add_f32 v[38:39], v[96:97], v[38:39] neg_lo:[0,1] neg_hi:[0,1]
	v_mov_b32_e32 v114, v102
	v_pk_add_f32 v[48:49], v[114:115], v[38:39]
	s_mov_b32 s31, 0x33800000
	v_mov_b32_e32 v96, v49
	v_pk_add_f32 v[96:97], v[48:49], v[96:97]
	v_cmp_lt_f32_e64 s[34:35], |v116|, s31
	v_pk_add_f32 v[50:51], v[50:51], v[96:97]
	v_mov_b32_e32 v39, v96
	v_mov_b32_e32 v49, v50
	v_pk_add_f32 v[100:101], v[48:49], v[102:103] neg_lo:[0,1] neg_hi:[0,1]
	s_or_b64 vcc, vcc, s[34:35]
	v_sub_f32_e32 v37, v48, v100
	v_pk_add_f32 v[38:39], v[38:39], v[100:101] neg_lo:[0,1] neg_hi:[0,1]
	v_sub_f32_e32 v37, v102, v37
	v_add_f32_e32 v37, v38, v37
	v_add_f32_e32 v37, v37, v39
	v_add_f32_e32 v37, v50, v37
	v_cndmask_b32_e32 v37, v37, v116, vcc
	v_add_f32_e32 v37, v31, v37
.LBB479_77:
	s_or_b64 exec, exec, s[28:29]
	v_bfe_u32 v31, v37, 16, 1
	s_movk_i32 s34, 0x7fff
	v_add3_u32 v31, v37, v31, s34
	v_and_b32_e32 v38, 0xffff0000, v31
	v_mov_b32_e32 v31, 0x7fc00000
	v_cmp_o_f32_e32 vcc, v37, v37
	v_lshlrev_b32_sdwa v96, v30, v22 dst_sel:DWORD dst_unused:UNUSED_PAD src0_sel:DWORD src1_sel:WORD_0
	v_max_f32_e32 v102, v96, v96
	v_cndmask_b32_e32 v37, v31, v38, vcc
	v_max_f32_e32 v30, v37, v37
	v_min_f32_e32 v38, v30, v102
	v_cmp_u_f32_e32 vcc, v37, v37
	v_max_f32_e32 v30, v30, v102
	v_cmp_u_f32_e64 s[28:29], v96, v96
	v_cndmask_b32_e32 v38, v38, v37, vcc
	v_cndmask_b32_e32 v30, v30, v37, vcc
	v_cndmask_b32_e64 v38, v38, v96, s[28:29]
	v_cndmask_b32_e64 v30, v30, v96, s[28:29]
	v_cmp_neq_f32_e32 vcc, v38, v30
	v_cmp_class_f32_e64 s[30:31], v38, s30
	s_or_b64 vcc, vcc, s[30:31]
	s_and_saveexec_b64 s[30:31], vcc
	s_cbranch_execz .LBB479_79
; %bb.78:
	v_sub_f32_e32 v37, v38, v30
	s_mov_b32 s35, 0x3fb8aa3b
	v_mul_f32_e32 v38, 0x3fb8aa3b, v37
	v_fma_f32 v39, v37, s35, -v38
	v_rndne_f32_e32 v48, v38
	v_fmamk_f32 v39, v37, 0x32a5705f, v39
	v_sub_f32_e32 v38, v38, v48
	v_add_f32_e32 v38, v38, v39
	v_exp_f32_e32 v38, v38
	v_cvt_i32_f32_e32 v39, v48
	s_mov_b32 s35, 0xc2ce8ed0
	v_cmp_ngt_f32_e32 vcc, s35, v37
	s_mov_b32 s35, 0x42b17218
	v_ldexp_f32 v38, v38, v39
	v_cndmask_b32_e32 v38, 0, v38, vcc
	v_mov_b32_e32 v39, 0x7f800000
	v_cmp_nlt_f32_e32 vcc, s35, v37
	s_mov_b32 s35, 0x3f2aaaab
	s_mov_b32 s36, 0x7f800000
	v_cndmask_b32_e32 v97, v39, v38, vcc
	v_add_f32_e32 v37, 1.0, v97
	v_add_f32_e32 v38, -1.0, v37
	v_sub_f32_e32 v39, v38, v37
	v_add_f32_e32 v39, 1.0, v39
	v_sub_f32_e32 v38, v97, v38
	v_add_f32_e32 v48, v38, v39
	v_frexp_mant_f32_e32 v49, v37
	v_cvt_f64_f32_e32 v[38:39], v37
	v_frexp_exp_i32_f64_e32 v38, v[38:39]
	v_cmp_gt_f32_e32 vcc, s35, v49
	s_mov_b32 s35, 0x3f317218
	s_nop 0
	v_subbrev_co_u32_e32 v103, vcc, 0, v38, vcc
	v_sub_u32_e32 v38, 0, v103
	v_ldexp_f32 v37, v37, v38
	v_ldexp_f32 v38, v48, v38
	v_add_f32_e32 v48, -1.0, v37
	v_add_f32_e32 v39, 1.0, v48
	v_sub_f32_e32 v39, v37, v39
	v_add_f32_e32 v49, v38, v39
	v_add_f32_e32 v39, 1.0, v37
	v_add_f32_e32 v50, -1.0, v39
	v_sub_f32_e32 v37, v37, v50
	v_add_f32_e32 v37, v38, v37
	v_add_f32_e32 v112, v39, v37
	v_rcp_f32_e32 v113, v112
	v_sub_f32_e32 v38, v39, v112
	v_add_f32_e32 v39, v48, v49
	v_add_f32_e32 v37, v37, v38
	v_mul_f32_e32 v115, v39, v113
	v_sub_f32_e32 v38, v48, v39
	v_mul_f32_e32 v48, v112, v115
	v_fma_f32 v50, v115, v112, -v48
	v_fmac_f32_e32 v50, v115, v37
	v_add_f32_e32 v114, v49, v38
	v_add_f32_e32 v38, v48, v50
	v_sub_f32_e32 v49, v39, v38
	v_pk_add_f32 v[100:101], v[38:39], v[48:49] neg_lo:[0,1] neg_hi:[0,1]
	v_mov_b32_e32 v51, v38
	v_pk_add_f32 v[38:39], v[100:101], v[50:51] neg_lo:[0,1] neg_hi:[0,1]
	v_cmp_eq_f32_e32 vcc, s36, v97
	v_add_f32_e32 v39, v114, v39
	v_add_f32_e32 v38, v38, v39
	;; [unrolled: 1-line block ×3, first 2 shown]
	v_mul_f32_e32 v114, v113, v39
	v_mul_f32_e32 v48, v112, v114
	v_fma_f32 v50, v114, v112, -v48
	v_fmac_f32_e32 v50, v114, v37
	v_sub_f32_e32 v37, v49, v39
	v_add_f32_e32 v37, v38, v37
	v_add_f32_e32 v38, v48, v50
	v_sub_f32_e32 v49, v39, v38
	v_pk_add_f32 v[100:101], v[38:39], v[48:49] neg_lo:[0,1] neg_hi:[0,1]
	v_mov_b32_e32 v51, v38
	v_pk_add_f32 v[38:39], v[100:101], v[50:51] neg_lo:[0,1] neg_hi:[0,1]
	v_cvt_f32_i32_e32 v48, v103
	v_add_f32_e32 v37, v37, v39
	v_add_f32_e32 v37, v38, v37
	;; [unrolled: 1-line block ×4, first 2 shown]
	v_sub_f32_e32 v39, v38, v115
	v_mul_f32_e32 v37, v113, v37
	v_sub_f32_e32 v39, v114, v39
	v_add_f32_e32 v37, v39, v37
	v_add_f32_e32 v49, v38, v37
	v_mul_f32_e32 v50, v49, v49
	v_mov_b32_e32 v39, 0x3ecc95a3
	v_fmac_f32_e32 v39, 0x3e9b6dac, v50
	v_sub_f32_e32 v38, v49, v38
	v_fmaak_f32 v39, v50, v39, 0x3f2aaada
	v_sub_f32_e32 v37, v37, v38
	v_ldexp_f32 v51, v49, 1
	v_mul_f32_e32 v49, v49, v50
	v_mov_b32_e32 v38, 0x3f317218
	v_pk_mul_f32 v[38:39], v[48:49], v[38:39]
	v_ldexp_f32 v37, v37, 1
	v_fma_f32 v49, v48, s35, -v38
	v_fmamk_f32 v50, v48, 0xb102e308, v49
	v_pk_add_f32 v[48:49], v[38:39], v[50:51]
	v_mov_b32_e32 v100, v38
	v_sub_f32_e32 v51, v49, v51
	v_sub_f32_e32 v51, v39, v51
	v_add_f32_e32 v101, v37, v51
	v_pk_add_f32 v[38:39], v[48:49], v[38:39] neg_lo:[0,1] neg_hi:[0,1]
	v_pk_add_f32 v[112:113], v[48:49], v[100:101]
	v_mov_b32_e32 v51, v48
	v_mov_b32_e32 v39, v113
	v_pk_add_f32 v[114:115], v[50:51], v[38:39] neg_lo:[0,1] neg_hi:[0,1]
	v_pk_add_f32 v[38:39], v[50:51], v[38:39]
	v_mov_b32_e32 v100, v101
	v_mov_b32_e32 v50, v39
	v_pk_add_f32 v[116:117], v[50:51], v[48:49] neg_lo:[0,1] neg_hi:[0,1]
	v_mov_b32_e32 v38, v113
	v_mov_b32_e32 v37, v116
	v_pk_add_f32 v[118:119], v[112:113], v[36:37] neg_lo:[0,1] neg_hi:[0,1]
	v_mov_b32_e32 v112, v49
	v_mov_b32_e32 v113, v116
	;; [unrolled: 1-line block ×3, first 2 shown]
	v_pk_add_f32 v[38:39], v[38:39], v[112:113] neg_lo:[0,1] neg_hi:[0,1]
	v_mov_b32_e32 v101, v48
	v_pk_add_f32 v[38:39], v[100:101], v[38:39] neg_lo:[0,1] neg_hi:[0,1]
	v_mov_b32_e32 v118, v114
	v_pk_add_f32 v[48:49], v[118:119], v[38:39]
	s_mov_b32 s35, 0x33800000
	v_mov_b32_e32 v100, v49
	v_pk_add_f32 v[100:101], v[48:49], v[100:101]
	v_cmp_lt_f32_e64 s[36:37], |v97|, s35
	v_pk_add_f32 v[50:51], v[50:51], v[100:101]
	v_mov_b32_e32 v39, v100
	v_mov_b32_e32 v49, v50
	v_pk_add_f32 v[112:113], v[48:49], v[114:115] neg_lo:[0,1] neg_hi:[0,1]
	s_or_b64 vcc, vcc, s[36:37]
	v_sub_f32_e32 v37, v48, v112
	v_pk_add_f32 v[38:39], v[38:39], v[112:113] neg_lo:[0,1] neg_hi:[0,1]
	v_sub_f32_e32 v37, v114, v37
	v_add_f32_e32 v37, v38, v37
	v_add_f32_e32 v37, v37, v39
	;; [unrolled: 1-line block ×3, first 2 shown]
	v_cndmask_b32_e32 v37, v37, v97, vcc
	v_add_f32_e32 v37, v30, v37
.LBB479_79:
	s_or_b64 exec, exec, s[30:31]
	v_bfe_u32 v30, v37, 16, 1
	v_add3_u32 v30, v37, v30, s34
	v_and_b32_e32 v30, 0xffff0000, v30
	v_cmp_o_f32_e32 vcc, v37, v37
	s_movk_i32 s36, 0x1f8
	s_nop 0
	v_cndmask_b32_e32 v37, v31, v30, vcc
	v_mov_b32_e32 v30, 16
	v_lshlrev_b32_sdwa v97, v30, v22 dst_sel:DWORD dst_unused:UNUSED_PAD src0_sel:DWORD src1_sel:WORD_1
	v_max_f32_e32 v31, v37, v37
	v_max_f32_e32 v103, v97, v97
	v_min_f32_e32 v38, v31, v103
	v_cmp_u_f32_e32 vcc, v37, v37
	v_max_f32_e32 v31, v31, v103
	v_cmp_u_f32_e64 s[30:31], v97, v97
	v_cndmask_b32_e32 v38, v38, v37, vcc
	v_cndmask_b32_e32 v31, v31, v37, vcc
	v_cndmask_b32_e64 v38, v38, v97, s[30:31]
	v_cndmask_b32_e64 v31, v31, v97, s[30:31]
	v_cmp_neq_f32_e32 vcc, v38, v31
	v_cmp_class_f32_e64 s[34:35], v38, s36
	s_or_b64 vcc, vcc, s[34:35]
	s_and_saveexec_b64 s[34:35], vcc
	s_cbranch_execz .LBB479_81
; %bb.80:
	v_sub_f32_e32 v37, v38, v31
	s_mov_b32 s37, 0x3fb8aa3b
	v_mul_f32_e32 v38, 0x3fb8aa3b, v37
	v_fma_f32 v39, v37, s37, -v38
	v_rndne_f32_e32 v48, v38
	v_fmamk_f32 v39, v37, 0x32a5705f, v39
	v_sub_f32_e32 v38, v38, v48
	v_add_f32_e32 v38, v38, v39
	v_exp_f32_e32 v38, v38
	v_cvt_i32_f32_e32 v39, v48
	s_mov_b32 s37, 0xc2ce8ed0
	v_cmp_ngt_f32_e32 vcc, s37, v37
	s_mov_b32 s37, 0x42b17218
	v_ldexp_f32 v38, v38, v39
	v_cndmask_b32_e32 v38, 0, v38, vcc
	v_mov_b32_e32 v39, 0x7f800000
	v_cmp_nlt_f32_e32 vcc, s37, v37
	s_mov_b32 s37, 0x3f2aaaab
	s_mov_b32 s38, 0x7f800000
	v_cndmask_b32_e32 v128, v39, v38, vcc
	v_add_f32_e32 v37, 1.0, v128
	v_add_f32_e32 v38, -1.0, v37
	v_sub_f32_e32 v39, v38, v37
	v_add_f32_e32 v39, 1.0, v39
	v_sub_f32_e32 v38, v128, v38
	v_add_f32_e32 v48, v38, v39
	v_frexp_mant_f32_e32 v49, v37
	v_cvt_f64_f32_e32 v[38:39], v37
	v_frexp_exp_i32_f64_e32 v38, v[38:39]
	v_cmp_gt_f32_e32 vcc, s37, v49
	s_mov_b32 s37, 0x3f317218
	s_nop 0
	v_subbrev_co_u32_e32 v112, vcc, 0, v38, vcc
	v_sub_u32_e32 v38, 0, v112
	v_ldexp_f32 v37, v37, v38
	v_ldexp_f32 v38, v48, v38
	v_add_f32_e32 v48, -1.0, v37
	v_add_f32_e32 v39, 1.0, v48
	v_sub_f32_e32 v39, v37, v39
	v_add_f32_e32 v49, v38, v39
	v_add_f32_e32 v39, 1.0, v37
	v_add_f32_e32 v50, -1.0, v39
	v_sub_f32_e32 v37, v37, v50
	v_add_f32_e32 v37, v38, v37
	v_add_f32_e32 v113, v39, v37
	v_rcp_f32_e32 v114, v113
	v_sub_f32_e32 v38, v39, v113
	v_add_f32_e32 v39, v48, v49
	v_add_f32_e32 v37, v37, v38
	v_mul_f32_e32 v116, v39, v114
	v_sub_f32_e32 v38, v48, v39
	v_mul_f32_e32 v48, v113, v116
	v_fma_f32 v50, v116, v113, -v48
	v_fmac_f32_e32 v50, v116, v37
	v_add_f32_e32 v115, v49, v38
	v_add_f32_e32 v38, v48, v50
	v_sub_f32_e32 v49, v39, v38
	v_pk_add_f32 v[100:101], v[38:39], v[48:49] neg_lo:[0,1] neg_hi:[0,1]
	v_mov_b32_e32 v51, v38
	v_pk_add_f32 v[38:39], v[100:101], v[50:51] neg_lo:[0,1] neg_hi:[0,1]
	v_cmp_eq_f32_e32 vcc, s38, v128
	v_add_f32_e32 v39, v115, v39
	v_add_f32_e32 v38, v38, v39
	;; [unrolled: 1-line block ×3, first 2 shown]
	v_mul_f32_e32 v115, v114, v39
	v_mul_f32_e32 v48, v113, v115
	v_fma_f32 v50, v115, v113, -v48
	v_fmac_f32_e32 v50, v115, v37
	v_sub_f32_e32 v37, v49, v39
	v_add_f32_e32 v37, v38, v37
	v_add_f32_e32 v38, v48, v50
	v_sub_f32_e32 v49, v39, v38
	v_pk_add_f32 v[100:101], v[38:39], v[48:49] neg_lo:[0,1] neg_hi:[0,1]
	v_mov_b32_e32 v51, v38
	v_pk_add_f32 v[38:39], v[100:101], v[50:51] neg_lo:[0,1] neg_hi:[0,1]
	v_cvt_f32_i32_e32 v48, v112
	v_add_f32_e32 v37, v37, v39
	v_add_f32_e32 v37, v38, v37
	;; [unrolled: 1-line block ×4, first 2 shown]
	v_sub_f32_e32 v39, v38, v116
	v_mul_f32_e32 v37, v114, v37
	v_sub_f32_e32 v39, v115, v39
	v_add_f32_e32 v37, v39, v37
	v_add_f32_e32 v49, v38, v37
	v_mul_f32_e32 v50, v49, v49
	v_mov_b32_e32 v39, 0x3ecc95a3
	v_fmac_f32_e32 v39, 0x3e9b6dac, v50
	v_sub_f32_e32 v38, v49, v38
	v_fmaak_f32 v39, v50, v39, 0x3f2aaada
	v_sub_f32_e32 v37, v37, v38
	v_ldexp_f32 v51, v49, 1
	v_mul_f32_e32 v49, v49, v50
	v_mov_b32_e32 v38, 0x3f317218
	v_pk_mul_f32 v[38:39], v[48:49], v[38:39]
	v_ldexp_f32 v37, v37, 1
	v_fma_f32 v49, v48, s37, -v38
	v_fmamk_f32 v50, v48, 0xb102e308, v49
	v_pk_add_f32 v[48:49], v[38:39], v[50:51]
	v_mov_b32_e32 v100, v38
	v_sub_f32_e32 v51, v49, v51
	v_sub_f32_e32 v51, v39, v51
	v_add_f32_e32 v101, v37, v51
	v_pk_add_f32 v[38:39], v[48:49], v[38:39] neg_lo:[0,1] neg_hi:[0,1]
	v_pk_add_f32 v[112:113], v[48:49], v[100:101]
	v_mov_b32_e32 v51, v48
	v_mov_b32_e32 v39, v113
	v_pk_add_f32 v[114:115], v[50:51], v[38:39] neg_lo:[0,1] neg_hi:[0,1]
	v_pk_add_f32 v[38:39], v[50:51], v[38:39]
	v_mov_b32_e32 v100, v101
	v_mov_b32_e32 v50, v39
	v_pk_add_f32 v[116:117], v[50:51], v[48:49] neg_lo:[0,1] neg_hi:[0,1]
	v_mov_b32_e32 v38, v113
	v_mov_b32_e32 v37, v116
	v_pk_add_f32 v[118:119], v[112:113], v[36:37] neg_lo:[0,1] neg_hi:[0,1]
	v_mov_b32_e32 v112, v49
	v_mov_b32_e32 v113, v116
	;; [unrolled: 1-line block ×3, first 2 shown]
	v_pk_add_f32 v[38:39], v[38:39], v[112:113] neg_lo:[0,1] neg_hi:[0,1]
	v_mov_b32_e32 v101, v48
	v_pk_add_f32 v[38:39], v[100:101], v[38:39] neg_lo:[0,1] neg_hi:[0,1]
	v_mov_b32_e32 v118, v114
	v_pk_add_f32 v[48:49], v[118:119], v[38:39]
	s_mov_b32 s37, 0x33800000
	v_mov_b32_e32 v100, v49
	v_pk_add_f32 v[100:101], v[48:49], v[100:101]
	v_cmp_lt_f32_e64 s[38:39], |v128|, s37
	v_pk_add_f32 v[50:51], v[50:51], v[100:101]
	v_mov_b32_e32 v39, v100
	v_mov_b32_e32 v49, v50
	v_pk_add_f32 v[112:113], v[48:49], v[114:115] neg_lo:[0,1] neg_hi:[0,1]
	s_or_b64 vcc, vcc, s[38:39]
	v_sub_f32_e32 v37, v48, v112
	v_pk_add_f32 v[38:39], v[38:39], v[112:113] neg_lo:[0,1] neg_hi:[0,1]
	v_sub_f32_e32 v37, v114, v37
	v_add_f32_e32 v37, v38, v37
	v_add_f32_e32 v37, v37, v39
	;; [unrolled: 1-line block ×3, first 2 shown]
	v_cndmask_b32_e32 v37, v37, v128, vcc
	v_add_f32_e32 v37, v31, v37
.LBB479_81:
	s_or_b64 exec, exec, s[34:35]
	v_bfe_u32 v31, v37, 16, 1
	s_movk_i32 s38, 0x7fff
	v_add3_u32 v31, v37, v31, s38
	v_and_b32_e32 v38, 0xffff0000, v31
	v_mov_b32_e32 v31, 0x7fc00000
	v_cmp_o_f32_e32 vcc, v37, v37
	v_lshlrev_b32_sdwa v100, v30, v23 dst_sel:DWORD dst_unused:UNUSED_PAD src0_sel:DWORD src1_sel:WORD_0
	v_max_f32_e32 v114, v100, v100
	v_cndmask_b32_e32 v37, v31, v38, vcc
	v_max_f32_e32 v30, v37, v37
	v_min_f32_e32 v38, v30, v114
	v_cmp_u_f32_e32 vcc, v37, v37
	v_max_f32_e32 v30, v30, v114
	v_cmp_u_f32_e64 s[34:35], v100, v100
	v_cndmask_b32_e32 v38, v38, v37, vcc
	v_cndmask_b32_e32 v30, v30, v37, vcc
	v_cndmask_b32_e64 v38, v38, v100, s[34:35]
	v_cndmask_b32_e64 v30, v30, v100, s[34:35]
	v_cmp_neq_f32_e32 vcc, v38, v30
	v_cmp_class_f32_e64 s[36:37], v38, s36
	s_or_b64 vcc, vcc, s[36:37]
	s_and_saveexec_b64 s[36:37], vcc
	s_cbranch_execz .LBB479_83
; %bb.82:
	v_sub_f32_e32 v37, v38, v30
	s_mov_b32 s39, 0x3fb8aa3b
	v_mul_f32_e32 v38, 0x3fb8aa3b, v37
	v_fma_f32 v39, v37, s39, -v38
	v_rndne_f32_e32 v48, v38
	v_fmamk_f32 v39, v37, 0x32a5705f, v39
	v_sub_f32_e32 v38, v38, v48
	v_add_f32_e32 v38, v38, v39
	v_exp_f32_e32 v38, v38
	v_cvt_i32_f32_e32 v39, v48
	s_mov_b32 s39, 0xc2ce8ed0
	v_cmp_ngt_f32_e32 vcc, s39, v37
	s_mov_b32 s39, 0x42b17218
	v_ldexp_f32 v38, v38, v39
	v_cndmask_b32_e32 v38, 0, v38, vcc
	v_mov_b32_e32 v39, 0x7f800000
	v_cmp_nlt_f32_e32 vcc, s39, v37
	s_mov_b32 s39, 0x3f2aaaab
	s_mov_b32 s40, 0x7f800000
	v_cndmask_b32_e32 v101, v39, v38, vcc
	v_add_f32_e32 v37, 1.0, v101
	v_add_f32_e32 v38, -1.0, v37
	v_sub_f32_e32 v39, v38, v37
	v_add_f32_e32 v39, 1.0, v39
	v_sub_f32_e32 v38, v101, v38
	v_add_f32_e32 v48, v38, v39
	v_frexp_mant_f32_e32 v49, v37
	v_cvt_f64_f32_e32 v[38:39], v37
	v_frexp_exp_i32_f64_e32 v38, v[38:39]
	v_cmp_gt_f32_e32 vcc, s39, v49
	s_mov_b32 s39, 0x3f317218
	s_nop 0
	v_subbrev_co_u32_e32 v115, vcc, 0, v38, vcc
	v_sub_u32_e32 v38, 0, v115
	v_ldexp_f32 v37, v37, v38
	v_ldexp_f32 v38, v48, v38
	v_add_f32_e32 v48, -1.0, v37
	v_add_f32_e32 v39, 1.0, v48
	v_sub_f32_e32 v39, v37, v39
	v_add_f32_e32 v49, v38, v39
	v_add_f32_e32 v39, 1.0, v37
	v_add_f32_e32 v50, -1.0, v39
	v_sub_f32_e32 v37, v37, v50
	v_add_f32_e32 v37, v38, v37
	v_add_f32_e32 v116, v39, v37
	v_rcp_f32_e32 v117, v116
	v_sub_f32_e32 v38, v39, v116
	v_add_f32_e32 v39, v48, v49
	v_add_f32_e32 v37, v37, v38
	v_mul_f32_e32 v119, v39, v117
	v_sub_f32_e32 v38, v48, v39
	v_mul_f32_e32 v48, v116, v119
	v_fma_f32 v50, v119, v116, -v48
	v_fmac_f32_e32 v50, v119, v37
	v_add_f32_e32 v118, v49, v38
	v_add_f32_e32 v38, v48, v50
	v_sub_f32_e32 v49, v39, v38
	v_pk_add_f32 v[112:113], v[38:39], v[48:49] neg_lo:[0,1] neg_hi:[0,1]
	v_mov_b32_e32 v51, v38
	v_pk_add_f32 v[38:39], v[112:113], v[50:51] neg_lo:[0,1] neg_hi:[0,1]
	v_cmp_eq_f32_e32 vcc, s40, v101
	v_add_f32_e32 v39, v118, v39
	v_add_f32_e32 v38, v38, v39
	;; [unrolled: 1-line block ×3, first 2 shown]
	v_mul_f32_e32 v118, v117, v39
	v_mul_f32_e32 v48, v116, v118
	v_fma_f32 v50, v118, v116, -v48
	v_fmac_f32_e32 v50, v118, v37
	v_sub_f32_e32 v37, v49, v39
	v_add_f32_e32 v37, v38, v37
	v_add_f32_e32 v38, v48, v50
	v_sub_f32_e32 v49, v39, v38
	v_pk_add_f32 v[112:113], v[38:39], v[48:49] neg_lo:[0,1] neg_hi:[0,1]
	v_mov_b32_e32 v51, v38
	v_pk_add_f32 v[38:39], v[112:113], v[50:51] neg_lo:[0,1] neg_hi:[0,1]
	v_cvt_f32_i32_e32 v48, v115
	v_add_f32_e32 v37, v37, v39
	v_add_f32_e32 v37, v38, v37
	;; [unrolled: 1-line block ×4, first 2 shown]
	v_sub_f32_e32 v39, v38, v119
	v_mul_f32_e32 v37, v117, v37
	v_sub_f32_e32 v39, v118, v39
	v_add_f32_e32 v37, v39, v37
	v_add_f32_e32 v49, v38, v37
	v_mul_f32_e32 v50, v49, v49
	v_mov_b32_e32 v39, 0x3ecc95a3
	v_fmac_f32_e32 v39, 0x3e9b6dac, v50
	v_sub_f32_e32 v38, v49, v38
	v_fmaak_f32 v39, v50, v39, 0x3f2aaada
	v_sub_f32_e32 v37, v37, v38
	v_ldexp_f32 v51, v49, 1
	v_mul_f32_e32 v49, v49, v50
	v_mov_b32_e32 v38, 0x3f317218
	v_pk_mul_f32 v[38:39], v[48:49], v[38:39]
	v_ldexp_f32 v37, v37, 1
	v_fma_f32 v49, v48, s39, -v38
	v_fmamk_f32 v50, v48, 0xb102e308, v49
	v_pk_add_f32 v[48:49], v[38:39], v[50:51]
	v_mov_b32_e32 v112, v38
	v_sub_f32_e32 v51, v49, v51
	v_sub_f32_e32 v51, v39, v51
	v_add_f32_e32 v113, v37, v51
	v_pk_add_f32 v[38:39], v[48:49], v[38:39] neg_lo:[0,1] neg_hi:[0,1]
	v_pk_add_f32 v[116:117], v[48:49], v[112:113]
	v_mov_b32_e32 v51, v48
	v_mov_b32_e32 v39, v117
	v_pk_add_f32 v[118:119], v[50:51], v[38:39] neg_lo:[0,1] neg_hi:[0,1]
	v_pk_add_f32 v[38:39], v[50:51], v[38:39]
	v_mov_b32_e32 v112, v113
	v_mov_b32_e32 v50, v39
	v_pk_add_f32 v[128:129], v[50:51], v[48:49] neg_lo:[0,1] neg_hi:[0,1]
	v_mov_b32_e32 v38, v117
	v_mov_b32_e32 v37, v128
	v_pk_add_f32 v[130:131], v[116:117], v[36:37] neg_lo:[0,1] neg_hi:[0,1]
	v_mov_b32_e32 v116, v49
	v_mov_b32_e32 v117, v128
	v_mov_b32_e32 v119, v39
	v_pk_add_f32 v[38:39], v[38:39], v[116:117] neg_lo:[0,1] neg_hi:[0,1]
	v_mov_b32_e32 v113, v48
	v_pk_add_f32 v[38:39], v[112:113], v[38:39] neg_lo:[0,1] neg_hi:[0,1]
	v_mov_b32_e32 v130, v118
	v_pk_add_f32 v[48:49], v[130:131], v[38:39]
	s_mov_b32 s39, 0x33800000
	v_mov_b32_e32 v112, v49
	v_pk_add_f32 v[112:113], v[48:49], v[112:113]
	v_cmp_lt_f32_e64 s[40:41], |v101|, s39
	v_pk_add_f32 v[50:51], v[50:51], v[112:113]
	v_mov_b32_e32 v39, v112
	v_mov_b32_e32 v49, v50
	v_pk_add_f32 v[116:117], v[48:49], v[118:119] neg_lo:[0,1] neg_hi:[0,1]
	s_or_b64 vcc, vcc, s[40:41]
	v_sub_f32_e32 v37, v48, v116
	v_pk_add_f32 v[38:39], v[38:39], v[116:117] neg_lo:[0,1] neg_hi:[0,1]
	v_sub_f32_e32 v37, v118, v37
	v_add_f32_e32 v37, v38, v37
	v_add_f32_e32 v37, v37, v39
	;; [unrolled: 1-line block ×3, first 2 shown]
	v_cndmask_b32_e32 v37, v37, v101, vcc
	v_add_f32_e32 v37, v30, v37
.LBB479_83:
	s_or_b64 exec, exec, s[36:37]
	v_bfe_u32 v30, v37, 16, 1
	v_add3_u32 v30, v37, v30, s38
	v_and_b32_e32 v30, 0xffff0000, v30
	v_cmp_o_f32_e32 vcc, v37, v37
	s_movk_i32 s40, 0x1f8
	s_nop 0
	v_cndmask_b32_e32 v37, v31, v30, vcc
	v_mov_b32_e32 v30, 16
	v_lshlrev_b32_sdwa v101, v30, v23 dst_sel:DWORD dst_unused:UNUSED_PAD src0_sel:DWORD src1_sel:WORD_1
	v_max_f32_e32 v31, v37, v37
	v_max_f32_e32 v115, v101, v101
	v_min_f32_e32 v38, v31, v115
	v_cmp_u_f32_e32 vcc, v37, v37
	v_max_f32_e32 v31, v31, v115
	v_cmp_u_f32_e64 s[36:37], v101, v101
	v_cndmask_b32_e32 v38, v38, v37, vcc
	v_cndmask_b32_e32 v31, v31, v37, vcc
	v_cndmask_b32_e64 v38, v38, v101, s[36:37]
	v_cndmask_b32_e64 v31, v31, v101, s[36:37]
	v_cmp_neq_f32_e32 vcc, v38, v31
	v_cmp_class_f32_e64 s[38:39], v38, s40
	s_or_b64 vcc, vcc, s[38:39]
	s_and_saveexec_b64 s[38:39], vcc
	s_cbranch_execz .LBB479_85
; %bb.84:
	v_sub_f32_e32 v37, v38, v31
	s_mov_b32 s41, 0x3fb8aa3b
	v_mul_f32_e32 v38, 0x3fb8aa3b, v37
	v_fma_f32 v39, v37, s41, -v38
	v_rndne_f32_e32 v48, v38
	v_fmamk_f32 v39, v37, 0x32a5705f, v39
	v_sub_f32_e32 v38, v38, v48
	v_add_f32_e32 v38, v38, v39
	v_exp_f32_e32 v38, v38
	v_cvt_i32_f32_e32 v39, v48
	s_mov_b32 s41, 0xc2ce8ed0
	v_cmp_ngt_f32_e32 vcc, s41, v37
	s_mov_b32 s41, 0x42b17218
	v_ldexp_f32 v38, v38, v39
	v_cndmask_b32_e32 v38, 0, v38, vcc
	v_mov_b32_e32 v39, 0x7f800000
	v_cmp_nlt_f32_e32 vcc, s41, v37
	s_mov_b32 s41, 0x3f2aaaab
	s_mov_b32 s42, 0x7f800000
	v_cndmask_b32_e32 v132, v39, v38, vcc
	v_add_f32_e32 v37, 1.0, v132
	v_add_f32_e32 v38, -1.0, v37
	v_sub_f32_e32 v39, v38, v37
	v_add_f32_e32 v39, 1.0, v39
	v_sub_f32_e32 v38, v132, v38
	v_add_f32_e32 v48, v38, v39
	v_frexp_mant_f32_e32 v49, v37
	v_cvt_f64_f32_e32 v[38:39], v37
	v_frexp_exp_i32_f64_e32 v38, v[38:39]
	v_cmp_gt_f32_e32 vcc, s41, v49
	s_mov_b32 s41, 0x3f317218
	s_nop 0
	v_subbrev_co_u32_e32 v116, vcc, 0, v38, vcc
	v_sub_u32_e32 v38, 0, v116
	v_ldexp_f32 v37, v37, v38
	v_ldexp_f32 v38, v48, v38
	v_add_f32_e32 v48, -1.0, v37
	v_add_f32_e32 v39, 1.0, v48
	v_sub_f32_e32 v39, v37, v39
	v_add_f32_e32 v49, v38, v39
	v_add_f32_e32 v39, 1.0, v37
	v_add_f32_e32 v50, -1.0, v39
	v_sub_f32_e32 v37, v37, v50
	v_add_f32_e32 v37, v38, v37
	v_add_f32_e32 v117, v39, v37
	v_rcp_f32_e32 v118, v117
	v_sub_f32_e32 v38, v39, v117
	v_add_f32_e32 v39, v48, v49
	v_add_f32_e32 v37, v37, v38
	v_mul_f32_e32 v128, v39, v118
	v_sub_f32_e32 v38, v48, v39
	v_mul_f32_e32 v48, v117, v128
	v_fma_f32 v50, v128, v117, -v48
	v_fmac_f32_e32 v50, v128, v37
	v_add_f32_e32 v119, v49, v38
	v_add_f32_e32 v38, v48, v50
	v_sub_f32_e32 v49, v39, v38
	v_pk_add_f32 v[112:113], v[38:39], v[48:49] neg_lo:[0,1] neg_hi:[0,1]
	v_mov_b32_e32 v51, v38
	v_pk_add_f32 v[38:39], v[112:113], v[50:51] neg_lo:[0,1] neg_hi:[0,1]
	v_cmp_eq_f32_e32 vcc, s42, v132
	v_add_f32_e32 v39, v119, v39
	v_add_f32_e32 v38, v38, v39
	;; [unrolled: 1-line block ×3, first 2 shown]
	v_mul_f32_e32 v119, v118, v39
	v_mul_f32_e32 v48, v117, v119
	v_fma_f32 v50, v119, v117, -v48
	v_fmac_f32_e32 v50, v119, v37
	v_sub_f32_e32 v37, v49, v39
	v_add_f32_e32 v37, v38, v37
	v_add_f32_e32 v38, v48, v50
	v_sub_f32_e32 v49, v39, v38
	v_pk_add_f32 v[112:113], v[38:39], v[48:49] neg_lo:[0,1] neg_hi:[0,1]
	v_mov_b32_e32 v51, v38
	v_pk_add_f32 v[38:39], v[112:113], v[50:51] neg_lo:[0,1] neg_hi:[0,1]
	v_cvt_f32_i32_e32 v48, v116
	v_add_f32_e32 v37, v37, v39
	v_add_f32_e32 v37, v38, v37
	;; [unrolled: 1-line block ×4, first 2 shown]
	v_sub_f32_e32 v39, v38, v128
	v_mul_f32_e32 v37, v118, v37
	v_sub_f32_e32 v39, v119, v39
	v_add_f32_e32 v37, v39, v37
	v_add_f32_e32 v49, v38, v37
	v_mul_f32_e32 v50, v49, v49
	v_mov_b32_e32 v39, 0x3ecc95a3
	v_fmac_f32_e32 v39, 0x3e9b6dac, v50
	v_sub_f32_e32 v38, v49, v38
	v_fmaak_f32 v39, v50, v39, 0x3f2aaada
	v_sub_f32_e32 v37, v37, v38
	v_ldexp_f32 v51, v49, 1
	v_mul_f32_e32 v49, v49, v50
	v_mov_b32_e32 v38, 0x3f317218
	v_pk_mul_f32 v[38:39], v[48:49], v[38:39]
	v_ldexp_f32 v37, v37, 1
	v_fma_f32 v49, v48, s41, -v38
	v_fmamk_f32 v50, v48, 0xb102e308, v49
	v_pk_add_f32 v[48:49], v[38:39], v[50:51]
	v_mov_b32_e32 v112, v38
	v_sub_f32_e32 v51, v49, v51
	v_sub_f32_e32 v51, v39, v51
	v_add_f32_e32 v113, v37, v51
	v_pk_add_f32 v[38:39], v[48:49], v[38:39] neg_lo:[0,1] neg_hi:[0,1]
	v_pk_add_f32 v[116:117], v[48:49], v[112:113]
	v_mov_b32_e32 v51, v48
	v_mov_b32_e32 v39, v117
	v_pk_add_f32 v[118:119], v[50:51], v[38:39] neg_lo:[0,1] neg_hi:[0,1]
	v_pk_add_f32 v[38:39], v[50:51], v[38:39]
	v_mov_b32_e32 v112, v113
	v_mov_b32_e32 v50, v39
	v_pk_add_f32 v[128:129], v[50:51], v[48:49] neg_lo:[0,1] neg_hi:[0,1]
	v_mov_b32_e32 v38, v117
	v_mov_b32_e32 v37, v128
	v_pk_add_f32 v[130:131], v[116:117], v[36:37] neg_lo:[0,1] neg_hi:[0,1]
	v_mov_b32_e32 v116, v49
	v_mov_b32_e32 v117, v128
	v_mov_b32_e32 v119, v39
	v_pk_add_f32 v[38:39], v[38:39], v[116:117] neg_lo:[0,1] neg_hi:[0,1]
	v_mov_b32_e32 v113, v48
	v_pk_add_f32 v[38:39], v[112:113], v[38:39] neg_lo:[0,1] neg_hi:[0,1]
	v_mov_b32_e32 v130, v118
	v_pk_add_f32 v[48:49], v[130:131], v[38:39]
	s_mov_b32 s41, 0x33800000
	v_mov_b32_e32 v112, v49
	v_pk_add_f32 v[112:113], v[48:49], v[112:113]
	v_cmp_lt_f32_e64 s[42:43], |v132|, s41
	v_pk_add_f32 v[50:51], v[50:51], v[112:113]
	v_mov_b32_e32 v39, v112
	v_mov_b32_e32 v49, v50
	v_pk_add_f32 v[116:117], v[48:49], v[118:119] neg_lo:[0,1] neg_hi:[0,1]
	s_or_b64 vcc, vcc, s[42:43]
	v_sub_f32_e32 v37, v48, v116
	v_pk_add_f32 v[38:39], v[38:39], v[116:117] neg_lo:[0,1] neg_hi:[0,1]
	v_sub_f32_e32 v37, v118, v37
	v_add_f32_e32 v37, v38, v37
	v_add_f32_e32 v37, v37, v39
	;; [unrolled: 1-line block ×3, first 2 shown]
	v_cndmask_b32_e32 v37, v37, v132, vcc
	v_add_f32_e32 v37, v31, v37
.LBB479_85:
	s_or_b64 exec, exec, s[38:39]
	v_bfe_u32 v31, v37, 16, 1
	s_movk_i32 s42, 0x7fff
	v_add3_u32 v31, v37, v31, s42
	v_and_b32_e32 v38, 0xffff0000, v31
	v_mov_b32_e32 v31, 0x7fc00000
	v_cmp_o_f32_e32 vcc, v37, v37
	v_lshlrev_b32_sdwa v112, v30, v16 dst_sel:DWORD dst_unused:UNUSED_PAD src0_sel:DWORD src1_sel:WORD_0
	v_max_f32_e32 v118, v112, v112
	v_cndmask_b32_e32 v37, v31, v38, vcc
	v_max_f32_e32 v30, v37, v37
	v_min_f32_e32 v38, v30, v118
	v_cmp_u_f32_e32 vcc, v37, v37
	v_max_f32_e32 v30, v30, v118
	v_cmp_u_f32_e64 s[38:39], v112, v112
	v_cndmask_b32_e32 v38, v38, v37, vcc
	v_cndmask_b32_e32 v30, v30, v37, vcc
	v_cndmask_b32_e64 v38, v38, v112, s[38:39]
	v_cndmask_b32_e64 v30, v30, v112, s[38:39]
	v_cmp_neq_f32_e32 vcc, v38, v30
	v_cmp_class_f32_e64 s[40:41], v38, s40
	s_or_b64 vcc, vcc, s[40:41]
	s_and_saveexec_b64 s[40:41], vcc
	s_cbranch_execz .LBB479_87
; %bb.86:
	v_sub_f32_e32 v37, v38, v30
	s_mov_b32 s43, 0x3fb8aa3b
	v_mul_f32_e32 v38, 0x3fb8aa3b, v37
	v_fma_f32 v39, v37, s43, -v38
	v_rndne_f32_e32 v48, v38
	v_fmamk_f32 v39, v37, 0x32a5705f, v39
	v_sub_f32_e32 v38, v38, v48
	v_add_f32_e32 v38, v38, v39
	v_exp_f32_e32 v38, v38
	v_cvt_i32_f32_e32 v39, v48
	s_mov_b32 s43, 0xc2ce8ed0
	v_cmp_ngt_f32_e32 vcc, s43, v37
	s_mov_b32 s43, 0x42b17218
	v_ldexp_f32 v38, v38, v39
	v_cndmask_b32_e32 v38, 0, v38, vcc
	v_mov_b32_e32 v39, 0x7f800000
	v_cmp_nlt_f32_e32 vcc, s43, v37
	s_mov_b32 s43, 0x3f2aaaab
	s_mov_b32 s44, 0x7f800000
	v_cndmask_b32_e32 v113, v39, v38, vcc
	v_add_f32_e32 v37, 1.0, v113
	v_add_f32_e32 v38, -1.0, v37
	v_sub_f32_e32 v39, v38, v37
	v_add_f32_e32 v39, 1.0, v39
	v_sub_f32_e32 v38, v113, v38
	v_add_f32_e32 v48, v38, v39
	v_frexp_mant_f32_e32 v49, v37
	v_cvt_f64_f32_e32 v[38:39], v37
	v_frexp_exp_i32_f64_e32 v38, v[38:39]
	v_cmp_gt_f32_e32 vcc, s43, v49
	s_mov_b32 s43, 0x3f317218
	s_nop 0
	v_subbrev_co_u32_e32 v119, vcc, 0, v38, vcc
	v_sub_u32_e32 v38, 0, v119
	v_ldexp_f32 v37, v37, v38
	v_ldexp_f32 v38, v48, v38
	v_add_f32_e32 v48, -1.0, v37
	v_add_f32_e32 v39, 1.0, v48
	v_sub_f32_e32 v39, v37, v39
	v_add_f32_e32 v49, v38, v39
	v_add_f32_e32 v39, 1.0, v37
	v_add_f32_e32 v50, -1.0, v39
	v_sub_f32_e32 v37, v37, v50
	v_add_f32_e32 v37, v38, v37
	v_add_f32_e32 v128, v39, v37
	v_rcp_f32_e32 v129, v128
	v_sub_f32_e32 v38, v39, v128
	v_add_f32_e32 v39, v48, v49
	v_add_f32_e32 v37, v37, v38
	v_mul_f32_e32 v131, v39, v129
	v_sub_f32_e32 v38, v48, v39
	v_mul_f32_e32 v48, v128, v131
	v_fma_f32 v50, v131, v128, -v48
	v_fmac_f32_e32 v50, v131, v37
	v_add_f32_e32 v130, v49, v38
	v_add_f32_e32 v38, v48, v50
	v_sub_f32_e32 v49, v39, v38
	v_pk_add_f32 v[116:117], v[38:39], v[48:49] neg_lo:[0,1] neg_hi:[0,1]
	v_mov_b32_e32 v51, v38
	v_pk_add_f32 v[38:39], v[116:117], v[50:51] neg_lo:[0,1] neg_hi:[0,1]
	v_cmp_eq_f32_e32 vcc, s44, v113
	v_add_f32_e32 v39, v130, v39
	v_add_f32_e32 v38, v38, v39
	;; [unrolled: 1-line block ×3, first 2 shown]
	v_mul_f32_e32 v130, v129, v39
	v_mul_f32_e32 v48, v128, v130
	v_fma_f32 v50, v130, v128, -v48
	v_fmac_f32_e32 v50, v130, v37
	v_sub_f32_e32 v37, v49, v39
	v_add_f32_e32 v37, v38, v37
	v_add_f32_e32 v38, v48, v50
	v_sub_f32_e32 v49, v39, v38
	v_pk_add_f32 v[116:117], v[38:39], v[48:49] neg_lo:[0,1] neg_hi:[0,1]
	v_mov_b32_e32 v51, v38
	v_pk_add_f32 v[38:39], v[116:117], v[50:51] neg_lo:[0,1] neg_hi:[0,1]
	v_cvt_f32_i32_e32 v48, v119
	v_add_f32_e32 v37, v37, v39
	v_add_f32_e32 v37, v38, v37
	;; [unrolled: 1-line block ×4, first 2 shown]
	v_sub_f32_e32 v39, v38, v131
	v_mul_f32_e32 v37, v129, v37
	v_sub_f32_e32 v39, v130, v39
	v_add_f32_e32 v37, v39, v37
	v_add_f32_e32 v49, v38, v37
	v_mul_f32_e32 v50, v49, v49
	v_mov_b32_e32 v39, 0x3ecc95a3
	v_fmac_f32_e32 v39, 0x3e9b6dac, v50
	v_sub_f32_e32 v38, v49, v38
	v_fmaak_f32 v39, v50, v39, 0x3f2aaada
	v_sub_f32_e32 v37, v37, v38
	v_ldexp_f32 v51, v49, 1
	v_mul_f32_e32 v49, v49, v50
	v_mov_b32_e32 v38, 0x3f317218
	v_pk_mul_f32 v[38:39], v[48:49], v[38:39]
	v_ldexp_f32 v37, v37, 1
	v_fma_f32 v49, v48, s43, -v38
	v_fmamk_f32 v50, v48, 0xb102e308, v49
	v_pk_add_f32 v[48:49], v[38:39], v[50:51]
	v_mov_b32_e32 v116, v38
	v_sub_f32_e32 v51, v49, v51
	v_sub_f32_e32 v51, v39, v51
	v_add_f32_e32 v117, v37, v51
	v_pk_add_f32 v[38:39], v[48:49], v[38:39] neg_lo:[0,1] neg_hi:[0,1]
	v_pk_add_f32 v[128:129], v[48:49], v[116:117]
	v_mov_b32_e32 v51, v48
	v_mov_b32_e32 v39, v129
	v_pk_add_f32 v[130:131], v[50:51], v[38:39] neg_lo:[0,1] neg_hi:[0,1]
	v_pk_add_f32 v[38:39], v[50:51], v[38:39]
	v_mov_b32_e32 v116, v117
	v_mov_b32_e32 v50, v39
	v_pk_add_f32 v[132:133], v[50:51], v[48:49] neg_lo:[0,1] neg_hi:[0,1]
	v_mov_b32_e32 v38, v129
	v_mov_b32_e32 v37, v132
	v_pk_add_f32 v[134:135], v[128:129], v[36:37] neg_lo:[0,1] neg_hi:[0,1]
	v_mov_b32_e32 v128, v49
	v_mov_b32_e32 v129, v132
	;; [unrolled: 1-line block ×3, first 2 shown]
	v_pk_add_f32 v[38:39], v[38:39], v[128:129] neg_lo:[0,1] neg_hi:[0,1]
	v_mov_b32_e32 v117, v48
	v_pk_add_f32 v[38:39], v[116:117], v[38:39] neg_lo:[0,1] neg_hi:[0,1]
	v_mov_b32_e32 v134, v130
	v_pk_add_f32 v[48:49], v[134:135], v[38:39]
	s_mov_b32 s43, 0x33800000
	v_mov_b32_e32 v116, v49
	v_pk_add_f32 v[116:117], v[48:49], v[116:117]
	v_cmp_lt_f32_e64 s[44:45], |v113|, s43
	v_pk_add_f32 v[50:51], v[50:51], v[116:117]
	v_mov_b32_e32 v39, v116
	v_mov_b32_e32 v49, v50
	v_pk_add_f32 v[128:129], v[48:49], v[130:131] neg_lo:[0,1] neg_hi:[0,1]
	s_or_b64 vcc, vcc, s[44:45]
	v_sub_f32_e32 v37, v48, v128
	v_pk_add_f32 v[38:39], v[38:39], v[128:129] neg_lo:[0,1] neg_hi:[0,1]
	v_sub_f32_e32 v37, v130, v37
	v_add_f32_e32 v37, v38, v37
	v_add_f32_e32 v37, v37, v39
	;; [unrolled: 1-line block ×3, first 2 shown]
	v_cndmask_b32_e32 v37, v37, v113, vcc
	v_add_f32_e32 v37, v30, v37
.LBB479_87:
	s_or_b64 exec, exec, s[40:41]
	v_bfe_u32 v30, v37, 16, 1
	v_add3_u32 v30, v37, v30, s42
	v_and_b32_e32 v30, 0xffff0000, v30
	v_cmp_o_f32_e32 vcc, v37, v37
	s_movk_i32 s44, 0x1f8
	s_nop 0
	v_cndmask_b32_e32 v37, v31, v30, vcc
	v_mov_b32_e32 v30, 16
	v_lshlrev_b32_sdwa v113, v30, v16 dst_sel:DWORD dst_unused:UNUSED_PAD src0_sel:DWORD src1_sel:WORD_1
	v_max_f32_e32 v31, v37, v37
	v_max_f32_e32 v119, v113, v113
	v_min_f32_e32 v38, v31, v119
	v_cmp_u_f32_e32 vcc, v37, v37
	v_max_f32_e32 v31, v31, v119
	v_cmp_u_f32_e64 s[40:41], v113, v113
	v_cndmask_b32_e32 v38, v38, v37, vcc
	v_cndmask_b32_e32 v31, v31, v37, vcc
	v_cndmask_b32_e64 v38, v38, v113, s[40:41]
	v_cndmask_b32_e64 v31, v31, v113, s[40:41]
	v_cmp_neq_f32_e32 vcc, v38, v31
	v_cmp_class_f32_e64 s[42:43], v38, s44
	s_or_b64 vcc, vcc, s[42:43]
	s_and_saveexec_b64 s[42:43], vcc
	s_cbranch_execz .LBB479_89
; %bb.88:
	v_sub_f32_e32 v37, v38, v31
	s_mov_b32 s45, 0x3fb8aa3b
	v_mul_f32_e32 v38, 0x3fb8aa3b, v37
	v_fma_f32 v39, v37, s45, -v38
	v_rndne_f32_e32 v48, v38
	v_fmamk_f32 v39, v37, 0x32a5705f, v39
	v_sub_f32_e32 v38, v38, v48
	v_add_f32_e32 v38, v38, v39
	v_exp_f32_e32 v38, v38
	v_cvt_i32_f32_e32 v39, v48
	s_mov_b32 s45, 0xc2ce8ed0
	v_cmp_ngt_f32_e32 vcc, s45, v37
	s_mov_b32 s45, 0x42b17218
	v_ldexp_f32 v38, v38, v39
	v_cndmask_b32_e32 v38, 0, v38, vcc
	v_mov_b32_e32 v39, 0x7f800000
	v_cmp_nlt_f32_e32 vcc, s45, v37
	s_mov_b32 s45, 0x3f2aaaab
	s_mov_b32 s46, 0x7f800000
	v_cndmask_b32_e32 v144, v39, v38, vcc
	v_add_f32_e32 v37, 1.0, v144
	v_add_f32_e32 v38, -1.0, v37
	v_sub_f32_e32 v39, v38, v37
	v_add_f32_e32 v39, 1.0, v39
	v_sub_f32_e32 v38, v144, v38
	v_add_f32_e32 v48, v38, v39
	v_frexp_mant_f32_e32 v49, v37
	v_cvt_f64_f32_e32 v[38:39], v37
	v_frexp_exp_i32_f64_e32 v38, v[38:39]
	v_cmp_gt_f32_e32 vcc, s45, v49
	s_mov_b32 s45, 0x3f317218
	s_nop 0
	v_subbrev_co_u32_e32 v128, vcc, 0, v38, vcc
	v_sub_u32_e32 v38, 0, v128
	v_ldexp_f32 v37, v37, v38
	v_ldexp_f32 v38, v48, v38
	v_add_f32_e32 v48, -1.0, v37
	v_add_f32_e32 v39, 1.0, v48
	v_sub_f32_e32 v39, v37, v39
	v_add_f32_e32 v49, v38, v39
	v_add_f32_e32 v39, 1.0, v37
	v_add_f32_e32 v50, -1.0, v39
	v_sub_f32_e32 v37, v37, v50
	v_add_f32_e32 v37, v38, v37
	v_add_f32_e32 v129, v39, v37
	v_rcp_f32_e32 v130, v129
	v_sub_f32_e32 v38, v39, v129
	v_add_f32_e32 v39, v48, v49
	v_add_f32_e32 v37, v37, v38
	v_mul_f32_e32 v132, v39, v130
	v_sub_f32_e32 v38, v48, v39
	v_mul_f32_e32 v48, v129, v132
	v_fma_f32 v50, v132, v129, -v48
	v_fmac_f32_e32 v50, v132, v37
	v_add_f32_e32 v131, v49, v38
	v_add_f32_e32 v38, v48, v50
	v_sub_f32_e32 v49, v39, v38
	v_pk_add_f32 v[116:117], v[38:39], v[48:49] neg_lo:[0,1] neg_hi:[0,1]
	v_mov_b32_e32 v51, v38
	v_pk_add_f32 v[38:39], v[116:117], v[50:51] neg_lo:[0,1] neg_hi:[0,1]
	v_cmp_eq_f32_e32 vcc, s46, v144
	v_add_f32_e32 v39, v131, v39
	v_add_f32_e32 v38, v38, v39
	;; [unrolled: 1-line block ×3, first 2 shown]
	v_mul_f32_e32 v131, v130, v39
	v_mul_f32_e32 v48, v129, v131
	v_fma_f32 v50, v131, v129, -v48
	v_fmac_f32_e32 v50, v131, v37
	v_sub_f32_e32 v37, v49, v39
	v_add_f32_e32 v37, v38, v37
	v_add_f32_e32 v38, v48, v50
	v_sub_f32_e32 v49, v39, v38
	v_pk_add_f32 v[116:117], v[38:39], v[48:49] neg_lo:[0,1] neg_hi:[0,1]
	v_mov_b32_e32 v51, v38
	v_pk_add_f32 v[38:39], v[116:117], v[50:51] neg_lo:[0,1] neg_hi:[0,1]
	v_cvt_f32_i32_e32 v48, v128
	v_add_f32_e32 v37, v37, v39
	v_add_f32_e32 v37, v38, v37
	;; [unrolled: 1-line block ×4, first 2 shown]
	v_sub_f32_e32 v39, v38, v132
	v_mul_f32_e32 v37, v130, v37
	v_sub_f32_e32 v39, v131, v39
	v_add_f32_e32 v37, v39, v37
	v_add_f32_e32 v49, v38, v37
	v_mul_f32_e32 v50, v49, v49
	v_mov_b32_e32 v39, 0x3ecc95a3
	v_fmac_f32_e32 v39, 0x3e9b6dac, v50
	v_sub_f32_e32 v38, v49, v38
	v_fmaak_f32 v39, v50, v39, 0x3f2aaada
	v_sub_f32_e32 v37, v37, v38
	v_ldexp_f32 v51, v49, 1
	v_mul_f32_e32 v49, v49, v50
	v_mov_b32_e32 v38, 0x3f317218
	v_pk_mul_f32 v[38:39], v[48:49], v[38:39]
	v_ldexp_f32 v37, v37, 1
	v_fma_f32 v49, v48, s45, -v38
	v_fmamk_f32 v50, v48, 0xb102e308, v49
	v_pk_add_f32 v[48:49], v[38:39], v[50:51]
	v_mov_b32_e32 v116, v38
	v_sub_f32_e32 v51, v49, v51
	v_sub_f32_e32 v51, v39, v51
	v_add_f32_e32 v117, v37, v51
	v_pk_add_f32 v[38:39], v[48:49], v[38:39] neg_lo:[0,1] neg_hi:[0,1]
	v_pk_add_f32 v[128:129], v[48:49], v[116:117]
	v_mov_b32_e32 v51, v48
	v_mov_b32_e32 v39, v129
	v_pk_add_f32 v[130:131], v[50:51], v[38:39] neg_lo:[0,1] neg_hi:[0,1]
	v_pk_add_f32 v[38:39], v[50:51], v[38:39]
	v_mov_b32_e32 v116, v117
	v_mov_b32_e32 v50, v39
	v_pk_add_f32 v[132:133], v[50:51], v[48:49] neg_lo:[0,1] neg_hi:[0,1]
	v_mov_b32_e32 v38, v129
	v_mov_b32_e32 v37, v132
	v_pk_add_f32 v[134:135], v[128:129], v[36:37] neg_lo:[0,1] neg_hi:[0,1]
	v_mov_b32_e32 v128, v49
	v_mov_b32_e32 v129, v132
	;; [unrolled: 1-line block ×3, first 2 shown]
	v_pk_add_f32 v[38:39], v[38:39], v[128:129] neg_lo:[0,1] neg_hi:[0,1]
	v_mov_b32_e32 v117, v48
	v_pk_add_f32 v[38:39], v[116:117], v[38:39] neg_lo:[0,1] neg_hi:[0,1]
	v_mov_b32_e32 v134, v130
	v_pk_add_f32 v[48:49], v[134:135], v[38:39]
	s_mov_b32 s45, 0x33800000
	v_mov_b32_e32 v116, v49
	v_pk_add_f32 v[116:117], v[48:49], v[116:117]
	v_cmp_lt_f32_e64 s[46:47], |v144|, s45
	v_pk_add_f32 v[50:51], v[50:51], v[116:117]
	v_mov_b32_e32 v39, v116
	v_mov_b32_e32 v49, v50
	v_pk_add_f32 v[128:129], v[48:49], v[130:131] neg_lo:[0,1] neg_hi:[0,1]
	s_or_b64 vcc, vcc, s[46:47]
	v_sub_f32_e32 v37, v48, v128
	v_pk_add_f32 v[38:39], v[38:39], v[128:129] neg_lo:[0,1] neg_hi:[0,1]
	v_sub_f32_e32 v37, v130, v37
	v_add_f32_e32 v37, v38, v37
	v_add_f32_e32 v37, v37, v39
	v_add_f32_e32 v37, v50, v37
	v_cndmask_b32_e32 v37, v37, v144, vcc
	v_add_f32_e32 v37, v31, v37
.LBB479_89:
	s_or_b64 exec, exec, s[42:43]
	v_bfe_u32 v31, v37, 16, 1
	s_movk_i32 s46, 0x7fff
	v_add3_u32 v31, v37, v31, s46
	v_and_b32_e32 v38, 0xffff0000, v31
	v_mov_b32_e32 v31, 0x7fc00000
	v_cmp_o_f32_e32 vcc, v37, v37
	v_lshlrev_b32_sdwa v116, v30, v17 dst_sel:DWORD dst_unused:UNUSED_PAD src0_sel:DWORD src1_sel:WORD_0
	v_max_f32_e32 v130, v116, v116
	v_cndmask_b32_e32 v37, v31, v38, vcc
	v_max_f32_e32 v30, v37, v37
	v_min_f32_e32 v38, v30, v130
	v_cmp_u_f32_e32 vcc, v37, v37
	v_max_f32_e32 v30, v30, v130
	v_cmp_u_f32_e64 s[42:43], v116, v116
	v_cndmask_b32_e32 v38, v38, v37, vcc
	v_cndmask_b32_e32 v30, v30, v37, vcc
	v_cndmask_b32_e64 v38, v38, v116, s[42:43]
	v_cndmask_b32_e64 v30, v30, v116, s[42:43]
	v_cmp_neq_f32_e32 vcc, v38, v30
	v_cmp_class_f32_e64 s[44:45], v38, s44
	s_or_b64 vcc, vcc, s[44:45]
	s_and_saveexec_b64 s[44:45], vcc
	s_cbranch_execz .LBB479_91
; %bb.90:
	v_sub_f32_e32 v37, v38, v30
	s_mov_b32 s47, 0x3fb8aa3b
	v_mul_f32_e32 v38, 0x3fb8aa3b, v37
	v_fma_f32 v39, v37, s47, -v38
	v_rndne_f32_e32 v48, v38
	v_fmamk_f32 v39, v37, 0x32a5705f, v39
	v_sub_f32_e32 v38, v38, v48
	v_add_f32_e32 v38, v38, v39
	v_exp_f32_e32 v38, v38
	v_cvt_i32_f32_e32 v39, v48
	s_mov_b32 s47, 0xc2ce8ed0
	v_cmp_ngt_f32_e32 vcc, s47, v37
	s_mov_b32 s47, 0x42b17218
	v_ldexp_f32 v38, v38, v39
	v_cndmask_b32_e32 v38, 0, v38, vcc
	v_mov_b32_e32 v39, 0x7f800000
	v_cmp_nlt_f32_e32 vcc, s47, v37
	s_mov_b32 s47, 0x3f2aaaab
	s_mov_b32 s48, 0x7f800000
	v_cndmask_b32_e32 v117, v39, v38, vcc
	v_add_f32_e32 v37, 1.0, v117
	v_add_f32_e32 v38, -1.0, v37
	v_sub_f32_e32 v39, v38, v37
	v_add_f32_e32 v39, 1.0, v39
	v_sub_f32_e32 v38, v117, v38
	v_add_f32_e32 v48, v38, v39
	v_frexp_mant_f32_e32 v49, v37
	v_cvt_f64_f32_e32 v[38:39], v37
	v_frexp_exp_i32_f64_e32 v38, v[38:39]
	v_cmp_gt_f32_e32 vcc, s47, v49
	s_mov_b32 s47, 0x3f317218
	s_nop 0
	v_subbrev_co_u32_e32 v131, vcc, 0, v38, vcc
	v_sub_u32_e32 v38, 0, v131
	v_ldexp_f32 v37, v37, v38
	v_ldexp_f32 v38, v48, v38
	v_add_f32_e32 v48, -1.0, v37
	v_add_f32_e32 v39, 1.0, v48
	v_sub_f32_e32 v39, v37, v39
	v_add_f32_e32 v49, v38, v39
	v_add_f32_e32 v39, 1.0, v37
	v_add_f32_e32 v50, -1.0, v39
	v_sub_f32_e32 v37, v37, v50
	v_add_f32_e32 v37, v38, v37
	v_add_f32_e32 v132, v39, v37
	v_rcp_f32_e32 v133, v132
	v_sub_f32_e32 v38, v39, v132
	v_add_f32_e32 v39, v48, v49
	v_add_f32_e32 v37, v37, v38
	v_mul_f32_e32 v135, v39, v133
	v_sub_f32_e32 v38, v48, v39
	v_mul_f32_e32 v48, v132, v135
	v_fma_f32 v50, v135, v132, -v48
	v_fmac_f32_e32 v50, v135, v37
	v_add_f32_e32 v134, v49, v38
	v_add_f32_e32 v38, v48, v50
	v_sub_f32_e32 v49, v39, v38
	v_pk_add_f32 v[128:129], v[38:39], v[48:49] neg_lo:[0,1] neg_hi:[0,1]
	v_mov_b32_e32 v51, v38
	v_pk_add_f32 v[38:39], v[128:129], v[50:51] neg_lo:[0,1] neg_hi:[0,1]
	v_cmp_eq_f32_e32 vcc, s48, v117
	v_add_f32_e32 v39, v134, v39
	v_add_f32_e32 v38, v38, v39
	;; [unrolled: 1-line block ×3, first 2 shown]
	v_mul_f32_e32 v134, v133, v39
	v_mul_f32_e32 v48, v132, v134
	v_fma_f32 v50, v134, v132, -v48
	v_fmac_f32_e32 v50, v134, v37
	v_sub_f32_e32 v37, v49, v39
	v_add_f32_e32 v37, v38, v37
	v_add_f32_e32 v38, v48, v50
	v_sub_f32_e32 v49, v39, v38
	v_pk_add_f32 v[128:129], v[38:39], v[48:49] neg_lo:[0,1] neg_hi:[0,1]
	v_mov_b32_e32 v51, v38
	v_pk_add_f32 v[38:39], v[128:129], v[50:51] neg_lo:[0,1] neg_hi:[0,1]
	v_cvt_f32_i32_e32 v48, v131
	v_add_f32_e32 v37, v37, v39
	v_add_f32_e32 v37, v38, v37
	;; [unrolled: 1-line block ×4, first 2 shown]
	v_sub_f32_e32 v39, v38, v135
	v_mul_f32_e32 v37, v133, v37
	v_sub_f32_e32 v39, v134, v39
	v_add_f32_e32 v37, v39, v37
	v_add_f32_e32 v49, v38, v37
	v_mul_f32_e32 v50, v49, v49
	v_mov_b32_e32 v39, 0x3ecc95a3
	v_fmac_f32_e32 v39, 0x3e9b6dac, v50
	v_sub_f32_e32 v38, v49, v38
	v_fmaak_f32 v39, v50, v39, 0x3f2aaada
	v_sub_f32_e32 v37, v37, v38
	v_ldexp_f32 v51, v49, 1
	v_mul_f32_e32 v49, v49, v50
	v_mov_b32_e32 v38, 0x3f317218
	v_pk_mul_f32 v[38:39], v[48:49], v[38:39]
	v_ldexp_f32 v37, v37, 1
	v_fma_f32 v49, v48, s47, -v38
	v_fmamk_f32 v50, v48, 0xb102e308, v49
	v_pk_add_f32 v[48:49], v[38:39], v[50:51]
	v_mov_b32_e32 v128, v38
	v_sub_f32_e32 v51, v49, v51
	v_sub_f32_e32 v51, v39, v51
	v_add_f32_e32 v129, v37, v51
	v_pk_add_f32 v[38:39], v[48:49], v[38:39] neg_lo:[0,1] neg_hi:[0,1]
	v_pk_add_f32 v[132:133], v[48:49], v[128:129]
	v_mov_b32_e32 v51, v48
	v_mov_b32_e32 v39, v133
	v_pk_add_f32 v[134:135], v[50:51], v[38:39] neg_lo:[0,1] neg_hi:[0,1]
	v_pk_add_f32 v[38:39], v[50:51], v[38:39]
	v_mov_b32_e32 v128, v129
	v_mov_b32_e32 v50, v39
	v_pk_add_f32 v[144:145], v[50:51], v[48:49] neg_lo:[0,1] neg_hi:[0,1]
	v_mov_b32_e32 v38, v133
	v_mov_b32_e32 v37, v144
	v_pk_add_f32 v[148:149], v[132:133], v[36:37] neg_lo:[0,1] neg_hi:[0,1]
	v_mov_b32_e32 v132, v49
	v_mov_b32_e32 v133, v144
	;; [unrolled: 1-line block ×3, first 2 shown]
	v_pk_add_f32 v[38:39], v[38:39], v[132:133] neg_lo:[0,1] neg_hi:[0,1]
	v_mov_b32_e32 v129, v48
	v_pk_add_f32 v[38:39], v[128:129], v[38:39] neg_lo:[0,1] neg_hi:[0,1]
	v_mov_b32_e32 v148, v134
	v_pk_add_f32 v[48:49], v[148:149], v[38:39]
	s_mov_b32 s47, 0x33800000
	v_mov_b32_e32 v128, v49
	v_pk_add_f32 v[128:129], v[48:49], v[128:129]
	v_cmp_lt_f32_e64 s[48:49], |v117|, s47
	v_pk_add_f32 v[50:51], v[50:51], v[128:129]
	v_mov_b32_e32 v39, v128
	v_mov_b32_e32 v49, v50
	v_pk_add_f32 v[132:133], v[48:49], v[134:135] neg_lo:[0,1] neg_hi:[0,1]
	s_or_b64 vcc, vcc, s[48:49]
	v_sub_f32_e32 v37, v48, v132
	v_pk_add_f32 v[38:39], v[38:39], v[132:133] neg_lo:[0,1] neg_hi:[0,1]
	v_sub_f32_e32 v37, v134, v37
	v_add_f32_e32 v37, v38, v37
	v_add_f32_e32 v37, v37, v39
	;; [unrolled: 1-line block ×3, first 2 shown]
	v_cndmask_b32_e32 v37, v37, v117, vcc
	v_add_f32_e32 v37, v30, v37
.LBB479_91:
	s_or_b64 exec, exec, s[44:45]
	v_bfe_u32 v30, v37, 16, 1
	v_add3_u32 v30, v37, v30, s46
	v_and_b32_e32 v30, 0xffff0000, v30
	v_cmp_o_f32_e32 vcc, v37, v37
	s_movk_i32 s48, 0x1f8
	s_nop 0
	v_cndmask_b32_e32 v37, v31, v30, vcc
	v_mov_b32_e32 v30, 16
	v_lshlrev_b32_sdwa v117, v30, v17 dst_sel:DWORD dst_unused:UNUSED_PAD src0_sel:DWORD src1_sel:WORD_1
	v_max_f32_e32 v31, v37, v37
	v_max_f32_e32 v131, v117, v117
	v_min_f32_e32 v38, v31, v131
	v_cmp_u_f32_e32 vcc, v37, v37
	v_max_f32_e32 v31, v31, v131
	v_cmp_u_f32_e64 s[44:45], v117, v117
	v_cndmask_b32_e32 v38, v38, v37, vcc
	v_cndmask_b32_e32 v31, v31, v37, vcc
	v_cndmask_b32_e64 v38, v38, v117, s[44:45]
	v_cndmask_b32_e64 v31, v31, v117, s[44:45]
	v_cmp_neq_f32_e32 vcc, v38, v31
	v_cmp_class_f32_e64 s[46:47], v38, s48
	s_or_b64 vcc, vcc, s[46:47]
	s_and_saveexec_b64 s[46:47], vcc
	s_cbranch_execz .LBB479_93
; %bb.92:
	v_sub_f32_e32 v37, v38, v31
	s_mov_b32 s49, 0x3fb8aa3b
	v_mul_f32_e32 v38, 0x3fb8aa3b, v37
	v_fma_f32 v39, v37, s49, -v38
	v_rndne_f32_e32 v48, v38
	v_fmamk_f32 v39, v37, 0x32a5705f, v39
	v_sub_f32_e32 v38, v38, v48
	v_add_f32_e32 v38, v38, v39
	v_exp_f32_e32 v38, v38
	v_cvt_i32_f32_e32 v39, v48
	s_mov_b32 s49, 0xc2ce8ed0
	v_cmp_ngt_f32_e32 vcc, s49, v37
	s_mov_b32 s49, 0x42b17218
	v_ldexp_f32 v38, v38, v39
	v_cndmask_b32_e32 v38, 0, v38, vcc
	v_mov_b32_e32 v39, 0x7f800000
	v_cmp_nlt_f32_e32 vcc, s49, v37
	s_mov_b32 s49, 0x3f2aaaab
	s_mov_b32 s50, 0x7f800000
	v_cndmask_b32_e32 v150, v39, v38, vcc
	v_add_f32_e32 v37, 1.0, v150
	v_add_f32_e32 v38, -1.0, v37
	v_sub_f32_e32 v39, v38, v37
	v_add_f32_e32 v39, 1.0, v39
	v_sub_f32_e32 v38, v150, v38
	v_add_f32_e32 v48, v38, v39
	v_frexp_mant_f32_e32 v49, v37
	v_cvt_f64_f32_e32 v[38:39], v37
	v_frexp_exp_i32_f64_e32 v38, v[38:39]
	v_cmp_gt_f32_e32 vcc, s49, v49
	s_mov_b32 s49, 0x3f317218
	s_nop 0
	v_subbrev_co_u32_e32 v132, vcc, 0, v38, vcc
	v_sub_u32_e32 v38, 0, v132
	v_ldexp_f32 v37, v37, v38
	v_ldexp_f32 v38, v48, v38
	v_add_f32_e32 v48, -1.0, v37
	v_add_f32_e32 v39, 1.0, v48
	v_sub_f32_e32 v39, v37, v39
	v_add_f32_e32 v49, v38, v39
	v_add_f32_e32 v39, 1.0, v37
	v_add_f32_e32 v50, -1.0, v39
	v_sub_f32_e32 v37, v37, v50
	v_add_f32_e32 v37, v38, v37
	v_add_f32_e32 v133, v39, v37
	v_rcp_f32_e32 v134, v133
	v_sub_f32_e32 v38, v39, v133
	v_add_f32_e32 v39, v48, v49
	v_add_f32_e32 v37, v37, v38
	v_mul_f32_e32 v144, v39, v134
	v_sub_f32_e32 v38, v48, v39
	v_mul_f32_e32 v48, v133, v144
	v_fma_f32 v50, v144, v133, -v48
	v_fmac_f32_e32 v50, v144, v37
	v_add_f32_e32 v135, v49, v38
	v_add_f32_e32 v38, v48, v50
	v_sub_f32_e32 v49, v39, v38
	v_pk_add_f32 v[128:129], v[38:39], v[48:49] neg_lo:[0,1] neg_hi:[0,1]
	v_mov_b32_e32 v51, v38
	v_pk_add_f32 v[38:39], v[128:129], v[50:51] neg_lo:[0,1] neg_hi:[0,1]
	v_cmp_eq_f32_e32 vcc, s50, v150
	v_add_f32_e32 v39, v135, v39
	v_add_f32_e32 v38, v38, v39
	;; [unrolled: 1-line block ×3, first 2 shown]
	v_mul_f32_e32 v135, v134, v39
	v_mul_f32_e32 v48, v133, v135
	v_fma_f32 v50, v135, v133, -v48
	v_fmac_f32_e32 v50, v135, v37
	v_sub_f32_e32 v37, v49, v39
	v_add_f32_e32 v37, v38, v37
	v_add_f32_e32 v38, v48, v50
	v_sub_f32_e32 v49, v39, v38
	v_pk_add_f32 v[128:129], v[38:39], v[48:49] neg_lo:[0,1] neg_hi:[0,1]
	v_mov_b32_e32 v51, v38
	v_pk_add_f32 v[38:39], v[128:129], v[50:51] neg_lo:[0,1] neg_hi:[0,1]
	v_cvt_f32_i32_e32 v48, v132
	v_add_f32_e32 v37, v37, v39
	v_add_f32_e32 v37, v38, v37
	v_add_f32_e32 v38, v144, v135
	v_add_f32_e32 v37, v49, v37
	v_sub_f32_e32 v39, v38, v144
	v_mul_f32_e32 v37, v134, v37
	v_sub_f32_e32 v39, v135, v39
	v_add_f32_e32 v37, v39, v37
	v_add_f32_e32 v49, v38, v37
	v_mul_f32_e32 v50, v49, v49
	v_mov_b32_e32 v39, 0x3ecc95a3
	v_fmac_f32_e32 v39, 0x3e9b6dac, v50
	v_sub_f32_e32 v38, v49, v38
	v_fmaak_f32 v39, v50, v39, 0x3f2aaada
	v_sub_f32_e32 v37, v37, v38
	v_ldexp_f32 v51, v49, 1
	v_mul_f32_e32 v49, v49, v50
	v_mov_b32_e32 v38, 0x3f317218
	v_pk_mul_f32 v[38:39], v[48:49], v[38:39]
	v_ldexp_f32 v37, v37, 1
	v_fma_f32 v49, v48, s49, -v38
	v_fmamk_f32 v50, v48, 0xb102e308, v49
	v_pk_add_f32 v[48:49], v[38:39], v[50:51]
	v_mov_b32_e32 v128, v38
	v_sub_f32_e32 v51, v49, v51
	v_sub_f32_e32 v51, v39, v51
	v_add_f32_e32 v129, v37, v51
	v_pk_add_f32 v[38:39], v[48:49], v[38:39] neg_lo:[0,1] neg_hi:[0,1]
	v_pk_add_f32 v[132:133], v[48:49], v[128:129]
	v_mov_b32_e32 v51, v48
	v_mov_b32_e32 v39, v133
	v_pk_add_f32 v[134:135], v[50:51], v[38:39] neg_lo:[0,1] neg_hi:[0,1]
	v_pk_add_f32 v[38:39], v[50:51], v[38:39]
	v_mov_b32_e32 v128, v129
	v_mov_b32_e32 v50, v39
	v_pk_add_f32 v[144:145], v[50:51], v[48:49] neg_lo:[0,1] neg_hi:[0,1]
	v_mov_b32_e32 v38, v133
	v_mov_b32_e32 v37, v144
	v_pk_add_f32 v[148:149], v[132:133], v[36:37] neg_lo:[0,1] neg_hi:[0,1]
	v_mov_b32_e32 v132, v49
	v_mov_b32_e32 v133, v144
	v_mov_b32_e32 v135, v39
	v_pk_add_f32 v[38:39], v[38:39], v[132:133] neg_lo:[0,1] neg_hi:[0,1]
	v_mov_b32_e32 v129, v48
	v_pk_add_f32 v[38:39], v[128:129], v[38:39] neg_lo:[0,1] neg_hi:[0,1]
	v_mov_b32_e32 v148, v134
	v_pk_add_f32 v[48:49], v[148:149], v[38:39]
	s_mov_b32 s49, 0x33800000
	v_mov_b32_e32 v128, v49
	v_pk_add_f32 v[128:129], v[48:49], v[128:129]
	v_cmp_lt_f32_e64 s[50:51], |v150|, s49
	v_pk_add_f32 v[50:51], v[50:51], v[128:129]
	v_mov_b32_e32 v39, v128
	v_mov_b32_e32 v49, v50
	v_pk_add_f32 v[132:133], v[48:49], v[134:135] neg_lo:[0,1] neg_hi:[0,1]
	s_or_b64 vcc, vcc, s[50:51]
	v_sub_f32_e32 v37, v48, v132
	v_pk_add_f32 v[38:39], v[38:39], v[132:133] neg_lo:[0,1] neg_hi:[0,1]
	v_sub_f32_e32 v37, v134, v37
	v_add_f32_e32 v37, v38, v37
	v_add_f32_e32 v37, v37, v39
	;; [unrolled: 1-line block ×3, first 2 shown]
	v_cndmask_b32_e32 v37, v37, v150, vcc
	v_add_f32_e32 v37, v31, v37
.LBB479_93:
	s_or_b64 exec, exec, s[46:47]
	v_bfe_u32 v31, v37, 16, 1
	s_movk_i32 s50, 0x7fff
	v_add3_u32 v31, v37, v31, s50
	v_and_b32_e32 v38, 0xffff0000, v31
	v_mov_b32_e32 v31, 0x7fc00000
	v_cmp_o_f32_e32 vcc, v37, v37
	v_lshlrev_b32_sdwa v128, v30, v18 dst_sel:DWORD dst_unused:UNUSED_PAD src0_sel:DWORD src1_sel:WORD_0
	v_max_f32_e32 v134, v128, v128
	v_cndmask_b32_e32 v37, v31, v38, vcc
	v_max_f32_e32 v30, v37, v37
	v_min_f32_e32 v38, v30, v134
	v_cmp_u_f32_e32 vcc, v37, v37
	v_max_f32_e32 v30, v30, v134
	v_cmp_u_f32_e64 s[46:47], v128, v128
	v_cndmask_b32_e32 v38, v38, v37, vcc
	v_cndmask_b32_e32 v30, v30, v37, vcc
	v_cndmask_b32_e64 v38, v38, v128, s[46:47]
	v_cndmask_b32_e64 v30, v30, v128, s[46:47]
	v_cmp_neq_f32_e32 vcc, v38, v30
	v_cmp_class_f32_e64 s[48:49], v38, s48
	s_or_b64 vcc, vcc, s[48:49]
	s_and_saveexec_b64 s[48:49], vcc
	s_cbranch_execz .LBB479_95
; %bb.94:
	v_sub_f32_e32 v37, v38, v30
	s_mov_b32 s51, 0x3fb8aa3b
	v_mul_f32_e32 v38, 0x3fb8aa3b, v37
	v_fma_f32 v39, v37, s51, -v38
	v_rndne_f32_e32 v48, v38
	v_fmamk_f32 v39, v37, 0x32a5705f, v39
	v_sub_f32_e32 v38, v38, v48
	v_add_f32_e32 v38, v38, v39
	v_exp_f32_e32 v38, v38
	v_cvt_i32_f32_e32 v39, v48
	s_mov_b32 s51, 0xc2ce8ed0
	v_cmp_ngt_f32_e32 vcc, s51, v37
	s_mov_b32 s51, 0x42b17218
	v_ldexp_f32 v38, v38, v39
	v_cndmask_b32_e32 v38, 0, v38, vcc
	v_mov_b32_e32 v39, 0x7f800000
	v_cmp_nlt_f32_e32 vcc, s51, v37
	s_mov_b32 s51, 0x3f2aaaab
	s_mov_b32 s52, 0x7f800000
	v_cndmask_b32_e32 v129, v39, v38, vcc
	v_add_f32_e32 v37, 1.0, v129
	v_add_f32_e32 v38, -1.0, v37
	v_sub_f32_e32 v39, v38, v37
	v_add_f32_e32 v39, 1.0, v39
	v_sub_f32_e32 v38, v129, v38
	v_add_f32_e32 v48, v38, v39
	v_frexp_mant_f32_e32 v49, v37
	v_cvt_f64_f32_e32 v[38:39], v37
	v_frexp_exp_i32_f64_e32 v38, v[38:39]
	v_cmp_gt_f32_e32 vcc, s51, v49
	s_mov_b32 s51, 0x3f317218
	s_nop 0
	v_subbrev_co_u32_e32 v135, vcc, 0, v38, vcc
	v_sub_u32_e32 v38, 0, v135
	v_ldexp_f32 v37, v37, v38
	v_ldexp_f32 v38, v48, v38
	v_add_f32_e32 v48, -1.0, v37
	v_add_f32_e32 v39, 1.0, v48
	v_sub_f32_e32 v39, v37, v39
	v_add_f32_e32 v49, v38, v39
	v_add_f32_e32 v39, 1.0, v37
	v_add_f32_e32 v50, -1.0, v39
	v_sub_f32_e32 v37, v37, v50
	v_add_f32_e32 v37, v38, v37
	v_add_f32_e32 v144, v39, v37
	v_rcp_f32_e32 v145, v144
	v_sub_f32_e32 v38, v39, v144
	v_add_f32_e32 v39, v48, v49
	v_add_f32_e32 v37, v37, v38
	v_mul_f32_e32 v149, v39, v145
	v_sub_f32_e32 v38, v48, v39
	v_mul_f32_e32 v48, v144, v149
	v_fma_f32 v50, v149, v144, -v48
	v_fmac_f32_e32 v50, v149, v37
	v_add_f32_e32 v148, v49, v38
	v_add_f32_e32 v38, v48, v50
	v_sub_f32_e32 v49, v39, v38
	v_pk_add_f32 v[132:133], v[38:39], v[48:49] neg_lo:[0,1] neg_hi:[0,1]
	v_mov_b32_e32 v51, v38
	v_pk_add_f32 v[38:39], v[132:133], v[50:51] neg_lo:[0,1] neg_hi:[0,1]
	v_cmp_eq_f32_e32 vcc, s52, v129
	v_add_f32_e32 v39, v148, v39
	v_add_f32_e32 v38, v38, v39
	;; [unrolled: 1-line block ×3, first 2 shown]
	v_mul_f32_e32 v148, v145, v39
	v_mul_f32_e32 v48, v144, v148
	v_fma_f32 v50, v148, v144, -v48
	v_fmac_f32_e32 v50, v148, v37
	v_sub_f32_e32 v37, v49, v39
	v_add_f32_e32 v37, v38, v37
	v_add_f32_e32 v38, v48, v50
	v_sub_f32_e32 v49, v39, v38
	v_pk_add_f32 v[132:133], v[38:39], v[48:49] neg_lo:[0,1] neg_hi:[0,1]
	v_mov_b32_e32 v51, v38
	v_pk_add_f32 v[38:39], v[132:133], v[50:51] neg_lo:[0,1] neg_hi:[0,1]
	v_cvt_f32_i32_e32 v48, v135
	v_add_f32_e32 v37, v37, v39
	v_add_f32_e32 v37, v38, v37
	;; [unrolled: 1-line block ×4, first 2 shown]
	v_sub_f32_e32 v39, v38, v149
	v_mul_f32_e32 v37, v145, v37
	v_sub_f32_e32 v39, v148, v39
	v_add_f32_e32 v37, v39, v37
	v_add_f32_e32 v49, v38, v37
	v_mul_f32_e32 v50, v49, v49
	v_mov_b32_e32 v39, 0x3ecc95a3
	v_fmac_f32_e32 v39, 0x3e9b6dac, v50
	v_sub_f32_e32 v38, v49, v38
	v_fmaak_f32 v39, v50, v39, 0x3f2aaada
	v_sub_f32_e32 v37, v37, v38
	v_ldexp_f32 v51, v49, 1
	v_mul_f32_e32 v49, v49, v50
	v_mov_b32_e32 v38, 0x3f317218
	v_pk_mul_f32 v[38:39], v[48:49], v[38:39]
	v_ldexp_f32 v37, v37, 1
	v_fma_f32 v49, v48, s51, -v38
	v_fmamk_f32 v50, v48, 0xb102e308, v49
	v_pk_add_f32 v[48:49], v[38:39], v[50:51]
	v_mov_b32_e32 v132, v38
	v_sub_f32_e32 v51, v49, v51
	v_sub_f32_e32 v51, v39, v51
	v_add_f32_e32 v133, v37, v51
	v_pk_add_f32 v[38:39], v[48:49], v[38:39] neg_lo:[0,1] neg_hi:[0,1]
	v_pk_add_f32 v[144:145], v[48:49], v[132:133]
	v_mov_b32_e32 v51, v48
	v_mov_b32_e32 v39, v145
	v_pk_add_f32 v[148:149], v[50:51], v[38:39] neg_lo:[0,1] neg_hi:[0,1]
	v_pk_add_f32 v[38:39], v[50:51], v[38:39]
	v_mov_b32_e32 v132, v133
	v_mov_b32_e32 v50, v39
	v_pk_add_f32 v[150:151], v[50:51], v[48:49] neg_lo:[0,1] neg_hi:[0,1]
	v_mov_b32_e32 v38, v145
	v_mov_b32_e32 v37, v150
	v_pk_add_f32 v[160:161], v[144:145], v[36:37] neg_lo:[0,1] neg_hi:[0,1]
	v_mov_b32_e32 v144, v49
	v_mov_b32_e32 v145, v150
	;; [unrolled: 1-line block ×3, first 2 shown]
	v_pk_add_f32 v[38:39], v[38:39], v[144:145] neg_lo:[0,1] neg_hi:[0,1]
	v_mov_b32_e32 v133, v48
	v_pk_add_f32 v[38:39], v[132:133], v[38:39] neg_lo:[0,1] neg_hi:[0,1]
	v_mov_b32_e32 v160, v148
	v_pk_add_f32 v[48:49], v[160:161], v[38:39]
	s_mov_b32 s51, 0x33800000
	v_mov_b32_e32 v132, v49
	v_pk_add_f32 v[132:133], v[48:49], v[132:133]
	v_cmp_lt_f32_e64 s[52:53], |v129|, s51
	v_pk_add_f32 v[50:51], v[50:51], v[132:133]
	v_mov_b32_e32 v39, v132
	v_mov_b32_e32 v49, v50
	v_pk_add_f32 v[144:145], v[48:49], v[148:149] neg_lo:[0,1] neg_hi:[0,1]
	s_or_b64 vcc, vcc, s[52:53]
	v_sub_f32_e32 v37, v48, v144
	v_pk_add_f32 v[38:39], v[38:39], v[144:145] neg_lo:[0,1] neg_hi:[0,1]
	v_sub_f32_e32 v37, v148, v37
	v_add_f32_e32 v37, v38, v37
	v_add_f32_e32 v37, v37, v39
	;; [unrolled: 1-line block ×3, first 2 shown]
	v_cndmask_b32_e32 v37, v37, v129, vcc
	v_add_f32_e32 v37, v30, v37
.LBB479_95:
	s_or_b64 exec, exec, s[48:49]
	v_bfe_u32 v30, v37, 16, 1
	v_add3_u32 v30, v37, v30, s50
	v_and_b32_e32 v30, 0xffff0000, v30
	v_cmp_o_f32_e32 vcc, v37, v37
	s_movk_i32 s52, 0x1f8
	s_nop 0
	v_cndmask_b32_e32 v37, v31, v30, vcc
	v_mov_b32_e32 v30, 16
	v_lshlrev_b32_sdwa v129, v30, v18 dst_sel:DWORD dst_unused:UNUSED_PAD src0_sel:DWORD src1_sel:WORD_1
	v_max_f32_e32 v31, v37, v37
	v_max_f32_e32 v135, v129, v129
	v_min_f32_e32 v38, v31, v135
	v_cmp_u_f32_e32 vcc, v37, v37
	v_max_f32_e32 v31, v31, v135
	v_cmp_u_f32_e64 s[48:49], v129, v129
	v_cndmask_b32_e32 v38, v38, v37, vcc
	v_cndmask_b32_e32 v31, v31, v37, vcc
	v_cndmask_b32_e64 v38, v38, v129, s[48:49]
	v_cndmask_b32_e64 v31, v31, v129, s[48:49]
	v_cmp_neq_f32_e32 vcc, v38, v31
	v_cmp_class_f32_e64 s[50:51], v38, s52
	s_or_b64 vcc, vcc, s[50:51]
	s_and_saveexec_b64 s[50:51], vcc
	s_cbranch_execz .LBB479_97
; %bb.96:
	v_sub_f32_e32 v37, v38, v31
	s_mov_b32 s53, 0x3fb8aa3b
	v_mul_f32_e32 v38, 0x3fb8aa3b, v37
	v_fma_f32 v39, v37, s53, -v38
	v_rndne_f32_e32 v48, v38
	v_fmamk_f32 v39, v37, 0x32a5705f, v39
	v_sub_f32_e32 v38, v38, v48
	v_add_f32_e32 v38, v38, v39
	v_exp_f32_e32 v38, v38
	v_cvt_i32_f32_e32 v39, v48
	s_mov_b32 s53, 0xc2ce8ed0
	v_cmp_ngt_f32_e32 vcc, s53, v37
	s_mov_b32 s53, 0x42b17218
	v_ldexp_f32 v38, v38, v39
	v_cndmask_b32_e32 v38, 0, v38, vcc
	v_mov_b32_e32 v39, 0x7f800000
	v_cmp_nlt_f32_e32 vcc, s53, v37
	s_mov_b32 s53, 0x3f2aaaab
	s_mov_b32 s56, 0x7f800000
	v_cndmask_b32_e32 v162, v39, v38, vcc
	v_add_f32_e32 v37, 1.0, v162
	v_add_f32_e32 v38, -1.0, v37
	v_sub_f32_e32 v39, v38, v37
	v_add_f32_e32 v39, 1.0, v39
	v_sub_f32_e32 v38, v162, v38
	v_add_f32_e32 v48, v38, v39
	v_frexp_mant_f32_e32 v49, v37
	v_cvt_f64_f32_e32 v[38:39], v37
	v_frexp_exp_i32_f64_e32 v38, v[38:39]
	v_cmp_gt_f32_e32 vcc, s53, v49
	s_mov_b32 s53, 0x3f317218
	s_nop 0
	v_subbrev_co_u32_e32 v144, vcc, 0, v38, vcc
	v_sub_u32_e32 v38, 0, v144
	v_ldexp_f32 v37, v37, v38
	v_ldexp_f32 v38, v48, v38
	v_add_f32_e32 v48, -1.0, v37
	v_add_f32_e32 v39, 1.0, v48
	v_sub_f32_e32 v39, v37, v39
	v_add_f32_e32 v49, v38, v39
	v_add_f32_e32 v39, 1.0, v37
	v_add_f32_e32 v50, -1.0, v39
	v_sub_f32_e32 v37, v37, v50
	v_add_f32_e32 v37, v38, v37
	v_add_f32_e32 v145, v39, v37
	v_rcp_f32_e32 v148, v145
	v_sub_f32_e32 v38, v39, v145
	v_add_f32_e32 v39, v48, v49
	v_add_f32_e32 v37, v37, v38
	v_mul_f32_e32 v150, v39, v148
	v_sub_f32_e32 v38, v48, v39
	v_mul_f32_e32 v48, v145, v150
	v_fma_f32 v50, v150, v145, -v48
	v_fmac_f32_e32 v50, v150, v37
	v_add_f32_e32 v149, v49, v38
	v_add_f32_e32 v38, v48, v50
	v_sub_f32_e32 v49, v39, v38
	v_pk_add_f32 v[132:133], v[38:39], v[48:49] neg_lo:[0,1] neg_hi:[0,1]
	v_mov_b32_e32 v51, v38
	v_pk_add_f32 v[38:39], v[132:133], v[50:51] neg_lo:[0,1] neg_hi:[0,1]
	v_cmp_eq_f32_e32 vcc, s56, v162
	v_add_f32_e32 v39, v149, v39
	v_add_f32_e32 v38, v38, v39
	v_add_f32_e32 v39, v49, v38
	v_mul_f32_e32 v149, v148, v39
	v_mul_f32_e32 v48, v145, v149
	v_fma_f32 v50, v149, v145, -v48
	v_fmac_f32_e32 v50, v149, v37
	v_sub_f32_e32 v37, v49, v39
	v_add_f32_e32 v37, v38, v37
	v_add_f32_e32 v38, v48, v50
	v_sub_f32_e32 v49, v39, v38
	v_pk_add_f32 v[132:133], v[38:39], v[48:49] neg_lo:[0,1] neg_hi:[0,1]
	v_mov_b32_e32 v51, v38
	v_pk_add_f32 v[38:39], v[132:133], v[50:51] neg_lo:[0,1] neg_hi:[0,1]
	v_cvt_f32_i32_e32 v48, v144
	v_add_f32_e32 v37, v37, v39
	v_add_f32_e32 v37, v38, v37
	v_add_f32_e32 v38, v150, v149
	v_add_f32_e32 v37, v49, v37
	v_sub_f32_e32 v39, v38, v150
	v_mul_f32_e32 v37, v148, v37
	v_sub_f32_e32 v39, v149, v39
	v_add_f32_e32 v37, v39, v37
	v_add_f32_e32 v49, v38, v37
	v_mul_f32_e32 v50, v49, v49
	v_mov_b32_e32 v39, 0x3ecc95a3
	v_fmac_f32_e32 v39, 0x3e9b6dac, v50
	v_sub_f32_e32 v38, v49, v38
	v_fmaak_f32 v39, v50, v39, 0x3f2aaada
	v_sub_f32_e32 v37, v37, v38
	v_ldexp_f32 v51, v49, 1
	v_mul_f32_e32 v49, v49, v50
	v_mov_b32_e32 v38, 0x3f317218
	v_pk_mul_f32 v[38:39], v[48:49], v[38:39]
	v_ldexp_f32 v37, v37, 1
	v_fma_f32 v49, v48, s53, -v38
	v_fmamk_f32 v50, v48, 0xb102e308, v49
	v_pk_add_f32 v[48:49], v[38:39], v[50:51]
	v_mov_b32_e32 v132, v38
	v_sub_f32_e32 v51, v49, v51
	v_sub_f32_e32 v51, v39, v51
	v_add_f32_e32 v133, v37, v51
	v_pk_add_f32 v[38:39], v[48:49], v[38:39] neg_lo:[0,1] neg_hi:[0,1]
	v_pk_add_f32 v[144:145], v[48:49], v[132:133]
	v_mov_b32_e32 v51, v48
	v_mov_b32_e32 v39, v145
	v_pk_add_f32 v[148:149], v[50:51], v[38:39] neg_lo:[0,1] neg_hi:[0,1]
	v_pk_add_f32 v[38:39], v[50:51], v[38:39]
	v_mov_b32_e32 v132, v133
	v_mov_b32_e32 v50, v39
	v_pk_add_f32 v[150:151], v[50:51], v[48:49] neg_lo:[0,1] neg_hi:[0,1]
	v_mov_b32_e32 v38, v145
	v_mov_b32_e32 v37, v150
	v_pk_add_f32 v[160:161], v[144:145], v[36:37] neg_lo:[0,1] neg_hi:[0,1]
	v_mov_b32_e32 v144, v49
	v_mov_b32_e32 v145, v150
	;; [unrolled: 1-line block ×3, first 2 shown]
	v_pk_add_f32 v[38:39], v[38:39], v[144:145] neg_lo:[0,1] neg_hi:[0,1]
	v_mov_b32_e32 v133, v48
	v_pk_add_f32 v[38:39], v[132:133], v[38:39] neg_lo:[0,1] neg_hi:[0,1]
	v_mov_b32_e32 v160, v148
	v_pk_add_f32 v[48:49], v[160:161], v[38:39]
	s_mov_b32 s53, 0x33800000
	v_mov_b32_e32 v132, v49
	v_pk_add_f32 v[132:133], v[48:49], v[132:133]
	v_cmp_lt_f32_e64 s[56:57], |v162|, s53
	v_pk_add_f32 v[50:51], v[50:51], v[132:133]
	v_mov_b32_e32 v39, v132
	v_mov_b32_e32 v49, v50
	v_pk_add_f32 v[144:145], v[48:49], v[148:149] neg_lo:[0,1] neg_hi:[0,1]
	s_or_b64 vcc, vcc, s[56:57]
	v_sub_f32_e32 v37, v48, v144
	v_pk_add_f32 v[38:39], v[38:39], v[144:145] neg_lo:[0,1] neg_hi:[0,1]
	v_sub_f32_e32 v37, v148, v37
	v_add_f32_e32 v37, v38, v37
	v_add_f32_e32 v37, v37, v39
	;; [unrolled: 1-line block ×3, first 2 shown]
	v_cndmask_b32_e32 v37, v37, v162, vcc
	v_add_f32_e32 v37, v31, v37
.LBB479_97:
	s_or_b64 exec, exec, s[50:51]
	v_bfe_u32 v31, v37, 16, 1
	s_movk_i32 s56, 0x7fff
	v_add3_u32 v31, v37, v31, s56
	v_and_b32_e32 v38, 0xffff0000, v31
	v_mov_b32_e32 v31, 0x7fc00000
	v_cmp_o_f32_e32 vcc, v37, v37
	v_lshlrev_b32_sdwa v132, v30, v19 dst_sel:DWORD dst_unused:UNUSED_PAD src0_sel:DWORD src1_sel:WORD_0
	v_max_f32_e32 v144, v132, v132
	v_cndmask_b32_e32 v37, v31, v38, vcc
	v_max_f32_e32 v30, v37, v37
	v_min_f32_e32 v38, v30, v144
	v_cmp_u_f32_e32 vcc, v37, v37
	v_max_f32_e32 v30, v30, v144
	v_cmp_u_f32_e64 s[50:51], v132, v132
	v_cndmask_b32_e32 v38, v38, v37, vcc
	v_cndmask_b32_e32 v30, v30, v37, vcc
	v_cndmask_b32_e64 v38, v38, v132, s[50:51]
	v_cndmask_b32_e64 v30, v30, v132, s[50:51]
	v_cmp_neq_f32_e32 vcc, v38, v30
	v_cmp_class_f32_e64 s[52:53], v38, s52
	s_or_b64 vcc, vcc, s[52:53]
	s_and_saveexec_b64 s[52:53], vcc
	s_cbranch_execz .LBB479_99
; %bb.98:
	v_sub_f32_e32 v37, v38, v30
	s_mov_b32 s57, 0x3fb8aa3b
	v_mul_f32_e32 v38, 0x3fb8aa3b, v37
	v_fma_f32 v39, v37, s57, -v38
	v_rndne_f32_e32 v48, v38
	v_fmamk_f32 v39, v37, 0x32a5705f, v39
	v_sub_f32_e32 v38, v38, v48
	v_add_f32_e32 v38, v38, v39
	v_exp_f32_e32 v38, v38
	v_cvt_i32_f32_e32 v39, v48
	s_mov_b32 s57, 0xc2ce8ed0
	v_cmp_ngt_f32_e32 vcc, s57, v37
	s_mov_b32 s57, 0x42b17218
	v_ldexp_f32 v38, v38, v39
	v_cndmask_b32_e32 v38, 0, v38, vcc
	v_mov_b32_e32 v39, 0x7f800000
	v_cmp_nlt_f32_e32 vcc, s57, v37
	s_mov_b32 s57, 0x3f2aaaab
	s_mov_b32 s58, 0x7f800000
	v_cndmask_b32_e32 v133, v39, v38, vcc
	v_add_f32_e32 v37, 1.0, v133
	v_add_f32_e32 v38, -1.0, v37
	v_sub_f32_e32 v39, v38, v37
	v_add_f32_e32 v39, 1.0, v39
	v_sub_f32_e32 v38, v133, v38
	v_add_f32_e32 v48, v38, v39
	v_frexp_mant_f32_e32 v49, v37
	v_cvt_f64_f32_e32 v[38:39], v37
	v_frexp_exp_i32_f64_e32 v38, v[38:39]
	v_cmp_gt_f32_e32 vcc, s57, v49
	s_mov_b32 s57, 0x3f317218
	s_nop 0
	v_subbrev_co_u32_e32 v145, vcc, 0, v38, vcc
	v_sub_u32_e32 v38, 0, v145
	v_ldexp_f32 v37, v37, v38
	v_ldexp_f32 v38, v48, v38
	v_add_f32_e32 v48, -1.0, v37
	v_add_f32_e32 v39, 1.0, v48
	v_sub_f32_e32 v39, v37, v39
	v_add_f32_e32 v49, v38, v39
	v_add_f32_e32 v39, 1.0, v37
	v_add_f32_e32 v50, -1.0, v39
	v_sub_f32_e32 v37, v37, v50
	v_add_f32_e32 v37, v38, v37
	v_add_f32_e32 v150, v39, v37
	v_rcp_f32_e32 v151, v150
	v_sub_f32_e32 v38, v39, v150
	v_add_f32_e32 v39, v48, v49
	v_add_f32_e32 v37, v37, v38
	v_mul_f32_e32 v161, v39, v151
	v_sub_f32_e32 v38, v48, v39
	v_mul_f32_e32 v48, v150, v161
	v_fma_f32 v50, v161, v150, -v48
	v_fmac_f32_e32 v50, v161, v37
	v_add_f32_e32 v160, v49, v38
	v_add_f32_e32 v38, v48, v50
	v_sub_f32_e32 v49, v39, v38
	v_pk_add_f32 v[148:149], v[38:39], v[48:49] neg_lo:[0,1] neg_hi:[0,1]
	v_mov_b32_e32 v51, v38
	v_pk_add_f32 v[38:39], v[148:149], v[50:51] neg_lo:[0,1] neg_hi:[0,1]
	v_cmp_eq_f32_e32 vcc, s58, v133
	v_add_f32_e32 v39, v160, v39
	v_add_f32_e32 v38, v38, v39
	;; [unrolled: 1-line block ×3, first 2 shown]
	v_mul_f32_e32 v160, v151, v39
	v_mul_f32_e32 v48, v150, v160
	v_fma_f32 v50, v160, v150, -v48
	v_fmac_f32_e32 v50, v160, v37
	v_sub_f32_e32 v37, v49, v39
	v_add_f32_e32 v37, v38, v37
	v_add_f32_e32 v38, v48, v50
	v_sub_f32_e32 v49, v39, v38
	v_pk_add_f32 v[148:149], v[38:39], v[48:49] neg_lo:[0,1] neg_hi:[0,1]
	v_mov_b32_e32 v51, v38
	v_pk_add_f32 v[38:39], v[148:149], v[50:51] neg_lo:[0,1] neg_hi:[0,1]
	v_cvt_f32_i32_e32 v48, v145
	v_add_f32_e32 v37, v37, v39
	v_add_f32_e32 v37, v38, v37
	;; [unrolled: 1-line block ×4, first 2 shown]
	v_sub_f32_e32 v39, v38, v161
	v_mul_f32_e32 v37, v151, v37
	v_sub_f32_e32 v39, v160, v39
	v_add_f32_e32 v37, v39, v37
	v_add_f32_e32 v49, v38, v37
	v_mul_f32_e32 v50, v49, v49
	v_mov_b32_e32 v39, 0x3ecc95a3
	v_fmac_f32_e32 v39, 0x3e9b6dac, v50
	v_sub_f32_e32 v38, v49, v38
	v_fmaak_f32 v39, v50, v39, 0x3f2aaada
	v_sub_f32_e32 v37, v37, v38
	v_ldexp_f32 v51, v49, 1
	v_mul_f32_e32 v49, v49, v50
	v_mov_b32_e32 v38, 0x3f317218
	v_pk_mul_f32 v[38:39], v[48:49], v[38:39]
	v_ldexp_f32 v37, v37, 1
	v_fma_f32 v49, v48, s57, -v38
	v_fmamk_f32 v50, v48, 0xb102e308, v49
	v_pk_add_f32 v[48:49], v[38:39], v[50:51]
	v_mov_b32_e32 v148, v38
	v_sub_f32_e32 v51, v49, v51
	v_sub_f32_e32 v51, v39, v51
	v_add_f32_e32 v149, v37, v51
	v_pk_add_f32 v[38:39], v[48:49], v[38:39] neg_lo:[0,1] neg_hi:[0,1]
	v_pk_add_f32 v[150:151], v[48:49], v[148:149]
	v_mov_b32_e32 v51, v48
	v_mov_b32_e32 v39, v151
	v_pk_add_f32 v[160:161], v[50:51], v[38:39] neg_lo:[0,1] neg_hi:[0,1]
	v_pk_add_f32 v[38:39], v[50:51], v[38:39]
	v_mov_b32_e32 v148, v149
	v_mov_b32_e32 v50, v39
	v_pk_add_f32 v[162:163], v[50:51], v[48:49] neg_lo:[0,1] neg_hi:[0,1]
	v_mov_b32_e32 v38, v151
	v_mov_b32_e32 v37, v162
	v_pk_add_f32 v[164:165], v[150:151], v[36:37] neg_lo:[0,1] neg_hi:[0,1]
	v_mov_b32_e32 v150, v49
	v_mov_b32_e32 v151, v162
	;; [unrolled: 1-line block ×3, first 2 shown]
	v_pk_add_f32 v[38:39], v[38:39], v[150:151] neg_lo:[0,1] neg_hi:[0,1]
	v_mov_b32_e32 v149, v48
	v_pk_add_f32 v[38:39], v[148:149], v[38:39] neg_lo:[0,1] neg_hi:[0,1]
	v_mov_b32_e32 v164, v160
	v_pk_add_f32 v[48:49], v[164:165], v[38:39]
	s_mov_b32 s57, 0x33800000
	v_mov_b32_e32 v148, v49
	v_pk_add_f32 v[148:149], v[48:49], v[148:149]
	v_cmp_lt_f32_e64 s[58:59], |v133|, s57
	v_pk_add_f32 v[50:51], v[50:51], v[148:149]
	v_mov_b32_e32 v39, v148
	v_mov_b32_e32 v49, v50
	v_pk_add_f32 v[150:151], v[48:49], v[160:161] neg_lo:[0,1] neg_hi:[0,1]
	s_or_b64 vcc, vcc, s[58:59]
	v_sub_f32_e32 v37, v48, v150
	v_pk_add_f32 v[38:39], v[38:39], v[150:151] neg_lo:[0,1] neg_hi:[0,1]
	v_sub_f32_e32 v37, v160, v37
	v_add_f32_e32 v37, v38, v37
	v_add_f32_e32 v37, v37, v39
	;; [unrolled: 1-line block ×3, first 2 shown]
	v_cndmask_b32_e32 v37, v37, v133, vcc
	v_add_f32_e32 v37, v30, v37
.LBB479_99:
	s_or_b64 exec, exec, s[52:53]
	v_bfe_u32 v30, v37, 16, 1
	v_add3_u32 v30, v37, v30, s56
	v_and_b32_e32 v30, 0xffff0000, v30
	v_cmp_o_f32_e32 vcc, v37, v37
	s_movk_i32 s56, 0x1f8
	s_nop 0
	v_cndmask_b32_e32 v31, v31, v30, vcc
	v_mov_b32_e32 v30, 16
	v_lshlrev_b32_sdwa v133, v30, v19 dst_sel:DWORD dst_unused:UNUSED_PAD src0_sel:DWORD src1_sel:WORD_1
	v_max_f32_e32 v30, v31, v31
	v_max_f32_e32 v145, v133, v133
	v_min_f32_e32 v37, v30, v145
	v_cmp_u_f32_e32 vcc, v31, v31
	v_max_f32_e32 v30, v30, v145
	v_cmp_u_f32_e64 s[52:53], v133, v133
	v_cndmask_b32_e32 v37, v37, v31, vcc
	v_cndmask_b32_e32 v30, v30, v31, vcc
	v_cndmask_b32_e64 v37, v37, v133, s[52:53]
	v_cndmask_b32_e64 v30, v30, v133, s[52:53]
	v_cmp_neq_f32_e32 vcc, v37, v30
	v_cmp_class_f32_e64 s[56:57], v37, s56
	s_or_b64 vcc, vcc, s[56:57]
	s_and_saveexec_b64 s[56:57], vcc
	s_cbranch_execz .LBB479_101
; %bb.100:
	v_sub_f32_e32 v31, v37, v30
	s_mov_b32 s58, 0x3fb8aa3b
	v_mul_f32_e32 v37, 0x3fb8aa3b, v31
	v_fma_f32 v38, v31, s58, -v37
	v_rndne_f32_e32 v39, v37
	v_fmamk_f32 v38, v31, 0x32a5705f, v38
	v_sub_f32_e32 v37, v37, v39
	v_add_f32_e32 v37, v37, v38
	v_exp_f32_e32 v37, v37
	v_cvt_i32_f32_e32 v38, v39
	s_mov_b32 s58, 0xc2ce8ed0
	v_cmp_ngt_f32_e32 vcc, s58, v31
	s_mov_b32 s58, 0x42b17218
	v_ldexp_f32 v37, v37, v38
	v_cndmask_b32_e32 v37, 0, v37, vcc
	v_mov_b32_e32 v38, 0x7f800000
	v_cmp_nlt_f32_e32 vcc, s58, v31
	s_mov_b32 s58, 0x3f2aaaab
	s_mov_b32 s59, 0x7f800000
	v_cndmask_b32_e32 v37, v38, v37, vcc
	v_add_f32_e32 v31, 1.0, v37
	v_add_f32_e32 v38, -1.0, v31
	v_sub_f32_e32 v39, v38, v31
	v_add_f32_e32 v39, 1.0, v39
	v_sub_f32_e32 v38, v37, v38
	v_add_f32_e32 v48, v38, v39
	v_frexp_mant_f32_e32 v49, v31
	v_cvt_f64_f32_e32 v[38:39], v31
	v_frexp_exp_i32_f64_e32 v38, v[38:39]
	v_cmp_gt_f32_e32 vcc, s58, v49
	s_mov_b32 s58, 0x3f317218
	s_nop 0
	v_subbrev_co_u32_e32 v150, vcc, 0, v38, vcc
	v_sub_u32_e32 v38, 0, v150
	v_ldexp_f32 v31, v31, v38
	v_ldexp_f32 v38, v48, v38
	v_add_f32_e32 v48, -1.0, v31
	v_add_f32_e32 v39, 1.0, v48
	v_sub_f32_e32 v39, v31, v39
	v_add_f32_e32 v49, v38, v39
	v_add_f32_e32 v39, 1.0, v31
	v_add_f32_e32 v50, -1.0, v39
	v_sub_f32_e32 v31, v31, v50
	v_add_f32_e32 v31, v38, v31
	v_add_f32_e32 v151, v39, v31
	v_rcp_f32_e32 v160, v151
	v_sub_f32_e32 v38, v39, v151
	v_add_f32_e32 v39, v48, v49
	v_add_f32_e32 v31, v31, v38
	v_mul_f32_e32 v162, v39, v160
	v_sub_f32_e32 v38, v48, v39
	v_mul_f32_e32 v48, v151, v162
	v_fma_f32 v50, v162, v151, -v48
	v_fmac_f32_e32 v50, v162, v31
	v_add_f32_e32 v161, v49, v38
	v_add_f32_e32 v38, v48, v50
	v_sub_f32_e32 v49, v39, v38
	v_pk_add_f32 v[148:149], v[38:39], v[48:49] neg_lo:[0,1] neg_hi:[0,1]
	v_mov_b32_e32 v51, v38
	v_pk_add_f32 v[38:39], v[148:149], v[50:51] neg_lo:[0,1] neg_hi:[0,1]
	v_cmp_eq_f32_e32 vcc, s59, v37
	v_add_f32_e32 v39, v161, v39
	v_add_f32_e32 v38, v38, v39
	;; [unrolled: 1-line block ×3, first 2 shown]
	v_mul_f32_e32 v161, v160, v39
	v_mul_f32_e32 v48, v151, v161
	v_fma_f32 v50, v161, v151, -v48
	v_fmac_f32_e32 v50, v161, v31
	v_sub_f32_e32 v31, v49, v39
	v_add_f32_e32 v31, v38, v31
	v_add_f32_e32 v38, v48, v50
	v_sub_f32_e32 v49, v39, v38
	v_pk_add_f32 v[148:149], v[38:39], v[48:49] neg_lo:[0,1] neg_hi:[0,1]
	v_mov_b32_e32 v51, v38
	v_pk_add_f32 v[38:39], v[148:149], v[50:51] neg_lo:[0,1] neg_hi:[0,1]
	v_cvt_f32_i32_e32 v48, v150
	v_add_f32_e32 v31, v31, v39
	v_add_f32_e32 v31, v38, v31
	;; [unrolled: 1-line block ×4, first 2 shown]
	v_sub_f32_e32 v39, v38, v162
	v_mul_f32_e32 v31, v160, v31
	v_sub_f32_e32 v39, v161, v39
	v_add_f32_e32 v31, v39, v31
	v_add_f32_e32 v49, v38, v31
	v_mul_f32_e32 v50, v49, v49
	v_mov_b32_e32 v39, 0x3ecc95a3
	v_fmac_f32_e32 v39, 0x3e9b6dac, v50
	v_sub_f32_e32 v38, v49, v38
	v_fmaak_f32 v39, v50, v39, 0x3f2aaada
	v_sub_f32_e32 v31, v31, v38
	v_ldexp_f32 v51, v49, 1
	v_mul_f32_e32 v49, v49, v50
	v_mov_b32_e32 v38, 0x3f317218
	v_pk_mul_f32 v[38:39], v[48:49], v[38:39]
	v_ldexp_f32 v31, v31, 1
	v_fma_f32 v49, v48, s58, -v38
	v_fmamk_f32 v50, v48, 0xb102e308, v49
	v_pk_add_f32 v[48:49], v[38:39], v[50:51]
	v_mov_b32_e32 v148, v38
	v_sub_f32_e32 v51, v49, v51
	v_sub_f32_e32 v51, v39, v51
	v_add_f32_e32 v149, v31, v51
	v_pk_add_f32 v[38:39], v[48:49], v[38:39] neg_lo:[0,1] neg_hi:[0,1]
	v_pk_add_f32 v[150:151], v[48:49], v[148:149]
	v_mov_b32_e32 v51, v48
	v_mov_b32_e32 v39, v151
	v_pk_add_f32 v[160:161], v[50:51], v[38:39] neg_lo:[0,1] neg_hi:[0,1]
	v_pk_add_f32 v[38:39], v[50:51], v[38:39]
	v_mov_b32_e32 v148, v149
	v_mov_b32_e32 v50, v39
	v_pk_add_f32 v[162:163], v[50:51], v[48:49] neg_lo:[0,1] neg_hi:[0,1]
	v_mov_b32_e32 v38, v151
	v_mov_b32_e32 v31, v162
	v_pk_add_f32 v[164:165], v[150:151], v[30:31] neg_lo:[0,1] neg_hi:[0,1]
	v_mov_b32_e32 v150, v49
	v_mov_b32_e32 v151, v162
	;; [unrolled: 1-line block ×3, first 2 shown]
	v_pk_add_f32 v[38:39], v[38:39], v[150:151] neg_lo:[0,1] neg_hi:[0,1]
	v_mov_b32_e32 v149, v48
	v_pk_add_f32 v[38:39], v[148:149], v[38:39] neg_lo:[0,1] neg_hi:[0,1]
	v_mov_b32_e32 v164, v160
	v_pk_add_f32 v[48:49], v[164:165], v[38:39]
	s_mov_b32 s58, 0x33800000
	v_mov_b32_e32 v148, v49
	v_pk_add_f32 v[148:149], v[48:49], v[148:149]
	v_cmp_lt_f32_e64 s[58:59], |v37|, s58
	v_pk_add_f32 v[50:51], v[50:51], v[148:149]
	v_mov_b32_e32 v39, v148
	v_mov_b32_e32 v49, v50
	v_pk_add_f32 v[150:151], v[48:49], v[160:161] neg_lo:[0,1] neg_hi:[0,1]
	s_or_b64 vcc, vcc, s[58:59]
	v_sub_f32_e32 v31, v48, v150
	v_pk_add_f32 v[38:39], v[38:39], v[150:151] neg_lo:[0,1] neg_hi:[0,1]
	v_sub_f32_e32 v31, v160, v31
	v_add_f32_e32 v31, v38, v31
	v_add_f32_e32 v31, v31, v39
	;; [unrolled: 1-line block ×3, first 2 shown]
	v_cndmask_b32_e32 v31, v31, v37, vcc
	v_add_f32_e32 v31, v30, v31
.LBB479_101:
	s_or_b64 exec, exec, s[56:57]
	v_bfe_u32 v30, v31, 16, 1
	s_movk_i32 vcc_lo, 0x7fff
	v_add3_u32 v30, v31, v30, vcc_lo
	v_lshrrev_b32_e32 v30, 16, v30
	v_mov_b32_e32 v37, 0x7fc0
	v_cmp_o_f32_e32 vcc, v31, v31
	s_nop 1
	v_cndmask_b32_e32 v31, v37, v30, vcc
	v_mbcnt_lo_u32_b32 v30, -1, 0
	v_mbcnt_hi_u32_b32 v37, -1, v30
	v_and_b32_e32 v30, 15, v37
	v_and_b32_e32 v38, 0xffff, v31
	v_cmp_ne_u32_e32 vcc, 0, v30
	s_nop 0
	v_mov_b32_dpp v39, v38 row_shr:1 row_mask:0xf bank_mask:0xf
	s_and_saveexec_b64 s[58:59], vcc
	s_cbranch_execz .LBB479_105
; %bb.102:
	v_lshlrev_b32_e32 v39, 16, v39
	v_lshlrev_b32_e32 v31, 16, v38
	v_max_f32_e32 v48, v31, v31
	v_max_f32_e32 v49, v39, v39
	v_min_f32_e32 v38, v49, v48
	v_cmp_u_f32_e32 vcc, v39, v39
	v_max_f32_e32 v48, v49, v48
	v_cmp_u_f32_e64 s[56:57], v31, v31
	v_cndmask_b32_e32 v38, v38, v39, vcc
	v_cndmask_b32_e32 v48, v48, v39, vcc
	v_cndmask_b32_e64 v38, v38, v31, s[56:57]
	v_cndmask_b32_e64 v31, v48, v31, s[56:57]
	s_movk_i32 s56, 0x1f8
	v_cmp_neq_f32_e32 vcc, v38, v31
	v_cmp_class_f32_e64 s[56:57], v38, s56
	s_or_b64 vcc, vcc, s[56:57]
	s_and_saveexec_b64 s[56:57], vcc
	s_cbranch_execz .LBB479_104
; %bb.103:
	v_sub_f32_e32 v38, v38, v31
	s_mov_b32 s60, 0x3fb8aa3b
	v_mul_f32_e32 v39, 0x3fb8aa3b, v38
	v_fma_f32 v48, v38, s60, -v39
	v_rndne_f32_e32 v49, v39
	v_fmamk_f32 v48, v38, 0x32a5705f, v48
	v_sub_f32_e32 v39, v39, v49
	v_add_f32_e32 v39, v39, v48
	v_exp_f32_e32 v39, v39
	v_cvt_i32_f32_e32 v48, v49
	s_mov_b32 s60, 0xc2ce8ed0
	v_cmp_ngt_f32_e32 vcc, s60, v38
	s_mov_b32 s60, 0x42b17218
	v_ldexp_f32 v39, v39, v48
	v_cndmask_b32_e32 v39, 0, v39, vcc
	v_mov_b32_e32 v48, 0x7f800000
	v_cmp_nlt_f32_e32 vcc, s60, v38
	s_mov_b32 s60, 0x3f2aaaab
	s_mov_b32 s61, 0x7f800000
	v_cndmask_b32_e32 v166, v48, v39, vcc
	v_add_f32_e32 v48, 1.0, v166
	v_add_f32_e32 v38, -1.0, v48
	v_sub_f32_e32 v39, v38, v48
	v_add_f32_e32 v39, 1.0, v39
	v_sub_f32_e32 v38, v166, v38
	v_add_f32_e32 v49, v38, v39
	v_frexp_mant_f32_e32 v50, v48
	v_cvt_f64_f32_e32 v[38:39], v48
	v_frexp_exp_i32_f64_e32 v38, v[38:39]
	v_cmp_gt_f32_e32 vcc, s60, v50
	s_mov_b32 s60, 0x3f317218
	s_nop 0
	v_subbrev_co_u32_e32 v150, vcc, 0, v38, vcc
	v_sub_u32_e32 v38, 0, v150
	v_ldexp_f32 v39, v48, v38
	v_add_f32_e32 v48, -1.0, v39
	v_add_f32_e32 v50, 1.0, v39
	v_ldexp_f32 v38, v49, v38
	v_add_f32_e32 v49, 1.0, v48
	v_add_f32_e32 v51, -1.0, v50
	v_sub_f32_e32 v49, v39, v49
	v_sub_f32_e32 v39, v39, v51
	v_add_f32_e32 v49, v38, v49
	v_add_f32_e32 v38, v38, v39
	;; [unrolled: 1-line block ×3, first 2 shown]
	v_rcp_f32_e32 v161, v151
	v_sub_f32_e32 v39, v50, v151
	v_add_f32_e32 v160, v38, v39
	v_add_f32_e32 v39, v48, v49
	v_mul_f32_e32 v163, v39, v161
	v_sub_f32_e32 v38, v48, v39
	v_mul_f32_e32 v48, v151, v163
	v_fma_f32 v50, v163, v151, -v48
	v_fmac_f32_e32 v50, v163, v160
	v_add_f32_e32 v162, v49, v38
	v_add_f32_e32 v38, v48, v50
	v_sub_f32_e32 v49, v39, v38
	v_pk_add_f32 v[148:149], v[38:39], v[48:49] neg_lo:[0,1] neg_hi:[0,1]
	v_mov_b32_e32 v51, v38
	v_pk_add_f32 v[38:39], v[148:149], v[50:51] neg_lo:[0,1] neg_hi:[0,1]
	v_cmp_eq_f32_e32 vcc, s61, v166
	v_add_f32_e32 v39, v162, v39
	v_add_f32_e32 v38, v38, v39
	;; [unrolled: 1-line block ×3, first 2 shown]
	v_mul_f32_e32 v162, v161, v39
	v_mul_f32_e32 v48, v151, v162
	v_fma_f32 v50, v162, v151, -v48
	v_fmac_f32_e32 v50, v162, v160
	v_sub_f32_e32 v49, v49, v39
	v_add_f32_e32 v151, v38, v49
	v_add_f32_e32 v38, v48, v50
	v_sub_f32_e32 v49, v39, v38
	v_pk_add_f32 v[148:149], v[38:39], v[48:49] neg_lo:[0,1] neg_hi:[0,1]
	v_mov_b32_e32 v51, v38
	v_pk_add_f32 v[38:39], v[148:149], v[50:51] neg_lo:[0,1] neg_hi:[0,1]
	v_cvt_f32_i32_e32 v48, v150
	v_add_f32_e32 v39, v151, v39
	v_add_f32_e32 v38, v38, v39
	;; [unrolled: 1-line block ×4, first 2 shown]
	v_sub_f32_e32 v39, v49, v163
	v_mul_f32_e32 v38, v161, v38
	v_sub_f32_e32 v39, v162, v39
	v_add_f32_e32 v38, v39, v38
	v_add_f32_e32 v50, v49, v38
	v_mul_f32_e32 v148, v50, v50
	v_mov_b32_e32 v39, 0x3ecc95a3
	v_sub_f32_e32 v49, v50, v49
	v_fmac_f32_e32 v39, 0x3e9b6dac, v148
	v_sub_f32_e32 v38, v38, v49
	v_fmaak_f32 v39, v148, v39, 0x3f2aaada
	v_ldexp_f32 v149, v38, 1
	v_mul_f32_e32 v49, v50, v148
	v_mov_b32_e32 v38, 0x3f317218
	v_pk_mul_f32 v[38:39], v[48:49], v[38:39]
	v_ldexp_f32 v51, v50, 1
	v_fma_f32 v49, v48, s60, -v38
	v_fmamk_f32 v50, v48, 0xb102e308, v49
	v_pk_add_f32 v[48:49], v[38:39], v[50:51]
	v_mov_b32_e32 v148, v38
	v_sub_f32_e32 v51, v49, v51
	v_sub_f32_e32 v51, v39, v51
	v_add_f32_e32 v149, v149, v51
	v_pk_add_f32 v[38:39], v[48:49], v[38:39] neg_lo:[0,1] neg_hi:[0,1]
	v_pk_add_f32 v[150:151], v[48:49], v[148:149]
	v_mov_b32_e32 v51, v48
	v_mov_b32_e32 v39, v151
	v_pk_add_f32 v[160:161], v[50:51], v[38:39] neg_lo:[0,1] neg_hi:[0,1]
	v_pk_add_f32 v[38:39], v[50:51], v[38:39]
	v_mov_b32_e32 v148, v149
	v_mov_b32_e32 v50, v39
	v_pk_add_f32 v[162:163], v[50:51], v[48:49] neg_lo:[0,1] neg_hi:[0,1]
	v_mov_b32_e32 v38, v151
	v_mov_b32_e32 v51, v162
	v_pk_add_f32 v[164:165], v[150:151], v[50:51] neg_lo:[0,1] neg_hi:[0,1]
	v_mov_b32_e32 v150, v49
	v_mov_b32_e32 v151, v162
	;; [unrolled: 1-line block ×3, first 2 shown]
	v_pk_add_f32 v[38:39], v[38:39], v[150:151] neg_lo:[0,1] neg_hi:[0,1]
	v_mov_b32_e32 v149, v48
	v_pk_add_f32 v[38:39], v[148:149], v[38:39] neg_lo:[0,1] neg_hi:[0,1]
	v_mov_b32_e32 v164, v160
	v_pk_add_f32 v[48:49], v[164:165], v[38:39]
	s_mov_b32 s60, 0x33800000
	v_mov_b32_e32 v148, v49
	v_pk_add_f32 v[148:149], v[48:49], v[148:149]
	v_cmp_lt_f32_e64 s[60:61], |v166|, s60
	v_pk_add_f32 v[50:51], v[50:51], v[148:149]
	v_mov_b32_e32 v39, v148
	v_mov_b32_e32 v49, v50
	v_pk_add_f32 v[150:151], v[48:49], v[160:161] neg_lo:[0,1] neg_hi:[0,1]
	s_or_b64 vcc, vcc, s[60:61]
	v_sub_f32_e32 v48, v48, v150
	v_pk_add_f32 v[38:39], v[38:39], v[150:151] neg_lo:[0,1] neg_hi:[0,1]
	v_sub_f32_e32 v48, v160, v48
	v_add_f32_e32 v38, v38, v48
	v_add_f32_e32 v38, v38, v39
	;; [unrolled: 1-line block ×3, first 2 shown]
	v_cndmask_b32_e32 v38, v38, v166, vcc
	v_add_f32_e32 v39, v31, v38
.LBB479_104:
	s_or_b64 exec, exec, s[56:57]
	v_bfe_u32 v31, v39, 16, 1
	s_movk_i32 vcc_lo, 0x7fff
	v_add3_u32 v31, v39, v31, vcc_lo
	v_lshrrev_b32_e32 v31, 16, v31
	v_mov_b32_e32 v38, 0x7fc0
	v_cmp_o_f32_e32 vcc, v39, v39
	s_nop 1
	v_cndmask_b32_e32 v31, v38, v31, vcc
	v_and_b32_e32 v38, 0xffff, v31
.LBB479_105:
	s_or_b64 exec, exec, s[58:59]
	s_nop 0
	v_mov_b32_dpp v39, v38 row_shr:2 row_mask:0xf bank_mask:0xf
	v_cmp_lt_u32_e32 vcc, 1, v30
	s_and_saveexec_b64 s[58:59], vcc
	s_cbranch_execz .LBB479_109
; %bb.106:
	v_lshlrev_b32_e32 v39, 16, v39
	v_lshlrev_b32_e32 v31, 16, v38
	v_max_f32_e32 v48, v31, v31
	v_max_f32_e32 v49, v39, v39
	v_min_f32_e32 v38, v49, v48
	v_cmp_u_f32_e32 vcc, v39, v39
	v_max_f32_e32 v48, v49, v48
	v_cmp_u_f32_e64 s[56:57], v31, v31
	v_cndmask_b32_e32 v38, v38, v39, vcc
	v_cndmask_b32_e32 v48, v48, v39, vcc
	v_cndmask_b32_e64 v38, v38, v31, s[56:57]
	v_cndmask_b32_e64 v31, v48, v31, s[56:57]
	s_movk_i32 s56, 0x1f8
	v_cmp_neq_f32_e32 vcc, v38, v31
	v_cmp_class_f32_e64 s[56:57], v38, s56
	s_or_b64 vcc, vcc, s[56:57]
	s_and_saveexec_b64 s[56:57], vcc
	s_cbranch_execz .LBB479_108
; %bb.107:
	v_sub_f32_e32 v38, v38, v31
	s_mov_b32 s60, 0x3fb8aa3b
	v_mul_f32_e32 v39, 0x3fb8aa3b, v38
	v_fma_f32 v48, v38, s60, -v39
	v_rndne_f32_e32 v49, v39
	v_fmamk_f32 v48, v38, 0x32a5705f, v48
	v_sub_f32_e32 v39, v39, v49
	v_add_f32_e32 v39, v39, v48
	v_exp_f32_e32 v39, v39
	v_cvt_i32_f32_e32 v48, v49
	s_mov_b32 s60, 0xc2ce8ed0
	v_cmp_ngt_f32_e32 vcc, s60, v38
	s_mov_b32 s60, 0x42b17218
	v_ldexp_f32 v39, v39, v48
	v_cndmask_b32_e32 v39, 0, v39, vcc
	v_mov_b32_e32 v48, 0x7f800000
	v_cmp_nlt_f32_e32 vcc, s60, v38
	s_mov_b32 s60, 0x3f2aaaab
	s_mov_b32 s61, 0x7f800000
	v_cndmask_b32_e32 v166, v48, v39, vcc
	v_add_f32_e32 v48, 1.0, v166
	v_add_f32_e32 v38, -1.0, v48
	v_sub_f32_e32 v39, v38, v48
	v_add_f32_e32 v39, 1.0, v39
	v_sub_f32_e32 v38, v166, v38
	v_add_f32_e32 v49, v38, v39
	v_frexp_mant_f32_e32 v50, v48
	v_cvt_f64_f32_e32 v[38:39], v48
	v_frexp_exp_i32_f64_e32 v38, v[38:39]
	v_cmp_gt_f32_e32 vcc, s60, v50
	s_mov_b32 s60, 0x3f317218
	s_nop 0
	v_subbrev_co_u32_e32 v150, vcc, 0, v38, vcc
	v_sub_u32_e32 v38, 0, v150
	v_ldexp_f32 v39, v48, v38
	v_add_f32_e32 v48, -1.0, v39
	v_add_f32_e32 v50, 1.0, v39
	v_ldexp_f32 v38, v49, v38
	v_add_f32_e32 v49, 1.0, v48
	v_add_f32_e32 v51, -1.0, v50
	v_sub_f32_e32 v49, v39, v49
	v_sub_f32_e32 v39, v39, v51
	v_add_f32_e32 v49, v38, v49
	v_add_f32_e32 v38, v38, v39
	;; [unrolled: 1-line block ×3, first 2 shown]
	v_rcp_f32_e32 v161, v151
	v_sub_f32_e32 v39, v50, v151
	v_add_f32_e32 v160, v38, v39
	v_add_f32_e32 v39, v48, v49
	v_mul_f32_e32 v163, v39, v161
	v_sub_f32_e32 v38, v48, v39
	v_mul_f32_e32 v48, v151, v163
	v_fma_f32 v50, v163, v151, -v48
	v_fmac_f32_e32 v50, v163, v160
	v_add_f32_e32 v162, v49, v38
	v_add_f32_e32 v38, v48, v50
	v_sub_f32_e32 v49, v39, v38
	v_pk_add_f32 v[148:149], v[38:39], v[48:49] neg_lo:[0,1] neg_hi:[0,1]
	v_mov_b32_e32 v51, v38
	v_pk_add_f32 v[38:39], v[148:149], v[50:51] neg_lo:[0,1] neg_hi:[0,1]
	v_cmp_eq_f32_e32 vcc, s61, v166
	v_add_f32_e32 v39, v162, v39
	v_add_f32_e32 v38, v38, v39
	;; [unrolled: 1-line block ×3, first 2 shown]
	v_mul_f32_e32 v162, v161, v39
	v_mul_f32_e32 v48, v151, v162
	v_fma_f32 v50, v162, v151, -v48
	v_fmac_f32_e32 v50, v162, v160
	v_sub_f32_e32 v49, v49, v39
	v_add_f32_e32 v151, v38, v49
	v_add_f32_e32 v38, v48, v50
	v_sub_f32_e32 v49, v39, v38
	v_pk_add_f32 v[148:149], v[38:39], v[48:49] neg_lo:[0,1] neg_hi:[0,1]
	v_mov_b32_e32 v51, v38
	v_pk_add_f32 v[38:39], v[148:149], v[50:51] neg_lo:[0,1] neg_hi:[0,1]
	v_cvt_f32_i32_e32 v48, v150
	v_add_f32_e32 v39, v151, v39
	v_add_f32_e32 v38, v38, v39
	;; [unrolled: 1-line block ×4, first 2 shown]
	v_sub_f32_e32 v39, v49, v163
	v_mul_f32_e32 v38, v161, v38
	v_sub_f32_e32 v39, v162, v39
	v_add_f32_e32 v38, v39, v38
	v_add_f32_e32 v50, v49, v38
	v_mul_f32_e32 v148, v50, v50
	v_mov_b32_e32 v39, 0x3ecc95a3
	v_sub_f32_e32 v49, v50, v49
	v_fmac_f32_e32 v39, 0x3e9b6dac, v148
	v_sub_f32_e32 v38, v38, v49
	v_fmaak_f32 v39, v148, v39, 0x3f2aaada
	v_ldexp_f32 v149, v38, 1
	v_mul_f32_e32 v49, v50, v148
	v_mov_b32_e32 v38, 0x3f317218
	v_pk_mul_f32 v[38:39], v[48:49], v[38:39]
	v_ldexp_f32 v51, v50, 1
	v_fma_f32 v49, v48, s60, -v38
	v_fmamk_f32 v50, v48, 0xb102e308, v49
	v_pk_add_f32 v[48:49], v[38:39], v[50:51]
	v_mov_b32_e32 v148, v38
	v_sub_f32_e32 v51, v49, v51
	v_sub_f32_e32 v51, v39, v51
	v_add_f32_e32 v149, v149, v51
	v_pk_add_f32 v[38:39], v[48:49], v[38:39] neg_lo:[0,1] neg_hi:[0,1]
	v_pk_add_f32 v[150:151], v[48:49], v[148:149]
	v_mov_b32_e32 v51, v48
	v_mov_b32_e32 v39, v151
	v_pk_add_f32 v[160:161], v[50:51], v[38:39] neg_lo:[0,1] neg_hi:[0,1]
	v_pk_add_f32 v[38:39], v[50:51], v[38:39]
	v_mov_b32_e32 v148, v149
	v_mov_b32_e32 v50, v39
	v_pk_add_f32 v[162:163], v[50:51], v[48:49] neg_lo:[0,1] neg_hi:[0,1]
	v_mov_b32_e32 v38, v151
	v_mov_b32_e32 v51, v162
	v_pk_add_f32 v[164:165], v[150:151], v[50:51] neg_lo:[0,1] neg_hi:[0,1]
	v_mov_b32_e32 v150, v49
	v_mov_b32_e32 v151, v162
	;; [unrolled: 1-line block ×3, first 2 shown]
	v_pk_add_f32 v[38:39], v[38:39], v[150:151] neg_lo:[0,1] neg_hi:[0,1]
	v_mov_b32_e32 v149, v48
	v_pk_add_f32 v[38:39], v[148:149], v[38:39] neg_lo:[0,1] neg_hi:[0,1]
	v_mov_b32_e32 v164, v160
	v_pk_add_f32 v[48:49], v[164:165], v[38:39]
	s_mov_b32 s60, 0x33800000
	v_mov_b32_e32 v148, v49
	v_pk_add_f32 v[148:149], v[48:49], v[148:149]
	v_cmp_lt_f32_e64 s[60:61], |v166|, s60
	v_pk_add_f32 v[50:51], v[50:51], v[148:149]
	v_mov_b32_e32 v39, v148
	v_mov_b32_e32 v49, v50
	v_pk_add_f32 v[150:151], v[48:49], v[160:161] neg_lo:[0,1] neg_hi:[0,1]
	s_or_b64 vcc, vcc, s[60:61]
	v_sub_f32_e32 v48, v48, v150
	v_pk_add_f32 v[38:39], v[38:39], v[150:151] neg_lo:[0,1] neg_hi:[0,1]
	v_sub_f32_e32 v48, v160, v48
	v_add_f32_e32 v38, v38, v48
	v_add_f32_e32 v38, v38, v39
	;; [unrolled: 1-line block ×3, first 2 shown]
	v_cndmask_b32_e32 v38, v38, v166, vcc
	v_add_f32_e32 v39, v31, v38
.LBB479_108:
	s_or_b64 exec, exec, s[56:57]
	v_bfe_u32 v31, v39, 16, 1
	s_movk_i32 vcc_lo, 0x7fff
	v_add3_u32 v31, v39, v31, vcc_lo
	v_lshrrev_b32_e32 v31, 16, v31
	v_mov_b32_e32 v38, 0x7fc0
	v_cmp_o_f32_e32 vcc, v39, v39
	s_nop 1
	v_cndmask_b32_e32 v31, v38, v31, vcc
	v_and_b32_e32 v38, 0xffff, v31
.LBB479_109:
	s_or_b64 exec, exec, s[58:59]
	s_nop 0
	v_mov_b32_dpp v39, v38 row_shr:4 row_mask:0xf bank_mask:0xf
	v_cmp_lt_u32_e32 vcc, 3, v30
	s_and_saveexec_b64 s[58:59], vcc
	s_cbranch_execz .LBB479_113
; %bb.110:
	v_lshlrev_b32_e32 v39, 16, v39
	v_lshlrev_b32_e32 v31, 16, v38
	v_max_f32_e32 v48, v31, v31
	v_max_f32_e32 v49, v39, v39
	v_min_f32_e32 v38, v49, v48
	v_cmp_u_f32_e32 vcc, v39, v39
	v_max_f32_e32 v48, v49, v48
	v_cmp_u_f32_e64 s[56:57], v31, v31
	v_cndmask_b32_e32 v38, v38, v39, vcc
	v_cndmask_b32_e32 v48, v48, v39, vcc
	v_cndmask_b32_e64 v38, v38, v31, s[56:57]
	v_cndmask_b32_e64 v31, v48, v31, s[56:57]
	s_movk_i32 s56, 0x1f8
	v_cmp_neq_f32_e32 vcc, v38, v31
	v_cmp_class_f32_e64 s[56:57], v38, s56
	s_or_b64 vcc, vcc, s[56:57]
	s_and_saveexec_b64 s[56:57], vcc
	s_cbranch_execz .LBB479_112
; %bb.111:
	v_sub_f32_e32 v38, v38, v31
	s_mov_b32 s60, 0x3fb8aa3b
	v_mul_f32_e32 v39, 0x3fb8aa3b, v38
	v_fma_f32 v48, v38, s60, -v39
	v_rndne_f32_e32 v49, v39
	v_fmamk_f32 v48, v38, 0x32a5705f, v48
	v_sub_f32_e32 v39, v39, v49
	v_add_f32_e32 v39, v39, v48
	v_exp_f32_e32 v39, v39
	v_cvt_i32_f32_e32 v48, v49
	s_mov_b32 s60, 0xc2ce8ed0
	v_cmp_ngt_f32_e32 vcc, s60, v38
	s_mov_b32 s60, 0x42b17218
	v_ldexp_f32 v39, v39, v48
	v_cndmask_b32_e32 v39, 0, v39, vcc
	v_mov_b32_e32 v48, 0x7f800000
	v_cmp_nlt_f32_e32 vcc, s60, v38
	s_mov_b32 s60, 0x3f2aaaab
	s_mov_b32 s61, 0x7f800000
	v_cndmask_b32_e32 v166, v48, v39, vcc
	v_add_f32_e32 v48, 1.0, v166
	v_add_f32_e32 v38, -1.0, v48
	v_sub_f32_e32 v39, v38, v48
	v_add_f32_e32 v39, 1.0, v39
	v_sub_f32_e32 v38, v166, v38
	v_add_f32_e32 v49, v38, v39
	v_frexp_mant_f32_e32 v50, v48
	v_cvt_f64_f32_e32 v[38:39], v48
	v_frexp_exp_i32_f64_e32 v38, v[38:39]
	v_cmp_gt_f32_e32 vcc, s60, v50
	s_mov_b32 s60, 0x3f317218
	s_nop 0
	v_subbrev_co_u32_e32 v150, vcc, 0, v38, vcc
	v_sub_u32_e32 v38, 0, v150
	v_ldexp_f32 v39, v48, v38
	v_add_f32_e32 v48, -1.0, v39
	v_add_f32_e32 v50, 1.0, v39
	v_ldexp_f32 v38, v49, v38
	v_add_f32_e32 v49, 1.0, v48
	v_add_f32_e32 v51, -1.0, v50
	v_sub_f32_e32 v49, v39, v49
	v_sub_f32_e32 v39, v39, v51
	v_add_f32_e32 v49, v38, v49
	v_add_f32_e32 v38, v38, v39
	;; [unrolled: 1-line block ×3, first 2 shown]
	v_rcp_f32_e32 v161, v151
	v_sub_f32_e32 v39, v50, v151
	v_add_f32_e32 v160, v38, v39
	v_add_f32_e32 v39, v48, v49
	v_mul_f32_e32 v163, v39, v161
	v_sub_f32_e32 v38, v48, v39
	v_mul_f32_e32 v48, v151, v163
	v_fma_f32 v50, v163, v151, -v48
	v_fmac_f32_e32 v50, v163, v160
	v_add_f32_e32 v162, v49, v38
	v_add_f32_e32 v38, v48, v50
	v_sub_f32_e32 v49, v39, v38
	v_pk_add_f32 v[148:149], v[38:39], v[48:49] neg_lo:[0,1] neg_hi:[0,1]
	v_mov_b32_e32 v51, v38
	v_pk_add_f32 v[38:39], v[148:149], v[50:51] neg_lo:[0,1] neg_hi:[0,1]
	v_cmp_eq_f32_e32 vcc, s61, v166
	v_add_f32_e32 v39, v162, v39
	v_add_f32_e32 v38, v38, v39
	;; [unrolled: 1-line block ×3, first 2 shown]
	v_mul_f32_e32 v162, v161, v39
	v_mul_f32_e32 v48, v151, v162
	v_fma_f32 v50, v162, v151, -v48
	v_fmac_f32_e32 v50, v162, v160
	v_sub_f32_e32 v49, v49, v39
	v_add_f32_e32 v151, v38, v49
	v_add_f32_e32 v38, v48, v50
	v_sub_f32_e32 v49, v39, v38
	v_pk_add_f32 v[148:149], v[38:39], v[48:49] neg_lo:[0,1] neg_hi:[0,1]
	v_mov_b32_e32 v51, v38
	v_pk_add_f32 v[38:39], v[148:149], v[50:51] neg_lo:[0,1] neg_hi:[0,1]
	v_cvt_f32_i32_e32 v48, v150
	v_add_f32_e32 v39, v151, v39
	v_add_f32_e32 v38, v38, v39
	v_add_f32_e32 v38, v49, v38
	v_add_f32_e32 v49, v163, v162
	v_sub_f32_e32 v39, v49, v163
	v_mul_f32_e32 v38, v161, v38
	v_sub_f32_e32 v39, v162, v39
	v_add_f32_e32 v38, v39, v38
	v_add_f32_e32 v50, v49, v38
	v_mul_f32_e32 v148, v50, v50
	v_mov_b32_e32 v39, 0x3ecc95a3
	v_sub_f32_e32 v49, v50, v49
	v_fmac_f32_e32 v39, 0x3e9b6dac, v148
	v_sub_f32_e32 v38, v38, v49
	v_fmaak_f32 v39, v148, v39, 0x3f2aaada
	v_ldexp_f32 v149, v38, 1
	v_mul_f32_e32 v49, v50, v148
	v_mov_b32_e32 v38, 0x3f317218
	v_pk_mul_f32 v[38:39], v[48:49], v[38:39]
	v_ldexp_f32 v51, v50, 1
	v_fma_f32 v49, v48, s60, -v38
	v_fmamk_f32 v50, v48, 0xb102e308, v49
	v_pk_add_f32 v[48:49], v[38:39], v[50:51]
	v_mov_b32_e32 v148, v38
	v_sub_f32_e32 v51, v49, v51
	v_sub_f32_e32 v51, v39, v51
	v_add_f32_e32 v149, v149, v51
	v_pk_add_f32 v[38:39], v[48:49], v[38:39] neg_lo:[0,1] neg_hi:[0,1]
	v_pk_add_f32 v[150:151], v[48:49], v[148:149]
	v_mov_b32_e32 v51, v48
	v_mov_b32_e32 v39, v151
	v_pk_add_f32 v[160:161], v[50:51], v[38:39] neg_lo:[0,1] neg_hi:[0,1]
	v_pk_add_f32 v[38:39], v[50:51], v[38:39]
	v_mov_b32_e32 v148, v149
	v_mov_b32_e32 v50, v39
	v_pk_add_f32 v[162:163], v[50:51], v[48:49] neg_lo:[0,1] neg_hi:[0,1]
	v_mov_b32_e32 v38, v151
	v_mov_b32_e32 v51, v162
	v_pk_add_f32 v[164:165], v[150:151], v[50:51] neg_lo:[0,1] neg_hi:[0,1]
	v_mov_b32_e32 v150, v49
	v_mov_b32_e32 v151, v162
	;; [unrolled: 1-line block ×3, first 2 shown]
	v_pk_add_f32 v[38:39], v[38:39], v[150:151] neg_lo:[0,1] neg_hi:[0,1]
	v_mov_b32_e32 v149, v48
	v_pk_add_f32 v[38:39], v[148:149], v[38:39] neg_lo:[0,1] neg_hi:[0,1]
	v_mov_b32_e32 v164, v160
	v_pk_add_f32 v[48:49], v[164:165], v[38:39]
	s_mov_b32 s60, 0x33800000
	v_mov_b32_e32 v148, v49
	v_pk_add_f32 v[148:149], v[48:49], v[148:149]
	v_cmp_lt_f32_e64 s[60:61], |v166|, s60
	v_pk_add_f32 v[50:51], v[50:51], v[148:149]
	v_mov_b32_e32 v39, v148
	v_mov_b32_e32 v49, v50
	v_pk_add_f32 v[150:151], v[48:49], v[160:161] neg_lo:[0,1] neg_hi:[0,1]
	s_or_b64 vcc, vcc, s[60:61]
	v_sub_f32_e32 v48, v48, v150
	v_pk_add_f32 v[38:39], v[38:39], v[150:151] neg_lo:[0,1] neg_hi:[0,1]
	v_sub_f32_e32 v48, v160, v48
	v_add_f32_e32 v38, v38, v48
	v_add_f32_e32 v38, v38, v39
	;; [unrolled: 1-line block ×3, first 2 shown]
	v_cndmask_b32_e32 v38, v38, v166, vcc
	v_add_f32_e32 v39, v31, v38
.LBB479_112:
	s_or_b64 exec, exec, s[56:57]
	v_bfe_u32 v31, v39, 16, 1
	s_movk_i32 vcc_lo, 0x7fff
	v_add3_u32 v31, v39, v31, vcc_lo
	v_lshrrev_b32_e32 v31, 16, v31
	v_mov_b32_e32 v38, 0x7fc0
	v_cmp_o_f32_e32 vcc, v39, v39
	s_nop 1
	v_cndmask_b32_e32 v31, v38, v31, vcc
	v_and_b32_e32 v38, 0xffff, v31
.LBB479_113:
	s_or_b64 exec, exec, s[58:59]
	s_nop 0
	v_mov_b32_dpp v39, v38 row_shr:8 row_mask:0xf bank_mask:0xf
	v_cmp_lt_u32_e32 vcc, 7, v30
	s_and_saveexec_b64 s[58:59], vcc
	s_cbranch_execz .LBB479_117
; %bb.114:
	v_lshlrev_b32_e32 v31, 16, v39
	v_lshlrev_b32_e32 v30, 16, v38
	v_max_f32_e32 v39, v30, v30
	v_max_f32_e32 v48, v31, v31
	v_min_f32_e32 v38, v48, v39
	v_cmp_u_f32_e32 vcc, v31, v31
	v_max_f32_e32 v39, v48, v39
	v_cmp_u_f32_e64 s[56:57], v30, v30
	v_cndmask_b32_e32 v38, v38, v31, vcc
	v_cndmask_b32_e32 v39, v39, v31, vcc
	v_cndmask_b32_e64 v38, v38, v30, s[56:57]
	v_cndmask_b32_e64 v30, v39, v30, s[56:57]
	s_movk_i32 s56, 0x1f8
	v_cmp_neq_f32_e32 vcc, v38, v30
	v_cmp_class_f32_e64 s[56:57], v38, s56
	s_or_b64 vcc, vcc, s[56:57]
	s_and_saveexec_b64 s[56:57], vcc
	s_cbranch_execz .LBB479_116
; %bb.115:
	v_sub_f32_e32 v31, v38, v30
	s_mov_b32 s60, 0x3fb8aa3b
	v_mul_f32_e32 v38, 0x3fb8aa3b, v31
	v_fma_f32 v39, v31, s60, -v38
	v_rndne_f32_e32 v48, v38
	v_fmamk_f32 v39, v31, 0x32a5705f, v39
	v_sub_f32_e32 v38, v38, v48
	v_add_f32_e32 v38, v38, v39
	v_exp_f32_e32 v38, v38
	v_cvt_i32_f32_e32 v39, v48
	s_mov_b32 s60, 0xc2ce8ed0
	v_cmp_ngt_f32_e32 vcc, s60, v31
	s_mov_b32 s60, 0x42b17218
	v_ldexp_f32 v38, v38, v39
	v_cndmask_b32_e32 v38, 0, v38, vcc
	v_mov_b32_e32 v39, 0x7f800000
	v_cmp_nlt_f32_e32 vcc, s60, v31
	s_mov_b32 s60, 0x3f2aaaab
	s_mov_b32 s61, 0x7f800000
	v_cndmask_b32_e32 v166, v39, v38, vcc
	v_add_f32_e32 v31, 1.0, v166
	v_add_f32_e32 v38, -1.0, v31
	v_sub_f32_e32 v39, v38, v31
	v_add_f32_e32 v39, 1.0, v39
	v_sub_f32_e32 v38, v166, v38
	v_add_f32_e32 v48, v38, v39
	v_frexp_mant_f32_e32 v49, v31
	v_cvt_f64_f32_e32 v[38:39], v31
	v_frexp_exp_i32_f64_e32 v38, v[38:39]
	v_cmp_gt_f32_e32 vcc, s60, v49
	s_mov_b32 s60, 0x3f317218
	s_nop 0
	v_subbrev_co_u32_e32 v150, vcc, 0, v38, vcc
	v_sub_u32_e32 v38, 0, v150
	v_ldexp_f32 v31, v31, v38
	v_ldexp_f32 v38, v48, v38
	v_add_f32_e32 v48, -1.0, v31
	v_add_f32_e32 v39, 1.0, v48
	v_sub_f32_e32 v39, v31, v39
	v_add_f32_e32 v49, v38, v39
	v_add_f32_e32 v39, 1.0, v31
	v_add_f32_e32 v50, -1.0, v39
	v_sub_f32_e32 v31, v31, v50
	v_add_f32_e32 v31, v38, v31
	v_add_f32_e32 v151, v39, v31
	v_rcp_f32_e32 v160, v151
	v_sub_f32_e32 v38, v39, v151
	v_add_f32_e32 v39, v48, v49
	v_add_f32_e32 v31, v31, v38
	v_mul_f32_e32 v162, v39, v160
	v_sub_f32_e32 v38, v48, v39
	v_mul_f32_e32 v48, v151, v162
	v_fma_f32 v50, v162, v151, -v48
	v_fmac_f32_e32 v50, v162, v31
	v_add_f32_e32 v161, v49, v38
	v_add_f32_e32 v38, v48, v50
	v_sub_f32_e32 v49, v39, v38
	v_pk_add_f32 v[148:149], v[38:39], v[48:49] neg_lo:[0,1] neg_hi:[0,1]
	v_mov_b32_e32 v51, v38
	v_pk_add_f32 v[38:39], v[148:149], v[50:51] neg_lo:[0,1] neg_hi:[0,1]
	v_cmp_eq_f32_e32 vcc, s61, v166
	v_add_f32_e32 v39, v161, v39
	v_add_f32_e32 v38, v38, v39
	;; [unrolled: 1-line block ×3, first 2 shown]
	v_mul_f32_e32 v161, v160, v39
	v_mul_f32_e32 v48, v151, v161
	v_fma_f32 v50, v161, v151, -v48
	v_fmac_f32_e32 v50, v161, v31
	v_sub_f32_e32 v31, v49, v39
	v_add_f32_e32 v31, v38, v31
	v_add_f32_e32 v38, v48, v50
	v_sub_f32_e32 v49, v39, v38
	v_pk_add_f32 v[148:149], v[38:39], v[48:49] neg_lo:[0,1] neg_hi:[0,1]
	v_mov_b32_e32 v51, v38
	v_pk_add_f32 v[38:39], v[148:149], v[50:51] neg_lo:[0,1] neg_hi:[0,1]
	v_cvt_f32_i32_e32 v48, v150
	v_add_f32_e32 v31, v31, v39
	v_add_f32_e32 v31, v38, v31
	;; [unrolled: 1-line block ×4, first 2 shown]
	v_sub_f32_e32 v39, v38, v162
	v_mul_f32_e32 v31, v160, v31
	v_sub_f32_e32 v39, v161, v39
	v_add_f32_e32 v31, v39, v31
	v_add_f32_e32 v49, v38, v31
	v_mul_f32_e32 v50, v49, v49
	v_mov_b32_e32 v39, 0x3ecc95a3
	v_fmac_f32_e32 v39, 0x3e9b6dac, v50
	v_sub_f32_e32 v38, v49, v38
	v_fmaak_f32 v39, v50, v39, 0x3f2aaada
	v_sub_f32_e32 v31, v31, v38
	v_ldexp_f32 v51, v49, 1
	v_mul_f32_e32 v49, v49, v50
	v_mov_b32_e32 v38, 0x3f317218
	v_pk_mul_f32 v[38:39], v[48:49], v[38:39]
	v_ldexp_f32 v31, v31, 1
	v_fma_f32 v49, v48, s60, -v38
	v_fmamk_f32 v50, v48, 0xb102e308, v49
	v_pk_add_f32 v[48:49], v[38:39], v[50:51]
	v_mov_b32_e32 v148, v38
	v_sub_f32_e32 v51, v49, v51
	v_sub_f32_e32 v51, v39, v51
	v_add_f32_e32 v149, v31, v51
	v_pk_add_f32 v[38:39], v[48:49], v[38:39] neg_lo:[0,1] neg_hi:[0,1]
	v_pk_add_f32 v[150:151], v[48:49], v[148:149]
	v_mov_b32_e32 v51, v48
	v_mov_b32_e32 v39, v151
	v_pk_add_f32 v[160:161], v[50:51], v[38:39] neg_lo:[0,1] neg_hi:[0,1]
	v_pk_add_f32 v[38:39], v[50:51], v[38:39]
	v_mov_b32_e32 v148, v149
	v_mov_b32_e32 v50, v39
	v_pk_add_f32 v[162:163], v[50:51], v[48:49] neg_lo:[0,1] neg_hi:[0,1]
	v_mov_b32_e32 v38, v151
	v_mov_b32_e32 v31, v162
	v_pk_add_f32 v[164:165], v[150:151], v[30:31] neg_lo:[0,1] neg_hi:[0,1]
	v_mov_b32_e32 v150, v49
	v_mov_b32_e32 v151, v162
	;; [unrolled: 1-line block ×3, first 2 shown]
	v_pk_add_f32 v[38:39], v[38:39], v[150:151] neg_lo:[0,1] neg_hi:[0,1]
	v_mov_b32_e32 v149, v48
	v_pk_add_f32 v[38:39], v[148:149], v[38:39] neg_lo:[0,1] neg_hi:[0,1]
	v_mov_b32_e32 v164, v160
	v_pk_add_f32 v[48:49], v[164:165], v[38:39]
	s_mov_b32 s60, 0x33800000
	v_mov_b32_e32 v148, v49
	v_pk_add_f32 v[148:149], v[48:49], v[148:149]
	v_cmp_lt_f32_e64 s[60:61], |v166|, s60
	v_pk_add_f32 v[50:51], v[50:51], v[148:149]
	v_mov_b32_e32 v39, v148
	v_mov_b32_e32 v49, v50
	v_pk_add_f32 v[150:151], v[48:49], v[160:161] neg_lo:[0,1] neg_hi:[0,1]
	s_or_b64 vcc, vcc, s[60:61]
	v_sub_f32_e32 v31, v48, v150
	v_pk_add_f32 v[38:39], v[38:39], v[150:151] neg_lo:[0,1] neg_hi:[0,1]
	v_sub_f32_e32 v31, v160, v31
	v_add_f32_e32 v31, v38, v31
	v_add_f32_e32 v31, v31, v39
	;; [unrolled: 1-line block ×3, first 2 shown]
	v_cndmask_b32_e32 v31, v31, v166, vcc
	v_add_f32_e32 v31, v30, v31
.LBB479_116:
	s_or_b64 exec, exec, s[56:57]
	v_bfe_u32 v30, v31, 16, 1
	s_movk_i32 vcc_lo, 0x7fff
	v_add3_u32 v30, v31, v30, vcc_lo
	v_lshrrev_b32_e32 v30, 16, v30
	v_mov_b32_e32 v38, 0x7fc0
	v_cmp_o_f32_e32 vcc, v31, v31
	s_nop 1
	v_cndmask_b32_e32 v31, v38, v30, vcc
	v_and_b32_e32 v38, 0xffff, v31
.LBB479_117:
	s_or_b64 exec, exec, s[58:59]
	v_and_b32_e32 v39, 16, v37
	v_mov_b32_dpp v30, v38 row_bcast:15 row_mask:0xf bank_mask:0xf
	v_cmp_ne_u32_e32 vcc, 0, v39
	s_and_saveexec_b64 s[58:59], vcc
	s_cbranch_execz .LBB479_121
; %bb.118:
	v_lshlrev_b32_e32 v31, 16, v30
	v_lshlrev_b32_e32 v30, 16, v38
	v_max_f32_e32 v39, v30, v30
	v_max_f32_e32 v48, v31, v31
	v_min_f32_e32 v38, v48, v39
	v_cmp_u_f32_e32 vcc, v31, v31
	v_max_f32_e32 v39, v48, v39
	v_cmp_u_f32_e64 s[56:57], v30, v30
	v_cndmask_b32_e32 v38, v38, v31, vcc
	v_cndmask_b32_e32 v39, v39, v31, vcc
	v_cndmask_b32_e64 v38, v38, v30, s[56:57]
	v_cndmask_b32_e64 v30, v39, v30, s[56:57]
	s_movk_i32 s56, 0x1f8
	v_cmp_neq_f32_e32 vcc, v38, v30
	v_cmp_class_f32_e64 s[56:57], v38, s56
	s_or_b64 vcc, vcc, s[56:57]
	s_and_saveexec_b64 s[56:57], vcc
	s_cbranch_execz .LBB479_120
; %bb.119:
	v_sub_f32_e32 v31, v38, v30
	s_mov_b32 s60, 0x3fb8aa3b
	v_mul_f32_e32 v38, 0x3fb8aa3b, v31
	v_fma_f32 v39, v31, s60, -v38
	v_rndne_f32_e32 v48, v38
	v_fmamk_f32 v39, v31, 0x32a5705f, v39
	v_sub_f32_e32 v38, v38, v48
	v_add_f32_e32 v38, v38, v39
	v_exp_f32_e32 v38, v38
	v_cvt_i32_f32_e32 v39, v48
	s_mov_b32 s60, 0xc2ce8ed0
	v_cmp_ngt_f32_e32 vcc, s60, v31
	s_mov_b32 s60, 0x42b17218
	v_ldexp_f32 v38, v38, v39
	v_cndmask_b32_e32 v38, 0, v38, vcc
	v_mov_b32_e32 v39, 0x7f800000
	v_cmp_nlt_f32_e32 vcc, s60, v31
	s_mov_b32 s60, 0x3f2aaaab
	s_mov_b32 s61, 0x7f800000
	v_cndmask_b32_e32 v166, v39, v38, vcc
	v_add_f32_e32 v31, 1.0, v166
	v_add_f32_e32 v38, -1.0, v31
	v_sub_f32_e32 v39, v38, v31
	v_add_f32_e32 v39, 1.0, v39
	v_sub_f32_e32 v38, v166, v38
	v_add_f32_e32 v48, v38, v39
	v_frexp_mant_f32_e32 v49, v31
	v_cvt_f64_f32_e32 v[38:39], v31
	v_frexp_exp_i32_f64_e32 v38, v[38:39]
	v_cmp_gt_f32_e32 vcc, s60, v49
	s_mov_b32 s60, 0x3f317218
	s_nop 0
	v_subbrev_co_u32_e32 v150, vcc, 0, v38, vcc
	v_sub_u32_e32 v38, 0, v150
	v_ldexp_f32 v31, v31, v38
	v_ldexp_f32 v38, v48, v38
	v_add_f32_e32 v48, -1.0, v31
	v_add_f32_e32 v39, 1.0, v48
	v_sub_f32_e32 v39, v31, v39
	v_add_f32_e32 v49, v38, v39
	v_add_f32_e32 v39, 1.0, v31
	v_add_f32_e32 v50, -1.0, v39
	v_sub_f32_e32 v31, v31, v50
	v_add_f32_e32 v31, v38, v31
	v_add_f32_e32 v151, v39, v31
	v_rcp_f32_e32 v160, v151
	v_sub_f32_e32 v38, v39, v151
	v_add_f32_e32 v39, v48, v49
	v_add_f32_e32 v31, v31, v38
	v_mul_f32_e32 v162, v39, v160
	v_sub_f32_e32 v38, v48, v39
	v_mul_f32_e32 v48, v151, v162
	v_fma_f32 v50, v162, v151, -v48
	v_fmac_f32_e32 v50, v162, v31
	v_add_f32_e32 v161, v49, v38
	v_add_f32_e32 v38, v48, v50
	v_sub_f32_e32 v49, v39, v38
	v_pk_add_f32 v[148:149], v[38:39], v[48:49] neg_lo:[0,1] neg_hi:[0,1]
	v_mov_b32_e32 v51, v38
	v_pk_add_f32 v[38:39], v[148:149], v[50:51] neg_lo:[0,1] neg_hi:[0,1]
	v_cmp_eq_f32_e32 vcc, s61, v166
	v_add_f32_e32 v39, v161, v39
	v_add_f32_e32 v38, v38, v39
	;; [unrolled: 1-line block ×3, first 2 shown]
	v_mul_f32_e32 v161, v160, v39
	v_mul_f32_e32 v48, v151, v161
	v_fma_f32 v50, v161, v151, -v48
	v_fmac_f32_e32 v50, v161, v31
	v_sub_f32_e32 v31, v49, v39
	v_add_f32_e32 v31, v38, v31
	v_add_f32_e32 v38, v48, v50
	v_sub_f32_e32 v49, v39, v38
	v_pk_add_f32 v[148:149], v[38:39], v[48:49] neg_lo:[0,1] neg_hi:[0,1]
	v_mov_b32_e32 v51, v38
	v_pk_add_f32 v[38:39], v[148:149], v[50:51] neg_lo:[0,1] neg_hi:[0,1]
	v_cvt_f32_i32_e32 v48, v150
	v_add_f32_e32 v31, v31, v39
	v_add_f32_e32 v31, v38, v31
	;; [unrolled: 1-line block ×4, first 2 shown]
	v_sub_f32_e32 v39, v38, v162
	v_mul_f32_e32 v31, v160, v31
	v_sub_f32_e32 v39, v161, v39
	v_add_f32_e32 v31, v39, v31
	v_add_f32_e32 v49, v38, v31
	v_mul_f32_e32 v50, v49, v49
	v_mov_b32_e32 v39, 0x3ecc95a3
	v_fmac_f32_e32 v39, 0x3e9b6dac, v50
	v_sub_f32_e32 v38, v49, v38
	v_fmaak_f32 v39, v50, v39, 0x3f2aaada
	v_sub_f32_e32 v31, v31, v38
	v_ldexp_f32 v51, v49, 1
	v_mul_f32_e32 v49, v49, v50
	v_mov_b32_e32 v38, 0x3f317218
	v_pk_mul_f32 v[38:39], v[48:49], v[38:39]
	v_ldexp_f32 v31, v31, 1
	v_fma_f32 v49, v48, s60, -v38
	v_fmamk_f32 v50, v48, 0xb102e308, v49
	v_pk_add_f32 v[48:49], v[38:39], v[50:51]
	v_mov_b32_e32 v148, v38
	v_sub_f32_e32 v51, v49, v51
	v_sub_f32_e32 v51, v39, v51
	v_add_f32_e32 v149, v31, v51
	v_pk_add_f32 v[38:39], v[48:49], v[38:39] neg_lo:[0,1] neg_hi:[0,1]
	v_pk_add_f32 v[150:151], v[48:49], v[148:149]
	v_mov_b32_e32 v51, v48
	v_mov_b32_e32 v39, v151
	v_pk_add_f32 v[160:161], v[50:51], v[38:39] neg_lo:[0,1] neg_hi:[0,1]
	v_pk_add_f32 v[38:39], v[50:51], v[38:39]
	v_mov_b32_e32 v148, v149
	v_mov_b32_e32 v50, v39
	v_pk_add_f32 v[162:163], v[50:51], v[48:49] neg_lo:[0,1] neg_hi:[0,1]
	v_mov_b32_e32 v38, v151
	v_mov_b32_e32 v31, v162
	v_pk_add_f32 v[164:165], v[150:151], v[30:31] neg_lo:[0,1] neg_hi:[0,1]
	v_mov_b32_e32 v150, v49
	v_mov_b32_e32 v151, v162
	v_mov_b32_e32 v161, v39
	v_pk_add_f32 v[38:39], v[38:39], v[150:151] neg_lo:[0,1] neg_hi:[0,1]
	v_mov_b32_e32 v149, v48
	v_pk_add_f32 v[38:39], v[148:149], v[38:39] neg_lo:[0,1] neg_hi:[0,1]
	v_mov_b32_e32 v164, v160
	v_pk_add_f32 v[48:49], v[164:165], v[38:39]
	s_mov_b32 s60, 0x33800000
	v_mov_b32_e32 v148, v49
	v_pk_add_f32 v[148:149], v[48:49], v[148:149]
	v_cmp_lt_f32_e64 s[60:61], |v166|, s60
	v_pk_add_f32 v[50:51], v[50:51], v[148:149]
	v_mov_b32_e32 v39, v148
	v_mov_b32_e32 v49, v50
	v_pk_add_f32 v[150:151], v[48:49], v[160:161] neg_lo:[0,1] neg_hi:[0,1]
	s_or_b64 vcc, vcc, s[60:61]
	v_sub_f32_e32 v31, v48, v150
	v_pk_add_f32 v[38:39], v[38:39], v[150:151] neg_lo:[0,1] neg_hi:[0,1]
	v_sub_f32_e32 v31, v160, v31
	v_add_f32_e32 v31, v38, v31
	v_add_f32_e32 v31, v31, v39
	;; [unrolled: 1-line block ×3, first 2 shown]
	v_cndmask_b32_e32 v31, v31, v166, vcc
	v_add_f32_e32 v31, v30, v31
.LBB479_120:
	s_or_b64 exec, exec, s[56:57]
	v_bfe_u32 v30, v31, 16, 1
	s_movk_i32 vcc_lo, 0x7fff
	v_add3_u32 v30, v31, v30, vcc_lo
	v_lshrrev_b32_e32 v30, 16, v30
	v_mov_b32_e32 v38, 0x7fc0
	v_cmp_o_f32_e32 vcc, v31, v31
	s_nop 1
	v_cndmask_b32_e32 v31, v38, v30, vcc
	v_and_b32_e32 v38, 0xffff, v31
.LBB479_121:
	s_or_b64 exec, exec, s[58:59]
	s_nop 0
	v_mov_b32_dpp v30, v38 row_bcast:31 row_mask:0xf bank_mask:0xf
	v_cmp_lt_u32_e32 vcc, 31, v37
	s_and_saveexec_b64 s[58:59], vcc
	s_cbranch_execz .LBB479_125
; %bb.122:
	v_lshlrev_b32_e32 v31, 16, v30
	v_lshlrev_b32_e32 v30, 16, v38
	v_max_f32_e32 v39, v30, v30
	v_max_f32_e32 v48, v31, v31
	v_min_f32_e32 v38, v48, v39
	v_cmp_u_f32_e32 vcc, v31, v31
	v_max_f32_e32 v39, v48, v39
	v_cmp_u_f32_e64 s[56:57], v30, v30
	v_cndmask_b32_e32 v38, v38, v31, vcc
	v_cndmask_b32_e32 v39, v39, v31, vcc
	v_cndmask_b32_e64 v38, v38, v30, s[56:57]
	v_cndmask_b32_e64 v30, v39, v30, s[56:57]
	s_movk_i32 s56, 0x1f8
	v_cmp_neq_f32_e32 vcc, v38, v30
	v_cmp_class_f32_e64 s[56:57], v38, s56
	s_or_b64 vcc, vcc, s[56:57]
	s_and_saveexec_b64 s[56:57], vcc
	s_cbranch_execz .LBB479_124
; %bb.123:
	v_sub_f32_e32 v31, v38, v30
	s_mov_b32 s60, 0x3fb8aa3b
	v_mul_f32_e32 v38, 0x3fb8aa3b, v31
	v_fma_f32 v39, v31, s60, -v38
	v_rndne_f32_e32 v48, v38
	v_fmamk_f32 v39, v31, 0x32a5705f, v39
	v_sub_f32_e32 v38, v38, v48
	v_add_f32_e32 v38, v38, v39
	v_exp_f32_e32 v38, v38
	v_cvt_i32_f32_e32 v39, v48
	s_mov_b32 s60, 0xc2ce8ed0
	v_cmp_ngt_f32_e32 vcc, s60, v31
	s_mov_b32 s60, 0x42b17218
	v_ldexp_f32 v38, v38, v39
	v_cndmask_b32_e32 v38, 0, v38, vcc
	v_mov_b32_e32 v39, 0x7f800000
	v_cmp_nlt_f32_e32 vcc, s60, v31
	s_mov_b32 s60, 0x3f2aaaab
	s_mov_b32 s61, 0x7f800000
	v_cndmask_b32_e32 v166, v39, v38, vcc
	v_add_f32_e32 v31, 1.0, v166
	v_add_f32_e32 v38, -1.0, v31
	v_sub_f32_e32 v39, v38, v31
	v_add_f32_e32 v39, 1.0, v39
	v_sub_f32_e32 v38, v166, v38
	v_add_f32_e32 v48, v38, v39
	v_frexp_mant_f32_e32 v49, v31
	v_cvt_f64_f32_e32 v[38:39], v31
	v_frexp_exp_i32_f64_e32 v38, v[38:39]
	v_cmp_gt_f32_e32 vcc, s60, v49
	s_mov_b32 s60, 0x3f317218
	s_nop 0
	v_subbrev_co_u32_e32 v150, vcc, 0, v38, vcc
	v_sub_u32_e32 v38, 0, v150
	v_ldexp_f32 v31, v31, v38
	v_ldexp_f32 v38, v48, v38
	v_add_f32_e32 v48, -1.0, v31
	v_add_f32_e32 v39, 1.0, v48
	v_sub_f32_e32 v39, v31, v39
	v_add_f32_e32 v49, v38, v39
	v_add_f32_e32 v39, 1.0, v31
	v_add_f32_e32 v50, -1.0, v39
	v_sub_f32_e32 v31, v31, v50
	v_add_f32_e32 v31, v38, v31
	v_add_f32_e32 v151, v39, v31
	v_rcp_f32_e32 v160, v151
	v_sub_f32_e32 v38, v39, v151
	v_add_f32_e32 v39, v48, v49
	v_add_f32_e32 v31, v31, v38
	v_mul_f32_e32 v162, v39, v160
	v_sub_f32_e32 v38, v48, v39
	v_mul_f32_e32 v48, v151, v162
	v_fma_f32 v50, v162, v151, -v48
	v_fmac_f32_e32 v50, v162, v31
	v_add_f32_e32 v161, v49, v38
	v_add_f32_e32 v38, v48, v50
	v_sub_f32_e32 v49, v39, v38
	v_pk_add_f32 v[148:149], v[38:39], v[48:49] neg_lo:[0,1] neg_hi:[0,1]
	v_mov_b32_e32 v51, v38
	v_pk_add_f32 v[38:39], v[148:149], v[50:51] neg_lo:[0,1] neg_hi:[0,1]
	v_cmp_eq_f32_e32 vcc, s61, v166
	v_add_f32_e32 v39, v161, v39
	v_add_f32_e32 v38, v38, v39
	;; [unrolled: 1-line block ×3, first 2 shown]
	v_mul_f32_e32 v161, v160, v39
	v_mul_f32_e32 v48, v151, v161
	v_fma_f32 v50, v161, v151, -v48
	v_fmac_f32_e32 v50, v161, v31
	v_sub_f32_e32 v31, v49, v39
	v_add_f32_e32 v31, v38, v31
	v_add_f32_e32 v38, v48, v50
	v_sub_f32_e32 v49, v39, v38
	v_pk_add_f32 v[148:149], v[38:39], v[48:49] neg_lo:[0,1] neg_hi:[0,1]
	v_mov_b32_e32 v51, v38
	v_pk_add_f32 v[38:39], v[148:149], v[50:51] neg_lo:[0,1] neg_hi:[0,1]
	v_cvt_f32_i32_e32 v48, v150
	v_add_f32_e32 v31, v31, v39
	v_add_f32_e32 v31, v38, v31
	;; [unrolled: 1-line block ×4, first 2 shown]
	v_sub_f32_e32 v39, v38, v162
	v_mul_f32_e32 v31, v160, v31
	v_sub_f32_e32 v39, v161, v39
	v_add_f32_e32 v31, v39, v31
	v_add_f32_e32 v49, v38, v31
	v_mul_f32_e32 v50, v49, v49
	v_mov_b32_e32 v39, 0x3ecc95a3
	v_fmac_f32_e32 v39, 0x3e9b6dac, v50
	v_sub_f32_e32 v38, v49, v38
	v_fmaak_f32 v39, v50, v39, 0x3f2aaada
	v_sub_f32_e32 v31, v31, v38
	v_ldexp_f32 v51, v49, 1
	v_mul_f32_e32 v49, v49, v50
	v_mov_b32_e32 v38, 0x3f317218
	v_pk_mul_f32 v[38:39], v[48:49], v[38:39]
	v_ldexp_f32 v31, v31, 1
	v_fma_f32 v49, v48, s60, -v38
	v_fmamk_f32 v50, v48, 0xb102e308, v49
	v_pk_add_f32 v[48:49], v[38:39], v[50:51]
	v_mov_b32_e32 v148, v38
	v_sub_f32_e32 v51, v49, v51
	v_sub_f32_e32 v51, v39, v51
	v_add_f32_e32 v149, v31, v51
	v_pk_add_f32 v[38:39], v[48:49], v[38:39] neg_lo:[0,1] neg_hi:[0,1]
	v_pk_add_f32 v[150:151], v[48:49], v[148:149]
	v_mov_b32_e32 v51, v48
	v_mov_b32_e32 v39, v151
	v_pk_add_f32 v[160:161], v[50:51], v[38:39] neg_lo:[0,1] neg_hi:[0,1]
	v_pk_add_f32 v[38:39], v[50:51], v[38:39]
	v_mov_b32_e32 v148, v149
	v_mov_b32_e32 v50, v39
	v_pk_add_f32 v[162:163], v[50:51], v[48:49] neg_lo:[0,1] neg_hi:[0,1]
	v_mov_b32_e32 v38, v151
	v_mov_b32_e32 v31, v162
	v_pk_add_f32 v[164:165], v[150:151], v[30:31] neg_lo:[0,1] neg_hi:[0,1]
	v_mov_b32_e32 v150, v49
	v_mov_b32_e32 v151, v162
	;; [unrolled: 1-line block ×3, first 2 shown]
	v_pk_add_f32 v[38:39], v[38:39], v[150:151] neg_lo:[0,1] neg_hi:[0,1]
	v_mov_b32_e32 v149, v48
	v_pk_add_f32 v[38:39], v[148:149], v[38:39] neg_lo:[0,1] neg_hi:[0,1]
	v_mov_b32_e32 v164, v160
	v_pk_add_f32 v[48:49], v[164:165], v[38:39]
	s_mov_b32 s60, 0x33800000
	v_mov_b32_e32 v148, v49
	v_pk_add_f32 v[148:149], v[48:49], v[148:149]
	v_cmp_lt_f32_e64 s[60:61], |v166|, s60
	v_pk_add_f32 v[50:51], v[50:51], v[148:149]
	v_mov_b32_e32 v39, v148
	v_mov_b32_e32 v49, v50
	v_pk_add_f32 v[150:151], v[48:49], v[160:161] neg_lo:[0,1] neg_hi:[0,1]
	s_or_b64 vcc, vcc, s[60:61]
	v_sub_f32_e32 v31, v48, v150
	v_pk_add_f32 v[38:39], v[38:39], v[150:151] neg_lo:[0,1] neg_hi:[0,1]
	v_sub_f32_e32 v31, v160, v31
	v_add_f32_e32 v31, v38, v31
	v_add_f32_e32 v31, v31, v39
	;; [unrolled: 1-line block ×3, first 2 shown]
	v_cndmask_b32_e32 v31, v31, v166, vcc
	v_add_f32_e32 v31, v30, v31
.LBB479_124:
	s_or_b64 exec, exec, s[56:57]
	v_bfe_u32 v30, v31, 16, 1
	s_movk_i32 vcc_lo, 0x7fff
	v_add3_u32 v30, v31, v30, vcc_lo
	v_lshrrev_b32_e32 v30, 16, v30
	v_mov_b32_e32 v38, 0x7fc0
	v_cmp_o_f32_e32 vcc, v31, v31
	s_nop 1
	v_cndmask_b32_e32 v31, v38, v30, vcc
.LBB479_125:
	s_or_b64 exec, exec, s[58:59]
	v_and_b32_e32 v38, 0x3c0, v32
	v_min_u32_e32 v38, 0xc0, v38
	v_or_b32_e32 v38, 63, v38
	v_lshrrev_b32_e32 v30, 6, v32
	v_cmp_eq_u32_e32 vcc, v38, v32
	s_and_saveexec_b64 s[56:57], vcc
	s_cbranch_execz .LBB479_127
; %bb.126:
	v_lshlrev_b32_e32 v38, 1, v30
	ds_write_b16 v38, v31
.LBB479_127:
	s_or_b64 exec, exec, s[56:57]
	v_cmp_gt_u32_e32 vcc, 4, v32
	s_waitcnt lgkmcnt(0)
	s_barrier
	s_and_saveexec_b64 s[58:59], vcc
	s_cbranch_execz .LBB479_137
; %bb.128:
	ds_read_u16 v39, v0
	v_and_b32_e32 v38, 3, v37
	v_cmp_ne_u32_e32 vcc, 0, v38
	s_waitcnt lgkmcnt(0)
	v_and_b32_e32 v49, 0xffff, v39
	s_nop 1
	v_mov_b32_dpp v48, v49 row_shr:1 row_mask:0xf bank_mask:0xf
	s_and_saveexec_b64 s[60:61], vcc
	s_cbranch_execz .LBB479_132
; %bb.129:
	v_lshlrev_b32_e32 v48, 16, v48
	v_lshlrev_b32_e32 v39, 16, v49
	v_max_f32_e32 v50, v39, v39
	v_max_f32_e32 v51, v48, v48
	v_min_f32_e32 v49, v51, v50
	v_cmp_u_f32_e32 vcc, v48, v48
	v_max_f32_e32 v50, v51, v50
	v_cmp_u_f32_e64 s[56:57], v39, v39
	v_cndmask_b32_e32 v49, v49, v48, vcc
	v_cndmask_b32_e32 v50, v50, v48, vcc
	v_cndmask_b32_e64 v49, v49, v39, s[56:57]
	v_cndmask_b32_e64 v39, v50, v39, s[56:57]
	s_movk_i32 s56, 0x1f8
	v_cmp_neq_f32_e32 vcc, v49, v39
	v_cmp_class_f32_e64 s[56:57], v49, s56
	s_or_b64 vcc, vcc, s[56:57]
	s_and_saveexec_b64 s[56:57], vcc
	s_cbranch_execz .LBB479_131
; %bb.130:
	v_sub_f32_e32 v48, v49, v39
	s_mov_b32 s62, 0x3fb8aa3b
	v_mul_f32_e32 v49, 0x3fb8aa3b, v48
	v_fma_f32 v50, v48, s62, -v49
	v_rndne_f32_e32 v51, v49
	v_fmamk_f32 v50, v48, 0x32a5705f, v50
	v_sub_f32_e32 v49, v49, v51
	v_add_f32_e32 v49, v49, v50
	v_exp_f32_e32 v49, v49
	v_cvt_i32_f32_e32 v50, v51
	s_mov_b32 s62, 0xc2ce8ed0
	v_cmp_ngt_f32_e32 vcc, s62, v48
	s_mov_b32 s62, 0x42b17218
	v_ldexp_f32 v49, v49, v50
	v_cndmask_b32_e32 v49, 0, v49, vcc
	v_mov_b32_e32 v50, 0x7f800000
	v_cmp_nlt_f32_e32 vcc, s62, v48
	s_mov_b32 s62, 0x3f2aaaab
	s_mov_b32 s63, 0x7f800000
	v_cndmask_b32_e32 v176, v50, v49, vcc
	v_add_f32_e32 v50, 1.0, v176
	v_add_f32_e32 v48, -1.0, v50
	v_sub_f32_e32 v49, v48, v50
	v_add_f32_e32 v49, 1.0, v49
	v_sub_f32_e32 v48, v176, v48
	v_add_f32_e32 v51, v48, v49
	v_frexp_mant_f32_e32 v148, v50
	v_cvt_f64_f32_e32 v[48:49], v50
	v_frexp_exp_i32_f64_e32 v48, v[48:49]
	v_cmp_gt_f32_e32 vcc, s62, v148
	s_mov_b32 s62, 0x3f317218
	s_nop 0
	v_subbrev_co_u32_e32 v160, vcc, 0, v48, vcc
	v_sub_u32_e32 v48, 0, v160
	v_ldexp_f32 v49, v50, v48
	v_add_f32_e32 v50, -1.0, v49
	v_add_f32_e32 v148, 1.0, v49
	v_ldexp_f32 v48, v51, v48
	v_add_f32_e32 v51, 1.0, v50
	v_add_f32_e32 v149, -1.0, v148
	v_sub_f32_e32 v51, v49, v51
	v_sub_f32_e32 v49, v49, v149
	v_add_f32_e32 v51, v48, v51
	v_add_f32_e32 v48, v48, v49
	v_add_f32_e32 v161, v148, v48
	v_rcp_f32_e32 v163, v161
	v_sub_f32_e32 v49, v148, v161
	v_add_f32_e32 v162, v48, v49
	v_add_f32_e32 v49, v50, v51
	v_mul_f32_e32 v165, v49, v163
	v_sub_f32_e32 v48, v50, v49
	v_mul_f32_e32 v50, v161, v165
	v_fma_f32 v148, v165, v161, -v50
	v_fmac_f32_e32 v148, v165, v162
	v_add_f32_e32 v164, v51, v48
	v_add_f32_e32 v48, v50, v148
	v_sub_f32_e32 v51, v49, v48
	v_pk_add_f32 v[150:151], v[48:49], v[50:51] neg_lo:[0,1] neg_hi:[0,1]
	v_mov_b32_e32 v149, v48
	v_pk_add_f32 v[48:49], v[150:151], v[148:149] neg_lo:[0,1] neg_hi:[0,1]
	v_cmp_eq_f32_e32 vcc, s63, v176
	v_add_f32_e32 v49, v164, v49
	v_add_f32_e32 v48, v48, v49
	;; [unrolled: 1-line block ×3, first 2 shown]
	v_mul_f32_e32 v164, v163, v49
	v_mul_f32_e32 v50, v161, v164
	v_fma_f32 v148, v164, v161, -v50
	v_fmac_f32_e32 v148, v164, v162
	v_sub_f32_e32 v51, v51, v49
	v_add_f32_e32 v161, v48, v51
	v_add_f32_e32 v48, v50, v148
	v_sub_f32_e32 v51, v49, v48
	v_pk_add_f32 v[150:151], v[48:49], v[50:51] neg_lo:[0,1] neg_hi:[0,1]
	v_mov_b32_e32 v149, v48
	v_pk_add_f32 v[48:49], v[150:151], v[148:149] neg_lo:[0,1] neg_hi:[0,1]
	v_cvt_f32_i32_e32 v50, v160
	v_add_f32_e32 v49, v161, v49
	v_add_f32_e32 v48, v48, v49
	;; [unrolled: 1-line block ×4, first 2 shown]
	v_sub_f32_e32 v49, v51, v165
	v_mul_f32_e32 v48, v163, v48
	v_sub_f32_e32 v49, v164, v49
	v_add_f32_e32 v48, v49, v48
	v_add_f32_e32 v148, v51, v48
	v_mul_f32_e32 v150, v148, v148
	v_mov_b32_e32 v49, 0x3ecc95a3
	v_sub_f32_e32 v51, v148, v51
	v_fmac_f32_e32 v49, 0x3e9b6dac, v150
	v_sub_f32_e32 v48, v48, v51
	v_fmaak_f32 v49, v150, v49, 0x3f2aaada
	v_ldexp_f32 v151, v48, 1
	v_mul_f32_e32 v51, v148, v150
	v_mov_b32_e32 v48, 0x3f317218
	v_pk_mul_f32 v[48:49], v[50:51], v[48:49]
	v_ldexp_f32 v149, v148, 1
	v_fma_f32 v51, v50, s62, -v48
	v_fmamk_f32 v148, v50, 0xb102e308, v51
	v_pk_add_f32 v[50:51], v[48:49], v[148:149]
	v_mov_b32_e32 v150, v48
	v_sub_f32_e32 v149, v51, v149
	v_sub_f32_e32 v149, v49, v149
	v_add_f32_e32 v151, v151, v149
	v_pk_add_f32 v[48:49], v[50:51], v[48:49] neg_lo:[0,1] neg_hi:[0,1]
	v_pk_add_f32 v[160:161], v[50:51], v[150:151]
	v_mov_b32_e32 v149, v50
	v_mov_b32_e32 v49, v161
	v_pk_add_f32 v[162:163], v[148:149], v[48:49] neg_lo:[0,1] neg_hi:[0,1]
	v_pk_add_f32 v[48:49], v[148:149], v[48:49]
	v_mov_b32_e32 v150, v151
	v_mov_b32_e32 v148, v49
	v_pk_add_f32 v[164:165], v[148:149], v[50:51] neg_lo:[0,1] neg_hi:[0,1]
	v_mov_b32_e32 v48, v161
	v_mov_b32_e32 v149, v164
	v_pk_add_f32 v[166:167], v[160:161], v[148:149] neg_lo:[0,1] neg_hi:[0,1]
	v_mov_b32_e32 v160, v51
	v_mov_b32_e32 v161, v164
	;; [unrolled: 1-line block ×3, first 2 shown]
	v_pk_add_f32 v[48:49], v[48:49], v[160:161] neg_lo:[0,1] neg_hi:[0,1]
	v_mov_b32_e32 v151, v50
	v_pk_add_f32 v[48:49], v[150:151], v[48:49] neg_lo:[0,1] neg_hi:[0,1]
	v_mov_b32_e32 v166, v162
	v_pk_add_f32 v[50:51], v[166:167], v[48:49]
	s_mov_b32 s62, 0x33800000
	v_mov_b32_e32 v150, v51
	v_pk_add_f32 v[150:151], v[50:51], v[150:151]
	v_cmp_lt_f32_e64 s[62:63], |v176|, s62
	v_pk_add_f32 v[148:149], v[148:149], v[150:151]
	v_mov_b32_e32 v49, v150
	v_mov_b32_e32 v51, v148
	v_pk_add_f32 v[160:161], v[50:51], v[162:163] neg_lo:[0,1] neg_hi:[0,1]
	s_or_b64 vcc, vcc, s[62:63]
	v_sub_f32_e32 v50, v50, v160
	v_pk_add_f32 v[48:49], v[48:49], v[160:161] neg_lo:[0,1] neg_hi:[0,1]
	v_sub_f32_e32 v50, v162, v50
	v_add_f32_e32 v48, v48, v50
	v_add_f32_e32 v48, v48, v49
	;; [unrolled: 1-line block ×3, first 2 shown]
	v_cndmask_b32_e32 v48, v48, v176, vcc
	v_add_f32_e32 v48, v39, v48
.LBB479_131:
	s_or_b64 exec, exec, s[56:57]
	v_bfe_u32 v39, v48, 16, 1
	s_movk_i32 vcc_lo, 0x7fff
	v_add3_u32 v39, v48, v39, vcc_lo
	v_lshrrev_b32_e32 v39, 16, v39
	v_mov_b32_e32 v49, 0x7fc0
	v_cmp_o_f32_e32 vcc, v48, v48
	s_nop 1
	v_cndmask_b32_e32 v39, v49, v39, vcc
	v_and_b32_e32 v49, 0xffff, v39
.LBB479_132:
	s_or_b64 exec, exec, s[60:61]
	s_nop 0
	v_mov_b32_dpp v48, v49 row_shr:2 row_mask:0xf bank_mask:0xf
	v_cmp_lt_u32_e32 vcc, 1, v38
	s_and_saveexec_b64 s[60:61], vcc
	s_cbranch_execz .LBB479_136
; %bb.133:
	v_lshlrev_b32_e32 v39, 16, v48
	v_lshlrev_b32_e32 v38, 16, v49
	v_max_f32_e32 v49, v38, v38
	v_max_f32_e32 v50, v39, v39
	v_min_f32_e32 v48, v50, v49
	v_cmp_u_f32_e32 vcc, v39, v39
	v_max_f32_e32 v49, v50, v49
	v_cmp_u_f32_e64 s[56:57], v38, v38
	v_cndmask_b32_e32 v48, v48, v39, vcc
	v_cndmask_b32_e32 v49, v49, v39, vcc
	v_cndmask_b32_e64 v48, v48, v38, s[56:57]
	v_cndmask_b32_e64 v38, v49, v38, s[56:57]
	s_movk_i32 s56, 0x1f8
	v_cmp_neq_f32_e32 vcc, v48, v38
	v_cmp_class_f32_e64 s[56:57], v48, s56
	s_or_b64 vcc, vcc, s[56:57]
	s_and_saveexec_b64 s[56:57], vcc
	s_cbranch_execz .LBB479_135
; %bb.134:
	v_sub_f32_e32 v39, v48, v38
	s_mov_b32 s62, 0x3fb8aa3b
	v_mul_f32_e32 v48, 0x3fb8aa3b, v39
	v_fma_f32 v49, v39, s62, -v48
	v_rndne_f32_e32 v50, v48
	v_fmamk_f32 v49, v39, 0x32a5705f, v49
	v_sub_f32_e32 v48, v48, v50
	v_add_f32_e32 v48, v48, v49
	v_exp_f32_e32 v48, v48
	v_cvt_i32_f32_e32 v49, v50
	s_mov_b32 s62, 0xc2ce8ed0
	v_cmp_ngt_f32_e32 vcc, s62, v39
	s_mov_b32 s62, 0x42b17218
	v_ldexp_f32 v48, v48, v49
	v_cndmask_b32_e32 v48, 0, v48, vcc
	v_mov_b32_e32 v49, 0x7f800000
	v_cmp_nlt_f32_e32 vcc, s62, v39
	s_mov_b32 s62, 0x3f2aaaab
	s_mov_b32 s63, 0x7f800000
	v_cndmask_b32_e32 v176, v49, v48, vcc
	v_add_f32_e32 v39, 1.0, v176
	v_add_f32_e32 v48, -1.0, v39
	v_sub_f32_e32 v49, v48, v39
	v_add_f32_e32 v49, 1.0, v49
	v_sub_f32_e32 v48, v176, v48
	v_add_f32_e32 v50, v48, v49
	v_frexp_mant_f32_e32 v51, v39
	v_cvt_f64_f32_e32 v[48:49], v39
	v_frexp_exp_i32_f64_e32 v48, v[48:49]
	v_cmp_gt_f32_e32 vcc, s62, v51
	s_mov_b32 s62, 0x3f317218
	s_nop 0
	v_subbrev_co_u32_e32 v160, vcc, 0, v48, vcc
	v_sub_u32_e32 v48, 0, v160
	v_ldexp_f32 v39, v39, v48
	v_ldexp_f32 v48, v50, v48
	v_add_f32_e32 v50, -1.0, v39
	v_add_f32_e32 v49, 1.0, v50
	v_sub_f32_e32 v49, v39, v49
	v_add_f32_e32 v51, v48, v49
	v_add_f32_e32 v49, 1.0, v39
	v_add_f32_e32 v148, -1.0, v49
	v_sub_f32_e32 v39, v39, v148
	v_add_f32_e32 v39, v48, v39
	v_add_f32_e32 v161, v49, v39
	v_rcp_f32_e32 v162, v161
	v_sub_f32_e32 v48, v49, v161
	v_add_f32_e32 v49, v50, v51
	v_add_f32_e32 v39, v39, v48
	v_mul_f32_e32 v164, v49, v162
	v_sub_f32_e32 v48, v50, v49
	v_mul_f32_e32 v50, v161, v164
	v_fma_f32 v148, v164, v161, -v50
	v_fmac_f32_e32 v148, v164, v39
	v_add_f32_e32 v163, v51, v48
	v_add_f32_e32 v48, v50, v148
	v_sub_f32_e32 v51, v49, v48
	v_pk_add_f32 v[150:151], v[48:49], v[50:51] neg_lo:[0,1] neg_hi:[0,1]
	v_mov_b32_e32 v149, v48
	v_pk_add_f32 v[48:49], v[150:151], v[148:149] neg_lo:[0,1] neg_hi:[0,1]
	v_cmp_eq_f32_e32 vcc, s63, v176
	v_add_f32_e32 v49, v163, v49
	v_add_f32_e32 v48, v48, v49
	v_add_f32_e32 v49, v51, v48
	v_mul_f32_e32 v163, v162, v49
	v_mul_f32_e32 v50, v161, v163
	v_fma_f32 v148, v163, v161, -v50
	v_fmac_f32_e32 v148, v163, v39
	v_sub_f32_e32 v39, v51, v49
	v_add_f32_e32 v39, v48, v39
	v_add_f32_e32 v48, v50, v148
	v_sub_f32_e32 v51, v49, v48
	v_pk_add_f32 v[150:151], v[48:49], v[50:51] neg_lo:[0,1] neg_hi:[0,1]
	v_mov_b32_e32 v149, v48
	v_pk_add_f32 v[48:49], v[150:151], v[148:149] neg_lo:[0,1] neg_hi:[0,1]
	v_cvt_f32_i32_e32 v50, v160
	v_add_f32_e32 v39, v39, v49
	v_add_f32_e32 v39, v48, v39
	;; [unrolled: 1-line block ×4, first 2 shown]
	v_sub_f32_e32 v49, v48, v164
	v_mul_f32_e32 v39, v162, v39
	v_sub_f32_e32 v49, v163, v49
	v_add_f32_e32 v39, v49, v39
	v_add_f32_e32 v51, v48, v39
	v_mul_f32_e32 v148, v51, v51
	v_mov_b32_e32 v49, 0x3ecc95a3
	v_fmac_f32_e32 v49, 0x3e9b6dac, v148
	v_sub_f32_e32 v48, v51, v48
	v_fmaak_f32 v49, v148, v49, 0x3f2aaada
	v_sub_f32_e32 v39, v39, v48
	v_ldexp_f32 v149, v51, 1
	v_mul_f32_e32 v51, v51, v148
	v_mov_b32_e32 v48, 0x3f317218
	v_pk_mul_f32 v[48:49], v[50:51], v[48:49]
	v_ldexp_f32 v39, v39, 1
	v_fma_f32 v51, v50, s62, -v48
	v_fmamk_f32 v148, v50, 0xb102e308, v51
	v_pk_add_f32 v[50:51], v[48:49], v[148:149]
	v_mov_b32_e32 v150, v48
	v_sub_f32_e32 v149, v51, v149
	v_sub_f32_e32 v149, v49, v149
	v_add_f32_e32 v151, v39, v149
	v_pk_add_f32 v[48:49], v[50:51], v[48:49] neg_lo:[0,1] neg_hi:[0,1]
	v_pk_add_f32 v[160:161], v[50:51], v[150:151]
	v_mov_b32_e32 v149, v50
	v_mov_b32_e32 v49, v161
	v_pk_add_f32 v[162:163], v[148:149], v[48:49] neg_lo:[0,1] neg_hi:[0,1]
	v_pk_add_f32 v[48:49], v[148:149], v[48:49]
	v_mov_b32_e32 v150, v151
	v_mov_b32_e32 v148, v49
	v_pk_add_f32 v[164:165], v[148:149], v[50:51] neg_lo:[0,1] neg_hi:[0,1]
	v_mov_b32_e32 v48, v161
	v_mov_b32_e32 v39, v164
	v_pk_add_f32 v[166:167], v[160:161], v[38:39] neg_lo:[0,1] neg_hi:[0,1]
	v_mov_b32_e32 v160, v51
	v_mov_b32_e32 v161, v164
	v_mov_b32_e32 v163, v49
	v_pk_add_f32 v[48:49], v[48:49], v[160:161] neg_lo:[0,1] neg_hi:[0,1]
	v_mov_b32_e32 v151, v50
	v_pk_add_f32 v[48:49], v[150:151], v[48:49] neg_lo:[0,1] neg_hi:[0,1]
	v_mov_b32_e32 v166, v162
	v_pk_add_f32 v[50:51], v[166:167], v[48:49]
	s_mov_b32 s62, 0x33800000
	v_mov_b32_e32 v150, v51
	v_pk_add_f32 v[150:151], v[50:51], v[150:151]
	v_cmp_lt_f32_e64 s[62:63], |v176|, s62
	v_pk_add_f32 v[148:149], v[148:149], v[150:151]
	v_mov_b32_e32 v49, v150
	v_mov_b32_e32 v51, v148
	v_pk_add_f32 v[160:161], v[50:51], v[162:163] neg_lo:[0,1] neg_hi:[0,1]
	s_or_b64 vcc, vcc, s[62:63]
	v_sub_f32_e32 v39, v50, v160
	v_pk_add_f32 v[48:49], v[48:49], v[160:161] neg_lo:[0,1] neg_hi:[0,1]
	v_sub_f32_e32 v39, v162, v39
	v_add_f32_e32 v39, v48, v39
	v_add_f32_e32 v39, v39, v49
	;; [unrolled: 1-line block ×3, first 2 shown]
	v_cndmask_b32_e32 v39, v39, v176, vcc
	v_add_f32_e32 v39, v38, v39
.LBB479_135:
	s_or_b64 exec, exec, s[56:57]
	v_bfe_u32 v38, v39, 16, 1
	s_movk_i32 vcc_lo, 0x7fff
	v_add3_u32 v38, v39, v38, vcc_lo
	v_lshrrev_b32_e32 v38, 16, v38
	v_mov_b32_e32 v48, 0x7fc0
	v_cmp_o_f32_e32 vcc, v39, v39
	s_nop 1
	v_cndmask_b32_e32 v39, v48, v38, vcc
.LBB479_136:
	s_or_b64 exec, exec, s[60:61]
	ds_write_b16 v0, v39
.LBB479_137:
	s_or_b64 exec, exec, s[58:59]
	v_cmp_gt_u32_e32 vcc, 64, v32
	v_cmp_lt_u32_e64 s[56:57], 63, v32
	s_waitcnt lgkmcnt(0)
	s_barrier
	s_waitcnt lgkmcnt(0)
                                        ; implicit-def: $vgpr148
	s_and_saveexec_b64 s[60:61], s[56:57]
	s_cbranch_execz .LBB479_141
; %bb.138:
	v_lshl_add_u32 v30, v30, 1, -2
	ds_read_u16 v148, v30
	v_lshlrev_b32_e32 v30, 16, v31
	v_max_f32_e32 v39, v30, v30
	v_cmp_u_f32_e64 s[58:59], v30, v30
	s_waitcnt lgkmcnt(0)
	v_lshlrev_b32_e32 v31, 16, v148
	v_max_f32_e32 v48, v31, v31
	v_min_f32_e32 v38, v48, v39
	v_cmp_u_f32_e64 s[56:57], v31, v31
	v_max_f32_e32 v39, v48, v39
	s_nop 0
	v_cndmask_b32_e64 v38, v38, v31, s[56:57]
	v_cndmask_b32_e64 v39, v39, v31, s[56:57]
	;; [unrolled: 1-line block ×4, first 2 shown]
	s_movk_i32 s58, 0x1f8
	v_cmp_neq_f32_e64 s[56:57], v38, v30
	v_cmp_class_f32_e64 s[58:59], v38, s58
	s_or_b64 s[56:57], s[56:57], s[58:59]
	s_and_saveexec_b64 s[58:59], s[56:57]
	s_cbranch_execz .LBB479_140
; %bb.139:
	v_sub_f32_e32 v31, v38, v30
	s_mov_b32 s56, 0x3fb8aa3b
	v_mul_f32_e32 v38, 0x3fb8aa3b, v31
	v_fma_f32 v39, v31, s56, -v38
	v_rndne_f32_e32 v48, v38
	v_fmamk_f32 v39, v31, 0x32a5705f, v39
	v_sub_f32_e32 v38, v38, v48
	v_add_f32_e32 v38, v38, v39
	v_exp_f32_e32 v38, v38
	v_cvt_i32_f32_e32 v39, v48
	s_mov_b32 s56, 0xc2ce8ed0
	v_cmp_ngt_f32_e64 s[56:57], s56, v31
	s_mov_b32 s62, 0x7f800000
	v_ldexp_f32 v38, v38, v39
	v_cndmask_b32_e64 v38, 0, v38, s[56:57]
	s_mov_b32 s56, 0x42b17218
	v_mov_b32_e32 v39, 0x7f800000
	v_cmp_nlt_f32_e64 s[56:57], s56, v31
	s_nop 1
	v_cndmask_b32_e64 v149, v39, v38, s[56:57]
	v_add_f32_e32 v31, 1.0, v149
	v_add_f32_e32 v38, -1.0, v31
	v_sub_f32_e32 v39, v38, v31
	v_add_f32_e32 v39, 1.0, v39
	v_sub_f32_e32 v38, v149, v38
	v_add_f32_e32 v48, v38, v39
	v_frexp_mant_f32_e32 v49, v31
	s_mov_b32 s56, 0x3f2aaaab
	v_cvt_f64_f32_e32 v[38:39], v31
	v_frexp_exp_i32_f64_e32 v38, v[38:39]
	v_cmp_gt_f32_e64 s[56:57], s56, v49
	s_nop 1
	v_subbrev_co_u32_e64 v160, s[56:57], 0, v38, s[56:57]
	v_sub_u32_e32 v38, 0, v160
	v_ldexp_f32 v31, v31, v38
	v_ldexp_f32 v38, v48, v38
	v_add_f32_e32 v48, -1.0, v31
	v_add_f32_e32 v39, 1.0, v48
	v_sub_f32_e32 v39, v31, v39
	v_add_f32_e32 v49, v38, v39
	v_add_f32_e32 v39, 1.0, v31
	v_add_f32_e32 v50, -1.0, v39
	v_sub_f32_e32 v31, v31, v50
	v_add_f32_e32 v31, v38, v31
	v_add_f32_e32 v161, v39, v31
	v_rcp_f32_e32 v162, v161
	v_sub_f32_e32 v38, v39, v161
	v_add_f32_e32 v39, v48, v49
	v_add_f32_e32 v31, v31, v38
	v_mul_f32_e32 v164, v39, v162
	v_sub_f32_e32 v38, v48, v39
	v_mul_f32_e32 v48, v161, v164
	v_fma_f32 v50, v164, v161, -v48
	v_fmac_f32_e32 v50, v164, v31
	v_add_f32_e32 v163, v49, v38
	v_add_f32_e32 v38, v48, v50
	v_sub_f32_e32 v49, v39, v38
	v_pk_add_f32 v[150:151], v[38:39], v[48:49] neg_lo:[0,1] neg_hi:[0,1]
	v_mov_b32_e32 v51, v38
	v_pk_add_f32 v[38:39], v[150:151], v[50:51] neg_lo:[0,1] neg_hi:[0,1]
	s_mov_b32 s56, 0x3f317218
	v_add_f32_e32 v39, v163, v39
	v_add_f32_e32 v38, v38, v39
	;; [unrolled: 1-line block ×3, first 2 shown]
	v_mul_f32_e32 v163, v162, v39
	v_mul_f32_e32 v48, v161, v163
	v_fma_f32 v50, v163, v161, -v48
	v_fmac_f32_e32 v50, v163, v31
	v_sub_f32_e32 v31, v49, v39
	v_add_f32_e32 v31, v38, v31
	v_add_f32_e32 v38, v48, v50
	v_sub_f32_e32 v49, v39, v38
	v_pk_add_f32 v[150:151], v[38:39], v[48:49] neg_lo:[0,1] neg_hi:[0,1]
	v_mov_b32_e32 v51, v38
	v_pk_add_f32 v[38:39], v[150:151], v[50:51] neg_lo:[0,1] neg_hi:[0,1]
	v_cvt_f32_i32_e32 v48, v160
	v_add_f32_e32 v31, v31, v39
	v_add_f32_e32 v31, v38, v31
	;; [unrolled: 1-line block ×4, first 2 shown]
	v_sub_f32_e32 v39, v38, v164
	v_mul_f32_e32 v31, v162, v31
	v_sub_f32_e32 v39, v163, v39
	v_add_f32_e32 v31, v39, v31
	v_add_f32_e32 v49, v38, v31
	v_mul_f32_e32 v50, v49, v49
	v_mov_b32_e32 v39, 0x3ecc95a3
	v_fmac_f32_e32 v39, 0x3e9b6dac, v50
	v_sub_f32_e32 v38, v49, v38
	v_fmaak_f32 v39, v50, v39, 0x3f2aaada
	v_sub_f32_e32 v31, v31, v38
	v_ldexp_f32 v51, v49, 1
	v_mul_f32_e32 v49, v49, v50
	v_mov_b32_e32 v38, 0x3f317218
	v_pk_mul_f32 v[38:39], v[48:49], v[38:39]
	v_ldexp_f32 v31, v31, 1
	v_fma_f32 v49, v48, s56, -v38
	v_fmamk_f32 v50, v48, 0xb102e308, v49
	v_pk_add_f32 v[48:49], v[38:39], v[50:51]
	v_mov_b32_e32 v150, v38
	v_sub_f32_e32 v51, v49, v51
	v_sub_f32_e32 v51, v39, v51
	v_add_f32_e32 v151, v31, v51
	v_pk_add_f32 v[38:39], v[48:49], v[38:39] neg_lo:[0,1] neg_hi:[0,1]
	v_pk_add_f32 v[160:161], v[48:49], v[150:151]
	v_mov_b32_e32 v51, v48
	v_mov_b32_e32 v39, v161
	v_pk_add_f32 v[162:163], v[50:51], v[38:39] neg_lo:[0,1] neg_hi:[0,1]
	v_pk_add_f32 v[38:39], v[50:51], v[38:39]
	v_mov_b32_e32 v150, v151
	v_mov_b32_e32 v50, v39
	v_pk_add_f32 v[164:165], v[50:51], v[48:49] neg_lo:[0,1] neg_hi:[0,1]
	v_mov_b32_e32 v38, v161
	v_mov_b32_e32 v31, v164
	v_pk_add_f32 v[166:167], v[160:161], v[30:31] neg_lo:[0,1] neg_hi:[0,1]
	v_mov_b32_e32 v160, v49
	v_mov_b32_e32 v161, v164
	v_mov_b32_e32 v163, v39
	v_pk_add_f32 v[38:39], v[38:39], v[160:161] neg_lo:[0,1] neg_hi:[0,1]
	v_mov_b32_e32 v151, v48
	v_pk_add_f32 v[38:39], v[150:151], v[38:39] neg_lo:[0,1] neg_hi:[0,1]
	v_mov_b32_e32 v166, v162
	v_pk_add_f32 v[48:49], v[166:167], v[38:39]
	v_cmp_eq_f32_e64 s[56:57], s62, v149
	v_mov_b32_e32 v150, v49
	v_pk_add_f32 v[150:151], v[48:49], v[150:151]
	s_mov_b32 s62, 0x33800000
	v_pk_add_f32 v[50:51], v[50:51], v[150:151]
	v_mov_b32_e32 v39, v150
	v_mov_b32_e32 v49, v50
	v_pk_add_f32 v[160:161], v[48:49], v[162:163] neg_lo:[0,1] neg_hi:[0,1]
	v_cmp_lt_f32_e64 s[62:63], |v149|, s62
	v_sub_f32_e32 v31, v48, v160
	v_pk_add_f32 v[38:39], v[38:39], v[160:161] neg_lo:[0,1] neg_hi:[0,1]
	v_sub_f32_e32 v31, v162, v31
	v_add_f32_e32 v31, v38, v31
	v_add_f32_e32 v31, v31, v39
	;; [unrolled: 1-line block ×3, first 2 shown]
	s_or_b64 s[56:57], s[56:57], s[62:63]
	v_cndmask_b32_e64 v31, v31, v149, s[56:57]
	v_add_f32_e32 v31, v30, v31
.LBB479_140:
	s_or_b64 exec, exec, s[58:59]
	v_bfe_u32 v30, v31, 16, 1
	s_movk_i32 s56, 0x7fff
	v_add3_u32 v30, v31, v30, s56
	v_lshrrev_b32_e32 v30, 16, v30
	v_mov_b32_e32 v38, 0x7fc0
	v_cmp_o_f32_e64 s[56:57], v31, v31
	s_nop 1
	v_cndmask_b32_e64 v31, v38, v30, s[56:57]
.LBB479_141:
	s_or_b64 exec, exec, s[60:61]
	v_and_b32_e32 v30, 0xffff, v31
	v_add_u32_e32 v31, -1, v37
	v_and_b32_e32 v38, 64, v37
	v_cmp_lt_i32_e64 s[56:57], v31, v38
	s_nop 1
	v_cndmask_b32_e64 v31, v31, v37, s[56:57]
	v_lshlrev_b32_e32 v31, 2, v31
	ds_bpermute_b32 v149, v31, v30
	v_cmp_eq_u32_e64 s[56:57], 0, v37
	s_and_saveexec_b64 s[60:61], vcc
	s_cbranch_execz .LBB479_216
; %bb.142:
	v_mov_b32_e32 v49, 0
	ds_read_u16 v150, v49 offset:6
	v_add_u32_e32 v30, 64, v36
	s_and_saveexec_b64 vcc, s[56:57]
	s_cbranch_execz .LBB479_144
; %bb.143:
	v_mov_b32_e32 v31, v49
	v_lshl_add_u64 v[38:39], v[30:31], 2, v[28:29]
	s_waitcnt lgkmcnt(0)
	v_or_b32_e32 v31, 0x10000, v150
	flat_store_dword v[38:39], v31 sc1
.LBB479_144:
	s_or_b64 exec, exec, vcc
	v_xad_u32 v36, v37, -1, v36
	v_add_u32_e32 v48, 64, v36
	v_lshl_add_u64 v[38:39], v[48:49], 2, v[28:29]
	flat_load_dword v50, v[38:39] sc1
	s_waitcnt vmcnt(0) lgkmcnt(0)
	v_lshrrev_b32_e32 v160, 16, v50
	v_cmp_eq_u16_sdwa s[58:59], v160, v49 src0_sel:BYTE_0 src1_sel:DWORD
	s_and_saveexec_b64 vcc, s[58:59]
	s_cbranch_execz .LBB479_150
; %bb.145:
	s_mov_b32 s62, 1
	s_mov_b64 s[58:59], 0
	v_mov_b32_e32 v31, 0
.LBB479_146:                            ; =>This Loop Header: Depth=1
                                        ;     Child Loop BB479_147 Depth 2
	s_max_u32 s63, s62, 1
.LBB479_147:                            ;   Parent Loop BB479_146 Depth=1
                                        ; =>  This Inner Loop Header: Depth=2
	s_add_i32 s63, s63, -1
	s_cmp_eq_u32 s63, 0
	s_sleep 1
	s_cbranch_scc0 .LBB479_147
; %bb.148:                              ;   in Loop: Header=BB479_146 Depth=1
	flat_load_dword v50, v[38:39] sc1
	s_cmp_lt_u32 s62, 32
	s_cselect_b64 s[64:65], -1, 0
	s_cmp_lg_u64 s[64:65], 0
	s_addc_u32 s62, s62, 0
	s_waitcnt vmcnt(0) lgkmcnt(0)
	v_lshrrev_b32_e32 v160, 16, v50
	v_cmp_ne_u16_sdwa s[64:65], v160, v31 src0_sel:BYTE_0 src1_sel:DWORD
	s_or_b64 s[58:59], s[64:65], s[58:59]
	s_andn2_b64 exec, exec, s[58:59]
	s_cbranch_execnz .LBB479_146
; %bb.149:
	s_or_b64 exec, exec, s[58:59]
.LBB479_150:
	s_or_b64 exec, exec, vcc
	v_mov_b32_e32 v31, 2
	v_cmp_eq_u16_sdwa vcc, v160, v31 src0_sel:BYTE_0 src1_sel:DWORD
	v_lshlrev_b64 v[38:39], v37, -1
	v_and_b32_e32 v49, 0xffff, v50
	v_and_b32_e32 v31, vcc_hi, v39
	v_or_b32_e32 v31, 0x80000000, v31
	v_ffbl_b32_e32 v161, v31
	v_and_b32_e32 v31, 63, v37
	v_and_b32_e32 v48, vcc_lo, v38
	v_cmp_ne_u32_e32 vcc, 63, v31
	v_add_u32_e32 v161, 32, v161
	v_ffbl_b32_e32 v48, v48
	v_addc_co_u32_e32 v51, vcc, 0, v37, vcc
	v_lshlrev_b32_e32 v151, 2, v51
	ds_bpermute_b32 v51, v151, v49
	v_min_u32_e32 v48, v48, v161
	v_cmp_lt_u32_e32 vcc, v31, v48
	s_and_saveexec_b64 s[62:63], vcc
	s_cbranch_execz .LBB479_154
; %bb.151:
	s_waitcnt lgkmcnt(0)
	v_lshlrev_b32_e32 v50, 16, v51
	v_lshlrev_b32_e32 v49, 16, v49
	v_max_f32_e32 v161, v49, v49
	v_max_f32_e32 v162, v50, v50
	v_min_f32_e32 v51, v162, v161
	v_cmp_u_f32_e32 vcc, v50, v50
	v_max_f32_e32 v161, v162, v161
	v_cmp_u_f32_e64 s[58:59], v49, v49
	v_cndmask_b32_e32 v51, v51, v50, vcc
	v_cndmask_b32_e32 v161, v161, v50, vcc
	v_cndmask_b32_e64 v51, v51, v49, s[58:59]
	v_cndmask_b32_e64 v49, v161, v49, s[58:59]
	s_movk_i32 s58, 0x1f8
	v_cmp_neq_f32_e32 vcc, v51, v49
	v_cmp_class_f32_e64 s[58:59], v51, s58
	s_or_b64 vcc, vcc, s[58:59]
	s_and_saveexec_b64 s[58:59], vcc
	s_cbranch_execz .LBB479_153
; %bb.152:
	v_sub_f32_e32 v50, v51, v49
	s_mov_b32 s64, 0x3fb8aa3b
	v_mul_f32_e32 v51, 0x3fb8aa3b, v50
	v_fma_f32 v161, v50, s64, -v51
	v_rndne_f32_e32 v162, v51
	v_fmamk_f32 v161, v50, 0x32a5705f, v161
	v_sub_f32_e32 v51, v51, v162
	v_add_f32_e32 v51, v51, v161
	v_exp_f32_e32 v51, v51
	v_cvt_i32_f32_e32 v161, v162
	s_mov_b32 s64, 0xc2ce8ed0
	v_cmp_ngt_f32_e32 vcc, s64, v50
	s_mov_b32 s64, 0x42b17218
	v_ldexp_f32 v51, v51, v161
	v_cndmask_b32_e32 v51, 0, v51, vcc
	v_mov_b32_e32 v161, 0x7f800000
	v_cmp_nlt_f32_e32 vcc, s64, v50
	s_mov_b32 s64, 0x3f2aaaab
	s_mov_b32 s65, 0x7f800000
	v_cndmask_b32_e32 v192, v161, v51, vcc
	v_add_f32_e32 v161, 1.0, v192
	v_add_f32_e32 v50, -1.0, v161
	v_sub_f32_e32 v51, v50, v161
	v_add_f32_e32 v51, 1.0, v51
	v_sub_f32_e32 v50, v192, v50
	v_add_f32_e32 v162, v50, v51
	v_frexp_mant_f32_e32 v163, v161
	v_cvt_f64_f32_e32 v[50:51], v161
	v_frexp_exp_i32_f64_e32 v50, v[50:51]
	v_cmp_gt_f32_e32 vcc, s64, v163
	s_mov_b32 s64, 0x3f317218
	s_nop 0
	v_subbrev_co_u32_e32 v176, vcc, 0, v50, vcc
	v_sub_u32_e32 v50, 0, v176
	v_ldexp_f32 v51, v161, v50
	v_add_f32_e32 v161, -1.0, v51
	v_add_f32_e32 v163, 1.0, v51
	v_ldexp_f32 v50, v162, v50
	v_add_f32_e32 v162, 1.0, v161
	v_add_f32_e32 v164, -1.0, v163
	v_sub_f32_e32 v162, v51, v162
	v_sub_f32_e32 v51, v51, v164
	v_add_f32_e32 v162, v50, v162
	v_add_f32_e32 v50, v50, v51
	;; [unrolled: 1-line block ×3, first 2 shown]
	v_rcp_f32_e32 v179, v177
	v_sub_f32_e32 v51, v163, v177
	v_add_f32_e32 v178, v50, v51
	v_add_f32_e32 v51, v161, v162
	v_sub_f32_e32 v50, v161, v51
	v_mul_f32_e32 v180, v51, v179
	v_add_f32_e32 v161, v162, v50
	v_mul_f32_e32 v162, v177, v180
	v_fma_f32 v164, v180, v177, -v162
	v_fmac_f32_e32 v164, v180, v178
	v_add_f32_e32 v50, v162, v164
	v_sub_f32_e32 v163, v51, v50
	v_pk_add_f32 v[166:167], v[50:51], v[162:163] neg_lo:[0,1] neg_hi:[0,1]
	v_mov_b32_e32 v165, v50
	v_pk_add_f32 v[50:51], v[166:167], v[164:165] neg_lo:[0,1] neg_hi:[0,1]
	v_cmp_eq_f32_e32 vcc, s65, v192
	v_add_f32_e32 v51, v161, v51
	v_add_f32_e32 v50, v50, v51
	;; [unrolled: 1-line block ×3, first 2 shown]
	v_mul_f32_e32 v161, v179, v51
	v_mul_f32_e32 v162, v177, v161
	v_fma_f32 v164, v161, v177, -v162
	v_fmac_f32_e32 v164, v161, v178
	v_sub_f32_e32 v163, v163, v51
	v_add_f32_e32 v177, v50, v163
	v_add_f32_e32 v50, v162, v164
	v_sub_f32_e32 v163, v51, v50
	v_pk_add_f32 v[166:167], v[50:51], v[162:163] neg_lo:[0,1] neg_hi:[0,1]
	v_mov_b32_e32 v165, v50
	v_pk_add_f32 v[50:51], v[166:167], v[164:165] neg_lo:[0,1] neg_hi:[0,1]
	v_cvt_f32_i32_e32 v162, v176
	v_add_f32_e32 v51, v177, v51
	v_add_f32_e32 v50, v50, v51
	;; [unrolled: 1-line block ×4, first 2 shown]
	v_sub_f32_e32 v51, v163, v180
	v_mul_f32_e32 v50, v179, v50
	v_sub_f32_e32 v51, v161, v51
	v_add_f32_e32 v50, v51, v50
	v_add_f32_e32 v161, v163, v50
	v_mul_f32_e32 v164, v161, v161
	v_mov_b32_e32 v51, 0x3ecc95a3
	v_sub_f32_e32 v163, v161, v163
	v_fmac_f32_e32 v51, 0x3e9b6dac, v164
	v_sub_f32_e32 v50, v50, v163
	v_fmaak_f32 v51, v164, v51, 0x3f2aaada
	v_ldexp_f32 v166, v50, 1
	v_mul_f32_e32 v163, v161, v164
	v_mov_b32_e32 v50, 0x3f317218
	v_pk_mul_f32 v[50:51], v[162:163], v[50:51]
	v_ldexp_f32 v165, v161, 1
	v_fma_f32 v161, v162, s64, -v50
	v_fmamk_f32 v164, v162, 0xb102e308, v161
	v_pk_add_f32 v[162:163], v[50:51], v[164:165]
	s_mov_b32 s64, 0x33800000
	v_sub_f32_e32 v161, v163, v165
	v_sub_f32_e32 v161, v51, v161
	v_add_f32_e32 v167, v166, v161
	v_mov_b32_e32 v166, v50
	v_pk_add_f32 v[50:51], v[162:163], v[50:51] neg_lo:[0,1] neg_hi:[0,1]
	v_pk_add_f32 v[176:177], v[162:163], v[166:167]
	v_mov_b32_e32 v165, v162
	v_mov_b32_e32 v51, v177
	v_pk_add_f32 v[178:179], v[164:165], v[50:51] neg_lo:[0,1] neg_hi:[0,1]
	v_pk_add_f32 v[50:51], v[164:165], v[50:51]
	v_mov_b32_e32 v166, v167
	v_mov_b32_e32 v164, v51
	v_pk_add_f32 v[180:181], v[164:165], v[162:163] neg_lo:[0,1] neg_hi:[0,1]
	v_mov_b32_e32 v50, v177
	v_mov_b32_e32 v161, v180
	v_pk_add_f32 v[182:183], v[176:177], v[160:161] neg_lo:[0,1] neg_hi:[0,1]
	v_mov_b32_e32 v176, v163
	v_mov_b32_e32 v177, v180
	v_mov_b32_e32 v179, v51
	v_pk_add_f32 v[50:51], v[50:51], v[176:177] neg_lo:[0,1] neg_hi:[0,1]
	v_mov_b32_e32 v167, v162
	v_pk_add_f32 v[50:51], v[166:167], v[50:51] neg_lo:[0,1] neg_hi:[0,1]
	v_mov_b32_e32 v182, v178
	v_pk_add_f32 v[162:163], v[182:183], v[50:51]
	v_cmp_lt_f32_e64 s[64:65], |v192|, s64
	v_mov_b32_e32 v166, v163
	v_pk_add_f32 v[166:167], v[162:163], v[166:167]
	s_or_b64 vcc, vcc, s[64:65]
	v_pk_add_f32 v[164:165], v[164:165], v[166:167]
	v_mov_b32_e32 v51, v166
	v_mov_b32_e32 v163, v164
	v_pk_add_f32 v[176:177], v[162:163], v[178:179] neg_lo:[0,1] neg_hi:[0,1]
	s_nop 0
	v_sub_f32_e32 v161, v162, v176
	v_pk_add_f32 v[50:51], v[50:51], v[176:177] neg_lo:[0,1] neg_hi:[0,1]
	v_sub_f32_e32 v161, v178, v161
	v_add_f32_e32 v50, v50, v161
	v_add_f32_e32 v50, v50, v51
	;; [unrolled: 1-line block ×3, first 2 shown]
	v_cndmask_b32_e32 v50, v50, v192, vcc
	v_add_f32_e32 v50, v49, v50
.LBB479_153:
	s_or_b64 exec, exec, s[58:59]
	v_bfe_u32 v49, v50, 16, 1
	s_movk_i32 vcc_lo, 0x7fff
	v_add3_u32 v49, v50, v49, vcc_lo
	v_lshrrev_b32_e32 v49, 16, v49
	v_mov_b32_e32 v51, 0x7fc0
	v_cmp_o_f32_e32 vcc, v50, v50
	s_nop 1
	v_cndmask_b32_e32 v50, v51, v49, vcc
	v_and_b32_e32 v49, 0xffff, v50
.LBB479_154:
	s_or_b64 exec, exec, s[62:63]
	v_cmp_gt_u32_e32 vcc, 62, v31
	v_add_u32_e32 v162, 2, v31
	s_waitcnt lgkmcnt(0)
	v_cndmask_b32_e64 v51, 0, 1, vcc
	v_lshlrev_b32_e32 v51, 1, v51
	v_add_lshl_u32 v161, v51, v37, 2
	ds_bpermute_b32 v51, v161, v49
	v_cmp_le_u32_e32 vcc, v162, v48
	s_and_saveexec_b64 s[62:63], vcc
	s_cbranch_execz .LBB479_158
; %bb.155:
	s_waitcnt lgkmcnt(0)
	v_lshlrev_b32_e32 v50, 16, v51
	v_lshlrev_b32_e32 v49, 16, v49
	v_max_f32_e32 v163, v49, v49
	v_max_f32_e32 v164, v50, v50
	v_min_f32_e32 v51, v164, v163
	v_cmp_u_f32_e32 vcc, v50, v50
	v_max_f32_e32 v163, v164, v163
	v_cmp_u_f32_e64 s[58:59], v49, v49
	v_cndmask_b32_e32 v51, v51, v50, vcc
	v_cndmask_b32_e32 v163, v163, v50, vcc
	v_cndmask_b32_e64 v51, v51, v49, s[58:59]
	v_cndmask_b32_e64 v49, v163, v49, s[58:59]
	s_movk_i32 s58, 0x1f8
	v_cmp_neq_f32_e32 vcc, v51, v49
	v_cmp_class_f32_e64 s[58:59], v51, s58
	s_or_b64 vcc, vcc, s[58:59]
	s_and_saveexec_b64 s[58:59], vcc
	s_cbranch_execz .LBB479_157
; %bb.156:
	v_sub_f32_e32 v50, v51, v49
	s_mov_b32 s64, 0x3fb8aa3b
	v_mul_f32_e32 v51, 0x3fb8aa3b, v50
	v_fma_f32 v163, v50, s64, -v51
	v_rndne_f32_e32 v164, v51
	v_fmamk_f32 v163, v50, 0x32a5705f, v163
	v_sub_f32_e32 v51, v51, v164
	v_add_f32_e32 v51, v51, v163
	v_exp_f32_e32 v51, v51
	v_cvt_i32_f32_e32 v163, v164
	s_mov_b32 s64, 0xc2ce8ed0
	v_cmp_ngt_f32_e32 vcc, s64, v50
	s_mov_b32 s64, 0x42b17218
	v_ldexp_f32 v51, v51, v163
	v_cndmask_b32_e32 v51, 0, v51, vcc
	v_mov_b32_e32 v163, 0x7f800000
	v_cmp_nlt_f32_e32 vcc, s64, v50
	s_mov_b32 s64, 0x3f2aaaab
	s_mov_b32 s65, 0x7f800000
	v_cndmask_b32_e32 v194, v163, v51, vcc
	v_add_f32_e32 v163, 1.0, v194
	v_add_f32_e32 v50, -1.0, v163
	v_sub_f32_e32 v51, v50, v163
	v_add_f32_e32 v51, 1.0, v51
	v_sub_f32_e32 v50, v194, v50
	v_add_f32_e32 v164, v50, v51
	v_frexp_mant_f32_e32 v165, v163
	v_cvt_f64_f32_e32 v[50:51], v163
	v_frexp_exp_i32_f64_e32 v50, v[50:51]
	v_cmp_gt_f32_e32 vcc, s64, v165
	s_mov_b32 s64, 0x3f317218
	s_nop 0
	v_subbrev_co_u32_e32 v178, vcc, 0, v50, vcc
	v_sub_u32_e32 v50, 0, v178
	v_ldexp_f32 v51, v163, v50
	v_add_f32_e32 v163, -1.0, v51
	v_add_f32_e32 v165, 1.0, v51
	v_ldexp_f32 v50, v164, v50
	v_add_f32_e32 v164, 1.0, v163
	v_add_f32_e32 v166, -1.0, v165
	v_sub_f32_e32 v164, v51, v164
	v_sub_f32_e32 v51, v51, v166
	v_add_f32_e32 v164, v50, v164
	v_add_f32_e32 v50, v50, v51
	;; [unrolled: 1-line block ×3, first 2 shown]
	v_rcp_f32_e32 v181, v179
	v_sub_f32_e32 v51, v165, v179
	v_add_f32_e32 v180, v50, v51
	v_add_f32_e32 v51, v163, v164
	v_sub_f32_e32 v50, v163, v51
	v_mul_f32_e32 v182, v51, v181
	v_add_f32_e32 v163, v164, v50
	v_mul_f32_e32 v164, v179, v182
	v_fma_f32 v166, v182, v179, -v164
	v_fmac_f32_e32 v166, v182, v180
	v_add_f32_e32 v50, v164, v166
	v_sub_f32_e32 v165, v51, v50
	v_pk_add_f32 v[176:177], v[50:51], v[164:165] neg_lo:[0,1] neg_hi:[0,1]
	v_mov_b32_e32 v167, v50
	v_pk_add_f32 v[50:51], v[176:177], v[166:167] neg_lo:[0,1] neg_hi:[0,1]
	v_cmp_eq_f32_e32 vcc, s65, v194
	v_add_f32_e32 v51, v163, v51
	v_add_f32_e32 v50, v50, v51
	;; [unrolled: 1-line block ×3, first 2 shown]
	v_mul_f32_e32 v163, v181, v51
	v_mul_f32_e32 v164, v179, v163
	v_fma_f32 v166, v163, v179, -v164
	v_fmac_f32_e32 v166, v163, v180
	v_sub_f32_e32 v165, v165, v51
	v_add_f32_e32 v179, v50, v165
	v_add_f32_e32 v50, v164, v166
	v_sub_f32_e32 v165, v51, v50
	v_pk_add_f32 v[176:177], v[50:51], v[164:165] neg_lo:[0,1] neg_hi:[0,1]
	v_mov_b32_e32 v167, v50
	v_pk_add_f32 v[50:51], v[176:177], v[166:167] neg_lo:[0,1] neg_hi:[0,1]
	v_cvt_f32_i32_e32 v164, v178
	v_add_f32_e32 v51, v179, v51
	v_add_f32_e32 v50, v50, v51
	;; [unrolled: 1-line block ×4, first 2 shown]
	v_sub_f32_e32 v51, v165, v182
	v_mul_f32_e32 v50, v181, v50
	v_sub_f32_e32 v51, v163, v51
	v_add_f32_e32 v50, v51, v50
	v_add_f32_e32 v163, v165, v50
	v_mul_f32_e32 v166, v163, v163
	v_mov_b32_e32 v51, 0x3ecc95a3
	v_sub_f32_e32 v165, v163, v165
	v_fmac_f32_e32 v51, 0x3e9b6dac, v166
	v_sub_f32_e32 v50, v50, v165
	v_fmaak_f32 v51, v166, v51, 0x3f2aaada
	v_ldexp_f32 v176, v50, 1
	v_mul_f32_e32 v165, v163, v166
	v_mov_b32_e32 v50, 0x3f317218
	v_pk_mul_f32 v[50:51], v[164:165], v[50:51]
	v_ldexp_f32 v167, v163, 1
	v_fma_f32 v163, v164, s64, -v50
	v_fmamk_f32 v166, v164, 0xb102e308, v163
	v_pk_add_f32 v[164:165], v[50:51], v[166:167]
	s_mov_b32 s64, 0x33800000
	v_sub_f32_e32 v163, v165, v167
	v_sub_f32_e32 v163, v51, v163
	v_add_f32_e32 v177, v176, v163
	v_mov_b32_e32 v176, v50
	v_pk_add_f32 v[50:51], v[164:165], v[50:51] neg_lo:[0,1] neg_hi:[0,1]
	v_pk_add_f32 v[178:179], v[164:165], v[176:177]
	v_mov_b32_e32 v167, v164
	v_mov_b32_e32 v51, v179
	v_pk_add_f32 v[180:181], v[166:167], v[50:51] neg_lo:[0,1] neg_hi:[0,1]
	v_pk_add_f32 v[50:51], v[166:167], v[50:51]
	v_mov_b32_e32 v176, v177
	v_mov_b32_e32 v166, v51
	v_pk_add_f32 v[182:183], v[166:167], v[164:165] neg_lo:[0,1] neg_hi:[0,1]
	v_mov_b32_e32 v50, v179
	v_mov_b32_e32 v163, v182
	v_pk_add_f32 v[192:193], v[178:179], v[162:163] neg_lo:[0,1] neg_hi:[0,1]
	v_mov_b32_e32 v178, v165
	v_mov_b32_e32 v179, v182
	;; [unrolled: 1-line block ×3, first 2 shown]
	v_pk_add_f32 v[50:51], v[50:51], v[178:179] neg_lo:[0,1] neg_hi:[0,1]
	v_mov_b32_e32 v177, v164
	v_pk_add_f32 v[50:51], v[176:177], v[50:51] neg_lo:[0,1] neg_hi:[0,1]
	v_mov_b32_e32 v192, v180
	v_pk_add_f32 v[164:165], v[192:193], v[50:51]
	v_cmp_lt_f32_e64 s[64:65], |v194|, s64
	v_mov_b32_e32 v176, v165
	v_pk_add_f32 v[176:177], v[164:165], v[176:177]
	s_or_b64 vcc, vcc, s[64:65]
	v_pk_add_f32 v[166:167], v[166:167], v[176:177]
	v_mov_b32_e32 v51, v176
	v_mov_b32_e32 v165, v166
	v_pk_add_f32 v[178:179], v[164:165], v[180:181] neg_lo:[0,1] neg_hi:[0,1]
	s_nop 0
	v_sub_f32_e32 v163, v164, v178
	v_pk_add_f32 v[50:51], v[50:51], v[178:179] neg_lo:[0,1] neg_hi:[0,1]
	v_sub_f32_e32 v163, v180, v163
	v_add_f32_e32 v50, v50, v163
	v_add_f32_e32 v50, v50, v51
	;; [unrolled: 1-line block ×3, first 2 shown]
	v_cndmask_b32_e32 v50, v50, v194, vcc
	v_add_f32_e32 v50, v49, v50
.LBB479_157:
	s_or_b64 exec, exec, s[58:59]
	v_bfe_u32 v49, v50, 16, 1
	s_movk_i32 vcc_lo, 0x7fff
	v_add3_u32 v49, v50, v49, vcc_lo
	v_lshrrev_b32_e32 v49, 16, v49
	v_mov_b32_e32 v51, 0x7fc0
	v_cmp_o_f32_e32 vcc, v50, v50
	s_nop 1
	v_cndmask_b32_e32 v50, v51, v49, vcc
	v_and_b32_e32 v49, 0xffff, v50
.LBB479_158:
	s_or_b64 exec, exec, s[62:63]
	v_cmp_gt_u32_e32 vcc, 60, v31
	v_add_u32_e32 v164, 4, v31
	s_waitcnt lgkmcnt(0)
	v_cndmask_b32_e64 v51, 0, 1, vcc
	v_lshlrev_b32_e32 v51, 2, v51
	v_add_lshl_u32 v163, v51, v37, 2
	ds_bpermute_b32 v51, v163, v49
	v_cmp_le_u32_e32 vcc, v164, v48
	s_and_saveexec_b64 s[62:63], vcc
	s_cbranch_execz .LBB479_162
; %bb.159:
	s_waitcnt lgkmcnt(0)
	v_lshlrev_b32_e32 v50, 16, v51
	v_lshlrev_b32_e32 v49, 16, v49
	v_max_f32_e32 v165, v49, v49
	v_max_f32_e32 v166, v50, v50
	v_min_f32_e32 v51, v166, v165
	v_cmp_u_f32_e32 vcc, v50, v50
	v_max_f32_e32 v165, v166, v165
	v_cmp_u_f32_e64 s[58:59], v49, v49
	v_cndmask_b32_e32 v51, v51, v50, vcc
	v_cndmask_b32_e32 v165, v165, v50, vcc
	v_cndmask_b32_e64 v51, v51, v49, s[58:59]
	v_cndmask_b32_e64 v49, v165, v49, s[58:59]
	s_movk_i32 s58, 0x1f8
	v_cmp_neq_f32_e32 vcc, v51, v49
	v_cmp_class_f32_e64 s[58:59], v51, s58
	s_or_b64 vcc, vcc, s[58:59]
	s_and_saveexec_b64 s[58:59], vcc
	s_cbranch_execz .LBB479_161
; %bb.160:
	v_sub_f32_e32 v50, v51, v49
	s_mov_b32 s64, 0x3fb8aa3b
	v_mul_f32_e32 v51, 0x3fb8aa3b, v50
	v_fma_f32 v165, v50, s64, -v51
	v_rndne_f32_e32 v166, v51
	v_fmamk_f32 v165, v50, 0x32a5705f, v165
	v_sub_f32_e32 v51, v51, v166
	v_add_f32_e32 v51, v51, v165
	v_exp_f32_e32 v51, v51
	v_cvt_i32_f32_e32 v165, v166
	s_mov_b32 s64, 0xc2ce8ed0
	v_cmp_ngt_f32_e32 vcc, s64, v50
	s_mov_b32 s64, 0x42b17218
	v_ldexp_f32 v51, v51, v165
	v_cndmask_b32_e32 v51, 0, v51, vcc
	v_mov_b32_e32 v165, 0x7f800000
	v_cmp_nlt_f32_e32 vcc, s64, v50
	s_mov_b32 s64, 0x3f2aaaab
	s_mov_b32 s65, 0x7f800000
	v_cndmask_b32_e32 v196, v165, v51, vcc
	v_add_f32_e32 v165, 1.0, v196
	v_add_f32_e32 v50, -1.0, v165
	v_sub_f32_e32 v51, v50, v165
	v_add_f32_e32 v51, 1.0, v51
	v_sub_f32_e32 v50, v196, v50
	v_add_f32_e32 v166, v50, v51
	v_frexp_mant_f32_e32 v167, v165
	v_cvt_f64_f32_e32 v[50:51], v165
	v_frexp_exp_i32_f64_e32 v50, v[50:51]
	v_cmp_gt_f32_e32 vcc, s64, v167
	s_mov_b32 s64, 0x3f317218
	s_nop 0
	v_subbrev_co_u32_e32 v180, vcc, 0, v50, vcc
	v_sub_u32_e32 v50, 0, v180
	v_ldexp_f32 v51, v165, v50
	v_add_f32_e32 v165, -1.0, v51
	v_add_f32_e32 v167, 1.0, v51
	v_ldexp_f32 v50, v166, v50
	v_add_f32_e32 v166, 1.0, v165
	v_add_f32_e32 v176, -1.0, v167
	v_sub_f32_e32 v166, v51, v166
	v_sub_f32_e32 v51, v51, v176
	v_add_f32_e32 v166, v50, v166
	v_add_f32_e32 v50, v50, v51
	v_add_f32_e32 v181, v167, v50
	v_rcp_f32_e32 v183, v181
	v_sub_f32_e32 v51, v167, v181
	v_add_f32_e32 v182, v50, v51
	v_add_f32_e32 v51, v165, v166
	v_sub_f32_e32 v50, v165, v51
	v_mul_f32_e32 v192, v51, v183
	v_add_f32_e32 v165, v166, v50
	v_mul_f32_e32 v166, v181, v192
	v_fma_f32 v176, v192, v181, -v166
	v_fmac_f32_e32 v176, v192, v182
	v_add_f32_e32 v50, v166, v176
	v_sub_f32_e32 v167, v51, v50
	v_pk_add_f32 v[178:179], v[50:51], v[166:167] neg_lo:[0,1] neg_hi:[0,1]
	v_mov_b32_e32 v177, v50
	v_pk_add_f32 v[50:51], v[178:179], v[176:177] neg_lo:[0,1] neg_hi:[0,1]
	v_cmp_eq_f32_e32 vcc, s65, v196
	v_add_f32_e32 v51, v165, v51
	v_add_f32_e32 v50, v50, v51
	;; [unrolled: 1-line block ×3, first 2 shown]
	v_mul_f32_e32 v165, v183, v51
	v_mul_f32_e32 v166, v181, v165
	v_fma_f32 v176, v165, v181, -v166
	v_fmac_f32_e32 v176, v165, v182
	v_sub_f32_e32 v167, v167, v51
	v_add_f32_e32 v181, v50, v167
	v_add_f32_e32 v50, v166, v176
	v_sub_f32_e32 v167, v51, v50
	v_pk_add_f32 v[178:179], v[50:51], v[166:167] neg_lo:[0,1] neg_hi:[0,1]
	v_mov_b32_e32 v177, v50
	v_pk_add_f32 v[50:51], v[178:179], v[176:177] neg_lo:[0,1] neg_hi:[0,1]
	v_cvt_f32_i32_e32 v166, v180
	v_add_f32_e32 v51, v181, v51
	v_add_f32_e32 v50, v50, v51
	;; [unrolled: 1-line block ×4, first 2 shown]
	v_sub_f32_e32 v51, v167, v192
	v_mul_f32_e32 v50, v183, v50
	v_sub_f32_e32 v51, v165, v51
	v_add_f32_e32 v50, v51, v50
	v_add_f32_e32 v165, v167, v50
	v_mul_f32_e32 v176, v165, v165
	v_mov_b32_e32 v51, 0x3ecc95a3
	v_sub_f32_e32 v167, v165, v167
	v_fmac_f32_e32 v51, 0x3e9b6dac, v176
	v_sub_f32_e32 v50, v50, v167
	v_fmaak_f32 v51, v176, v51, 0x3f2aaada
	v_ldexp_f32 v178, v50, 1
	v_mul_f32_e32 v167, v165, v176
	v_mov_b32_e32 v50, 0x3f317218
	v_pk_mul_f32 v[50:51], v[166:167], v[50:51]
	v_ldexp_f32 v177, v165, 1
	v_fma_f32 v165, v166, s64, -v50
	v_fmamk_f32 v176, v166, 0xb102e308, v165
	v_pk_add_f32 v[166:167], v[50:51], v[176:177]
	s_mov_b32 s64, 0x33800000
	v_sub_f32_e32 v165, v167, v177
	v_sub_f32_e32 v165, v51, v165
	v_add_f32_e32 v179, v178, v165
	v_mov_b32_e32 v178, v50
	v_pk_add_f32 v[50:51], v[166:167], v[50:51] neg_lo:[0,1] neg_hi:[0,1]
	v_pk_add_f32 v[180:181], v[166:167], v[178:179]
	v_mov_b32_e32 v177, v166
	v_mov_b32_e32 v51, v181
	v_pk_add_f32 v[182:183], v[176:177], v[50:51] neg_lo:[0,1] neg_hi:[0,1]
	v_pk_add_f32 v[50:51], v[176:177], v[50:51]
	v_mov_b32_e32 v178, v179
	v_mov_b32_e32 v176, v51
	v_pk_add_f32 v[192:193], v[176:177], v[166:167] neg_lo:[0,1] neg_hi:[0,1]
	v_mov_b32_e32 v50, v181
	v_mov_b32_e32 v165, v192
	v_pk_add_f32 v[194:195], v[180:181], v[164:165] neg_lo:[0,1] neg_hi:[0,1]
	v_mov_b32_e32 v180, v167
	v_mov_b32_e32 v181, v192
	;; [unrolled: 1-line block ×3, first 2 shown]
	v_pk_add_f32 v[50:51], v[50:51], v[180:181] neg_lo:[0,1] neg_hi:[0,1]
	v_mov_b32_e32 v179, v166
	v_pk_add_f32 v[50:51], v[178:179], v[50:51] neg_lo:[0,1] neg_hi:[0,1]
	v_mov_b32_e32 v194, v182
	v_pk_add_f32 v[166:167], v[194:195], v[50:51]
	v_cmp_lt_f32_e64 s[64:65], |v196|, s64
	v_mov_b32_e32 v178, v167
	v_pk_add_f32 v[178:179], v[166:167], v[178:179]
	s_or_b64 vcc, vcc, s[64:65]
	v_pk_add_f32 v[176:177], v[176:177], v[178:179]
	v_mov_b32_e32 v51, v178
	v_mov_b32_e32 v167, v176
	v_pk_add_f32 v[180:181], v[166:167], v[182:183] neg_lo:[0,1] neg_hi:[0,1]
	s_nop 0
	v_sub_f32_e32 v165, v166, v180
	v_pk_add_f32 v[50:51], v[50:51], v[180:181] neg_lo:[0,1] neg_hi:[0,1]
	v_sub_f32_e32 v165, v182, v165
	v_add_f32_e32 v50, v50, v165
	v_add_f32_e32 v50, v50, v51
	;; [unrolled: 1-line block ×3, first 2 shown]
	v_cndmask_b32_e32 v50, v50, v196, vcc
	v_add_f32_e32 v50, v49, v50
.LBB479_161:
	s_or_b64 exec, exec, s[58:59]
	v_bfe_u32 v49, v50, 16, 1
	s_movk_i32 vcc_lo, 0x7fff
	v_add3_u32 v49, v50, v49, vcc_lo
	v_lshrrev_b32_e32 v49, 16, v49
	v_mov_b32_e32 v51, 0x7fc0
	v_cmp_o_f32_e32 vcc, v50, v50
	s_nop 1
	v_cndmask_b32_e32 v50, v51, v49, vcc
	v_and_b32_e32 v49, 0xffff, v50
.LBB479_162:
	s_or_b64 exec, exec, s[62:63]
	v_cmp_gt_u32_e32 vcc, 56, v31
	v_add_u32_e32 v166, 8, v31
	s_waitcnt lgkmcnt(0)
	v_cndmask_b32_e64 v51, 0, 1, vcc
	v_lshlrev_b32_e32 v51, 3, v51
	v_add_lshl_u32 v165, v51, v37, 2
	ds_bpermute_b32 v51, v165, v49
	v_cmp_le_u32_e32 vcc, v166, v48
	s_and_saveexec_b64 s[62:63], vcc
	s_cbranch_execz .LBB479_166
; %bb.163:
	s_waitcnt lgkmcnt(0)
	v_lshlrev_b32_e32 v50, 16, v51
	v_lshlrev_b32_e32 v49, 16, v49
	v_max_f32_e32 v167, v49, v49
	v_max_f32_e32 v176, v50, v50
	v_min_f32_e32 v51, v176, v167
	v_cmp_u_f32_e32 vcc, v50, v50
	v_max_f32_e32 v167, v176, v167
	v_cmp_u_f32_e64 s[58:59], v49, v49
	v_cndmask_b32_e32 v51, v51, v50, vcc
	v_cndmask_b32_e32 v167, v167, v50, vcc
	v_cndmask_b32_e64 v51, v51, v49, s[58:59]
	v_cndmask_b32_e64 v49, v167, v49, s[58:59]
	s_movk_i32 s58, 0x1f8
	v_cmp_neq_f32_e32 vcc, v51, v49
	v_cmp_class_f32_e64 s[58:59], v51, s58
	s_or_b64 vcc, vcc, s[58:59]
	s_and_saveexec_b64 s[58:59], vcc
	s_cbranch_execz .LBB479_165
; %bb.164:
	v_sub_f32_e32 v50, v51, v49
	s_mov_b32 s64, 0x3fb8aa3b
	v_mul_f32_e32 v51, 0x3fb8aa3b, v50
	v_fma_f32 v167, v50, s64, -v51
	v_rndne_f32_e32 v176, v51
	v_fmamk_f32 v167, v50, 0x32a5705f, v167
	v_sub_f32_e32 v51, v51, v176
	v_add_f32_e32 v51, v51, v167
	v_exp_f32_e32 v51, v51
	v_cvt_i32_f32_e32 v167, v176
	s_mov_b32 s64, 0xc2ce8ed0
	v_cmp_ngt_f32_e32 vcc, s64, v50
	s_mov_b32 s64, 0x42b17218
	v_ldexp_f32 v51, v51, v167
	v_cndmask_b32_e32 v51, 0, v51, vcc
	v_mov_b32_e32 v167, 0x7f800000
	v_cmp_nlt_f32_e32 vcc, s64, v50
	s_mov_b32 s64, 0x3f2aaaab
	s_mov_b32 s65, 0x7f800000
	v_cndmask_b32_e32 v198, v167, v51, vcc
	v_add_f32_e32 v167, 1.0, v198
	v_add_f32_e32 v50, -1.0, v167
	v_sub_f32_e32 v51, v50, v167
	v_add_f32_e32 v51, 1.0, v51
	v_sub_f32_e32 v50, v198, v50
	v_add_f32_e32 v176, v50, v51
	v_frexp_mant_f32_e32 v177, v167
	v_cvt_f64_f32_e32 v[50:51], v167
	v_frexp_exp_i32_f64_e32 v50, v[50:51]
	v_cmp_gt_f32_e32 vcc, s64, v177
	s_mov_b32 s64, 0x3f317218
	s_nop 0
	v_subbrev_co_u32_e32 v182, vcc, 0, v50, vcc
	v_sub_u32_e32 v50, 0, v182
	v_ldexp_f32 v51, v167, v50
	v_add_f32_e32 v167, -1.0, v51
	v_add_f32_e32 v177, 1.0, v51
	v_ldexp_f32 v50, v176, v50
	v_add_f32_e32 v176, 1.0, v167
	v_add_f32_e32 v178, -1.0, v177
	v_sub_f32_e32 v176, v51, v176
	v_sub_f32_e32 v51, v51, v178
	v_add_f32_e32 v176, v50, v176
	v_add_f32_e32 v50, v50, v51
	;; [unrolled: 1-line block ×3, first 2 shown]
	v_rcp_f32_e32 v193, v183
	v_sub_f32_e32 v51, v177, v183
	v_add_f32_e32 v192, v50, v51
	v_add_f32_e32 v51, v167, v176
	v_sub_f32_e32 v50, v167, v51
	v_mul_f32_e32 v194, v51, v193
	v_add_f32_e32 v167, v176, v50
	v_mul_f32_e32 v176, v183, v194
	v_fma_f32 v178, v194, v183, -v176
	v_fmac_f32_e32 v178, v194, v192
	v_add_f32_e32 v50, v176, v178
	v_sub_f32_e32 v177, v51, v50
	v_pk_add_f32 v[180:181], v[50:51], v[176:177] neg_lo:[0,1] neg_hi:[0,1]
	v_mov_b32_e32 v179, v50
	v_pk_add_f32 v[50:51], v[180:181], v[178:179] neg_lo:[0,1] neg_hi:[0,1]
	v_cmp_eq_f32_e32 vcc, s65, v198
	v_add_f32_e32 v51, v167, v51
	v_add_f32_e32 v50, v50, v51
	;; [unrolled: 1-line block ×3, first 2 shown]
	v_mul_f32_e32 v167, v193, v51
	v_mul_f32_e32 v176, v183, v167
	v_fma_f32 v178, v167, v183, -v176
	v_fmac_f32_e32 v178, v167, v192
	v_sub_f32_e32 v177, v177, v51
	v_add_f32_e32 v183, v50, v177
	v_add_f32_e32 v50, v176, v178
	v_sub_f32_e32 v177, v51, v50
	v_pk_add_f32 v[180:181], v[50:51], v[176:177] neg_lo:[0,1] neg_hi:[0,1]
	v_mov_b32_e32 v179, v50
	v_pk_add_f32 v[50:51], v[180:181], v[178:179] neg_lo:[0,1] neg_hi:[0,1]
	v_cvt_f32_i32_e32 v176, v182
	v_add_f32_e32 v51, v183, v51
	v_add_f32_e32 v50, v50, v51
	;; [unrolled: 1-line block ×4, first 2 shown]
	v_sub_f32_e32 v51, v177, v194
	v_mul_f32_e32 v50, v193, v50
	v_sub_f32_e32 v51, v167, v51
	v_add_f32_e32 v50, v51, v50
	v_add_f32_e32 v167, v177, v50
	v_mul_f32_e32 v178, v167, v167
	v_mov_b32_e32 v51, 0x3ecc95a3
	v_sub_f32_e32 v177, v167, v177
	v_fmac_f32_e32 v51, 0x3e9b6dac, v178
	v_sub_f32_e32 v50, v50, v177
	v_fmaak_f32 v51, v178, v51, 0x3f2aaada
	v_ldexp_f32 v180, v50, 1
	v_mul_f32_e32 v177, v167, v178
	v_mov_b32_e32 v50, 0x3f317218
	v_pk_mul_f32 v[50:51], v[176:177], v[50:51]
	v_ldexp_f32 v179, v167, 1
	v_fma_f32 v167, v176, s64, -v50
	v_fmamk_f32 v178, v176, 0xb102e308, v167
	v_pk_add_f32 v[176:177], v[50:51], v[178:179]
	s_mov_b32 s64, 0x33800000
	v_sub_f32_e32 v167, v177, v179
	v_sub_f32_e32 v167, v51, v167
	v_add_f32_e32 v181, v180, v167
	v_mov_b32_e32 v180, v50
	v_pk_add_f32 v[50:51], v[176:177], v[50:51] neg_lo:[0,1] neg_hi:[0,1]
	v_pk_add_f32 v[182:183], v[176:177], v[180:181]
	v_mov_b32_e32 v179, v176
	v_mov_b32_e32 v51, v183
	v_pk_add_f32 v[192:193], v[178:179], v[50:51] neg_lo:[0,1] neg_hi:[0,1]
	v_pk_add_f32 v[50:51], v[178:179], v[50:51]
	v_mov_b32_e32 v180, v181
	v_mov_b32_e32 v178, v51
	v_pk_add_f32 v[194:195], v[178:179], v[176:177] neg_lo:[0,1] neg_hi:[0,1]
	v_mov_b32_e32 v50, v183
	v_mov_b32_e32 v167, v194
	v_pk_add_f32 v[196:197], v[182:183], v[166:167] neg_lo:[0,1] neg_hi:[0,1]
	v_mov_b32_e32 v182, v177
	v_mov_b32_e32 v183, v194
	;; [unrolled: 1-line block ×3, first 2 shown]
	v_pk_add_f32 v[50:51], v[50:51], v[182:183] neg_lo:[0,1] neg_hi:[0,1]
	v_mov_b32_e32 v181, v176
	v_pk_add_f32 v[50:51], v[180:181], v[50:51] neg_lo:[0,1] neg_hi:[0,1]
	v_mov_b32_e32 v196, v192
	v_pk_add_f32 v[176:177], v[196:197], v[50:51]
	v_cmp_lt_f32_e64 s[64:65], |v198|, s64
	v_mov_b32_e32 v180, v177
	v_pk_add_f32 v[180:181], v[176:177], v[180:181]
	s_or_b64 vcc, vcc, s[64:65]
	v_pk_add_f32 v[178:179], v[178:179], v[180:181]
	v_mov_b32_e32 v51, v180
	v_mov_b32_e32 v177, v178
	v_pk_add_f32 v[182:183], v[176:177], v[192:193] neg_lo:[0,1] neg_hi:[0,1]
	s_nop 0
	v_sub_f32_e32 v167, v176, v182
	v_pk_add_f32 v[50:51], v[50:51], v[182:183] neg_lo:[0,1] neg_hi:[0,1]
	v_sub_f32_e32 v167, v192, v167
	v_add_f32_e32 v50, v50, v167
	v_add_f32_e32 v50, v50, v51
	;; [unrolled: 1-line block ×3, first 2 shown]
	v_cndmask_b32_e32 v50, v50, v198, vcc
	v_add_f32_e32 v50, v49, v50
.LBB479_165:
	s_or_b64 exec, exec, s[58:59]
	v_bfe_u32 v49, v50, 16, 1
	s_movk_i32 vcc_lo, 0x7fff
	v_add3_u32 v49, v50, v49, vcc_lo
	v_lshrrev_b32_e32 v49, 16, v49
	v_mov_b32_e32 v51, 0x7fc0
	v_cmp_o_f32_e32 vcc, v50, v50
	s_nop 1
	v_cndmask_b32_e32 v50, v51, v49, vcc
	v_and_b32_e32 v49, 0xffff, v50
.LBB479_166:
	s_or_b64 exec, exec, s[62:63]
	v_cmp_gt_u32_e32 vcc, 48, v31
	v_add_u32_e32 v176, 16, v31
	s_waitcnt lgkmcnt(0)
	v_cndmask_b32_e64 v51, 0, 1, vcc
	v_lshlrev_b32_e32 v51, 4, v51
	v_add_lshl_u32 v167, v51, v37, 2
	ds_bpermute_b32 v51, v167, v49
	v_cmp_le_u32_e32 vcc, v176, v48
	s_and_saveexec_b64 s[62:63], vcc
	s_cbranch_execz .LBB479_170
; %bb.167:
	s_waitcnt lgkmcnt(0)
	v_lshlrev_b32_e32 v50, 16, v51
	v_lshlrev_b32_e32 v49, 16, v49
	v_max_f32_e32 v177, v49, v49
	v_max_f32_e32 v178, v50, v50
	v_min_f32_e32 v51, v178, v177
	v_cmp_u_f32_e32 vcc, v50, v50
	v_max_f32_e32 v177, v178, v177
	v_cmp_u_f32_e64 s[58:59], v49, v49
	v_cndmask_b32_e32 v51, v51, v50, vcc
	v_cndmask_b32_e32 v177, v177, v50, vcc
	v_cndmask_b32_e64 v51, v51, v49, s[58:59]
	v_cndmask_b32_e64 v49, v177, v49, s[58:59]
	s_movk_i32 s58, 0x1f8
	v_cmp_neq_f32_e32 vcc, v51, v49
	v_cmp_class_f32_e64 s[58:59], v51, s58
	s_or_b64 vcc, vcc, s[58:59]
	s_and_saveexec_b64 s[58:59], vcc
	s_cbranch_execz .LBB479_169
; %bb.168:
	v_sub_f32_e32 v50, v51, v49
	s_mov_b32 s64, 0x3fb8aa3b
	v_mul_f32_e32 v51, 0x3fb8aa3b, v50
	v_fma_f32 v177, v50, s64, -v51
	v_rndne_f32_e32 v178, v51
	v_fmamk_f32 v177, v50, 0x32a5705f, v177
	v_sub_f32_e32 v51, v51, v178
	v_add_f32_e32 v51, v51, v177
	v_exp_f32_e32 v51, v51
	v_cvt_i32_f32_e32 v177, v178
	s_mov_b32 s64, 0xc2ce8ed0
	v_cmp_ngt_f32_e32 vcc, s64, v50
	s_mov_b32 s64, 0x42b17218
	v_ldexp_f32 v51, v51, v177
	v_cndmask_b32_e32 v51, 0, v51, vcc
	v_mov_b32_e32 v177, 0x7f800000
	v_cmp_nlt_f32_e32 vcc, s64, v50
	s_mov_b32 s64, 0x3f2aaaab
	s_mov_b32 s65, 0x7f800000
	v_cndmask_b32_e32 v208, v177, v51, vcc
	v_add_f32_e32 v177, 1.0, v208
	v_add_f32_e32 v50, -1.0, v177
	v_sub_f32_e32 v51, v50, v177
	v_add_f32_e32 v51, 1.0, v51
	v_sub_f32_e32 v50, v208, v50
	v_add_f32_e32 v178, v50, v51
	v_frexp_mant_f32_e32 v179, v177
	v_cvt_f64_f32_e32 v[50:51], v177
	v_frexp_exp_i32_f64_e32 v50, v[50:51]
	v_cmp_gt_f32_e32 vcc, s64, v179
	s_mov_b32 s64, 0x3f317218
	s_nop 0
	v_subbrev_co_u32_e32 v192, vcc, 0, v50, vcc
	v_sub_u32_e32 v50, 0, v192
	v_ldexp_f32 v51, v177, v50
	v_add_f32_e32 v177, -1.0, v51
	v_add_f32_e32 v179, 1.0, v51
	v_ldexp_f32 v50, v178, v50
	v_add_f32_e32 v178, 1.0, v177
	v_add_f32_e32 v180, -1.0, v179
	v_sub_f32_e32 v178, v51, v178
	v_sub_f32_e32 v51, v51, v180
	v_add_f32_e32 v178, v50, v178
	v_add_f32_e32 v50, v50, v51
	v_add_f32_e32 v193, v179, v50
	v_rcp_f32_e32 v195, v193
	v_sub_f32_e32 v51, v179, v193
	v_add_f32_e32 v194, v50, v51
	v_add_f32_e32 v51, v177, v178
	v_sub_f32_e32 v50, v177, v51
	v_mul_f32_e32 v196, v51, v195
	v_add_f32_e32 v177, v178, v50
	v_mul_f32_e32 v178, v193, v196
	v_fma_f32 v180, v196, v193, -v178
	v_fmac_f32_e32 v180, v196, v194
	v_add_f32_e32 v50, v178, v180
	v_sub_f32_e32 v179, v51, v50
	v_pk_add_f32 v[182:183], v[50:51], v[178:179] neg_lo:[0,1] neg_hi:[0,1]
	v_mov_b32_e32 v181, v50
	v_pk_add_f32 v[50:51], v[182:183], v[180:181] neg_lo:[0,1] neg_hi:[0,1]
	v_cmp_eq_f32_e32 vcc, s65, v208
	v_add_f32_e32 v51, v177, v51
	v_add_f32_e32 v50, v50, v51
	;; [unrolled: 1-line block ×3, first 2 shown]
	v_mul_f32_e32 v177, v195, v51
	v_mul_f32_e32 v178, v193, v177
	v_fma_f32 v180, v177, v193, -v178
	v_fmac_f32_e32 v180, v177, v194
	v_sub_f32_e32 v179, v179, v51
	v_add_f32_e32 v193, v50, v179
	v_add_f32_e32 v50, v178, v180
	v_sub_f32_e32 v179, v51, v50
	v_pk_add_f32 v[182:183], v[50:51], v[178:179] neg_lo:[0,1] neg_hi:[0,1]
	v_mov_b32_e32 v181, v50
	v_pk_add_f32 v[50:51], v[182:183], v[180:181] neg_lo:[0,1] neg_hi:[0,1]
	v_cvt_f32_i32_e32 v178, v192
	v_add_f32_e32 v51, v193, v51
	v_add_f32_e32 v50, v50, v51
	;; [unrolled: 1-line block ×4, first 2 shown]
	v_sub_f32_e32 v51, v179, v196
	v_mul_f32_e32 v50, v195, v50
	v_sub_f32_e32 v51, v177, v51
	v_add_f32_e32 v50, v51, v50
	v_add_f32_e32 v177, v179, v50
	v_mul_f32_e32 v180, v177, v177
	v_mov_b32_e32 v51, 0x3ecc95a3
	v_sub_f32_e32 v179, v177, v179
	v_fmac_f32_e32 v51, 0x3e9b6dac, v180
	v_sub_f32_e32 v50, v50, v179
	v_fmaak_f32 v51, v180, v51, 0x3f2aaada
	v_ldexp_f32 v182, v50, 1
	v_mul_f32_e32 v179, v177, v180
	v_mov_b32_e32 v50, 0x3f317218
	v_pk_mul_f32 v[50:51], v[178:179], v[50:51]
	v_ldexp_f32 v181, v177, 1
	v_fma_f32 v177, v178, s64, -v50
	v_fmamk_f32 v180, v178, 0xb102e308, v177
	v_pk_add_f32 v[178:179], v[50:51], v[180:181]
	s_mov_b32 s64, 0x33800000
	v_sub_f32_e32 v177, v179, v181
	v_sub_f32_e32 v177, v51, v177
	v_add_f32_e32 v183, v182, v177
	v_mov_b32_e32 v182, v50
	v_pk_add_f32 v[50:51], v[178:179], v[50:51] neg_lo:[0,1] neg_hi:[0,1]
	v_pk_add_f32 v[192:193], v[178:179], v[182:183]
	v_mov_b32_e32 v181, v178
	v_mov_b32_e32 v51, v193
	v_pk_add_f32 v[194:195], v[180:181], v[50:51] neg_lo:[0,1] neg_hi:[0,1]
	v_pk_add_f32 v[50:51], v[180:181], v[50:51]
	v_mov_b32_e32 v182, v183
	v_mov_b32_e32 v180, v51
	v_pk_add_f32 v[196:197], v[180:181], v[178:179] neg_lo:[0,1] neg_hi:[0,1]
	v_mov_b32_e32 v50, v193
	v_mov_b32_e32 v177, v196
	v_pk_add_f32 v[198:199], v[192:193], v[176:177] neg_lo:[0,1] neg_hi:[0,1]
	v_mov_b32_e32 v192, v179
	v_mov_b32_e32 v193, v196
	;; [unrolled: 1-line block ×3, first 2 shown]
	v_pk_add_f32 v[50:51], v[50:51], v[192:193] neg_lo:[0,1] neg_hi:[0,1]
	v_mov_b32_e32 v183, v178
	v_pk_add_f32 v[50:51], v[182:183], v[50:51] neg_lo:[0,1] neg_hi:[0,1]
	v_mov_b32_e32 v198, v194
	v_pk_add_f32 v[178:179], v[198:199], v[50:51]
	v_cmp_lt_f32_e64 s[64:65], |v208|, s64
	v_mov_b32_e32 v182, v179
	v_pk_add_f32 v[182:183], v[178:179], v[182:183]
	s_or_b64 vcc, vcc, s[64:65]
	v_pk_add_f32 v[180:181], v[180:181], v[182:183]
	v_mov_b32_e32 v51, v182
	v_mov_b32_e32 v179, v180
	v_pk_add_f32 v[192:193], v[178:179], v[194:195] neg_lo:[0,1] neg_hi:[0,1]
	s_nop 0
	v_sub_f32_e32 v177, v178, v192
	v_pk_add_f32 v[50:51], v[50:51], v[192:193] neg_lo:[0,1] neg_hi:[0,1]
	v_sub_f32_e32 v177, v194, v177
	v_add_f32_e32 v50, v50, v177
	v_add_f32_e32 v50, v50, v51
	;; [unrolled: 1-line block ×3, first 2 shown]
	v_cndmask_b32_e32 v50, v50, v208, vcc
	v_add_f32_e32 v50, v49, v50
.LBB479_169:
	s_or_b64 exec, exec, s[58:59]
	v_bfe_u32 v49, v50, 16, 1
	s_movk_i32 vcc_lo, 0x7fff
	v_add3_u32 v49, v50, v49, vcc_lo
	v_lshrrev_b32_e32 v49, 16, v49
	v_mov_b32_e32 v51, 0x7fc0
	v_cmp_o_f32_e32 vcc, v50, v50
	s_nop 1
	v_cndmask_b32_e32 v50, v51, v49, vcc
	v_and_b32_e32 v49, 0xffff, v50
.LBB479_170:
	s_or_b64 exec, exec, s[62:63]
	v_cmp_gt_u32_e32 vcc, 32, v31
	v_add_u32_e32 v178, 32, v31
	s_waitcnt lgkmcnt(0)
	v_cndmask_b32_e64 v51, 0, 1, vcc
	v_lshlrev_b32_e32 v51, 5, v51
	v_add_lshl_u32 v177, v51, v37, 2
	ds_bpermute_b32 v37, v177, v49
	v_cmp_le_u32_e32 vcc, v178, v48
	s_and_saveexec_b64 s[62:63], vcc
	s_cbranch_execz .LBB479_174
; %bb.171:
	s_waitcnt lgkmcnt(0)
	v_lshlrev_b32_e32 v48, 16, v37
	v_lshlrev_b32_e32 v37, 16, v49
	v_max_f32_e32 v50, v37, v37
	v_max_f32_e32 v51, v48, v48
	v_min_f32_e32 v49, v51, v50
	v_cmp_u_f32_e32 vcc, v48, v48
	v_max_f32_e32 v50, v51, v50
	v_cmp_u_f32_e64 s[58:59], v37, v37
	v_cndmask_b32_e32 v49, v49, v48, vcc
	v_cndmask_b32_e32 v50, v50, v48, vcc
	v_cndmask_b32_e64 v49, v49, v37, s[58:59]
	v_cndmask_b32_e64 v37, v50, v37, s[58:59]
	s_movk_i32 s58, 0x1f8
	v_cmp_neq_f32_e32 vcc, v49, v37
	v_cmp_class_f32_e64 s[58:59], v49, s58
	s_or_b64 vcc, vcc, s[58:59]
	s_and_saveexec_b64 s[58:59], vcc
	s_cbranch_execz .LBB479_173
; %bb.172:
	v_sub_f32_e32 v48, v49, v37
	s_mov_b32 s64, 0x3fb8aa3b
	v_mul_f32_e32 v49, 0x3fb8aa3b, v48
	v_fma_f32 v50, v48, s64, -v49
	v_rndne_f32_e32 v51, v49
	v_fmamk_f32 v50, v48, 0x32a5705f, v50
	v_sub_f32_e32 v49, v49, v51
	v_add_f32_e32 v49, v49, v50
	v_exp_f32_e32 v49, v49
	v_cvt_i32_f32_e32 v50, v51
	s_mov_b32 s64, 0xc2ce8ed0
	v_cmp_ngt_f32_e32 vcc, s64, v48
	s_mov_b32 s64, 0x42b17218
	v_ldexp_f32 v49, v49, v50
	v_cndmask_b32_e32 v49, 0, v49, vcc
	v_mov_b32_e32 v50, 0x7f800000
	v_cmp_nlt_f32_e32 vcc, s64, v48
	s_mov_b32 s64, 0x3f2aaaab
	s_mov_b32 s65, 0x7f800000
	v_cndmask_b32_e32 v208, v50, v49, vcc
	v_add_f32_e32 v50, 1.0, v208
	v_add_f32_e32 v48, -1.0, v50
	v_sub_f32_e32 v49, v48, v50
	v_add_f32_e32 v49, 1.0, v49
	v_sub_f32_e32 v48, v208, v48
	v_add_f32_e32 v51, v48, v49
	v_frexp_mant_f32_e32 v179, v50
	v_cvt_f64_f32_e32 v[48:49], v50
	v_frexp_exp_i32_f64_e32 v48, v[48:49]
	v_cmp_gt_f32_e32 vcc, s64, v179
	s_mov_b32 s64, 0x3f317218
	s_nop 0
	v_subbrev_co_u32_e32 v179, vcc, 0, v48, vcc
	v_sub_u32_e32 v48, 0, v179
	v_ldexp_f32 v49, v50, v48
	v_add_f32_e32 v50, -1.0, v49
	v_add_f32_e32 v180, 1.0, v49
	v_ldexp_f32 v48, v51, v48
	v_add_f32_e32 v51, 1.0, v50
	v_add_f32_e32 v181, -1.0, v180
	v_sub_f32_e32 v51, v49, v51
	v_sub_f32_e32 v49, v49, v181
	v_add_f32_e32 v51, v48, v51
	v_add_f32_e32 v48, v48, v49
	v_add_f32_e32 v192, v180, v48
	v_rcp_f32_e32 v194, v192
	v_sub_f32_e32 v49, v180, v192
	v_add_f32_e32 v193, v48, v49
	v_add_f32_e32 v49, v50, v51
	v_mul_f32_e32 v196, v49, v194
	v_sub_f32_e32 v48, v50, v49
	v_mul_f32_e32 v50, v192, v196
	v_fma_f32 v180, v196, v192, -v50
	v_fmac_f32_e32 v180, v196, v193
	v_add_f32_e32 v195, v51, v48
	v_add_f32_e32 v48, v50, v180
	v_sub_f32_e32 v51, v49, v48
	v_pk_add_f32 v[182:183], v[48:49], v[50:51] neg_lo:[0,1] neg_hi:[0,1]
	v_mov_b32_e32 v181, v48
	v_pk_add_f32 v[48:49], v[182:183], v[180:181] neg_lo:[0,1] neg_hi:[0,1]
	v_cmp_eq_f32_e32 vcc, s65, v208
	v_add_f32_e32 v49, v195, v49
	v_add_f32_e32 v48, v48, v49
	;; [unrolled: 1-line block ×3, first 2 shown]
	v_mul_f32_e32 v195, v194, v49
	v_mul_f32_e32 v50, v192, v195
	v_fma_f32 v180, v195, v192, -v50
	v_fmac_f32_e32 v180, v195, v193
	v_sub_f32_e32 v51, v51, v49
	v_add_f32_e32 v192, v48, v51
	v_add_f32_e32 v48, v50, v180
	v_sub_f32_e32 v51, v49, v48
	v_pk_add_f32 v[182:183], v[48:49], v[50:51] neg_lo:[0,1] neg_hi:[0,1]
	v_mov_b32_e32 v181, v48
	v_pk_add_f32 v[48:49], v[182:183], v[180:181] neg_lo:[0,1] neg_hi:[0,1]
	v_cvt_f32_i32_e32 v50, v179
	v_add_f32_e32 v49, v192, v49
	v_add_f32_e32 v48, v48, v49
	;; [unrolled: 1-line block ×4, first 2 shown]
	v_sub_f32_e32 v49, v51, v196
	v_mul_f32_e32 v48, v194, v48
	v_sub_f32_e32 v49, v195, v49
	v_add_f32_e32 v48, v49, v48
	v_add_f32_e32 v180, v51, v48
	v_mul_f32_e32 v182, v180, v180
	v_mov_b32_e32 v49, 0x3ecc95a3
	v_sub_f32_e32 v51, v180, v51
	v_fmac_f32_e32 v49, 0x3e9b6dac, v182
	v_sub_f32_e32 v48, v48, v51
	v_fmaak_f32 v49, v182, v49, 0x3f2aaada
	v_ldexp_f32 v179, v48, 1
	v_mul_f32_e32 v51, v180, v182
	v_mov_b32_e32 v48, 0x3f317218
	v_pk_mul_f32 v[48:49], v[50:51], v[48:49]
	v_ldexp_f32 v181, v180, 1
	v_fma_f32 v51, v50, s64, -v48
	v_fmamk_f32 v180, v50, 0xb102e308, v51
	v_pk_add_f32 v[50:51], v[48:49], v[180:181]
	v_mov_b32_e32 v182, v48
	v_sub_f32_e32 v181, v51, v181
	v_sub_f32_e32 v181, v49, v181
	v_add_f32_e32 v183, v179, v181
	v_pk_add_f32 v[48:49], v[50:51], v[48:49] neg_lo:[0,1] neg_hi:[0,1]
	v_pk_add_f32 v[192:193], v[50:51], v[182:183]
	v_mov_b32_e32 v181, v50
	v_mov_b32_e32 v49, v193
	v_pk_add_f32 v[194:195], v[180:181], v[48:49] neg_lo:[0,1] neg_hi:[0,1]
	v_pk_add_f32 v[48:49], v[180:181], v[48:49]
	v_mov_b32_e32 v182, v183
	v_mov_b32_e32 v180, v49
	v_pk_add_f32 v[196:197], v[180:181], v[50:51] neg_lo:[0,1] neg_hi:[0,1]
	v_mov_b32_e32 v48, v193
	v_mov_b32_e32 v179, v196
	v_pk_add_f32 v[198:199], v[192:193], v[178:179] neg_lo:[0,1] neg_hi:[0,1]
	v_mov_b32_e32 v192, v51
	v_mov_b32_e32 v193, v196
	;; [unrolled: 1-line block ×3, first 2 shown]
	v_pk_add_f32 v[48:49], v[48:49], v[192:193] neg_lo:[0,1] neg_hi:[0,1]
	v_mov_b32_e32 v183, v50
	v_pk_add_f32 v[48:49], v[182:183], v[48:49] neg_lo:[0,1] neg_hi:[0,1]
	v_mov_b32_e32 v198, v194
	v_pk_add_f32 v[50:51], v[198:199], v[48:49]
	s_mov_b32 s64, 0x33800000
	v_mov_b32_e32 v182, v51
	v_pk_add_f32 v[182:183], v[50:51], v[182:183]
	v_cmp_lt_f32_e64 s[64:65], |v208|, s64
	v_pk_add_f32 v[180:181], v[180:181], v[182:183]
	v_mov_b32_e32 v49, v182
	v_mov_b32_e32 v51, v180
	v_pk_add_f32 v[192:193], v[50:51], v[194:195] neg_lo:[0,1] neg_hi:[0,1]
	s_or_b64 vcc, vcc, s[64:65]
	v_sub_f32_e32 v50, v50, v192
	v_pk_add_f32 v[48:49], v[48:49], v[192:193] neg_lo:[0,1] neg_hi:[0,1]
	v_sub_f32_e32 v50, v194, v50
	v_add_f32_e32 v48, v48, v50
	v_add_f32_e32 v48, v48, v49
	v_add_f32_e32 v48, v180, v48
	v_cndmask_b32_e32 v48, v48, v208, vcc
	v_add_f32_e32 v48, v37, v48
.LBB479_173:
	s_or_b64 exec, exec, s[58:59]
	v_bfe_u32 v37, v48, 16, 1
	s_movk_i32 vcc_lo, 0x7fff
	v_add3_u32 v37, v48, v37, vcc_lo
	v_lshrrev_b32_e32 v37, 16, v37
	v_mov_b32_e32 v49, 0x7fc0
	v_cmp_o_f32_e32 vcc, v48, v48
	s_nop 1
	v_cndmask_b32_e32 v50, v49, v37, vcc
.LBB479_174:
	s_or_b64 exec, exec, s[62:63]
                                        ; implicit-def: $vgpr48
	s_waitcnt lgkmcnt(0)
	v_mov_b32_e32 v37, 0
	s_movk_i32 s64, 0x1f8
	s_mov_b32 s65, 0x3fb8aa3b
	s_mov_b32 s66, 0xc2ce8ed0
	;; [unrolled: 1-line block ×5, first 2 shown]
	v_mov_b32_e32 v180, 0x3ecc95a3
	s_mov_b32 s70, 0x3f317218
	s_mov_b32 s71, 0x33800000
	s_movk_i32 s72, 0x7fff
	v_mov_b32_e32 v181, 2
	v_mov_b32_e32 v182, 0x7f800000
	;; [unrolled: 1-line block ×4, first 2 shown]
	s_branch .LBB479_176
.LBB479_175:                            ;   in Loop: Header=BB479_176 Depth=1
                                        ; implicit-def: $vgpr50
                                        ; implicit-def: $vgpr160
	s_cbranch_execnz .LBB479_210
.LBB479_176:                            ; =>This Loop Header: Depth=1
                                        ;     Child Loop BB479_179 Depth 2
                                        ;       Child Loop BB479_180 Depth 3
	v_cmp_ne_u16_sdwa vcc, v160, v181 src0_sel:BYTE_0 src1_sel:DWORD
	v_mov_b32_e32 v179, v50
	s_nop 0
	v_cndmask_b32_e64 v49, 0, 1, vcc
	;;#ASMSTART
	;;#ASMEND
	s_nop 0
	v_cmp_ne_u32_e32 vcc, 0, v49
	s_cmp_lg_u64 vcc, exec
	s_cbranch_scc1 .LBB479_175
; %bb.177:                              ;   in Loop: Header=BB479_176 Depth=1
	v_lshl_add_u64 v[50:51], v[36:37], 2, v[28:29]
	flat_load_dword v49, v[50:51] sc1
	s_waitcnt vmcnt(0) lgkmcnt(0)
	v_lshrrev_b32_e32 v160, 16, v49
	v_cmp_eq_u16_sdwa s[58:59], v160, v37 src0_sel:BYTE_0 src1_sel:DWORD
	s_and_saveexec_b64 vcc, s[58:59]
	s_cbranch_execz .LBB479_183
; %bb.178:                              ;   in Loop: Header=BB479_176 Depth=1
	s_mov_b32 s62, 1
	s_mov_b64 s[58:59], 0
.LBB479_179:                            ;   Parent Loop BB479_176 Depth=1
                                        ; =>  This Loop Header: Depth=2
                                        ;       Child Loop BB479_180 Depth 3
	s_max_u32 s63, s62, 1
.LBB479_180:                            ;   Parent Loop BB479_176 Depth=1
                                        ;     Parent Loop BB479_179 Depth=2
                                        ; =>    This Inner Loop Header: Depth=3
	s_add_i32 s63, s63, -1
	s_cmp_eq_u32 s63, 0
	s_sleep 1
	s_cbranch_scc0 .LBB479_180
; %bb.181:                              ;   in Loop: Header=BB479_179 Depth=2
	flat_load_dword v49, v[50:51] sc1
	s_cmp_lt_u32 s62, 32
	s_cselect_b64 s[74:75], -1, 0
	s_cmp_lg_u64 s[74:75], 0
	s_addc_u32 s62, s62, 0
	s_waitcnt vmcnt(0) lgkmcnt(0)
	v_lshrrev_b32_e32 v160, 16, v49
	v_cmp_ne_u16_sdwa s[74:75], v160, v37 src0_sel:BYTE_0 src1_sel:DWORD
	s_or_b64 s[58:59], s[74:75], s[58:59]
	s_andn2_b64 exec, exec, s[58:59]
	s_cbranch_execnz .LBB479_179
; %bb.182:                              ;   in Loop: Header=BB479_176 Depth=1
	s_or_b64 exec, exec, s[58:59]
.LBB479_183:                            ;   in Loop: Header=BB479_176 Depth=1
	s_or_b64 exec, exec, vcc
	v_cmp_eq_u16_sdwa vcc, v160, v181 src0_sel:BYTE_0 src1_sel:DWORD
	v_and_b32_e32 v51, 0xffff, v49
	ds_bpermute_b32 v192, v151, v51
	v_and_b32_e32 v50, vcc_hi, v39
	v_or_b32_e32 v50, 0x80000000, v50
	v_and_b32_e32 v193, vcc_lo, v38
	v_ffbl_b32_e32 v50, v50
	v_add_u32_e32 v50, 32, v50
	v_ffbl_b32_e32 v193, v193
	v_min_u32_e32 v50, v193, v50
	v_cmp_lt_u32_e32 vcc, v31, v50
	s_and_saveexec_b64 s[62:63], vcc
	s_cbranch_execz .LBB479_187
; %bb.184:                              ;   in Loop: Header=BB479_176 Depth=1
	s_waitcnt lgkmcnt(0)
	v_lshlrev_b32_e32 v49, 16, v192
	v_lshlrev_b32_e32 v51, 16, v51
	v_max_f32_e32 v193, v51, v51
	v_max_f32_e32 v194, v49, v49
	v_min_f32_e32 v192, v194, v193
	v_cmp_u_f32_e32 vcc, v49, v49
	v_max_f32_e32 v193, v194, v193
	v_cmp_u_f32_e64 s[58:59], v51, v51
	v_cndmask_b32_e32 v192, v192, v49, vcc
	v_cndmask_b32_e32 v193, v193, v49, vcc
	v_cndmask_b32_e64 v192, v192, v51, s[58:59]
	v_cndmask_b32_e64 v51, v193, v51, s[58:59]
	v_cmp_neq_f32_e32 vcc, v192, v51
	v_cmp_class_f32_e64 s[58:59], v192, s64
	s_or_b64 vcc, vcc, s[58:59]
	s_and_saveexec_b64 s[58:59], vcc
	s_cbranch_execz .LBB479_186
; %bb.185:                              ;   in Loop: Header=BB479_176 Depth=1
	v_sub_f32_e32 v49, v192, v51
	v_mul_f32_e32 v192, 0x3fb8aa3b, v49
	v_fma_f32 v193, v49, s65, -v192
	v_rndne_f32_e32 v194, v192
	v_fmac_f32_e32 v193, 0x32a5705f, v49
	v_sub_f32_e32 v192, v192, v194
	v_add_f32_e32 v192, v192, v193
	v_cvt_i32_f32_e32 v193, v194
	v_exp_f32_e32 v192, v192
	v_cmp_ngt_f32_e32 vcc, s66, v49
	v_ldexp_f32 v192, v192, v193
	s_nop 0
	v_cndmask_b32_e32 v192, 0, v192, vcc
	v_cmp_nlt_f32_e32 vcc, s67, v49
	s_nop 1
	v_cndmask_b32_e32 v224, v182, v192, vcc
	v_add_f32_e32 v49, 1.0, v224
	v_add_f32_e32 v192, -1.0, v49
	v_sub_f32_e32 v193, v192, v49
	v_add_f32_e32 v193, 1.0, v193
	v_sub_f32_e32 v192, v224, v192
	v_add_f32_e32 v194, v192, v193
	v_frexp_mant_f32_e32 v195, v49
	v_cvt_f64_f32_e32 v[192:193], v49
	v_frexp_exp_i32_f64_e32 v192, v[192:193]
	v_cmp_gt_f32_e32 vcc, s69, v195
	v_cmp_lt_f32_e64 s[74:75], |v224|, s71
	s_nop 0
	v_subbrev_co_u32_e32 v208, vcc, 0, v192, vcc
	v_sub_u32_e32 v192, 0, v208
	v_ldexp_f32 v49, v49, v192
	v_ldexp_f32 v192, v194, v192
	v_add_f32_e32 v194, -1.0, v49
	v_add_f32_e32 v193, 1.0, v194
	v_sub_f32_e32 v193, v49, v193
	v_add_f32_e32 v195, v192, v193
	v_add_f32_e32 v193, 1.0, v49
	v_add_f32_e32 v196, -1.0, v193
	v_sub_f32_e32 v49, v49, v196
	v_add_f32_e32 v49, v192, v49
	v_add_f32_e32 v209, v193, v49
	v_rcp_f32_e32 v210, v209
	v_sub_f32_e32 v192, v193, v209
	v_add_f32_e32 v193, v194, v195
	v_add_f32_e32 v49, v49, v192
	v_mul_f32_e32 v212, v193, v210
	v_sub_f32_e32 v192, v194, v193
	v_mul_f32_e32 v194, v209, v212
	v_fma_f32 v196, v212, v209, -v194
	v_fmac_f32_e32 v196, v212, v49
	v_add_f32_e32 v211, v195, v192
	v_add_f32_e32 v192, v194, v196
	v_sub_f32_e32 v195, v193, v192
	v_pk_add_f32 v[198:199], v[192:193], v[194:195] neg_lo:[0,1] neg_hi:[0,1]
	v_mov_b32_e32 v197, v192
	v_pk_add_f32 v[192:193], v[198:199], v[196:197] neg_lo:[0,1] neg_hi:[0,1]
	v_cmp_eq_f32_e32 vcc, s68, v224
	v_add_f32_e32 v193, v211, v193
	v_add_f32_e32 v192, v192, v193
	v_add_f32_e32 v193, v195, v192
	v_mul_f32_e32 v211, v210, v193
	v_mul_f32_e32 v194, v209, v211
	v_fma_f32 v196, v211, v209, -v194
	v_fmac_f32_e32 v196, v211, v49
	v_sub_f32_e32 v49, v195, v193
	v_add_f32_e32 v49, v192, v49
	v_add_f32_e32 v192, v194, v196
	v_sub_f32_e32 v195, v193, v192
	v_pk_add_f32 v[198:199], v[192:193], v[194:195] neg_lo:[0,1] neg_hi:[0,1]
	v_mov_b32_e32 v197, v192
	v_pk_add_f32 v[192:193], v[198:199], v[196:197] neg_lo:[0,1] neg_hi:[0,1]
	s_or_b64 vcc, vcc, s[74:75]
	v_add_f32_e32 v49, v49, v193
	v_add_f32_e32 v49, v192, v49
	;; [unrolled: 1-line block ×4, first 2 shown]
	v_sub_f32_e32 v192, v193, v212
	v_mul_f32_e32 v49, v210, v49
	v_sub_f32_e32 v192, v211, v192
	v_add_f32_e32 v194, v192, v49
	v_add_f32_e32 v196, v193, v194
	v_cvt_f32_i32_e32 v192, v208
	v_mul_f32_e32 v197, v196, v196
	v_sub_f32_e32 v193, v196, v193
	v_fmamk_f32 v49, v197, 0x3e9b6dac, v180
	v_sub_f32_e32 v193, v194, v193
	v_fmaak_f32 v49, v197, v49, 0x3f2aaada
	v_ldexp_f32 v198, v193, 1
	v_mul_f32_e32 v193, v196, v197
	v_ldexp_f32 v195, v196, 1
	v_pk_mul_f32 v[196:197], v[192:193], v[48:49]
	s_nop 0
	v_fma_f32 v194, v192, s70, -v196
	v_fmac_f32_e32 v194, 0xb102e308, v192
	v_pk_add_f32 v[192:193], v[196:197], v[194:195]
	s_nop 0
	v_sub_f32_e32 v49, v193, v195
	v_sub_f32_e32 v49, v197, v49
	v_add_f32_e32 v199, v198, v49
	v_mov_b32_e32 v198, v196
	v_pk_add_f32 v[196:197], v[192:193], v[196:197] neg_lo:[0,1] neg_hi:[0,1]
	v_pk_add_f32 v[208:209], v[192:193], v[198:199]
	v_mov_b32_e32 v195, v192
	v_mov_b32_e32 v197, v209
	v_pk_add_f32 v[210:211], v[194:195], v[196:197] neg_lo:[0,1] neg_hi:[0,1]
	v_pk_add_f32 v[194:195], v[194:195], v[196:197]
	v_mov_b32_e32 v198, v199
	v_mov_b32_e32 v196, v195
	v_pk_add_f32 v[212:213], v[196:197], v[192:193] neg_lo:[0,1] neg_hi:[0,1]
	v_mov_b32_e32 v194, v209
	v_mov_b32_e32 v49, v212
	v_pk_add_f32 v[214:215], v[208:209], v[48:49] neg_lo:[0,1] neg_hi:[0,1]
	v_mov_b32_e32 v208, v193
	v_mov_b32_e32 v209, v212
	;; [unrolled: 1-line block ×3, first 2 shown]
	v_pk_add_f32 v[194:195], v[194:195], v[208:209] neg_lo:[0,1] neg_hi:[0,1]
	v_mov_b32_e32 v199, v192
	v_pk_add_f32 v[192:193], v[198:199], v[194:195] neg_lo:[0,1] neg_hi:[0,1]
	v_mov_b32_e32 v214, v210
	v_pk_add_f32 v[194:195], v[214:215], v[192:193]
	s_nop 0
	v_mov_b32_e32 v198, v195
	v_pk_add_f32 v[198:199], v[194:195], v[198:199]
	s_nop 0
	v_pk_add_f32 v[196:197], v[196:197], v[198:199]
	v_mov_b32_e32 v193, v198
	v_mov_b32_e32 v195, v196
	v_pk_add_f32 v[208:209], v[194:195], v[210:211] neg_lo:[0,1] neg_hi:[0,1]
	s_nop 0
	v_sub_f32_e32 v49, v194, v208
	v_pk_add_f32 v[192:193], v[192:193], v[208:209] neg_lo:[0,1] neg_hi:[0,1]
	v_sub_f32_e32 v49, v210, v49
	v_add_f32_e32 v49, v192, v49
	v_add_f32_e32 v49, v49, v193
	;; [unrolled: 1-line block ×3, first 2 shown]
	v_cndmask_b32_e32 v49, v49, v224, vcc
	v_add_f32_e32 v49, v51, v49
.LBB479_186:                            ;   in Loop: Header=BB479_176 Depth=1
	s_or_b64 exec, exec, s[58:59]
	v_bfe_u32 v51, v49, 16, 1
	v_add3_u32 v51, v49, v51, s72
	v_lshrrev_b32_e32 v51, 16, v51
	v_cmp_o_f32_e32 vcc, v49, v49
	s_nop 1
	v_cndmask_b32_e32 v49, v183, v51, vcc
	v_and_b32_e32 v51, 0xffff, v49
.LBB479_187:                            ;   in Loop: Header=BB479_176 Depth=1
	s_or_b64 exec, exec, s[62:63]
	s_waitcnt lgkmcnt(0)
	ds_bpermute_b32 v192, v161, v51
	v_cmp_le_u32_e32 vcc, v162, v50
	s_and_saveexec_b64 s[62:63], vcc
	s_cbranch_execz .LBB479_191
; %bb.188:                              ;   in Loop: Header=BB479_176 Depth=1
	s_waitcnt lgkmcnt(0)
	v_lshlrev_b32_e32 v49, 16, v192
	v_lshlrev_b32_e32 v51, 16, v51
	v_max_f32_e32 v193, v51, v51
	v_max_f32_e32 v194, v49, v49
	v_min_f32_e32 v192, v194, v193
	v_cmp_u_f32_e32 vcc, v49, v49
	v_max_f32_e32 v193, v194, v193
	v_cmp_u_f32_e64 s[58:59], v51, v51
	v_cndmask_b32_e32 v192, v192, v49, vcc
	v_cndmask_b32_e32 v193, v193, v49, vcc
	v_cndmask_b32_e64 v192, v192, v51, s[58:59]
	v_cndmask_b32_e64 v51, v193, v51, s[58:59]
	v_cmp_neq_f32_e32 vcc, v192, v51
	v_cmp_class_f32_e64 s[58:59], v192, s64
	s_or_b64 vcc, vcc, s[58:59]
	s_and_saveexec_b64 s[58:59], vcc
	s_cbranch_execz .LBB479_190
; %bb.189:                              ;   in Loop: Header=BB479_176 Depth=1
	v_sub_f32_e32 v49, v192, v51
	v_mul_f32_e32 v192, 0x3fb8aa3b, v49
	v_fma_f32 v193, v49, s65, -v192
	v_rndne_f32_e32 v194, v192
	v_fmac_f32_e32 v193, 0x32a5705f, v49
	v_sub_f32_e32 v192, v192, v194
	v_add_f32_e32 v192, v192, v193
	v_cvt_i32_f32_e32 v193, v194
	v_exp_f32_e32 v192, v192
	v_cmp_ngt_f32_e32 vcc, s66, v49
	v_ldexp_f32 v192, v192, v193
	s_nop 0
	v_cndmask_b32_e32 v192, 0, v192, vcc
	v_cmp_nlt_f32_e32 vcc, s67, v49
	s_nop 1
	v_cndmask_b32_e32 v224, v182, v192, vcc
	v_add_f32_e32 v49, 1.0, v224
	v_add_f32_e32 v192, -1.0, v49
	v_sub_f32_e32 v193, v192, v49
	v_add_f32_e32 v193, 1.0, v193
	v_sub_f32_e32 v192, v224, v192
	v_add_f32_e32 v194, v192, v193
	v_frexp_mant_f32_e32 v195, v49
	v_cvt_f64_f32_e32 v[192:193], v49
	v_frexp_exp_i32_f64_e32 v192, v[192:193]
	v_cmp_gt_f32_e32 vcc, s69, v195
	v_cmp_lt_f32_e64 s[74:75], |v224|, s71
	s_nop 0
	v_subbrev_co_u32_e32 v208, vcc, 0, v192, vcc
	v_sub_u32_e32 v192, 0, v208
	v_ldexp_f32 v49, v49, v192
	v_ldexp_f32 v192, v194, v192
	v_add_f32_e32 v194, -1.0, v49
	v_add_f32_e32 v193, 1.0, v194
	v_sub_f32_e32 v193, v49, v193
	v_add_f32_e32 v195, v192, v193
	v_add_f32_e32 v193, 1.0, v49
	v_add_f32_e32 v196, -1.0, v193
	v_sub_f32_e32 v49, v49, v196
	v_add_f32_e32 v49, v192, v49
	v_add_f32_e32 v209, v193, v49
	v_rcp_f32_e32 v210, v209
	v_sub_f32_e32 v192, v193, v209
	v_add_f32_e32 v193, v194, v195
	v_add_f32_e32 v49, v49, v192
	v_mul_f32_e32 v212, v193, v210
	v_sub_f32_e32 v192, v194, v193
	v_mul_f32_e32 v194, v209, v212
	v_fma_f32 v196, v212, v209, -v194
	v_fmac_f32_e32 v196, v212, v49
	v_add_f32_e32 v211, v195, v192
	v_add_f32_e32 v192, v194, v196
	v_sub_f32_e32 v195, v193, v192
	v_pk_add_f32 v[198:199], v[192:193], v[194:195] neg_lo:[0,1] neg_hi:[0,1]
	v_mov_b32_e32 v197, v192
	v_pk_add_f32 v[192:193], v[198:199], v[196:197] neg_lo:[0,1] neg_hi:[0,1]
	v_cmp_eq_f32_e32 vcc, s68, v224
	v_add_f32_e32 v193, v211, v193
	v_add_f32_e32 v192, v192, v193
	;; [unrolled: 1-line block ×3, first 2 shown]
	v_mul_f32_e32 v211, v210, v193
	v_mul_f32_e32 v194, v209, v211
	v_fma_f32 v196, v211, v209, -v194
	v_fmac_f32_e32 v196, v211, v49
	v_sub_f32_e32 v49, v195, v193
	v_add_f32_e32 v49, v192, v49
	v_add_f32_e32 v192, v194, v196
	v_sub_f32_e32 v195, v193, v192
	v_pk_add_f32 v[198:199], v[192:193], v[194:195] neg_lo:[0,1] neg_hi:[0,1]
	v_mov_b32_e32 v197, v192
	v_pk_add_f32 v[192:193], v[198:199], v[196:197] neg_lo:[0,1] neg_hi:[0,1]
	s_or_b64 vcc, vcc, s[74:75]
	v_add_f32_e32 v49, v49, v193
	v_add_f32_e32 v49, v192, v49
	;; [unrolled: 1-line block ×4, first 2 shown]
	v_sub_f32_e32 v192, v193, v212
	v_mul_f32_e32 v49, v210, v49
	v_sub_f32_e32 v192, v211, v192
	v_add_f32_e32 v194, v192, v49
	v_add_f32_e32 v196, v193, v194
	v_cvt_f32_i32_e32 v192, v208
	v_mul_f32_e32 v197, v196, v196
	v_sub_f32_e32 v193, v196, v193
	v_fmamk_f32 v49, v197, 0x3e9b6dac, v180
	v_sub_f32_e32 v193, v194, v193
	v_fmaak_f32 v49, v197, v49, 0x3f2aaada
	v_ldexp_f32 v198, v193, 1
	v_mul_f32_e32 v193, v196, v197
	v_ldexp_f32 v195, v196, 1
	v_pk_mul_f32 v[196:197], v[192:193], v[48:49]
	s_nop 0
	v_fma_f32 v194, v192, s70, -v196
	v_fmac_f32_e32 v194, 0xb102e308, v192
	v_pk_add_f32 v[192:193], v[196:197], v[194:195]
	s_nop 0
	v_sub_f32_e32 v49, v193, v195
	v_sub_f32_e32 v49, v197, v49
	v_add_f32_e32 v199, v198, v49
	v_mov_b32_e32 v198, v196
	v_pk_add_f32 v[196:197], v[192:193], v[196:197] neg_lo:[0,1] neg_hi:[0,1]
	v_pk_add_f32 v[208:209], v[192:193], v[198:199]
	v_mov_b32_e32 v195, v192
	v_mov_b32_e32 v197, v209
	v_pk_add_f32 v[210:211], v[194:195], v[196:197] neg_lo:[0,1] neg_hi:[0,1]
	v_pk_add_f32 v[194:195], v[194:195], v[196:197]
	v_mov_b32_e32 v198, v199
	v_mov_b32_e32 v196, v195
	v_pk_add_f32 v[212:213], v[196:197], v[192:193] neg_lo:[0,1] neg_hi:[0,1]
	v_mov_b32_e32 v194, v209
	v_mov_b32_e32 v49, v212
	v_pk_add_f32 v[214:215], v[208:209], v[48:49] neg_lo:[0,1] neg_hi:[0,1]
	v_mov_b32_e32 v208, v193
	v_mov_b32_e32 v209, v212
	;; [unrolled: 1-line block ×3, first 2 shown]
	v_pk_add_f32 v[194:195], v[194:195], v[208:209] neg_lo:[0,1] neg_hi:[0,1]
	v_mov_b32_e32 v199, v192
	v_pk_add_f32 v[192:193], v[198:199], v[194:195] neg_lo:[0,1] neg_hi:[0,1]
	v_mov_b32_e32 v214, v210
	v_pk_add_f32 v[194:195], v[214:215], v[192:193]
	s_nop 0
	v_mov_b32_e32 v198, v195
	v_pk_add_f32 v[198:199], v[194:195], v[198:199]
	s_nop 0
	v_pk_add_f32 v[196:197], v[196:197], v[198:199]
	v_mov_b32_e32 v193, v198
	v_mov_b32_e32 v195, v196
	v_pk_add_f32 v[208:209], v[194:195], v[210:211] neg_lo:[0,1] neg_hi:[0,1]
	s_nop 0
	v_sub_f32_e32 v49, v194, v208
	v_pk_add_f32 v[192:193], v[192:193], v[208:209] neg_lo:[0,1] neg_hi:[0,1]
	v_sub_f32_e32 v49, v210, v49
	v_add_f32_e32 v49, v192, v49
	v_add_f32_e32 v49, v49, v193
	;; [unrolled: 1-line block ×3, first 2 shown]
	v_cndmask_b32_e32 v49, v49, v224, vcc
	v_add_f32_e32 v49, v51, v49
.LBB479_190:                            ;   in Loop: Header=BB479_176 Depth=1
	s_or_b64 exec, exec, s[58:59]
	v_bfe_u32 v51, v49, 16, 1
	v_add3_u32 v51, v49, v51, s72
	v_lshrrev_b32_e32 v51, 16, v51
	v_cmp_o_f32_e32 vcc, v49, v49
	s_nop 1
	v_cndmask_b32_e32 v49, v183, v51, vcc
	v_and_b32_e32 v51, 0xffff, v49
.LBB479_191:                            ;   in Loop: Header=BB479_176 Depth=1
	s_or_b64 exec, exec, s[62:63]
	s_waitcnt lgkmcnt(0)
	ds_bpermute_b32 v192, v163, v51
	v_cmp_le_u32_e32 vcc, v164, v50
	s_and_saveexec_b64 s[62:63], vcc
	s_cbranch_execz .LBB479_195
; %bb.192:                              ;   in Loop: Header=BB479_176 Depth=1
	s_waitcnt lgkmcnt(0)
	v_lshlrev_b32_e32 v49, 16, v192
	v_lshlrev_b32_e32 v51, 16, v51
	v_max_f32_e32 v193, v51, v51
	v_max_f32_e32 v194, v49, v49
	v_min_f32_e32 v192, v194, v193
	v_cmp_u_f32_e32 vcc, v49, v49
	v_max_f32_e32 v193, v194, v193
	v_cmp_u_f32_e64 s[58:59], v51, v51
	v_cndmask_b32_e32 v192, v192, v49, vcc
	v_cndmask_b32_e32 v193, v193, v49, vcc
	v_cndmask_b32_e64 v192, v192, v51, s[58:59]
	v_cndmask_b32_e64 v51, v193, v51, s[58:59]
	v_cmp_neq_f32_e32 vcc, v192, v51
	v_cmp_class_f32_e64 s[58:59], v192, s64
	s_or_b64 vcc, vcc, s[58:59]
	s_and_saveexec_b64 s[58:59], vcc
	s_cbranch_execz .LBB479_194
; %bb.193:                              ;   in Loop: Header=BB479_176 Depth=1
	v_sub_f32_e32 v49, v192, v51
	v_mul_f32_e32 v192, 0x3fb8aa3b, v49
	v_fma_f32 v193, v49, s65, -v192
	v_rndne_f32_e32 v194, v192
	v_fmac_f32_e32 v193, 0x32a5705f, v49
	v_sub_f32_e32 v192, v192, v194
	v_add_f32_e32 v192, v192, v193
	v_cvt_i32_f32_e32 v193, v194
	v_exp_f32_e32 v192, v192
	v_cmp_ngt_f32_e32 vcc, s66, v49
	v_ldexp_f32 v192, v192, v193
	s_nop 0
	v_cndmask_b32_e32 v192, 0, v192, vcc
	v_cmp_nlt_f32_e32 vcc, s67, v49
	s_nop 1
	v_cndmask_b32_e32 v224, v182, v192, vcc
	v_add_f32_e32 v49, 1.0, v224
	v_add_f32_e32 v192, -1.0, v49
	v_sub_f32_e32 v193, v192, v49
	v_add_f32_e32 v193, 1.0, v193
	v_sub_f32_e32 v192, v224, v192
	v_add_f32_e32 v194, v192, v193
	v_frexp_mant_f32_e32 v195, v49
	v_cvt_f64_f32_e32 v[192:193], v49
	v_frexp_exp_i32_f64_e32 v192, v[192:193]
	v_cmp_gt_f32_e32 vcc, s69, v195
	v_cmp_lt_f32_e64 s[74:75], |v224|, s71
	s_nop 0
	v_subbrev_co_u32_e32 v208, vcc, 0, v192, vcc
	v_sub_u32_e32 v192, 0, v208
	v_ldexp_f32 v49, v49, v192
	v_ldexp_f32 v192, v194, v192
	v_add_f32_e32 v194, -1.0, v49
	v_add_f32_e32 v193, 1.0, v194
	v_sub_f32_e32 v193, v49, v193
	v_add_f32_e32 v195, v192, v193
	v_add_f32_e32 v193, 1.0, v49
	v_add_f32_e32 v196, -1.0, v193
	v_sub_f32_e32 v49, v49, v196
	v_add_f32_e32 v49, v192, v49
	v_add_f32_e32 v209, v193, v49
	v_rcp_f32_e32 v210, v209
	v_sub_f32_e32 v192, v193, v209
	v_add_f32_e32 v193, v194, v195
	v_add_f32_e32 v49, v49, v192
	v_mul_f32_e32 v212, v193, v210
	v_sub_f32_e32 v192, v194, v193
	v_mul_f32_e32 v194, v209, v212
	v_fma_f32 v196, v212, v209, -v194
	v_fmac_f32_e32 v196, v212, v49
	v_add_f32_e32 v211, v195, v192
	v_add_f32_e32 v192, v194, v196
	v_sub_f32_e32 v195, v193, v192
	v_pk_add_f32 v[198:199], v[192:193], v[194:195] neg_lo:[0,1] neg_hi:[0,1]
	v_mov_b32_e32 v197, v192
	v_pk_add_f32 v[192:193], v[198:199], v[196:197] neg_lo:[0,1] neg_hi:[0,1]
	v_cmp_eq_f32_e32 vcc, s68, v224
	v_add_f32_e32 v193, v211, v193
	v_add_f32_e32 v192, v192, v193
	;; [unrolled: 1-line block ×3, first 2 shown]
	v_mul_f32_e32 v211, v210, v193
	v_mul_f32_e32 v194, v209, v211
	v_fma_f32 v196, v211, v209, -v194
	v_fmac_f32_e32 v196, v211, v49
	v_sub_f32_e32 v49, v195, v193
	v_add_f32_e32 v49, v192, v49
	v_add_f32_e32 v192, v194, v196
	v_sub_f32_e32 v195, v193, v192
	v_pk_add_f32 v[198:199], v[192:193], v[194:195] neg_lo:[0,1] neg_hi:[0,1]
	v_mov_b32_e32 v197, v192
	v_pk_add_f32 v[192:193], v[198:199], v[196:197] neg_lo:[0,1] neg_hi:[0,1]
	s_or_b64 vcc, vcc, s[74:75]
	v_add_f32_e32 v49, v49, v193
	v_add_f32_e32 v49, v192, v49
	;; [unrolled: 1-line block ×4, first 2 shown]
	v_sub_f32_e32 v192, v193, v212
	v_mul_f32_e32 v49, v210, v49
	v_sub_f32_e32 v192, v211, v192
	v_add_f32_e32 v194, v192, v49
	v_add_f32_e32 v196, v193, v194
	v_cvt_f32_i32_e32 v192, v208
	v_mul_f32_e32 v197, v196, v196
	v_sub_f32_e32 v193, v196, v193
	v_fmamk_f32 v49, v197, 0x3e9b6dac, v180
	v_sub_f32_e32 v193, v194, v193
	v_fmaak_f32 v49, v197, v49, 0x3f2aaada
	v_ldexp_f32 v198, v193, 1
	v_mul_f32_e32 v193, v196, v197
	v_ldexp_f32 v195, v196, 1
	v_pk_mul_f32 v[196:197], v[192:193], v[48:49]
	s_nop 0
	v_fma_f32 v194, v192, s70, -v196
	v_fmac_f32_e32 v194, 0xb102e308, v192
	v_pk_add_f32 v[192:193], v[196:197], v[194:195]
	s_nop 0
	v_sub_f32_e32 v49, v193, v195
	v_sub_f32_e32 v49, v197, v49
	v_add_f32_e32 v199, v198, v49
	v_mov_b32_e32 v198, v196
	v_pk_add_f32 v[196:197], v[192:193], v[196:197] neg_lo:[0,1] neg_hi:[0,1]
	v_pk_add_f32 v[208:209], v[192:193], v[198:199]
	v_mov_b32_e32 v195, v192
	v_mov_b32_e32 v197, v209
	v_pk_add_f32 v[210:211], v[194:195], v[196:197] neg_lo:[0,1] neg_hi:[0,1]
	v_pk_add_f32 v[194:195], v[194:195], v[196:197]
	v_mov_b32_e32 v198, v199
	v_mov_b32_e32 v196, v195
	v_pk_add_f32 v[212:213], v[196:197], v[192:193] neg_lo:[0,1] neg_hi:[0,1]
	v_mov_b32_e32 v194, v209
	v_mov_b32_e32 v49, v212
	v_pk_add_f32 v[214:215], v[208:209], v[48:49] neg_lo:[0,1] neg_hi:[0,1]
	v_mov_b32_e32 v208, v193
	v_mov_b32_e32 v209, v212
	;; [unrolled: 1-line block ×3, first 2 shown]
	v_pk_add_f32 v[194:195], v[194:195], v[208:209] neg_lo:[0,1] neg_hi:[0,1]
	v_mov_b32_e32 v199, v192
	v_pk_add_f32 v[192:193], v[198:199], v[194:195] neg_lo:[0,1] neg_hi:[0,1]
	v_mov_b32_e32 v214, v210
	v_pk_add_f32 v[194:195], v[214:215], v[192:193]
	s_nop 0
	v_mov_b32_e32 v198, v195
	v_pk_add_f32 v[198:199], v[194:195], v[198:199]
	s_nop 0
	v_pk_add_f32 v[196:197], v[196:197], v[198:199]
	v_mov_b32_e32 v193, v198
	v_mov_b32_e32 v195, v196
	v_pk_add_f32 v[208:209], v[194:195], v[210:211] neg_lo:[0,1] neg_hi:[0,1]
	s_nop 0
	v_sub_f32_e32 v49, v194, v208
	v_pk_add_f32 v[192:193], v[192:193], v[208:209] neg_lo:[0,1] neg_hi:[0,1]
	v_sub_f32_e32 v49, v210, v49
	v_add_f32_e32 v49, v192, v49
	v_add_f32_e32 v49, v49, v193
	;; [unrolled: 1-line block ×3, first 2 shown]
	v_cndmask_b32_e32 v49, v49, v224, vcc
	v_add_f32_e32 v49, v51, v49
.LBB479_194:                            ;   in Loop: Header=BB479_176 Depth=1
	s_or_b64 exec, exec, s[58:59]
	v_bfe_u32 v51, v49, 16, 1
	v_add3_u32 v51, v49, v51, s72
	v_lshrrev_b32_e32 v51, 16, v51
	v_cmp_o_f32_e32 vcc, v49, v49
	s_nop 1
	v_cndmask_b32_e32 v49, v183, v51, vcc
	v_and_b32_e32 v51, 0xffff, v49
.LBB479_195:                            ;   in Loop: Header=BB479_176 Depth=1
	s_or_b64 exec, exec, s[62:63]
	s_waitcnt lgkmcnt(0)
	ds_bpermute_b32 v192, v165, v51
	v_cmp_le_u32_e32 vcc, v166, v50
	s_and_saveexec_b64 s[62:63], vcc
	s_cbranch_execz .LBB479_199
; %bb.196:                              ;   in Loop: Header=BB479_176 Depth=1
	s_waitcnt lgkmcnt(0)
	v_lshlrev_b32_e32 v49, 16, v192
	v_lshlrev_b32_e32 v51, 16, v51
	v_max_f32_e32 v193, v51, v51
	v_max_f32_e32 v194, v49, v49
	v_min_f32_e32 v192, v194, v193
	v_cmp_u_f32_e32 vcc, v49, v49
	v_max_f32_e32 v193, v194, v193
	v_cmp_u_f32_e64 s[58:59], v51, v51
	v_cndmask_b32_e32 v192, v192, v49, vcc
	v_cndmask_b32_e32 v193, v193, v49, vcc
	v_cndmask_b32_e64 v192, v192, v51, s[58:59]
	v_cndmask_b32_e64 v51, v193, v51, s[58:59]
	v_cmp_neq_f32_e32 vcc, v192, v51
	v_cmp_class_f32_e64 s[58:59], v192, s64
	s_or_b64 vcc, vcc, s[58:59]
	s_and_saveexec_b64 s[58:59], vcc
	s_cbranch_execz .LBB479_198
; %bb.197:                              ;   in Loop: Header=BB479_176 Depth=1
	v_sub_f32_e32 v49, v192, v51
	v_mul_f32_e32 v192, 0x3fb8aa3b, v49
	v_fma_f32 v193, v49, s65, -v192
	v_rndne_f32_e32 v194, v192
	v_fmac_f32_e32 v193, 0x32a5705f, v49
	v_sub_f32_e32 v192, v192, v194
	v_add_f32_e32 v192, v192, v193
	v_cvt_i32_f32_e32 v193, v194
	v_exp_f32_e32 v192, v192
	v_cmp_ngt_f32_e32 vcc, s66, v49
	v_ldexp_f32 v192, v192, v193
	s_nop 0
	v_cndmask_b32_e32 v192, 0, v192, vcc
	v_cmp_nlt_f32_e32 vcc, s67, v49
	s_nop 1
	v_cndmask_b32_e32 v224, v182, v192, vcc
	v_add_f32_e32 v49, 1.0, v224
	v_add_f32_e32 v192, -1.0, v49
	v_sub_f32_e32 v193, v192, v49
	v_add_f32_e32 v193, 1.0, v193
	v_sub_f32_e32 v192, v224, v192
	v_add_f32_e32 v194, v192, v193
	v_frexp_mant_f32_e32 v195, v49
	v_cvt_f64_f32_e32 v[192:193], v49
	v_frexp_exp_i32_f64_e32 v192, v[192:193]
	v_cmp_gt_f32_e32 vcc, s69, v195
	v_cmp_lt_f32_e64 s[74:75], |v224|, s71
	s_nop 0
	v_subbrev_co_u32_e32 v208, vcc, 0, v192, vcc
	v_sub_u32_e32 v192, 0, v208
	v_ldexp_f32 v49, v49, v192
	v_ldexp_f32 v192, v194, v192
	v_add_f32_e32 v194, -1.0, v49
	v_add_f32_e32 v193, 1.0, v194
	v_sub_f32_e32 v193, v49, v193
	v_add_f32_e32 v195, v192, v193
	v_add_f32_e32 v193, 1.0, v49
	v_add_f32_e32 v196, -1.0, v193
	v_sub_f32_e32 v49, v49, v196
	v_add_f32_e32 v49, v192, v49
	v_add_f32_e32 v209, v193, v49
	v_rcp_f32_e32 v210, v209
	v_sub_f32_e32 v192, v193, v209
	v_add_f32_e32 v193, v194, v195
	v_add_f32_e32 v49, v49, v192
	v_mul_f32_e32 v212, v193, v210
	v_sub_f32_e32 v192, v194, v193
	v_mul_f32_e32 v194, v209, v212
	v_fma_f32 v196, v212, v209, -v194
	v_fmac_f32_e32 v196, v212, v49
	v_add_f32_e32 v211, v195, v192
	v_add_f32_e32 v192, v194, v196
	v_sub_f32_e32 v195, v193, v192
	v_pk_add_f32 v[198:199], v[192:193], v[194:195] neg_lo:[0,1] neg_hi:[0,1]
	v_mov_b32_e32 v197, v192
	v_pk_add_f32 v[192:193], v[198:199], v[196:197] neg_lo:[0,1] neg_hi:[0,1]
	v_cmp_eq_f32_e32 vcc, s68, v224
	v_add_f32_e32 v193, v211, v193
	v_add_f32_e32 v192, v192, v193
	;; [unrolled: 1-line block ×3, first 2 shown]
	v_mul_f32_e32 v211, v210, v193
	v_mul_f32_e32 v194, v209, v211
	v_fma_f32 v196, v211, v209, -v194
	v_fmac_f32_e32 v196, v211, v49
	v_sub_f32_e32 v49, v195, v193
	v_add_f32_e32 v49, v192, v49
	v_add_f32_e32 v192, v194, v196
	v_sub_f32_e32 v195, v193, v192
	v_pk_add_f32 v[198:199], v[192:193], v[194:195] neg_lo:[0,1] neg_hi:[0,1]
	v_mov_b32_e32 v197, v192
	v_pk_add_f32 v[192:193], v[198:199], v[196:197] neg_lo:[0,1] neg_hi:[0,1]
	s_or_b64 vcc, vcc, s[74:75]
	v_add_f32_e32 v49, v49, v193
	v_add_f32_e32 v49, v192, v49
	;; [unrolled: 1-line block ×4, first 2 shown]
	v_sub_f32_e32 v192, v193, v212
	v_mul_f32_e32 v49, v210, v49
	v_sub_f32_e32 v192, v211, v192
	v_add_f32_e32 v194, v192, v49
	v_add_f32_e32 v196, v193, v194
	v_cvt_f32_i32_e32 v192, v208
	v_mul_f32_e32 v197, v196, v196
	v_sub_f32_e32 v193, v196, v193
	v_fmamk_f32 v49, v197, 0x3e9b6dac, v180
	v_sub_f32_e32 v193, v194, v193
	v_fmaak_f32 v49, v197, v49, 0x3f2aaada
	v_ldexp_f32 v198, v193, 1
	v_mul_f32_e32 v193, v196, v197
	v_ldexp_f32 v195, v196, 1
	v_pk_mul_f32 v[196:197], v[192:193], v[48:49]
	s_nop 0
	v_fma_f32 v194, v192, s70, -v196
	v_fmac_f32_e32 v194, 0xb102e308, v192
	v_pk_add_f32 v[192:193], v[196:197], v[194:195]
	s_nop 0
	v_sub_f32_e32 v49, v193, v195
	v_sub_f32_e32 v49, v197, v49
	v_add_f32_e32 v199, v198, v49
	v_mov_b32_e32 v198, v196
	v_pk_add_f32 v[196:197], v[192:193], v[196:197] neg_lo:[0,1] neg_hi:[0,1]
	v_pk_add_f32 v[208:209], v[192:193], v[198:199]
	v_mov_b32_e32 v195, v192
	v_mov_b32_e32 v197, v209
	v_pk_add_f32 v[210:211], v[194:195], v[196:197] neg_lo:[0,1] neg_hi:[0,1]
	v_pk_add_f32 v[194:195], v[194:195], v[196:197]
	v_mov_b32_e32 v198, v199
	v_mov_b32_e32 v196, v195
	v_pk_add_f32 v[212:213], v[196:197], v[192:193] neg_lo:[0,1] neg_hi:[0,1]
	v_mov_b32_e32 v194, v209
	v_mov_b32_e32 v49, v212
	v_pk_add_f32 v[214:215], v[208:209], v[48:49] neg_lo:[0,1] neg_hi:[0,1]
	v_mov_b32_e32 v208, v193
	v_mov_b32_e32 v209, v212
	;; [unrolled: 1-line block ×3, first 2 shown]
	v_pk_add_f32 v[194:195], v[194:195], v[208:209] neg_lo:[0,1] neg_hi:[0,1]
	v_mov_b32_e32 v199, v192
	v_pk_add_f32 v[192:193], v[198:199], v[194:195] neg_lo:[0,1] neg_hi:[0,1]
	v_mov_b32_e32 v214, v210
	v_pk_add_f32 v[194:195], v[214:215], v[192:193]
	s_nop 0
	v_mov_b32_e32 v198, v195
	v_pk_add_f32 v[198:199], v[194:195], v[198:199]
	s_nop 0
	v_pk_add_f32 v[196:197], v[196:197], v[198:199]
	v_mov_b32_e32 v193, v198
	v_mov_b32_e32 v195, v196
	v_pk_add_f32 v[208:209], v[194:195], v[210:211] neg_lo:[0,1] neg_hi:[0,1]
	s_nop 0
	v_sub_f32_e32 v49, v194, v208
	v_pk_add_f32 v[192:193], v[192:193], v[208:209] neg_lo:[0,1] neg_hi:[0,1]
	v_sub_f32_e32 v49, v210, v49
	v_add_f32_e32 v49, v192, v49
	v_add_f32_e32 v49, v49, v193
	;; [unrolled: 1-line block ×3, first 2 shown]
	v_cndmask_b32_e32 v49, v49, v224, vcc
	v_add_f32_e32 v49, v51, v49
.LBB479_198:                            ;   in Loop: Header=BB479_176 Depth=1
	s_or_b64 exec, exec, s[58:59]
	v_bfe_u32 v51, v49, 16, 1
	v_add3_u32 v51, v49, v51, s72
	v_lshrrev_b32_e32 v51, 16, v51
	v_cmp_o_f32_e32 vcc, v49, v49
	s_nop 1
	v_cndmask_b32_e32 v49, v183, v51, vcc
	v_and_b32_e32 v51, 0xffff, v49
.LBB479_199:                            ;   in Loop: Header=BB479_176 Depth=1
	s_or_b64 exec, exec, s[62:63]
	s_waitcnt lgkmcnt(0)
	ds_bpermute_b32 v192, v167, v51
	v_cmp_le_u32_e32 vcc, v176, v50
	s_and_saveexec_b64 s[62:63], vcc
	s_cbranch_execz .LBB479_203
; %bb.200:                              ;   in Loop: Header=BB479_176 Depth=1
	s_waitcnt lgkmcnt(0)
	v_lshlrev_b32_e32 v49, 16, v192
	v_lshlrev_b32_e32 v51, 16, v51
	v_max_f32_e32 v193, v51, v51
	v_max_f32_e32 v194, v49, v49
	v_min_f32_e32 v192, v194, v193
	v_cmp_u_f32_e32 vcc, v49, v49
	v_max_f32_e32 v193, v194, v193
	v_cmp_u_f32_e64 s[58:59], v51, v51
	v_cndmask_b32_e32 v192, v192, v49, vcc
	v_cndmask_b32_e32 v193, v193, v49, vcc
	v_cndmask_b32_e64 v192, v192, v51, s[58:59]
	v_cndmask_b32_e64 v51, v193, v51, s[58:59]
	v_cmp_neq_f32_e32 vcc, v192, v51
	v_cmp_class_f32_e64 s[58:59], v192, s64
	s_or_b64 vcc, vcc, s[58:59]
	s_and_saveexec_b64 s[58:59], vcc
	s_cbranch_execz .LBB479_202
; %bb.201:                              ;   in Loop: Header=BB479_176 Depth=1
	v_sub_f32_e32 v49, v192, v51
	v_mul_f32_e32 v192, 0x3fb8aa3b, v49
	v_fma_f32 v193, v49, s65, -v192
	v_rndne_f32_e32 v194, v192
	v_fmac_f32_e32 v193, 0x32a5705f, v49
	v_sub_f32_e32 v192, v192, v194
	v_add_f32_e32 v192, v192, v193
	v_cvt_i32_f32_e32 v193, v194
	v_exp_f32_e32 v192, v192
	v_cmp_ngt_f32_e32 vcc, s66, v49
	v_ldexp_f32 v192, v192, v193
	s_nop 0
	v_cndmask_b32_e32 v192, 0, v192, vcc
	v_cmp_nlt_f32_e32 vcc, s67, v49
	s_nop 1
	v_cndmask_b32_e32 v224, v182, v192, vcc
	v_add_f32_e32 v49, 1.0, v224
	v_add_f32_e32 v192, -1.0, v49
	v_sub_f32_e32 v193, v192, v49
	v_add_f32_e32 v193, 1.0, v193
	v_sub_f32_e32 v192, v224, v192
	v_add_f32_e32 v194, v192, v193
	v_frexp_mant_f32_e32 v195, v49
	v_cvt_f64_f32_e32 v[192:193], v49
	v_frexp_exp_i32_f64_e32 v192, v[192:193]
	v_cmp_gt_f32_e32 vcc, s69, v195
	v_cmp_lt_f32_e64 s[74:75], |v224|, s71
	s_nop 0
	v_subbrev_co_u32_e32 v208, vcc, 0, v192, vcc
	v_sub_u32_e32 v192, 0, v208
	v_ldexp_f32 v49, v49, v192
	v_ldexp_f32 v192, v194, v192
	v_add_f32_e32 v194, -1.0, v49
	v_add_f32_e32 v193, 1.0, v194
	v_sub_f32_e32 v193, v49, v193
	v_add_f32_e32 v195, v192, v193
	v_add_f32_e32 v193, 1.0, v49
	v_add_f32_e32 v196, -1.0, v193
	v_sub_f32_e32 v49, v49, v196
	v_add_f32_e32 v49, v192, v49
	v_add_f32_e32 v209, v193, v49
	v_rcp_f32_e32 v210, v209
	v_sub_f32_e32 v192, v193, v209
	v_add_f32_e32 v193, v194, v195
	v_add_f32_e32 v49, v49, v192
	v_mul_f32_e32 v212, v193, v210
	v_sub_f32_e32 v192, v194, v193
	v_mul_f32_e32 v194, v209, v212
	v_fma_f32 v196, v212, v209, -v194
	v_fmac_f32_e32 v196, v212, v49
	v_add_f32_e32 v211, v195, v192
	v_add_f32_e32 v192, v194, v196
	v_sub_f32_e32 v195, v193, v192
	v_pk_add_f32 v[198:199], v[192:193], v[194:195] neg_lo:[0,1] neg_hi:[0,1]
	v_mov_b32_e32 v197, v192
	v_pk_add_f32 v[192:193], v[198:199], v[196:197] neg_lo:[0,1] neg_hi:[0,1]
	v_cmp_eq_f32_e32 vcc, s68, v224
	v_add_f32_e32 v193, v211, v193
	v_add_f32_e32 v192, v192, v193
	;; [unrolled: 1-line block ×3, first 2 shown]
	v_mul_f32_e32 v211, v210, v193
	v_mul_f32_e32 v194, v209, v211
	v_fma_f32 v196, v211, v209, -v194
	v_fmac_f32_e32 v196, v211, v49
	v_sub_f32_e32 v49, v195, v193
	v_add_f32_e32 v49, v192, v49
	v_add_f32_e32 v192, v194, v196
	v_sub_f32_e32 v195, v193, v192
	v_pk_add_f32 v[198:199], v[192:193], v[194:195] neg_lo:[0,1] neg_hi:[0,1]
	v_mov_b32_e32 v197, v192
	v_pk_add_f32 v[192:193], v[198:199], v[196:197] neg_lo:[0,1] neg_hi:[0,1]
	s_or_b64 vcc, vcc, s[74:75]
	v_add_f32_e32 v49, v49, v193
	v_add_f32_e32 v49, v192, v49
	;; [unrolled: 1-line block ×4, first 2 shown]
	v_sub_f32_e32 v192, v193, v212
	v_mul_f32_e32 v49, v210, v49
	v_sub_f32_e32 v192, v211, v192
	v_add_f32_e32 v194, v192, v49
	v_add_f32_e32 v196, v193, v194
	v_cvt_f32_i32_e32 v192, v208
	v_mul_f32_e32 v197, v196, v196
	v_sub_f32_e32 v193, v196, v193
	v_fmamk_f32 v49, v197, 0x3e9b6dac, v180
	v_sub_f32_e32 v193, v194, v193
	v_fmaak_f32 v49, v197, v49, 0x3f2aaada
	v_ldexp_f32 v198, v193, 1
	v_mul_f32_e32 v193, v196, v197
	v_ldexp_f32 v195, v196, 1
	v_pk_mul_f32 v[196:197], v[192:193], v[48:49]
	s_nop 0
	v_fma_f32 v194, v192, s70, -v196
	v_fmac_f32_e32 v194, 0xb102e308, v192
	v_pk_add_f32 v[192:193], v[196:197], v[194:195]
	s_nop 0
	v_sub_f32_e32 v49, v193, v195
	v_sub_f32_e32 v49, v197, v49
	v_add_f32_e32 v199, v198, v49
	v_mov_b32_e32 v198, v196
	v_pk_add_f32 v[196:197], v[192:193], v[196:197] neg_lo:[0,1] neg_hi:[0,1]
	v_pk_add_f32 v[208:209], v[192:193], v[198:199]
	v_mov_b32_e32 v195, v192
	v_mov_b32_e32 v197, v209
	v_pk_add_f32 v[210:211], v[194:195], v[196:197] neg_lo:[0,1] neg_hi:[0,1]
	v_pk_add_f32 v[194:195], v[194:195], v[196:197]
	v_mov_b32_e32 v198, v199
	v_mov_b32_e32 v196, v195
	v_pk_add_f32 v[212:213], v[196:197], v[192:193] neg_lo:[0,1] neg_hi:[0,1]
	v_mov_b32_e32 v194, v209
	v_mov_b32_e32 v49, v212
	v_pk_add_f32 v[214:215], v[208:209], v[48:49] neg_lo:[0,1] neg_hi:[0,1]
	v_mov_b32_e32 v208, v193
	v_mov_b32_e32 v209, v212
	;; [unrolled: 1-line block ×3, first 2 shown]
	v_pk_add_f32 v[194:195], v[194:195], v[208:209] neg_lo:[0,1] neg_hi:[0,1]
	v_mov_b32_e32 v199, v192
	v_pk_add_f32 v[192:193], v[198:199], v[194:195] neg_lo:[0,1] neg_hi:[0,1]
	v_mov_b32_e32 v214, v210
	v_pk_add_f32 v[194:195], v[214:215], v[192:193]
	s_nop 0
	v_mov_b32_e32 v198, v195
	v_pk_add_f32 v[198:199], v[194:195], v[198:199]
	s_nop 0
	v_pk_add_f32 v[196:197], v[196:197], v[198:199]
	v_mov_b32_e32 v193, v198
	v_mov_b32_e32 v195, v196
	v_pk_add_f32 v[208:209], v[194:195], v[210:211] neg_lo:[0,1] neg_hi:[0,1]
	s_nop 0
	v_sub_f32_e32 v49, v194, v208
	v_pk_add_f32 v[192:193], v[192:193], v[208:209] neg_lo:[0,1] neg_hi:[0,1]
	v_sub_f32_e32 v49, v210, v49
	v_add_f32_e32 v49, v192, v49
	v_add_f32_e32 v49, v49, v193
	;; [unrolled: 1-line block ×3, first 2 shown]
	v_cndmask_b32_e32 v49, v49, v224, vcc
	v_add_f32_e32 v49, v51, v49
.LBB479_202:                            ;   in Loop: Header=BB479_176 Depth=1
	s_or_b64 exec, exec, s[58:59]
	v_bfe_u32 v51, v49, 16, 1
	v_add3_u32 v51, v49, v51, s72
	v_lshrrev_b32_e32 v51, 16, v51
	v_cmp_o_f32_e32 vcc, v49, v49
	s_nop 1
	v_cndmask_b32_e32 v49, v183, v51, vcc
	v_and_b32_e32 v51, 0xffff, v49
.LBB479_203:                            ;   in Loop: Header=BB479_176 Depth=1
	s_or_b64 exec, exec, s[62:63]
	s_waitcnt lgkmcnt(0)
	ds_bpermute_b32 v192, v177, v51
	v_cmp_le_u32_e32 vcc, v178, v50
	s_and_saveexec_b64 s[62:63], vcc
	s_cbranch_execz .LBB479_207
; %bb.204:                              ;   in Loop: Header=BB479_176 Depth=1
	s_waitcnt lgkmcnt(0)
	v_lshlrev_b32_e32 v49, 16, v192
	v_lshlrev_b32_e32 v50, 16, v51
	v_max_f32_e32 v192, v50, v50
	v_max_f32_e32 v193, v49, v49
	v_min_f32_e32 v51, v193, v192
	v_cmp_u_f32_e32 vcc, v49, v49
	v_max_f32_e32 v192, v193, v192
	v_cmp_u_f32_e64 s[58:59], v50, v50
	v_cndmask_b32_e32 v51, v51, v49, vcc
	v_cndmask_b32_e32 v192, v192, v49, vcc
	v_cndmask_b32_e64 v51, v51, v50, s[58:59]
	v_cndmask_b32_e64 v50, v192, v50, s[58:59]
	v_cmp_neq_f32_e32 vcc, v51, v50
	v_cmp_class_f32_e64 s[58:59], v51, s64
	s_or_b64 vcc, vcc, s[58:59]
	s_and_saveexec_b64 s[58:59], vcc
	s_cbranch_execz .LBB479_206
; %bb.205:                              ;   in Loop: Header=BB479_176 Depth=1
	v_sub_f32_e32 v49, v51, v50
	v_mul_f32_e32 v51, 0x3fb8aa3b, v49
	v_fma_f32 v192, v49, s65, -v51
	v_rndne_f32_e32 v193, v51
	v_fmac_f32_e32 v192, 0x32a5705f, v49
	v_sub_f32_e32 v51, v51, v193
	v_add_f32_e32 v51, v51, v192
	v_cvt_i32_f32_e32 v192, v193
	v_exp_f32_e32 v51, v51
	v_cmp_ngt_f32_e32 vcc, s66, v49
	v_ldexp_f32 v51, v51, v192
	s_nop 0
	v_cndmask_b32_e32 v51, 0, v51, vcc
	v_cmp_nlt_f32_e32 vcc, s67, v49
	s_nop 1
	v_cndmask_b32_e32 v51, v182, v51, vcc
	v_add_f32_e32 v49, 1.0, v51
	v_add_f32_e32 v192, -1.0, v49
	v_sub_f32_e32 v193, v192, v49
	v_add_f32_e32 v193, 1.0, v193
	v_sub_f32_e32 v192, v51, v192
	v_add_f32_e32 v194, v192, v193
	v_frexp_mant_f32_e32 v195, v49
	v_cvt_f64_f32_e32 v[192:193], v49
	v_frexp_exp_i32_f64_e32 v192, v[192:193]
	v_cmp_gt_f32_e32 vcc, s69, v195
	v_cmp_lt_f32_e64 s[74:75], |v51|, s71
	s_nop 0
	v_subbrev_co_u32_e32 v208, vcc, 0, v192, vcc
	v_sub_u32_e32 v192, 0, v208
	v_ldexp_f32 v49, v49, v192
	v_ldexp_f32 v192, v194, v192
	v_add_f32_e32 v194, -1.0, v49
	v_add_f32_e32 v193, 1.0, v194
	v_sub_f32_e32 v193, v49, v193
	v_add_f32_e32 v195, v192, v193
	v_add_f32_e32 v193, 1.0, v49
	v_add_f32_e32 v196, -1.0, v193
	v_sub_f32_e32 v49, v49, v196
	v_add_f32_e32 v49, v192, v49
	v_add_f32_e32 v209, v193, v49
	v_rcp_f32_e32 v210, v209
	v_sub_f32_e32 v192, v193, v209
	v_add_f32_e32 v193, v194, v195
	v_add_f32_e32 v49, v49, v192
	v_mul_f32_e32 v212, v193, v210
	v_sub_f32_e32 v192, v194, v193
	v_mul_f32_e32 v194, v209, v212
	v_fma_f32 v196, v212, v209, -v194
	v_fmac_f32_e32 v196, v212, v49
	v_add_f32_e32 v211, v195, v192
	v_add_f32_e32 v192, v194, v196
	v_sub_f32_e32 v195, v193, v192
	v_pk_add_f32 v[198:199], v[192:193], v[194:195] neg_lo:[0,1] neg_hi:[0,1]
	v_mov_b32_e32 v197, v192
	v_pk_add_f32 v[192:193], v[198:199], v[196:197] neg_lo:[0,1] neg_hi:[0,1]
	v_cmp_eq_f32_e32 vcc, s68, v51
	v_add_f32_e32 v193, v211, v193
	v_add_f32_e32 v192, v192, v193
	;; [unrolled: 1-line block ×3, first 2 shown]
	v_mul_f32_e32 v211, v210, v193
	v_mul_f32_e32 v194, v209, v211
	v_fma_f32 v196, v211, v209, -v194
	v_fmac_f32_e32 v196, v211, v49
	v_sub_f32_e32 v49, v195, v193
	v_add_f32_e32 v49, v192, v49
	v_add_f32_e32 v192, v194, v196
	v_sub_f32_e32 v195, v193, v192
	v_pk_add_f32 v[198:199], v[192:193], v[194:195] neg_lo:[0,1] neg_hi:[0,1]
	v_mov_b32_e32 v197, v192
	v_pk_add_f32 v[192:193], v[198:199], v[196:197] neg_lo:[0,1] neg_hi:[0,1]
	s_or_b64 vcc, vcc, s[74:75]
	v_add_f32_e32 v49, v49, v193
	v_add_f32_e32 v49, v192, v49
	;; [unrolled: 1-line block ×4, first 2 shown]
	v_sub_f32_e32 v192, v193, v212
	v_mul_f32_e32 v49, v210, v49
	v_sub_f32_e32 v192, v211, v192
	v_add_f32_e32 v194, v192, v49
	v_add_f32_e32 v196, v193, v194
	v_cvt_f32_i32_e32 v192, v208
	v_mul_f32_e32 v197, v196, v196
	v_sub_f32_e32 v193, v196, v193
	v_fmamk_f32 v49, v197, 0x3e9b6dac, v180
	v_sub_f32_e32 v193, v194, v193
	v_fmaak_f32 v49, v197, v49, 0x3f2aaada
	v_ldexp_f32 v198, v193, 1
	v_mul_f32_e32 v193, v196, v197
	v_ldexp_f32 v195, v196, 1
	v_pk_mul_f32 v[196:197], v[192:193], v[48:49]
	s_nop 0
	v_fma_f32 v194, v192, s70, -v196
	v_fmac_f32_e32 v194, 0xb102e308, v192
	v_pk_add_f32 v[192:193], v[196:197], v[194:195]
	s_nop 0
	v_sub_f32_e32 v49, v193, v195
	v_sub_f32_e32 v49, v197, v49
	v_add_f32_e32 v199, v198, v49
	v_mov_b32_e32 v198, v196
	v_pk_add_f32 v[196:197], v[192:193], v[196:197] neg_lo:[0,1] neg_hi:[0,1]
	v_pk_add_f32 v[208:209], v[192:193], v[198:199]
	v_mov_b32_e32 v195, v192
	v_mov_b32_e32 v197, v209
	v_pk_add_f32 v[210:211], v[194:195], v[196:197] neg_lo:[0,1] neg_hi:[0,1]
	v_pk_add_f32 v[194:195], v[194:195], v[196:197]
	v_mov_b32_e32 v198, v199
	v_mov_b32_e32 v196, v195
	v_pk_add_f32 v[212:213], v[196:197], v[192:193] neg_lo:[0,1] neg_hi:[0,1]
	v_mov_b32_e32 v194, v209
	v_mov_b32_e32 v49, v212
	v_pk_add_f32 v[214:215], v[208:209], v[48:49] neg_lo:[0,1] neg_hi:[0,1]
	v_mov_b32_e32 v208, v193
	v_mov_b32_e32 v209, v212
	;; [unrolled: 1-line block ×3, first 2 shown]
	v_pk_add_f32 v[194:195], v[194:195], v[208:209] neg_lo:[0,1] neg_hi:[0,1]
	v_mov_b32_e32 v199, v192
	v_pk_add_f32 v[192:193], v[198:199], v[194:195] neg_lo:[0,1] neg_hi:[0,1]
	v_mov_b32_e32 v214, v210
	v_pk_add_f32 v[194:195], v[214:215], v[192:193]
	s_nop 0
	v_mov_b32_e32 v198, v195
	v_pk_add_f32 v[198:199], v[194:195], v[198:199]
	s_nop 0
	v_pk_add_f32 v[196:197], v[196:197], v[198:199]
	v_mov_b32_e32 v193, v198
	v_mov_b32_e32 v195, v196
	v_pk_add_f32 v[208:209], v[194:195], v[210:211] neg_lo:[0,1] neg_hi:[0,1]
	s_nop 0
	v_sub_f32_e32 v49, v194, v208
	v_pk_add_f32 v[192:193], v[192:193], v[208:209] neg_lo:[0,1] neg_hi:[0,1]
	v_sub_f32_e32 v49, v210, v49
	v_add_f32_e32 v49, v192, v49
	v_add_f32_e32 v49, v49, v193
	;; [unrolled: 1-line block ×3, first 2 shown]
	v_cndmask_b32_e32 v49, v49, v51, vcc
	v_add_f32_e32 v49, v50, v49
.LBB479_206:                            ;   in Loop: Header=BB479_176 Depth=1
	s_or_b64 exec, exec, s[58:59]
	v_bfe_u32 v50, v49, 16, 1
	v_add3_u32 v50, v49, v50, s72
	v_lshrrev_b32_e32 v50, 16, v50
	v_cmp_o_f32_e32 vcc, v49, v49
	s_nop 1
	v_cndmask_b32_e32 v49, v183, v50, vcc
.LBB479_207:                            ;   in Loop: Header=BB479_176 Depth=1
	s_or_b64 exec, exec, s[62:63]
	v_lshlrev_b32_e32 v49, 16, v49
	v_lshlrev_b32_e32 v50, 16, v179
	s_waitcnt lgkmcnt(0)
	v_max_f32_e32 v192, v50, v50
	v_max_f32_e32 v193, v49, v49
	v_min_f32_e32 v51, v193, v192
	v_cmp_u_f32_e32 vcc, v49, v49
	v_max_f32_e32 v192, v193, v192
	v_cmp_u_f32_e64 s[58:59], v50, v50
	v_cndmask_b32_e32 v51, v51, v49, vcc
	v_cndmask_b32_e32 v192, v192, v49, vcc
	v_cndmask_b32_e64 v51, v51, v50, s[58:59]
	v_cndmask_b32_e64 v50, v192, v50, s[58:59]
	v_cmp_neq_f32_e32 vcc, v51, v50
	v_cmp_class_f32_e64 s[58:59], v51, s64
	s_or_b64 vcc, vcc, s[58:59]
	s_and_saveexec_b64 s[58:59], vcc
	s_cbranch_execz .LBB479_209
; %bb.208:                              ;   in Loop: Header=BB479_176 Depth=1
	v_sub_f32_e32 v49, v51, v50
	v_mul_f32_e32 v51, 0x3fb8aa3b, v49
	v_fma_f32 v192, v49, s65, -v51
	v_rndne_f32_e32 v193, v51
	v_fmac_f32_e32 v192, 0x32a5705f, v49
	v_sub_f32_e32 v51, v51, v193
	v_add_f32_e32 v51, v51, v192
	v_cvt_i32_f32_e32 v192, v193
	v_exp_f32_e32 v51, v51
	v_cmp_ngt_f32_e32 vcc, s66, v49
	v_ldexp_f32 v51, v51, v192
	s_nop 0
	v_cndmask_b32_e32 v51, 0, v51, vcc
	v_cmp_nlt_f32_e32 vcc, s67, v49
	s_nop 1
	v_cndmask_b32_e32 v51, v182, v51, vcc
	v_add_f32_e32 v49, 1.0, v51
	v_add_f32_e32 v192, -1.0, v49
	v_sub_f32_e32 v193, v192, v49
	v_add_f32_e32 v193, 1.0, v193
	v_sub_f32_e32 v192, v51, v192
	v_add_f32_e32 v194, v192, v193
	v_frexp_mant_f32_e32 v195, v49
	v_cvt_f64_f32_e32 v[192:193], v49
	v_frexp_exp_i32_f64_e32 v192, v[192:193]
	v_cmp_gt_f32_e32 vcc, s69, v195
	v_cmp_lt_f32_e64 s[62:63], |v51|, s71
	s_nop 0
	v_subbrev_co_u32_e32 v208, vcc, 0, v192, vcc
	v_sub_u32_e32 v192, 0, v208
	v_ldexp_f32 v49, v49, v192
	v_ldexp_f32 v192, v194, v192
	v_add_f32_e32 v194, -1.0, v49
	v_add_f32_e32 v193, 1.0, v194
	v_sub_f32_e32 v193, v49, v193
	v_add_f32_e32 v195, v192, v193
	v_add_f32_e32 v193, 1.0, v49
	v_add_f32_e32 v196, -1.0, v193
	v_sub_f32_e32 v49, v49, v196
	v_add_f32_e32 v49, v192, v49
	v_add_f32_e32 v209, v193, v49
	v_rcp_f32_e32 v210, v209
	v_sub_f32_e32 v192, v193, v209
	v_add_f32_e32 v193, v194, v195
	v_add_f32_e32 v49, v49, v192
	v_mul_f32_e32 v212, v193, v210
	v_sub_f32_e32 v192, v194, v193
	v_mul_f32_e32 v194, v209, v212
	v_fma_f32 v196, v212, v209, -v194
	v_fmac_f32_e32 v196, v212, v49
	v_add_f32_e32 v211, v195, v192
	v_add_f32_e32 v192, v194, v196
	v_sub_f32_e32 v195, v193, v192
	v_pk_add_f32 v[198:199], v[192:193], v[194:195] neg_lo:[0,1] neg_hi:[0,1]
	v_mov_b32_e32 v197, v192
	v_pk_add_f32 v[192:193], v[198:199], v[196:197] neg_lo:[0,1] neg_hi:[0,1]
	v_cmp_eq_f32_e32 vcc, s68, v51
	v_add_f32_e32 v193, v211, v193
	v_add_f32_e32 v192, v192, v193
	;; [unrolled: 1-line block ×3, first 2 shown]
	v_mul_f32_e32 v211, v210, v193
	v_mul_f32_e32 v194, v209, v211
	v_fma_f32 v196, v211, v209, -v194
	v_fmac_f32_e32 v196, v211, v49
	v_sub_f32_e32 v49, v195, v193
	v_add_f32_e32 v49, v192, v49
	v_add_f32_e32 v192, v194, v196
	v_sub_f32_e32 v195, v193, v192
	v_pk_add_f32 v[198:199], v[192:193], v[194:195] neg_lo:[0,1] neg_hi:[0,1]
	v_mov_b32_e32 v197, v192
	v_pk_add_f32 v[192:193], v[198:199], v[196:197] neg_lo:[0,1] neg_hi:[0,1]
	s_or_b64 vcc, vcc, s[62:63]
	v_add_f32_e32 v49, v49, v193
	v_add_f32_e32 v49, v192, v49
	;; [unrolled: 1-line block ×4, first 2 shown]
	v_sub_f32_e32 v192, v193, v212
	v_mul_f32_e32 v49, v210, v49
	v_sub_f32_e32 v192, v211, v192
	v_add_f32_e32 v194, v192, v49
	v_add_f32_e32 v196, v193, v194
	v_cvt_f32_i32_e32 v192, v208
	v_mul_f32_e32 v197, v196, v196
	v_sub_f32_e32 v193, v196, v193
	v_fmamk_f32 v49, v197, 0x3e9b6dac, v180
	v_sub_f32_e32 v193, v194, v193
	v_fmaak_f32 v49, v197, v49, 0x3f2aaada
	v_ldexp_f32 v198, v193, 1
	v_mul_f32_e32 v193, v196, v197
	v_ldexp_f32 v195, v196, 1
	v_pk_mul_f32 v[196:197], v[192:193], v[48:49]
	s_nop 0
	v_fma_f32 v194, v192, s70, -v196
	v_fmac_f32_e32 v194, 0xb102e308, v192
	v_pk_add_f32 v[192:193], v[196:197], v[194:195]
	s_nop 0
	v_sub_f32_e32 v49, v193, v195
	v_sub_f32_e32 v49, v197, v49
	v_add_f32_e32 v199, v198, v49
	v_mov_b32_e32 v198, v196
	v_pk_add_f32 v[196:197], v[192:193], v[196:197] neg_lo:[0,1] neg_hi:[0,1]
	v_pk_add_f32 v[208:209], v[192:193], v[198:199]
	v_mov_b32_e32 v195, v192
	v_mov_b32_e32 v197, v209
	v_pk_add_f32 v[210:211], v[194:195], v[196:197] neg_lo:[0,1] neg_hi:[0,1]
	v_pk_add_f32 v[194:195], v[194:195], v[196:197]
	v_mov_b32_e32 v198, v199
	v_mov_b32_e32 v196, v195
	v_pk_add_f32 v[212:213], v[196:197], v[192:193] neg_lo:[0,1] neg_hi:[0,1]
	v_mov_b32_e32 v194, v209
	v_mov_b32_e32 v49, v212
	v_pk_add_f32 v[214:215], v[208:209], v[48:49] neg_lo:[0,1] neg_hi:[0,1]
	v_mov_b32_e32 v208, v193
	v_mov_b32_e32 v209, v212
	;; [unrolled: 1-line block ×3, first 2 shown]
	v_pk_add_f32 v[194:195], v[194:195], v[208:209] neg_lo:[0,1] neg_hi:[0,1]
	v_mov_b32_e32 v199, v192
	v_pk_add_f32 v[192:193], v[198:199], v[194:195] neg_lo:[0,1] neg_hi:[0,1]
	v_mov_b32_e32 v214, v210
	v_pk_add_f32 v[194:195], v[214:215], v[192:193]
	s_nop 0
	v_mov_b32_e32 v198, v195
	v_pk_add_f32 v[198:199], v[194:195], v[198:199]
	s_nop 0
	v_pk_add_f32 v[196:197], v[196:197], v[198:199]
	v_mov_b32_e32 v193, v198
	v_mov_b32_e32 v195, v196
	v_pk_add_f32 v[208:209], v[194:195], v[210:211] neg_lo:[0,1] neg_hi:[0,1]
	s_nop 0
	v_sub_f32_e32 v49, v194, v208
	v_pk_add_f32 v[192:193], v[192:193], v[208:209] neg_lo:[0,1] neg_hi:[0,1]
	v_sub_f32_e32 v49, v210, v49
	v_add_f32_e32 v49, v192, v49
	v_add_f32_e32 v49, v49, v193
	;; [unrolled: 1-line block ×3, first 2 shown]
	v_cndmask_b32_e32 v49, v49, v51, vcc
	v_add_f32_e32 v49, v50, v49
.LBB479_209:                            ;   in Loop: Header=BB479_176 Depth=1
	s_or_b64 exec, exec, s[58:59]
	v_bfe_u32 v50, v49, 16, 1
	v_add3_u32 v50, v49, v50, s72
	v_lshrrev_b32_e32 v50, 16, v50
	v_cmp_o_f32_e32 vcc, v49, v49
	v_subrev_u32_e32 v36, 64, v36
	s_nop 0
	v_cndmask_b32_e32 v50, v183, v50, vcc
	s_branch .LBB479_176
.LBB479_210:
	s_and_saveexec_b64 s[62:63], s[56:57]
	s_cbranch_execz .LBB479_214
; %bb.211:
	v_lshlrev_b32_e32 v36, 16, v179
	v_lshlrev_b32_e32 v31, 16, v150
	v_max_f32_e32 v38, v31, v31
	v_max_f32_e32 v39, v36, v36
	v_min_f32_e32 v37, v39, v38
	v_cmp_u_f32_e32 vcc, v36, v36
	v_max_f32_e32 v38, v39, v38
	v_cmp_u_f32_e64 s[58:59], v31, v31
	v_cndmask_b32_e32 v37, v37, v36, vcc
	v_cndmask_b32_e32 v38, v38, v36, vcc
	v_cndmask_b32_e64 v37, v37, v31, s[58:59]
	v_cndmask_b32_e64 v31, v38, v31, s[58:59]
	s_movk_i32 s58, 0x1f8
	v_cmp_neq_f32_e32 vcc, v37, v31
	v_cmp_class_f32_e64 s[58:59], v37, s58
	s_or_b64 vcc, vcc, s[58:59]
	s_and_saveexec_b64 s[58:59], vcc
	s_cbranch_execz .LBB479_213
; %bb.212:
	v_sub_f32_e32 v36, v37, v31
	s_mov_b32 s64, 0x3fb8aa3b
	v_mul_f32_e32 v37, 0x3fb8aa3b, v36
	v_fma_f32 v38, v36, s64, -v37
	v_rndne_f32_e32 v39, v37
	v_fmamk_f32 v38, v36, 0x32a5705f, v38
	v_sub_f32_e32 v37, v37, v39
	v_add_f32_e32 v37, v37, v38
	v_exp_f32_e32 v37, v37
	v_cvt_i32_f32_e32 v38, v39
	s_mov_b32 s64, 0xc2ce8ed0
	v_cmp_ngt_f32_e32 vcc, s64, v36
	s_mov_b32 s64, 0x42b17218
	v_ldexp_f32 v37, v37, v38
	v_cndmask_b32_e32 v37, 0, v37, vcc
	v_mov_b32_e32 v38, 0x7f800000
	v_cmp_nlt_f32_e32 vcc, s64, v36
	s_mov_b32 s64, 0x3f2aaaab
	s_mov_b32 s65, 0x7f800000
	v_cndmask_b32_e32 v166, v38, v37, vcc
	v_add_f32_e32 v38, 1.0, v166
	v_add_f32_e32 v36, -1.0, v38
	v_sub_f32_e32 v37, v36, v38
	v_add_f32_e32 v37, 1.0, v37
	v_sub_f32_e32 v36, v166, v36
	v_add_f32_e32 v39, v36, v37
	v_frexp_mant_f32_e32 v48, v38
	v_cvt_f64_f32_e32 v[36:37], v38
	v_frexp_exp_i32_f64_e32 v36, v[36:37]
	v_cmp_gt_f32_e32 vcc, s64, v48
	s_mov_b32 s64, 0x3f317218
	s_nop 0
	v_subbrev_co_u32_e32 v150, vcc, 0, v36, vcc
	v_sub_u32_e32 v36, 0, v150
	v_ldexp_f32 v37, v38, v36
	v_add_f32_e32 v38, -1.0, v37
	v_add_f32_e32 v48, 1.0, v37
	v_ldexp_f32 v36, v39, v36
	v_add_f32_e32 v39, 1.0, v38
	v_add_f32_e32 v49, -1.0, v48
	v_sub_f32_e32 v39, v37, v39
	v_sub_f32_e32 v37, v37, v49
	v_add_f32_e32 v39, v36, v39
	v_add_f32_e32 v36, v36, v37
	;; [unrolled: 1-line block ×3, first 2 shown]
	v_rcp_f32_e32 v161, v151
	v_sub_f32_e32 v37, v48, v151
	v_add_f32_e32 v160, v36, v37
	v_add_f32_e32 v37, v38, v39
	v_mul_f32_e32 v163, v37, v161
	v_sub_f32_e32 v36, v38, v37
	v_mul_f32_e32 v38, v151, v163
	v_fma_f32 v48, v163, v151, -v38
	v_fmac_f32_e32 v48, v163, v160
	v_add_f32_e32 v162, v39, v36
	v_add_f32_e32 v36, v38, v48
	v_sub_f32_e32 v39, v37, v36
	v_pk_add_f32 v[50:51], v[36:37], v[38:39] neg_lo:[0,1] neg_hi:[0,1]
	v_mov_b32_e32 v49, v36
	v_pk_add_f32 v[36:37], v[50:51], v[48:49] neg_lo:[0,1] neg_hi:[0,1]
	v_cmp_eq_f32_e32 vcc, s65, v166
	v_add_f32_e32 v37, v162, v37
	v_add_f32_e32 v36, v36, v37
	;; [unrolled: 1-line block ×3, first 2 shown]
	v_mul_f32_e32 v162, v161, v37
	v_mul_f32_e32 v38, v151, v162
	v_fma_f32 v48, v162, v151, -v38
	v_fmac_f32_e32 v48, v162, v160
	v_sub_f32_e32 v39, v39, v37
	v_add_f32_e32 v151, v36, v39
	v_add_f32_e32 v36, v38, v48
	v_sub_f32_e32 v39, v37, v36
	v_pk_add_f32 v[50:51], v[36:37], v[38:39] neg_lo:[0,1] neg_hi:[0,1]
	v_mov_b32_e32 v49, v36
	v_pk_add_f32 v[36:37], v[50:51], v[48:49] neg_lo:[0,1] neg_hi:[0,1]
	v_cvt_f32_i32_e32 v38, v150
	v_add_f32_e32 v37, v151, v37
	v_add_f32_e32 v36, v36, v37
	;; [unrolled: 1-line block ×4, first 2 shown]
	v_sub_f32_e32 v37, v39, v163
	v_mul_f32_e32 v36, v161, v36
	v_sub_f32_e32 v37, v162, v37
	v_add_f32_e32 v36, v37, v36
	v_add_f32_e32 v48, v39, v36
	v_mul_f32_e32 v50, v48, v48
	v_mov_b32_e32 v37, 0x3ecc95a3
	v_sub_f32_e32 v39, v48, v39
	v_fmac_f32_e32 v37, 0x3e9b6dac, v50
	v_sub_f32_e32 v36, v36, v39
	v_fmaak_f32 v37, v50, v37, 0x3f2aaada
	v_ldexp_f32 v51, v36, 1
	v_mul_f32_e32 v39, v48, v50
	v_mov_b32_e32 v36, 0x3f317218
	v_pk_mul_f32 v[36:37], v[38:39], v[36:37]
	v_ldexp_f32 v49, v48, 1
	v_fma_f32 v39, v38, s64, -v36
	v_fmamk_f32 v48, v38, 0xb102e308, v39
	v_pk_add_f32 v[38:39], v[36:37], v[48:49]
	v_mov_b32_e32 v50, v36
	v_sub_f32_e32 v49, v39, v49
	v_sub_f32_e32 v49, v37, v49
	v_add_f32_e32 v51, v51, v49
	v_pk_add_f32 v[36:37], v[38:39], v[36:37] neg_lo:[0,1] neg_hi:[0,1]
	v_pk_add_f32 v[150:151], v[38:39], v[50:51]
	v_mov_b32_e32 v49, v38
	v_mov_b32_e32 v37, v151
	v_pk_add_f32 v[160:161], v[48:49], v[36:37] neg_lo:[0,1] neg_hi:[0,1]
	v_pk_add_f32 v[36:37], v[48:49], v[36:37]
	v_mov_b32_e32 v50, v51
	v_mov_b32_e32 v48, v37
	v_pk_add_f32 v[162:163], v[48:49], v[38:39] neg_lo:[0,1] neg_hi:[0,1]
	v_mov_b32_e32 v36, v151
	v_mov_b32_e32 v49, v162
	v_pk_add_f32 v[164:165], v[150:151], v[48:49] neg_lo:[0,1] neg_hi:[0,1]
	v_mov_b32_e32 v150, v39
	v_mov_b32_e32 v151, v162
	;; [unrolled: 1-line block ×3, first 2 shown]
	v_pk_add_f32 v[36:37], v[36:37], v[150:151] neg_lo:[0,1] neg_hi:[0,1]
	v_mov_b32_e32 v51, v38
	v_pk_add_f32 v[36:37], v[50:51], v[36:37] neg_lo:[0,1] neg_hi:[0,1]
	v_mov_b32_e32 v164, v160
	v_pk_add_f32 v[38:39], v[164:165], v[36:37]
	s_mov_b32 s64, 0x33800000
	v_mov_b32_e32 v50, v39
	v_pk_add_f32 v[50:51], v[38:39], v[50:51]
	v_cmp_lt_f32_e64 s[64:65], |v166|, s64
	v_pk_add_f32 v[48:49], v[48:49], v[50:51]
	v_mov_b32_e32 v37, v50
	v_mov_b32_e32 v39, v48
	v_pk_add_f32 v[150:151], v[38:39], v[160:161] neg_lo:[0,1] neg_hi:[0,1]
	s_or_b64 vcc, vcc, s[64:65]
	v_sub_f32_e32 v38, v38, v150
	v_pk_add_f32 v[36:37], v[36:37], v[150:151] neg_lo:[0,1] neg_hi:[0,1]
	v_sub_f32_e32 v38, v160, v38
	v_add_f32_e32 v36, v36, v38
	v_add_f32_e32 v36, v36, v37
	v_add_f32_e32 v36, v48, v36
	v_cndmask_b32_e32 v36, v36, v166, vcc
	v_add_f32_e32 v36, v31, v36
.LBB479_213:
	s_or_b64 exec, exec, s[58:59]
	v_bfe_u32 v31, v36, 16, 1
	s_movk_i32 vcc_lo, 0x7fff
	v_add3_u32 v37, v36, v31, vcc_lo
	s_mov_b32 vcc_lo, 0x20000
	v_mov_b32_e32 v31, 0
	v_or_b32_sdwa v37, v37, vcc_lo dst_sel:DWORD dst_unused:UNUSED_PAD src0_sel:WORD_1 src1_sel:DWORD
	v_mov_b32_e32 v38, 0x27fc0
	v_cmp_o_f32_e32 vcc, v36, v36
	v_lshl_add_u64 v[30:31], v[30:31], 2, v[28:29]
	s_nop 0
	v_cndmask_b32_e32 v36, v38, v37, vcc
	flat_store_dword v[30:31], v36 sc1
.LBB479_214:
	s_or_b64 exec, exec, s[62:63]
	s_and_b64 exec, exec, s[4:5]
	s_cbranch_execz .LBB479_216
; %bb.215:
	v_mov_b32_e32 v30, 0
	ds_write_b16 v30, v179 offset:6
.LBB479_216:
	s_or_b64 exec, exec, s[60:61]
	v_mov_b32_e32 v30, 0
	s_waitcnt lgkmcnt(0)
	s_barrier
	ds_read_u16 v30, v30 offset:6
	s_and_saveexec_b64 s[58:59], s[2:3]
	s_cbranch_execz .LBB479_220
; %bb.217:
	v_cndmask_b32_e64 v31, v149, v148, s[56:57]
	v_lshlrev_b32_e32 v36, 16, v31
	v_max_f32_e32 v31, v36, v36
	v_min_f32_e32 v37, v31, v147
	v_cmp_u_f32_e32 vcc, v36, v36
	v_max_f32_e32 v31, v31, v147
	s_nop 0
	v_cndmask_b32_e32 v37, v37, v36, vcc
	v_cndmask_b32_e32 v31, v31, v36, vcc
	v_cndmask_b32_e64 v37, v37, v146, s[54:55]
	v_cndmask_b32_e64 v31, v31, v146, s[54:55]
	s_movk_i32 s54, 0x1f8
	v_cmp_neq_f32_e32 vcc, v37, v31
	v_cmp_class_f32_e64 s[54:55], v37, s54
	s_or_b64 vcc, vcc, s[54:55]
	s_and_saveexec_b64 s[54:55], vcc
	s_cbranch_execz .LBB479_219
; %bb.218:
	v_sub_f32_e32 v36, v37, v31
	s_mov_b32 s56, 0x3fb8aa3b
	v_mul_f32_e32 v37, 0x3fb8aa3b, v36
	v_fma_f32 v38, v36, s56, -v37
	v_rndne_f32_e32 v39, v37
	v_fmamk_f32 v38, v36, 0x32a5705f, v38
	v_sub_f32_e32 v37, v37, v39
	v_add_f32_e32 v37, v37, v38
	v_exp_f32_e32 v37, v37
	v_cvt_i32_f32_e32 v38, v39
	s_mov_b32 s56, 0xc2ce8ed0
	v_cmp_ngt_f32_e32 vcc, s56, v36
	s_mov_b32 s56, 0x42b17218
	v_ldexp_f32 v37, v37, v38
	v_cndmask_b32_e32 v37, 0, v37, vcc
	v_mov_b32_e32 v38, 0x7f800000
	v_cmp_nlt_f32_e32 vcc, s56, v36
	s_mov_b32 s56, 0x3f2aaaab
	s_mov_b32 s57, 0x7f800000
	v_cndmask_b32_e32 v162, v38, v37, vcc
	v_add_f32_e32 v38, 1.0, v162
	v_add_f32_e32 v36, -1.0, v38
	v_sub_f32_e32 v37, v36, v38
	v_add_f32_e32 v37, 1.0, v37
	v_sub_f32_e32 v36, v162, v36
	v_add_f32_e32 v39, v36, v37
	v_frexp_mant_f32_e32 v48, v38
	v_cvt_f64_f32_e32 v[36:37], v38
	v_frexp_exp_i32_f64_e32 v36, v[36:37]
	v_cmp_gt_f32_e32 vcc, s56, v48
	s_mov_b32 s56, 0x3f317218
	s_nop 0
	v_subbrev_co_u32_e32 v146, vcc, 0, v36, vcc
	v_sub_u32_e32 v36, 0, v146
	v_ldexp_f32 v37, v38, v36
	v_add_f32_e32 v38, -1.0, v37
	v_add_f32_e32 v48, 1.0, v37
	v_ldexp_f32 v36, v39, v36
	v_add_f32_e32 v39, 1.0, v38
	v_add_f32_e32 v49, -1.0, v48
	v_sub_f32_e32 v39, v37, v39
	v_sub_f32_e32 v37, v37, v49
	v_add_f32_e32 v39, v36, v39
	v_add_f32_e32 v36, v36, v37
	;; [unrolled: 1-line block ×3, first 2 shown]
	v_rcp_f32_e32 v149, v147
	v_sub_f32_e32 v37, v48, v147
	v_add_f32_e32 v148, v36, v37
	v_add_f32_e32 v37, v38, v39
	v_mul_f32_e32 v151, v37, v149
	v_sub_f32_e32 v36, v38, v37
	v_mul_f32_e32 v38, v147, v151
	v_fma_f32 v48, v151, v147, -v38
	v_fmac_f32_e32 v48, v151, v148
	v_add_f32_e32 v150, v39, v36
	v_add_f32_e32 v36, v38, v48
	v_sub_f32_e32 v39, v37, v36
	v_pk_add_f32 v[50:51], v[36:37], v[38:39] neg_lo:[0,1] neg_hi:[0,1]
	v_mov_b32_e32 v49, v36
	v_pk_add_f32 v[36:37], v[50:51], v[48:49] neg_lo:[0,1] neg_hi:[0,1]
	v_cmp_eq_f32_e32 vcc, s57, v162
	v_add_f32_e32 v37, v150, v37
	v_add_f32_e32 v36, v36, v37
	;; [unrolled: 1-line block ×3, first 2 shown]
	v_mul_f32_e32 v150, v149, v37
	v_mul_f32_e32 v38, v147, v150
	v_fma_f32 v48, v150, v147, -v38
	v_fmac_f32_e32 v48, v150, v148
	v_sub_f32_e32 v39, v39, v37
	v_add_f32_e32 v147, v36, v39
	v_add_f32_e32 v36, v38, v48
	v_sub_f32_e32 v39, v37, v36
	v_pk_add_f32 v[50:51], v[36:37], v[38:39] neg_lo:[0,1] neg_hi:[0,1]
	v_mov_b32_e32 v49, v36
	v_pk_add_f32 v[36:37], v[50:51], v[48:49] neg_lo:[0,1] neg_hi:[0,1]
	v_cvt_f32_i32_e32 v38, v146
	v_add_f32_e32 v37, v147, v37
	v_add_f32_e32 v36, v36, v37
	;; [unrolled: 1-line block ×4, first 2 shown]
	v_sub_f32_e32 v37, v39, v151
	v_mul_f32_e32 v36, v149, v36
	v_sub_f32_e32 v37, v150, v37
	v_add_f32_e32 v36, v37, v36
	v_add_f32_e32 v48, v39, v36
	v_mul_f32_e32 v50, v48, v48
	v_mov_b32_e32 v37, 0x3ecc95a3
	v_sub_f32_e32 v39, v48, v39
	v_fmac_f32_e32 v37, 0x3e9b6dac, v50
	v_sub_f32_e32 v36, v36, v39
	v_fmaak_f32 v37, v50, v37, 0x3f2aaada
	v_ldexp_f32 v51, v36, 1
	v_mul_f32_e32 v39, v48, v50
	v_mov_b32_e32 v36, 0x3f317218
	v_pk_mul_f32 v[36:37], v[38:39], v[36:37]
	v_ldexp_f32 v49, v48, 1
	v_fma_f32 v39, v38, s56, -v36
	v_fmamk_f32 v48, v38, 0xb102e308, v39
	v_pk_add_f32 v[38:39], v[36:37], v[48:49]
	v_mov_b32_e32 v50, v36
	v_sub_f32_e32 v49, v39, v49
	v_sub_f32_e32 v49, v37, v49
	v_add_f32_e32 v51, v51, v49
	v_pk_add_f32 v[36:37], v[38:39], v[36:37] neg_lo:[0,1] neg_hi:[0,1]
	v_pk_add_f32 v[146:147], v[38:39], v[50:51]
	v_mov_b32_e32 v49, v38
	v_mov_b32_e32 v37, v147
	v_pk_add_f32 v[148:149], v[48:49], v[36:37] neg_lo:[0,1] neg_hi:[0,1]
	v_pk_add_f32 v[36:37], v[48:49], v[36:37]
	v_mov_b32_e32 v50, v51
	v_mov_b32_e32 v48, v37
	v_pk_add_f32 v[150:151], v[48:49], v[38:39] neg_lo:[0,1] neg_hi:[0,1]
	v_mov_b32_e32 v36, v147
	v_mov_b32_e32 v49, v150
	v_pk_add_f32 v[160:161], v[146:147], v[48:49] neg_lo:[0,1] neg_hi:[0,1]
	v_mov_b32_e32 v146, v39
	v_mov_b32_e32 v147, v150
	;; [unrolled: 1-line block ×3, first 2 shown]
	v_pk_add_f32 v[36:37], v[36:37], v[146:147] neg_lo:[0,1] neg_hi:[0,1]
	v_mov_b32_e32 v51, v38
	v_pk_add_f32 v[36:37], v[50:51], v[36:37] neg_lo:[0,1] neg_hi:[0,1]
	v_mov_b32_e32 v160, v148
	v_pk_add_f32 v[38:39], v[160:161], v[36:37]
	s_mov_b32 s56, 0x33800000
	v_mov_b32_e32 v50, v39
	v_pk_add_f32 v[50:51], v[38:39], v[50:51]
	v_cmp_lt_f32_e64 s[56:57], |v162|, s56
	v_pk_add_f32 v[48:49], v[48:49], v[50:51]
	v_mov_b32_e32 v37, v50
	v_mov_b32_e32 v39, v48
	v_pk_add_f32 v[146:147], v[38:39], v[148:149] neg_lo:[0,1] neg_hi:[0,1]
	s_or_b64 vcc, vcc, s[56:57]
	v_sub_f32_e32 v38, v38, v146
	v_pk_add_f32 v[36:37], v[36:37], v[146:147] neg_lo:[0,1] neg_hi:[0,1]
	v_sub_f32_e32 v38, v148, v38
	v_add_f32_e32 v36, v36, v38
	v_add_f32_e32 v36, v36, v37
	v_add_f32_e32 v36, v48, v36
	v_cndmask_b32_e32 v36, v36, v162, vcc
	v_add_f32_e32 v36, v31, v36
.LBB479_219:
	s_or_b64 exec, exec, s[54:55]
	v_bfe_u32 v31, v36, 16, 1
	s_movk_i32 vcc_lo, 0x7fff
	v_add3_u32 v31, v36, v31, vcc_lo
	v_and_b32_e32 v31, 0xffff0000, v31
	v_mov_b32_e32 v37, 0x7fc00000
	v_cmp_o_f32_e32 vcc, v36, v36
	s_nop 1
	v_cndmask_b32_e32 v146, v37, v31, vcc
.LBB479_220:
	s_or_b64 exec, exec, s[58:59]
	s_waitcnt lgkmcnt(0)
	v_lshlrev_b32_e32 v36, 16, v30
	v_max_f32_e32 v30, v146, v146
	v_max_f32_e32 v37, v36, v36
	v_min_f32_e32 v31, v37, v30
	v_cmp_u_f32_e32 vcc, v36, v36
	v_max_f32_e32 v30, v37, v30
	v_cmp_u_f32_e64 s[54:55], v146, v146
	v_cndmask_b32_e32 v31, v31, v36, vcc
	v_cndmask_b32_e32 v30, v30, v36, vcc
	v_cndmask_b32_e64 v31, v31, v146, s[54:55]
	v_cndmask_b32_e64 v30, v30, v146, s[54:55]
	s_movk_i32 s56, 0x1f8
	v_cmp_neq_f32_e32 vcc, v31, v30
	v_cmp_class_f32_e64 s[54:55], v31, s56
	s_or_b64 vcc, vcc, s[54:55]
	s_and_saveexec_b64 s[54:55], vcc
	s_cbranch_execz .LBB479_222
; %bb.221:
	v_sub_f32_e32 v31, v31, v30
	s_mov_b32 s57, 0x3fb8aa3b
	v_mul_f32_e32 v36, 0x3fb8aa3b, v31
	v_fma_f32 v37, v31, s57, -v36
	v_rndne_f32_e32 v38, v36
	v_fmamk_f32 v37, v31, 0x32a5705f, v37
	v_sub_f32_e32 v36, v36, v38
	v_add_f32_e32 v36, v36, v37
	v_exp_f32_e32 v36, v36
	v_cvt_i32_f32_e32 v37, v38
	s_mov_b32 s57, 0xc2ce8ed0
	v_cmp_ngt_f32_e32 vcc, s57, v31
	s_mov_b32 s57, 0x42b17218
	v_ldexp_f32 v36, v36, v37
	v_cndmask_b32_e32 v36, 0, v36, vcc
	v_mov_b32_e32 v37, 0x7f800000
	v_cmp_nlt_f32_e32 vcc, s57, v31
	s_mov_b32 s57, 0x3f2aaaab
	s_mov_b32 s58, 0x7f800000
	v_cndmask_b32_e32 v162, v37, v36, vcc
	v_add_f32_e32 v31, 1.0, v162
	v_add_f32_e32 v36, -1.0, v31
	v_sub_f32_e32 v37, v36, v31
	v_add_f32_e32 v37, 1.0, v37
	v_sub_f32_e32 v36, v162, v36
	v_add_f32_e32 v38, v36, v37
	v_frexp_mant_f32_e32 v39, v31
	v_cvt_f64_f32_e32 v[36:37], v31
	v_frexp_exp_i32_f64_e32 v36, v[36:37]
	v_cmp_gt_f32_e32 vcc, s57, v39
	s_mov_b32 s57, 0x3f317218
	s_nop 0
	v_subbrev_co_u32_e32 v146, vcc, 0, v36, vcc
	v_sub_u32_e32 v36, 0, v146
	v_ldexp_f32 v31, v31, v36
	v_ldexp_f32 v36, v38, v36
	v_add_f32_e32 v38, -1.0, v31
	v_add_f32_e32 v37, 1.0, v38
	v_sub_f32_e32 v37, v31, v37
	v_add_f32_e32 v39, v36, v37
	v_add_f32_e32 v37, 1.0, v31
	v_add_f32_e32 v48, -1.0, v37
	v_sub_f32_e32 v31, v31, v48
	v_add_f32_e32 v31, v36, v31
	v_add_f32_e32 v147, v37, v31
	v_rcp_f32_e32 v148, v147
	v_sub_f32_e32 v36, v37, v147
	v_add_f32_e32 v37, v38, v39
	v_add_f32_e32 v31, v31, v36
	v_mul_f32_e32 v150, v37, v148
	v_sub_f32_e32 v36, v38, v37
	v_mul_f32_e32 v38, v147, v150
	v_fma_f32 v48, v150, v147, -v38
	v_fmac_f32_e32 v48, v150, v31
	v_add_f32_e32 v149, v39, v36
	v_add_f32_e32 v36, v38, v48
	v_sub_f32_e32 v39, v37, v36
	v_pk_add_f32 v[50:51], v[36:37], v[38:39] neg_lo:[0,1] neg_hi:[0,1]
	v_mov_b32_e32 v49, v36
	v_pk_add_f32 v[36:37], v[50:51], v[48:49] neg_lo:[0,1] neg_hi:[0,1]
	v_cmp_eq_f32_e32 vcc, s58, v162
	v_add_f32_e32 v37, v149, v37
	v_add_f32_e32 v36, v36, v37
	;; [unrolled: 1-line block ×3, first 2 shown]
	v_mul_f32_e32 v149, v148, v37
	v_mul_f32_e32 v38, v147, v149
	v_fma_f32 v48, v149, v147, -v38
	v_fmac_f32_e32 v48, v149, v31
	v_sub_f32_e32 v31, v39, v37
	v_add_f32_e32 v31, v36, v31
	v_add_f32_e32 v36, v38, v48
	v_sub_f32_e32 v39, v37, v36
	v_pk_add_f32 v[50:51], v[36:37], v[38:39] neg_lo:[0,1] neg_hi:[0,1]
	v_mov_b32_e32 v49, v36
	v_pk_add_f32 v[36:37], v[50:51], v[48:49] neg_lo:[0,1] neg_hi:[0,1]
	v_cvt_f32_i32_e32 v38, v146
	v_add_f32_e32 v31, v31, v37
	v_add_f32_e32 v31, v36, v31
	;; [unrolled: 1-line block ×4, first 2 shown]
	v_sub_f32_e32 v37, v36, v150
	v_mul_f32_e32 v31, v148, v31
	v_sub_f32_e32 v37, v149, v37
	v_add_f32_e32 v31, v37, v31
	v_add_f32_e32 v39, v36, v31
	v_mul_f32_e32 v48, v39, v39
	v_mov_b32_e32 v37, 0x3ecc95a3
	v_fmac_f32_e32 v37, 0x3e9b6dac, v48
	v_sub_f32_e32 v36, v39, v36
	v_fmaak_f32 v37, v48, v37, 0x3f2aaada
	v_sub_f32_e32 v31, v31, v36
	v_ldexp_f32 v49, v39, 1
	v_mul_f32_e32 v39, v39, v48
	v_mov_b32_e32 v36, 0x3f317218
	v_pk_mul_f32 v[36:37], v[38:39], v[36:37]
	v_ldexp_f32 v31, v31, 1
	v_fma_f32 v39, v38, s57, -v36
	v_fmamk_f32 v48, v38, 0xb102e308, v39
	v_pk_add_f32 v[38:39], v[36:37], v[48:49]
	v_mov_b32_e32 v50, v36
	v_sub_f32_e32 v49, v39, v49
	v_sub_f32_e32 v49, v37, v49
	v_add_f32_e32 v51, v31, v49
	v_pk_add_f32 v[36:37], v[38:39], v[36:37] neg_lo:[0,1] neg_hi:[0,1]
	v_pk_add_f32 v[146:147], v[38:39], v[50:51]
	v_mov_b32_e32 v49, v38
	v_mov_b32_e32 v37, v147
	v_pk_add_f32 v[148:149], v[48:49], v[36:37] neg_lo:[0,1] neg_hi:[0,1]
	v_pk_add_f32 v[36:37], v[48:49], v[36:37]
	v_mov_b32_e32 v50, v51
	v_mov_b32_e32 v48, v37
	v_pk_add_f32 v[150:151], v[48:49], v[38:39] neg_lo:[0,1] neg_hi:[0,1]
	v_mov_b32_e32 v36, v147
	v_mov_b32_e32 v31, v150
	v_pk_add_f32 v[160:161], v[146:147], v[30:31] neg_lo:[0,1] neg_hi:[0,1]
	v_mov_b32_e32 v146, v39
	v_mov_b32_e32 v147, v150
	;; [unrolled: 1-line block ×3, first 2 shown]
	v_pk_add_f32 v[36:37], v[36:37], v[146:147] neg_lo:[0,1] neg_hi:[0,1]
	v_mov_b32_e32 v51, v38
	v_pk_add_f32 v[36:37], v[50:51], v[36:37] neg_lo:[0,1] neg_hi:[0,1]
	v_mov_b32_e32 v160, v148
	v_pk_add_f32 v[38:39], v[160:161], v[36:37]
	s_mov_b32 s57, 0x33800000
	v_mov_b32_e32 v50, v39
	v_pk_add_f32 v[50:51], v[38:39], v[50:51]
	v_cmp_lt_f32_e64 s[58:59], |v162|, s57
	v_pk_add_f32 v[48:49], v[48:49], v[50:51]
	v_mov_b32_e32 v37, v50
	v_mov_b32_e32 v39, v48
	v_pk_add_f32 v[146:147], v[38:39], v[148:149] neg_lo:[0,1] neg_hi:[0,1]
	s_or_b64 vcc, vcc, s[58:59]
	v_sub_f32_e32 v31, v38, v146
	v_pk_add_f32 v[36:37], v[36:37], v[146:147] neg_lo:[0,1] neg_hi:[0,1]
	v_sub_f32_e32 v31, v148, v31
	v_add_f32_e32 v31, v36, v31
	v_add_f32_e32 v31, v31, v37
	;; [unrolled: 1-line block ×3, first 2 shown]
	v_cndmask_b32_e32 v31, v31, v162, vcc
	v_add_f32_e32 v36, v30, v31
.LBB479_222:
	s_or_b64 exec, exec, s[54:55]
	v_bfe_u32 v30, v36, 16, 1
	s_movk_i32 s54, 0x7fff
	v_add3_u32 v30, v36, v30, s54
	v_lshrrev_b32_e32 v30, 16, v30
	v_mov_b32_e32 v31, 0x7fc0
	v_cmp_o_f32_e32 vcc, v36, v36
	s_nop 1
	v_cndmask_b32_e32 v30, v31, v30, vcc
	v_lshlrev_b32_e32 v36, 16, v30
	v_max_f32_e32 v38, v36, v36
	v_min_f32_e32 v37, v38, v53
	v_cmp_u_f32_e32 vcc, v36, v36
	v_max_f32_e32 v38, v38, v53
	s_nop 0
	v_cndmask_b32_e32 v37, v37, v36, vcc
	v_cndmask_b32_e32 v38, v38, v36, vcc
	v_cndmask_b32_e64 v37, v37, v33, s[6:7]
	v_cndmask_b32_e64 v33, v38, v33, s[6:7]
	v_cmp_neq_f32_e32 vcc, v37, v33
	v_cmp_class_f32_e64 s[6:7], v37, s56
	s_or_b64 vcc, vcc, s[6:7]
	s_and_saveexec_b64 s[6:7], vcc
	s_cbranch_execz .LBB479_224
; %bb.223:
	v_sub_f32_e32 v36, v37, v33
	s_mov_b32 s55, 0x3fb8aa3b
	v_mul_f32_e32 v37, 0x3fb8aa3b, v36
	v_fma_f32 v38, v36, s55, -v37
	v_rndne_f32_e32 v39, v37
	v_fmamk_f32 v38, v36, 0x32a5705f, v38
	v_sub_f32_e32 v37, v37, v39
	v_add_f32_e32 v37, v37, v38
	v_exp_f32_e32 v37, v37
	v_cvt_i32_f32_e32 v38, v39
	s_mov_b32 s55, 0xc2ce8ed0
	v_cmp_ngt_f32_e32 vcc, s55, v36
	s_mov_b32 s55, 0x42b17218
	v_ldexp_f32 v37, v37, v38
	v_cndmask_b32_e32 v37, 0, v37, vcc
	v_mov_b32_e32 v38, 0x7f800000
	v_cmp_nlt_f32_e32 vcc, s55, v36
	s_mov_b32 s55, 0x3f2aaaab
	s_mov_b32 s56, 0x7f800000
	v_cndmask_b32_e32 v53, v38, v37, vcc
	v_add_f32_e32 v38, 1.0, v53
	v_add_f32_e32 v36, -1.0, v38
	v_sub_f32_e32 v37, v36, v38
	v_add_f32_e32 v37, 1.0, v37
	v_sub_f32_e32 v36, v53, v36
	v_add_f32_e32 v39, v36, v37
	v_frexp_mant_f32_e32 v48, v38
	v_cvt_f64_f32_e32 v[36:37], v38
	v_frexp_exp_i32_f64_e32 v36, v[36:37]
	v_cmp_gt_f32_e32 vcc, s55, v48
	s_mov_b32 s55, 0x3f317218
	s_nop 0
	v_subbrev_co_u32_e32 v146, vcc, 0, v36, vcc
	v_sub_u32_e32 v36, 0, v146
	v_ldexp_f32 v37, v38, v36
	v_add_f32_e32 v38, -1.0, v37
	v_add_f32_e32 v48, 1.0, v37
	v_ldexp_f32 v36, v39, v36
	v_add_f32_e32 v39, 1.0, v38
	v_add_f32_e32 v49, -1.0, v48
	v_sub_f32_e32 v39, v37, v39
	v_sub_f32_e32 v37, v37, v49
	v_add_f32_e32 v39, v36, v39
	v_add_f32_e32 v36, v36, v37
	;; [unrolled: 1-line block ×3, first 2 shown]
	v_rcp_f32_e32 v149, v147
	v_sub_f32_e32 v37, v48, v147
	v_add_f32_e32 v148, v36, v37
	v_add_f32_e32 v37, v38, v39
	v_mul_f32_e32 v151, v37, v149
	v_sub_f32_e32 v36, v38, v37
	v_mul_f32_e32 v38, v147, v151
	v_fma_f32 v48, v151, v147, -v38
	v_fmac_f32_e32 v48, v151, v148
	v_add_f32_e32 v150, v39, v36
	v_add_f32_e32 v36, v38, v48
	v_sub_f32_e32 v39, v37, v36
	v_pk_add_f32 v[50:51], v[36:37], v[38:39] neg_lo:[0,1] neg_hi:[0,1]
	v_mov_b32_e32 v49, v36
	v_pk_add_f32 v[36:37], v[50:51], v[48:49] neg_lo:[0,1] neg_hi:[0,1]
	v_cmp_eq_f32_e32 vcc, s56, v53
	v_add_f32_e32 v37, v150, v37
	v_add_f32_e32 v36, v36, v37
	;; [unrolled: 1-line block ×3, first 2 shown]
	v_mul_f32_e32 v150, v149, v37
	v_mul_f32_e32 v38, v147, v150
	v_fma_f32 v48, v150, v147, -v38
	v_fmac_f32_e32 v48, v150, v148
	v_sub_f32_e32 v39, v39, v37
	v_add_f32_e32 v147, v36, v39
	v_add_f32_e32 v36, v38, v48
	v_sub_f32_e32 v39, v37, v36
	v_pk_add_f32 v[50:51], v[36:37], v[38:39] neg_lo:[0,1] neg_hi:[0,1]
	v_mov_b32_e32 v49, v36
	v_pk_add_f32 v[36:37], v[50:51], v[48:49] neg_lo:[0,1] neg_hi:[0,1]
	v_cvt_f32_i32_e32 v38, v146
	v_add_f32_e32 v37, v147, v37
	v_add_f32_e32 v36, v36, v37
	;; [unrolled: 1-line block ×4, first 2 shown]
	v_sub_f32_e32 v37, v39, v151
	v_mul_f32_e32 v36, v149, v36
	v_sub_f32_e32 v37, v150, v37
	v_add_f32_e32 v36, v37, v36
	v_add_f32_e32 v48, v39, v36
	v_mul_f32_e32 v50, v48, v48
	v_mov_b32_e32 v37, 0x3ecc95a3
	v_sub_f32_e32 v39, v48, v39
	v_fmac_f32_e32 v37, 0x3e9b6dac, v50
	v_sub_f32_e32 v36, v36, v39
	v_fmaak_f32 v37, v50, v37, 0x3f2aaada
	v_ldexp_f32 v51, v36, 1
	v_mul_f32_e32 v39, v48, v50
	v_mov_b32_e32 v36, 0x3f317218
	v_pk_mul_f32 v[36:37], v[38:39], v[36:37]
	v_ldexp_f32 v49, v48, 1
	v_fma_f32 v39, v38, s55, -v36
	v_fmamk_f32 v48, v38, 0xb102e308, v39
	v_pk_add_f32 v[38:39], v[36:37], v[48:49]
	v_mov_b32_e32 v50, v36
	v_sub_f32_e32 v49, v39, v49
	v_sub_f32_e32 v49, v37, v49
	v_add_f32_e32 v51, v51, v49
	v_pk_add_f32 v[36:37], v[38:39], v[36:37] neg_lo:[0,1] neg_hi:[0,1]
	v_pk_add_f32 v[146:147], v[38:39], v[50:51]
	v_mov_b32_e32 v49, v38
	v_mov_b32_e32 v37, v147
	v_pk_add_f32 v[148:149], v[48:49], v[36:37] neg_lo:[0,1] neg_hi:[0,1]
	v_pk_add_f32 v[36:37], v[48:49], v[36:37]
	v_mov_b32_e32 v50, v51
	v_mov_b32_e32 v48, v37
	v_pk_add_f32 v[150:151], v[48:49], v[38:39] neg_lo:[0,1] neg_hi:[0,1]
	v_mov_b32_e32 v36, v147
	v_mov_b32_e32 v49, v150
	v_pk_add_f32 v[160:161], v[146:147], v[48:49] neg_lo:[0,1] neg_hi:[0,1]
	v_mov_b32_e32 v146, v39
	v_mov_b32_e32 v147, v150
	;; [unrolled: 1-line block ×3, first 2 shown]
	v_pk_add_f32 v[36:37], v[36:37], v[146:147] neg_lo:[0,1] neg_hi:[0,1]
	v_mov_b32_e32 v51, v38
	v_pk_add_f32 v[36:37], v[50:51], v[36:37] neg_lo:[0,1] neg_hi:[0,1]
	v_mov_b32_e32 v160, v148
	v_pk_add_f32 v[38:39], v[160:161], v[36:37]
	s_mov_b32 s55, 0x33800000
	v_mov_b32_e32 v50, v39
	v_pk_add_f32 v[50:51], v[38:39], v[50:51]
	v_cmp_lt_f32_e64 s[56:57], |v53|, s55
	v_pk_add_f32 v[48:49], v[48:49], v[50:51]
	v_mov_b32_e32 v37, v50
	v_mov_b32_e32 v39, v48
	v_pk_add_f32 v[146:147], v[38:39], v[148:149] neg_lo:[0,1] neg_hi:[0,1]
	s_or_b64 vcc, vcc, s[56:57]
	v_sub_f32_e32 v38, v38, v146
	v_pk_add_f32 v[36:37], v[36:37], v[146:147] neg_lo:[0,1] neg_hi:[0,1]
	v_sub_f32_e32 v38, v148, v38
	v_add_f32_e32 v36, v36, v38
	v_add_f32_e32 v36, v36, v37
	;; [unrolled: 1-line block ×3, first 2 shown]
	v_cndmask_b32_e32 v36, v36, v53, vcc
	v_add_f32_e32 v36, v33, v36
.LBB479_224:
	s_or_b64 exec, exec, s[6:7]
	v_bfe_u32 v33, v36, 16, 1
	v_add3_u32 v33, v36, v33, s54
	v_lshrrev_b32_e32 v33, 16, v33
	v_cmp_o_f32_e32 vcc, v36, v36
	s_nop 1
	v_cndmask_b32_e32 v31, v31, v33, vcc
	v_lshlrev_b32_e32 v37, 16, v31
	v_max_f32_e32 v33, v37, v37
	v_min_f32_e32 v36, v33, v66
	v_cmp_u_f32_e32 vcc, v37, v37
	v_max_f32_e32 v33, v33, v66
	s_nop 0
	v_cndmask_b32_e32 v36, v36, v37, vcc
	v_cndmask_b32_e32 v33, v33, v37, vcc
	v_cndmask_b32_e64 v36, v36, v54, s[8:9]
	v_cndmask_b32_e64 v33, v33, v54, s[8:9]
	s_movk_i32 s8, 0x1f8
	v_cmp_neq_f32_e32 vcc, v36, v33
	v_cmp_class_f32_e64 s[6:7], v36, s8
	s_or_b64 vcc, vcc, s[6:7]
	s_and_saveexec_b64 s[6:7], vcc
	s_cbranch_execz .LBB479_226
; %bb.225:
	v_sub_f32_e32 v36, v36, v33
	s_mov_b32 s9, 0x3fb8aa3b
	v_mul_f32_e32 v37, 0x3fb8aa3b, v36
	v_fma_f32 v38, v36, s9, -v37
	v_rndne_f32_e32 v39, v37
	v_fmamk_f32 v38, v36, 0x32a5705f, v38
	v_sub_f32_e32 v37, v37, v39
	v_add_f32_e32 v37, v37, v38
	v_exp_f32_e32 v37, v37
	v_cvt_i32_f32_e32 v38, v39
	s_mov_b32 s9, 0xc2ce8ed0
	v_cmp_ngt_f32_e32 vcc, s9, v36
	s_mov_b32 s9, 0x42b17218
	v_ldexp_f32 v37, v37, v38
	v_cndmask_b32_e32 v37, 0, v37, vcc
	v_mov_b32_e32 v38, 0x7f800000
	v_cmp_nlt_f32_e32 vcc, s9, v36
	s_mov_b32 s9, 0x3f2aaaab
	s_mov_b32 s54, 0x7f800000
	v_cndmask_b32_e32 v53, v38, v37, vcc
	v_add_f32_e32 v38, 1.0, v53
	v_add_f32_e32 v36, -1.0, v38
	v_sub_f32_e32 v37, v36, v38
	v_add_f32_e32 v37, 1.0, v37
	v_sub_f32_e32 v36, v53, v36
	v_add_f32_e32 v39, v36, v37
	v_frexp_mant_f32_e32 v48, v38
	v_cvt_f64_f32_e32 v[36:37], v38
	v_frexp_exp_i32_f64_e32 v36, v[36:37]
	v_cmp_gt_f32_e32 vcc, s9, v48
	s_mov_b32 s9, 0x3f317218
	s_nop 0
	v_subbrev_co_u32_e32 v54, vcc, 0, v36, vcc
	v_sub_u32_e32 v36, 0, v54
	v_ldexp_f32 v37, v38, v36
	v_add_f32_e32 v38, -1.0, v37
	v_add_f32_e32 v48, 1.0, v37
	v_ldexp_f32 v36, v39, v36
	v_add_f32_e32 v39, 1.0, v38
	v_add_f32_e32 v49, -1.0, v48
	v_sub_f32_e32 v39, v37, v39
	v_sub_f32_e32 v37, v37, v49
	v_add_f32_e32 v39, v36, v39
	v_add_f32_e32 v36, v36, v37
	;; [unrolled: 1-line block ×3, first 2 shown]
	v_rcp_f32_e32 v147, v66
	v_sub_f32_e32 v37, v48, v66
	v_add_f32_e32 v146, v36, v37
	v_add_f32_e32 v37, v38, v39
	v_mul_f32_e32 v149, v37, v147
	v_sub_f32_e32 v36, v38, v37
	v_mul_f32_e32 v38, v66, v149
	v_fma_f32 v48, v149, v66, -v38
	v_fmac_f32_e32 v48, v149, v146
	v_add_f32_e32 v148, v39, v36
	v_add_f32_e32 v36, v38, v48
	v_sub_f32_e32 v39, v37, v36
	v_pk_add_f32 v[50:51], v[36:37], v[38:39] neg_lo:[0,1] neg_hi:[0,1]
	v_mov_b32_e32 v49, v36
	v_pk_add_f32 v[36:37], v[50:51], v[48:49] neg_lo:[0,1] neg_hi:[0,1]
	v_cmp_eq_f32_e32 vcc, s54, v53
	v_add_f32_e32 v37, v148, v37
	v_add_f32_e32 v36, v36, v37
	;; [unrolled: 1-line block ×3, first 2 shown]
	v_mul_f32_e32 v148, v147, v37
	v_mul_f32_e32 v38, v66, v148
	v_fma_f32 v48, v148, v66, -v38
	v_fmac_f32_e32 v48, v148, v146
	v_sub_f32_e32 v39, v39, v37
	v_add_f32_e32 v66, v36, v39
	v_add_f32_e32 v36, v38, v48
	v_sub_f32_e32 v39, v37, v36
	v_pk_add_f32 v[50:51], v[36:37], v[38:39] neg_lo:[0,1] neg_hi:[0,1]
	v_mov_b32_e32 v49, v36
	v_pk_add_f32 v[36:37], v[50:51], v[48:49] neg_lo:[0,1] neg_hi:[0,1]
	v_cvt_f32_i32_e32 v38, v54
	v_add_f32_e32 v37, v66, v37
	v_add_f32_e32 v36, v36, v37
	v_add_f32_e32 v36, v39, v36
	v_add_f32_e32 v39, v149, v148
	v_sub_f32_e32 v37, v39, v149
	v_mul_f32_e32 v36, v147, v36
	v_sub_f32_e32 v37, v148, v37
	v_add_f32_e32 v36, v37, v36
	v_add_f32_e32 v48, v39, v36
	v_mul_f32_e32 v50, v48, v48
	v_mov_b32_e32 v37, 0x3ecc95a3
	v_sub_f32_e32 v39, v48, v39
	v_fmac_f32_e32 v37, 0x3e9b6dac, v50
	v_sub_f32_e32 v36, v36, v39
	v_fmaak_f32 v37, v50, v37, 0x3f2aaada
	v_ldexp_f32 v51, v36, 1
	v_mul_f32_e32 v39, v48, v50
	v_mov_b32_e32 v36, 0x3f317218
	v_pk_mul_f32 v[36:37], v[38:39], v[36:37]
	v_ldexp_f32 v49, v48, 1
	v_fma_f32 v39, v38, s9, -v36
	v_fmamk_f32 v48, v38, 0xb102e308, v39
	v_pk_add_f32 v[38:39], v[36:37], v[48:49]
	v_mov_b32_e32 v50, v36
	v_sub_f32_e32 v49, v39, v49
	v_sub_f32_e32 v49, v37, v49
	v_add_f32_e32 v51, v51, v49
	v_pk_add_f32 v[36:37], v[38:39], v[36:37] neg_lo:[0,1] neg_hi:[0,1]
	v_pk_add_f32 v[146:147], v[38:39], v[50:51]
	v_mov_b32_e32 v49, v38
	v_mov_b32_e32 v37, v147
	v_pk_add_f32 v[148:149], v[48:49], v[36:37] neg_lo:[0,1] neg_hi:[0,1]
	v_pk_add_f32 v[36:37], v[48:49], v[36:37]
	v_mov_b32_e32 v50, v51
	v_mov_b32_e32 v48, v37
	v_pk_add_f32 v[150:151], v[48:49], v[38:39] neg_lo:[0,1] neg_hi:[0,1]
	v_mov_b32_e32 v36, v147
	v_mov_b32_e32 v49, v150
	v_pk_add_f32 v[160:161], v[146:147], v[48:49] neg_lo:[0,1] neg_hi:[0,1]
	v_mov_b32_e32 v146, v39
	v_mov_b32_e32 v147, v150
	;; [unrolled: 1-line block ×3, first 2 shown]
	v_pk_add_f32 v[36:37], v[36:37], v[146:147] neg_lo:[0,1] neg_hi:[0,1]
	v_mov_b32_e32 v51, v38
	v_pk_add_f32 v[36:37], v[50:51], v[36:37] neg_lo:[0,1] neg_hi:[0,1]
	v_mov_b32_e32 v160, v148
	v_pk_add_f32 v[38:39], v[160:161], v[36:37]
	s_mov_b32 s9, 0x33800000
	v_mov_b32_e32 v50, v39
	v_pk_add_f32 v[50:51], v[38:39], v[50:51]
	v_cmp_lt_f32_e64 s[54:55], |v53|, s9
	v_pk_add_f32 v[48:49], v[48:49], v[50:51]
	v_mov_b32_e32 v37, v50
	v_mov_b32_e32 v39, v48
	v_pk_add_f32 v[146:147], v[38:39], v[148:149] neg_lo:[0,1] neg_hi:[0,1]
	s_or_b64 vcc, vcc, s[54:55]
	v_sub_f32_e32 v38, v38, v146
	v_pk_add_f32 v[36:37], v[36:37], v[146:147] neg_lo:[0,1] neg_hi:[0,1]
	v_sub_f32_e32 v38, v148, v38
	v_add_f32_e32 v36, v36, v38
	v_add_f32_e32 v36, v36, v37
	;; [unrolled: 1-line block ×3, first 2 shown]
	v_cndmask_b32_e32 v36, v36, v53, vcc
	v_add_f32_e32 v37, v33, v36
.LBB479_226:
	s_or_b64 exec, exec, s[6:7]
	v_bfe_u32 v33, v37, 16, 1
	s_movk_i32 s9, 0x7fff
	v_add3_u32 v33, v37, v33, s9
	v_lshrrev_b32_e32 v33, 16, v33
	v_mov_b32_e32 v36, 0x7fc0
	v_cmp_o_f32_e32 vcc, v37, v37
	s_nop 1
	v_cndmask_b32_e32 v33, v36, v33, vcc
	v_lshlrev_b32_e32 v38, 16, v33
	v_max_f32_e32 v37, v38, v38
	v_min_f32_e32 v39, v37, v67
	v_cmp_u_f32_e32 vcc, v38, v38
	v_max_f32_e32 v37, v37, v67
	s_nop 0
	v_cndmask_b32_e32 v39, v39, v38, vcc
	v_cndmask_b32_e32 v37, v37, v38, vcc
	v_cndmask_b32_e64 v39, v39, v55, s[10:11]
	v_cndmask_b32_e64 v37, v37, v55, s[10:11]
	v_cmp_neq_f32_e32 vcc, v39, v37
	v_cmp_class_f32_e64 s[6:7], v39, s8
	s_or_b64 s[10:11], vcc, s[6:7]
	s_and_saveexec_b64 s[6:7], s[10:11]
	s_cbranch_execz .LBB479_228
; %bb.227:
	v_sub_f32_e32 v38, v39, v37
	s_mov_b32 s8, 0x3fb8aa3b
	v_mul_f32_e32 v39, 0x3fb8aa3b, v38
	v_fma_f32 v48, v38, s8, -v39
	v_rndne_f32_e32 v49, v39
	v_fmamk_f32 v48, v38, 0x32a5705f, v48
	v_sub_f32_e32 v39, v39, v49
	v_add_f32_e32 v39, v39, v48
	v_exp_f32_e32 v39, v39
	v_cvt_i32_f32_e32 v48, v49
	s_mov_b32 s8, 0xc2ce8ed0
	v_cmp_ngt_f32_e32 vcc, s8, v38
	s_mov_b32 s8, 0x42b17218
	v_ldexp_f32 v39, v39, v48
	v_cndmask_b32_e32 v39, 0, v39, vcc
	v_mov_b32_e32 v48, 0x7f800000
	v_cmp_nlt_f32_e32 vcc, s8, v38
	s_mov_b32 s8, 0x3f2aaaab
	s_mov_b32 s10, 0x7f800000
	v_cndmask_b32_e32 v53, v48, v39, vcc
	v_add_f32_e32 v48, 1.0, v53
	v_add_f32_e32 v38, -1.0, v48
	v_sub_f32_e32 v39, v38, v48
	v_add_f32_e32 v39, 1.0, v39
	v_sub_f32_e32 v38, v53, v38
	v_add_f32_e32 v49, v38, v39
	v_frexp_mant_f32_e32 v50, v48
	v_cvt_f64_f32_e32 v[38:39], v48
	v_frexp_exp_i32_f64_e32 v38, v[38:39]
	v_cmp_gt_f32_e32 vcc, s8, v50
	s_mov_b32 s8, 0x3f317218
	s_nop 0
	v_subbrev_co_u32_e32 v66, vcc, 0, v38, vcc
	v_sub_u32_e32 v38, 0, v66
	v_ldexp_f32 v39, v48, v38
	v_add_f32_e32 v48, -1.0, v39
	v_add_f32_e32 v50, 1.0, v39
	v_ldexp_f32 v38, v49, v38
	v_add_f32_e32 v49, 1.0, v48
	v_add_f32_e32 v51, -1.0, v50
	v_sub_f32_e32 v49, v39, v49
	v_sub_f32_e32 v39, v39, v51
	v_add_f32_e32 v49, v38, v49
	v_add_f32_e32 v38, v38, v39
	;; [unrolled: 1-line block ×3, first 2 shown]
	v_rcp_f32_e32 v147, v67
	v_sub_f32_e32 v39, v50, v67
	v_add_f32_e32 v146, v38, v39
	v_add_f32_e32 v39, v48, v49
	v_mul_f32_e32 v149, v39, v147
	v_sub_f32_e32 v38, v48, v39
	v_mul_f32_e32 v48, v67, v149
	v_fma_f32 v50, v149, v67, -v48
	v_fmac_f32_e32 v50, v149, v146
	v_add_f32_e32 v148, v49, v38
	v_add_f32_e32 v38, v48, v50
	v_sub_f32_e32 v49, v39, v38
	v_pk_add_f32 v[54:55], v[38:39], v[48:49] neg_lo:[0,1] neg_hi:[0,1]
	v_mov_b32_e32 v51, v38
	v_pk_add_f32 v[38:39], v[54:55], v[50:51] neg_lo:[0,1] neg_hi:[0,1]
	v_cmp_eq_f32_e32 vcc, s10, v53
	v_add_f32_e32 v39, v148, v39
	v_add_f32_e32 v38, v38, v39
	;; [unrolled: 1-line block ×3, first 2 shown]
	v_mul_f32_e32 v148, v147, v39
	v_mul_f32_e32 v48, v67, v148
	v_fma_f32 v50, v148, v67, -v48
	v_fmac_f32_e32 v50, v148, v146
	v_sub_f32_e32 v49, v49, v39
	v_add_f32_e32 v67, v38, v49
	v_add_f32_e32 v38, v48, v50
	v_sub_f32_e32 v49, v39, v38
	v_pk_add_f32 v[54:55], v[38:39], v[48:49] neg_lo:[0,1] neg_hi:[0,1]
	v_mov_b32_e32 v51, v38
	v_pk_add_f32 v[38:39], v[54:55], v[50:51] neg_lo:[0,1] neg_hi:[0,1]
	v_cvt_f32_i32_e32 v48, v66
	v_add_f32_e32 v39, v67, v39
	v_add_f32_e32 v38, v38, v39
	;; [unrolled: 1-line block ×4, first 2 shown]
	v_sub_f32_e32 v39, v49, v149
	v_mul_f32_e32 v38, v147, v38
	v_sub_f32_e32 v39, v148, v39
	v_add_f32_e32 v38, v39, v38
	v_add_f32_e32 v50, v49, v38
	v_mul_f32_e32 v54, v50, v50
	v_mov_b32_e32 v39, 0x3ecc95a3
	v_sub_f32_e32 v49, v50, v49
	v_fmac_f32_e32 v39, 0x3e9b6dac, v54
	v_sub_f32_e32 v38, v38, v49
	v_fmaak_f32 v39, v54, v39, 0x3f2aaada
	v_ldexp_f32 v55, v38, 1
	v_mul_f32_e32 v49, v50, v54
	v_mov_b32_e32 v38, 0x3f317218
	v_pk_mul_f32 v[38:39], v[48:49], v[38:39]
	v_ldexp_f32 v51, v50, 1
	v_fma_f32 v49, v48, s8, -v38
	v_fmamk_f32 v50, v48, 0xb102e308, v49
	v_pk_add_f32 v[48:49], v[38:39], v[50:51]
	v_mov_b32_e32 v54, v38
	v_sub_f32_e32 v51, v49, v51
	v_sub_f32_e32 v51, v39, v51
	v_add_f32_e32 v55, v55, v51
	v_pk_add_f32 v[38:39], v[48:49], v[38:39] neg_lo:[0,1] neg_hi:[0,1]
	v_pk_add_f32 v[66:67], v[48:49], v[54:55]
	v_mov_b32_e32 v51, v48
	v_mov_b32_e32 v39, v67
	v_pk_add_f32 v[146:147], v[50:51], v[38:39] neg_lo:[0,1] neg_hi:[0,1]
	v_pk_add_f32 v[38:39], v[50:51], v[38:39]
	v_mov_b32_e32 v54, v55
	v_mov_b32_e32 v50, v39
	v_pk_add_f32 v[148:149], v[50:51], v[48:49] neg_lo:[0,1] neg_hi:[0,1]
	v_mov_b32_e32 v38, v67
	v_mov_b32_e32 v51, v148
	v_pk_add_f32 v[150:151], v[66:67], v[50:51] neg_lo:[0,1] neg_hi:[0,1]
	v_mov_b32_e32 v66, v49
	v_mov_b32_e32 v67, v148
	;; [unrolled: 1-line block ×3, first 2 shown]
	v_pk_add_f32 v[38:39], v[38:39], v[66:67] neg_lo:[0,1] neg_hi:[0,1]
	v_mov_b32_e32 v55, v48
	v_pk_add_f32 v[38:39], v[54:55], v[38:39] neg_lo:[0,1] neg_hi:[0,1]
	v_mov_b32_e32 v150, v146
	v_pk_add_f32 v[48:49], v[150:151], v[38:39]
	s_mov_b32 s8, 0x33800000
	v_mov_b32_e32 v54, v49
	v_pk_add_f32 v[54:55], v[48:49], v[54:55]
	v_cmp_lt_f32_e64 s[10:11], |v53|, s8
	v_pk_add_f32 v[50:51], v[50:51], v[54:55]
	v_mov_b32_e32 v39, v54
	v_mov_b32_e32 v49, v50
	v_pk_add_f32 v[66:67], v[48:49], v[146:147] neg_lo:[0,1] neg_hi:[0,1]
	s_or_b64 vcc, vcc, s[10:11]
	v_sub_f32_e32 v48, v48, v66
	v_pk_add_f32 v[38:39], v[38:39], v[66:67] neg_lo:[0,1] neg_hi:[0,1]
	v_sub_f32_e32 v48, v146, v48
	v_add_f32_e32 v38, v38, v48
	v_add_f32_e32 v38, v38, v39
	;; [unrolled: 1-line block ×3, first 2 shown]
	v_cndmask_b32_e32 v38, v38, v53, vcc
	v_add_f32_e32 v38, v37, v38
.LBB479_228:
	s_or_b64 exec, exec, s[6:7]
	v_bfe_u32 v37, v38, 16, 1
	v_add3_u32 v37, v38, v37, s9
	v_lshrrev_b32_e32 v37, 16, v37
	v_cmp_o_f32_e32 vcc, v38, v38
	s_movk_i32 s8, 0x1f8
	s_nop 0
	v_cndmask_b32_e32 v36, v36, v37, vcc
	v_lshlrev_b32_e32 v39, 16, v36
	v_max_f32_e32 v37, v39, v39
	v_min_f32_e32 v38, v37, v70
	v_cmp_u_f32_e32 vcc, v39, v39
	v_max_f32_e32 v37, v37, v70
	s_nop 0
	v_cndmask_b32_e32 v38, v38, v39, vcc
	v_cndmask_b32_e32 v37, v37, v39, vcc
	v_cndmask_b32_e64 v38, v38, v64, s[12:13]
	v_cndmask_b32_e64 v37, v37, v64, s[12:13]
	v_cmp_neq_f32_e32 vcc, v38, v37
	v_cmp_class_f32_e64 s[6:7], v38, s8
	s_or_b64 s[10:11], vcc, s[6:7]
	s_and_saveexec_b64 s[6:7], s[10:11]
	s_cbranch_execz .LBB479_230
; %bb.229:
	v_sub_f32_e32 v38, v38, v37
	s_mov_b32 s9, 0x3fb8aa3b
	v_mul_f32_e32 v39, 0x3fb8aa3b, v38
	v_fma_f32 v48, v38, s9, -v39
	v_rndne_f32_e32 v49, v39
	v_fmamk_f32 v48, v38, 0x32a5705f, v48
	v_sub_f32_e32 v39, v39, v49
	v_add_f32_e32 v39, v39, v48
	v_exp_f32_e32 v39, v39
	v_cvt_i32_f32_e32 v48, v49
	s_mov_b32 s9, 0xc2ce8ed0
	v_cmp_ngt_f32_e32 vcc, s9, v38
	s_mov_b32 s9, 0x42b17218
	v_ldexp_f32 v39, v39, v48
	v_cndmask_b32_e32 v39, 0, v39, vcc
	v_mov_b32_e32 v48, 0x7f800000
	v_cmp_nlt_f32_e32 vcc, s9, v38
	s_mov_b32 s9, 0x3f2aaaab
	s_mov_b32 s10, 0x7f800000
	v_cndmask_b32_e32 v53, v48, v39, vcc
	v_add_f32_e32 v48, 1.0, v53
	v_add_f32_e32 v38, -1.0, v48
	v_sub_f32_e32 v39, v38, v48
	v_add_f32_e32 v39, 1.0, v39
	v_sub_f32_e32 v38, v53, v38
	v_add_f32_e32 v49, v38, v39
	v_frexp_mant_f32_e32 v50, v48
	v_cvt_f64_f32_e32 v[38:39], v48
	v_frexp_exp_i32_f64_e32 v38, v[38:39]
	v_cmp_gt_f32_e32 vcc, s9, v50
	s_mov_b32 s9, 0x3f317218
	s_nop 0
	v_subbrev_co_u32_e32 v64, vcc, 0, v38, vcc
	v_sub_u32_e32 v38, 0, v64
	v_ldexp_f32 v39, v48, v38
	v_add_f32_e32 v48, -1.0, v39
	v_add_f32_e32 v50, 1.0, v39
	v_ldexp_f32 v38, v49, v38
	v_add_f32_e32 v49, 1.0, v48
	v_add_f32_e32 v51, -1.0, v50
	v_sub_f32_e32 v49, v39, v49
	v_sub_f32_e32 v39, v39, v51
	v_add_f32_e32 v49, v38, v49
	v_add_f32_e32 v38, v38, v39
	;; [unrolled: 1-line block ×3, first 2 shown]
	v_rcp_f32_e32 v70, v66
	v_sub_f32_e32 v39, v50, v66
	v_add_f32_e32 v67, v38, v39
	v_add_f32_e32 v39, v48, v49
	v_mul_f32_e32 v147, v39, v70
	v_sub_f32_e32 v38, v48, v39
	v_mul_f32_e32 v48, v66, v147
	v_fma_f32 v50, v147, v66, -v48
	v_fmac_f32_e32 v50, v147, v67
	v_add_f32_e32 v146, v49, v38
	v_add_f32_e32 v38, v48, v50
	v_sub_f32_e32 v49, v39, v38
	v_pk_add_f32 v[54:55], v[38:39], v[48:49] neg_lo:[0,1] neg_hi:[0,1]
	v_mov_b32_e32 v51, v38
	v_pk_add_f32 v[38:39], v[54:55], v[50:51] neg_lo:[0,1] neg_hi:[0,1]
	v_cmp_eq_f32_e32 vcc, s10, v53
	v_add_f32_e32 v39, v146, v39
	v_add_f32_e32 v38, v38, v39
	;; [unrolled: 1-line block ×3, first 2 shown]
	v_mul_f32_e32 v146, v70, v39
	v_mul_f32_e32 v48, v66, v146
	v_fma_f32 v50, v146, v66, -v48
	v_fmac_f32_e32 v50, v146, v67
	v_sub_f32_e32 v49, v49, v39
	v_add_f32_e32 v66, v38, v49
	v_add_f32_e32 v38, v48, v50
	v_sub_f32_e32 v49, v39, v38
	v_pk_add_f32 v[54:55], v[38:39], v[48:49] neg_lo:[0,1] neg_hi:[0,1]
	v_mov_b32_e32 v51, v38
	v_pk_add_f32 v[38:39], v[54:55], v[50:51] neg_lo:[0,1] neg_hi:[0,1]
	v_cvt_f32_i32_e32 v48, v64
	v_add_f32_e32 v39, v66, v39
	v_add_f32_e32 v38, v38, v39
	v_add_f32_e32 v38, v49, v38
	v_add_f32_e32 v49, v147, v146
	v_sub_f32_e32 v39, v49, v147
	v_mul_f32_e32 v38, v70, v38
	v_sub_f32_e32 v39, v146, v39
	v_add_f32_e32 v38, v39, v38
	v_add_f32_e32 v50, v49, v38
	v_mul_f32_e32 v54, v50, v50
	v_mov_b32_e32 v39, 0x3ecc95a3
	v_sub_f32_e32 v49, v50, v49
	v_fmac_f32_e32 v39, 0x3e9b6dac, v54
	v_sub_f32_e32 v38, v38, v49
	v_fmaak_f32 v39, v54, v39, 0x3f2aaada
	v_ldexp_f32 v55, v38, 1
	v_mul_f32_e32 v49, v50, v54
	v_mov_b32_e32 v38, 0x3f317218
	v_pk_mul_f32 v[38:39], v[48:49], v[38:39]
	v_ldexp_f32 v51, v50, 1
	v_fma_f32 v49, v48, s9, -v38
	v_fmamk_f32 v50, v48, 0xb102e308, v49
	v_pk_add_f32 v[48:49], v[38:39], v[50:51]
	v_mov_b32_e32 v54, v38
	v_sub_f32_e32 v51, v49, v51
	v_sub_f32_e32 v51, v39, v51
	v_add_f32_e32 v55, v55, v51
	v_pk_add_f32 v[38:39], v[48:49], v[38:39] neg_lo:[0,1] neg_hi:[0,1]
	v_pk_add_f32 v[66:67], v[48:49], v[54:55]
	v_mov_b32_e32 v51, v48
	v_mov_b32_e32 v39, v67
	v_pk_add_f32 v[146:147], v[50:51], v[38:39] neg_lo:[0,1] neg_hi:[0,1]
	v_pk_add_f32 v[38:39], v[50:51], v[38:39]
	v_mov_b32_e32 v54, v55
	v_mov_b32_e32 v50, v39
	v_pk_add_f32 v[148:149], v[50:51], v[48:49] neg_lo:[0,1] neg_hi:[0,1]
	v_mov_b32_e32 v38, v67
	v_mov_b32_e32 v51, v148
	v_pk_add_f32 v[150:151], v[66:67], v[50:51] neg_lo:[0,1] neg_hi:[0,1]
	v_mov_b32_e32 v66, v49
	v_mov_b32_e32 v67, v148
	;; [unrolled: 1-line block ×3, first 2 shown]
	v_pk_add_f32 v[38:39], v[38:39], v[66:67] neg_lo:[0,1] neg_hi:[0,1]
	v_mov_b32_e32 v55, v48
	v_pk_add_f32 v[38:39], v[54:55], v[38:39] neg_lo:[0,1] neg_hi:[0,1]
	v_mov_b32_e32 v150, v146
	v_pk_add_f32 v[48:49], v[150:151], v[38:39]
	s_mov_b32 s9, 0x33800000
	v_mov_b32_e32 v54, v49
	v_pk_add_f32 v[54:55], v[48:49], v[54:55]
	v_cmp_lt_f32_e64 s[10:11], |v53|, s9
	v_pk_add_f32 v[50:51], v[50:51], v[54:55]
	v_mov_b32_e32 v39, v54
	v_mov_b32_e32 v49, v50
	v_pk_add_f32 v[66:67], v[48:49], v[146:147] neg_lo:[0,1] neg_hi:[0,1]
	s_or_b64 vcc, vcc, s[10:11]
	v_sub_f32_e32 v48, v48, v66
	v_pk_add_f32 v[38:39], v[38:39], v[66:67] neg_lo:[0,1] neg_hi:[0,1]
	v_sub_f32_e32 v48, v146, v48
	v_add_f32_e32 v38, v38, v48
	v_add_f32_e32 v38, v38, v39
	v_add_f32_e32 v38, v50, v38
	v_cndmask_b32_e32 v38, v38, v53, vcc
	v_add_f32_e32 v39, v37, v38
.LBB479_230:
	s_or_b64 exec, exec, s[6:7]
	v_bfe_u32 v37, v39, 16, 1
	s_movk_i32 s9, 0x7fff
	v_add3_u32 v37, v39, v37, s9
	v_lshrrev_b32_e32 v37, 16, v37
	v_mov_b32_e32 v38, 0x7fc0
	v_cmp_o_f32_e32 vcc, v39, v39
	s_nop 1
	v_cndmask_b32_e32 v37, v38, v37, vcc
	v_lshlrev_b32_e32 v48, 16, v37
	v_max_f32_e32 v39, v48, v48
	v_min_f32_e32 v49, v39, v71
	v_cmp_u_f32_e32 vcc, v48, v48
	v_max_f32_e32 v39, v39, v71
	s_nop 0
	v_cndmask_b32_e32 v49, v49, v48, vcc
	v_cndmask_b32_e32 v39, v39, v48, vcc
	v_cndmask_b32_e64 v49, v49, v65, s[14:15]
	v_cndmask_b32_e64 v39, v39, v65, s[14:15]
	v_cmp_neq_f32_e32 vcc, v49, v39
	v_cmp_class_f32_e64 s[6:7], v49, s8
	s_or_b64 s[10:11], vcc, s[6:7]
	s_and_saveexec_b64 s[6:7], s[10:11]
	s_cbranch_execz .LBB479_232
; %bb.231:
	v_sub_f32_e32 v48, v49, v39
	s_mov_b32 s8, 0x3fb8aa3b
	v_mul_f32_e32 v49, 0x3fb8aa3b, v48
	v_fma_f32 v50, v48, s8, -v49
	v_rndne_f32_e32 v51, v49
	v_fmamk_f32 v50, v48, 0x32a5705f, v50
	v_sub_f32_e32 v49, v49, v51
	v_add_f32_e32 v49, v49, v50
	v_exp_f32_e32 v49, v49
	v_cvt_i32_f32_e32 v50, v51
	s_mov_b32 s8, 0xc2ce8ed0
	v_cmp_ngt_f32_e32 vcc, s8, v48
	s_mov_b32 s8, 0x42b17218
	v_ldexp_f32 v49, v49, v50
	v_cndmask_b32_e32 v49, 0, v49, vcc
	v_mov_b32_e32 v50, 0x7f800000
	v_cmp_nlt_f32_e32 vcc, s8, v48
	s_mov_b32 s8, 0x3f2aaaab
	s_mov_b32 s10, 0x7f800000
	v_cndmask_b32_e32 v150, v50, v49, vcc
	v_add_f32_e32 v50, 1.0, v150
	v_add_f32_e32 v48, -1.0, v50
	v_sub_f32_e32 v49, v48, v50
	v_add_f32_e32 v49, 1.0, v49
	v_sub_f32_e32 v48, v150, v48
	v_add_f32_e32 v51, v48, v49
	v_frexp_mant_f32_e32 v53, v50
	v_cvt_f64_f32_e32 v[48:49], v50
	v_frexp_exp_i32_f64_e32 v48, v[48:49]
	v_cmp_gt_f32_e32 vcc, s8, v53
	s_mov_b32 s8, 0x3f317218
	s_nop 0
	v_subbrev_co_u32_e32 v53, vcc, 0, v48, vcc
	v_sub_u32_e32 v48, 0, v53
	v_ldexp_f32 v49, v50, v48
	v_add_f32_e32 v50, -1.0, v49
	v_add_f32_e32 v54, 1.0, v49
	v_ldexp_f32 v48, v51, v48
	v_add_f32_e32 v51, 1.0, v50
	v_add_f32_e32 v55, -1.0, v54
	v_sub_f32_e32 v51, v49, v51
	v_sub_f32_e32 v49, v49, v55
	v_add_f32_e32 v51, v48, v51
	v_add_f32_e32 v48, v48, v49
	;; [unrolled: 1-line block ×3, first 2 shown]
	v_rcp_f32_e32 v70, v66
	v_sub_f32_e32 v49, v54, v66
	v_add_f32_e32 v67, v48, v49
	v_add_f32_e32 v49, v50, v51
	v_mul_f32_e32 v146, v49, v70
	v_sub_f32_e32 v48, v50, v49
	v_mul_f32_e32 v50, v66, v146
	v_fma_f32 v54, v146, v66, -v50
	v_fmac_f32_e32 v54, v146, v67
	v_add_f32_e32 v71, v51, v48
	v_add_f32_e32 v48, v50, v54
	v_sub_f32_e32 v51, v49, v48
	v_pk_add_f32 v[64:65], v[48:49], v[50:51] neg_lo:[0,1] neg_hi:[0,1]
	v_mov_b32_e32 v55, v48
	v_pk_add_f32 v[48:49], v[64:65], v[54:55] neg_lo:[0,1] neg_hi:[0,1]
	v_cmp_eq_f32_e32 vcc, s10, v150
	v_add_f32_e32 v49, v71, v49
	v_add_f32_e32 v48, v48, v49
	v_add_f32_e32 v49, v51, v48
	v_mul_f32_e32 v71, v70, v49
	v_mul_f32_e32 v50, v66, v71
	v_fma_f32 v54, v71, v66, -v50
	v_fmac_f32_e32 v54, v71, v67
	v_sub_f32_e32 v51, v51, v49
	v_add_f32_e32 v66, v48, v51
	v_add_f32_e32 v48, v50, v54
	v_sub_f32_e32 v51, v49, v48
	v_pk_add_f32 v[64:65], v[48:49], v[50:51] neg_lo:[0,1] neg_hi:[0,1]
	v_mov_b32_e32 v55, v48
	v_pk_add_f32 v[48:49], v[64:65], v[54:55] neg_lo:[0,1] neg_hi:[0,1]
	v_cvt_f32_i32_e32 v50, v53
	v_add_f32_e32 v49, v66, v49
	v_add_f32_e32 v48, v48, v49
	;; [unrolled: 1-line block ×4, first 2 shown]
	v_sub_f32_e32 v49, v51, v146
	v_mul_f32_e32 v48, v70, v48
	v_sub_f32_e32 v49, v71, v49
	v_add_f32_e32 v48, v49, v48
	v_add_f32_e32 v54, v51, v48
	v_mul_f32_e32 v64, v54, v54
	v_mov_b32_e32 v49, 0x3ecc95a3
	v_sub_f32_e32 v51, v54, v51
	v_fmac_f32_e32 v49, 0x3e9b6dac, v64
	v_sub_f32_e32 v48, v48, v51
	v_fmaak_f32 v49, v64, v49, 0x3f2aaada
	v_ldexp_f32 v53, v48, 1
	v_mul_f32_e32 v51, v54, v64
	v_mov_b32_e32 v48, 0x3f317218
	v_pk_mul_f32 v[48:49], v[50:51], v[48:49]
	v_ldexp_f32 v55, v54, 1
	v_fma_f32 v51, v50, s8, -v48
	v_fmamk_f32 v54, v50, 0xb102e308, v51
	v_pk_add_f32 v[50:51], v[48:49], v[54:55]
	v_mov_b32_e32 v64, v48
	v_sub_f32_e32 v55, v51, v55
	v_sub_f32_e32 v55, v49, v55
	v_add_f32_e32 v65, v53, v55
	v_pk_add_f32 v[48:49], v[50:51], v[48:49] neg_lo:[0,1] neg_hi:[0,1]
	v_pk_add_f32 v[66:67], v[50:51], v[64:65]
	v_mov_b32_e32 v55, v50
	v_mov_b32_e32 v49, v67
	v_pk_add_f32 v[70:71], v[54:55], v[48:49] neg_lo:[0,1] neg_hi:[0,1]
	v_pk_add_f32 v[48:49], v[54:55], v[48:49]
	v_mov_b32_e32 v64, v65
	v_mov_b32_e32 v54, v49
	v_pk_add_f32 v[146:147], v[54:55], v[50:51] neg_lo:[0,1] neg_hi:[0,1]
	v_mov_b32_e32 v48, v67
	v_mov_b32_e32 v53, v146
	v_pk_add_f32 v[148:149], v[66:67], v[52:53] neg_lo:[0,1] neg_hi:[0,1]
	v_mov_b32_e32 v66, v51
	v_mov_b32_e32 v67, v146
	;; [unrolled: 1-line block ×3, first 2 shown]
	v_pk_add_f32 v[48:49], v[48:49], v[66:67] neg_lo:[0,1] neg_hi:[0,1]
	v_mov_b32_e32 v65, v50
	v_pk_add_f32 v[48:49], v[64:65], v[48:49] neg_lo:[0,1] neg_hi:[0,1]
	v_mov_b32_e32 v148, v70
	v_pk_add_f32 v[50:51], v[148:149], v[48:49]
	s_mov_b32 s8, 0x33800000
	v_mov_b32_e32 v64, v51
	v_pk_add_f32 v[64:65], v[50:51], v[64:65]
	v_cmp_lt_f32_e64 s[10:11], |v150|, s8
	v_pk_add_f32 v[54:55], v[54:55], v[64:65]
	v_mov_b32_e32 v49, v64
	v_mov_b32_e32 v51, v54
	v_pk_add_f32 v[66:67], v[50:51], v[70:71] neg_lo:[0,1] neg_hi:[0,1]
	s_or_b64 vcc, vcc, s[10:11]
	v_sub_f32_e32 v50, v50, v66
	v_pk_add_f32 v[48:49], v[48:49], v[66:67] neg_lo:[0,1] neg_hi:[0,1]
	v_sub_f32_e32 v50, v70, v50
	v_add_f32_e32 v48, v48, v50
	v_add_f32_e32 v48, v48, v49
	;; [unrolled: 1-line block ×3, first 2 shown]
	v_cndmask_b32_e32 v48, v48, v150, vcc
	v_add_f32_e32 v48, v39, v48
.LBB479_232:
	s_or_b64 exec, exec, s[6:7]
	v_bfe_u32 v39, v48, 16, 1
	v_add3_u32 v39, v48, v39, s9
	v_lshrrev_b32_e32 v39, 16, v39
	v_cmp_o_f32_e32 vcc, v48, v48
	s_movk_i32 s8, 0x1f8
	s_nop 0
	v_cndmask_b32_e32 v38, v38, v39, vcc
	v_lshlrev_b32_e32 v49, 16, v38
	v_max_f32_e32 v39, v49, v49
	v_min_f32_e32 v48, v39, v82
	v_cmp_u_f32_e32 vcc, v49, v49
	v_max_f32_e32 v39, v39, v82
	s_nop 0
	v_cndmask_b32_e32 v48, v48, v49, vcc
	v_cndmask_b32_e32 v39, v39, v49, vcc
	v_cndmask_b32_e64 v48, v48, v68, s[16:17]
	v_cndmask_b32_e64 v39, v39, v68, s[16:17]
	v_cmp_neq_f32_e32 vcc, v48, v39
	v_cmp_class_f32_e64 s[6:7], v48, s8
	s_or_b64 s[10:11], vcc, s[6:7]
	s_and_saveexec_b64 s[6:7], s[10:11]
	s_cbranch_execz .LBB479_234
; %bb.233:
	v_sub_f32_e32 v48, v48, v39
	s_mov_b32 s9, 0x3fb8aa3b
	v_mul_f32_e32 v49, 0x3fb8aa3b, v48
	v_fma_f32 v50, v48, s9, -v49
	v_rndne_f32_e32 v51, v49
	v_fmamk_f32 v50, v48, 0x32a5705f, v50
	v_sub_f32_e32 v49, v49, v51
	v_add_f32_e32 v49, v49, v50
	v_exp_f32_e32 v49, v49
	v_cvt_i32_f32_e32 v50, v51
	s_mov_b32 s9, 0xc2ce8ed0
	v_cmp_ngt_f32_e32 vcc, s9, v48
	s_mov_b32 s9, 0x42b17218
	v_ldexp_f32 v49, v49, v50
	v_cndmask_b32_e32 v49, 0, v49, vcc
	v_mov_b32_e32 v50, 0x7f800000
	v_cmp_nlt_f32_e32 vcc, s9, v48
	s_mov_b32 s9, 0x3f2aaaab
	s_mov_b32 s10, 0x7f800000
	v_cndmask_b32_e32 v68, v50, v49, vcc
	v_add_f32_e32 v50, 1.0, v68
	v_add_f32_e32 v48, -1.0, v50
	v_sub_f32_e32 v49, v48, v50
	v_add_f32_e32 v49, 1.0, v49
	v_sub_f32_e32 v48, v68, v48
	v_add_f32_e32 v51, v48, v49
	v_frexp_mant_f32_e32 v53, v50
	v_cvt_f64_f32_e32 v[48:49], v50
	v_frexp_exp_i32_f64_e32 v48, v[48:49]
	v_cmp_gt_f32_e32 vcc, s9, v53
	s_mov_b32 s9, 0x3f317218
	s_nop 0
	v_subbrev_co_u32_e32 v53, vcc, 0, v48, vcc
	v_sub_u32_e32 v48, 0, v53
	v_ldexp_f32 v49, v50, v48
	v_add_f32_e32 v50, -1.0, v49
	v_add_f32_e32 v54, 1.0, v49
	v_ldexp_f32 v48, v51, v48
	v_add_f32_e32 v51, 1.0, v50
	v_add_f32_e32 v55, -1.0, v54
	v_sub_f32_e32 v51, v49, v51
	v_sub_f32_e32 v49, v49, v55
	v_add_f32_e32 v51, v48, v51
	v_add_f32_e32 v48, v48, v49
	;; [unrolled: 1-line block ×3, first 2 shown]
	v_rcp_f32_e32 v70, v66
	v_sub_f32_e32 v49, v54, v66
	v_add_f32_e32 v67, v48, v49
	v_add_f32_e32 v49, v50, v51
	v_mul_f32_e32 v82, v49, v70
	v_sub_f32_e32 v48, v50, v49
	v_mul_f32_e32 v50, v66, v82
	v_fma_f32 v54, v82, v66, -v50
	v_fmac_f32_e32 v54, v82, v67
	v_add_f32_e32 v71, v51, v48
	v_add_f32_e32 v48, v50, v54
	v_sub_f32_e32 v51, v49, v48
	v_pk_add_f32 v[64:65], v[48:49], v[50:51] neg_lo:[0,1] neg_hi:[0,1]
	v_mov_b32_e32 v55, v48
	v_pk_add_f32 v[48:49], v[64:65], v[54:55] neg_lo:[0,1] neg_hi:[0,1]
	v_cmp_eq_f32_e32 vcc, s10, v68
	v_add_f32_e32 v49, v71, v49
	v_add_f32_e32 v48, v48, v49
	;; [unrolled: 1-line block ×3, first 2 shown]
	v_mul_f32_e32 v71, v70, v49
	v_mul_f32_e32 v50, v66, v71
	v_fma_f32 v54, v71, v66, -v50
	v_fmac_f32_e32 v54, v71, v67
	v_sub_f32_e32 v51, v51, v49
	v_add_f32_e32 v66, v48, v51
	v_add_f32_e32 v48, v50, v54
	v_sub_f32_e32 v51, v49, v48
	v_pk_add_f32 v[64:65], v[48:49], v[50:51] neg_lo:[0,1] neg_hi:[0,1]
	v_mov_b32_e32 v55, v48
	v_pk_add_f32 v[48:49], v[64:65], v[54:55] neg_lo:[0,1] neg_hi:[0,1]
	v_cvt_f32_i32_e32 v50, v53
	v_add_f32_e32 v49, v66, v49
	v_add_f32_e32 v48, v48, v49
	;; [unrolled: 1-line block ×4, first 2 shown]
	v_sub_f32_e32 v49, v51, v82
	v_mul_f32_e32 v48, v70, v48
	v_sub_f32_e32 v49, v71, v49
	v_add_f32_e32 v48, v49, v48
	v_add_f32_e32 v54, v51, v48
	v_mul_f32_e32 v64, v54, v54
	v_mov_b32_e32 v49, 0x3ecc95a3
	v_sub_f32_e32 v51, v54, v51
	v_fmac_f32_e32 v49, 0x3e9b6dac, v64
	v_sub_f32_e32 v48, v48, v51
	v_fmaak_f32 v49, v64, v49, 0x3f2aaada
	v_ldexp_f32 v53, v48, 1
	v_mul_f32_e32 v51, v54, v64
	v_mov_b32_e32 v48, 0x3f317218
	v_pk_mul_f32 v[48:49], v[50:51], v[48:49]
	v_ldexp_f32 v55, v54, 1
	v_fma_f32 v51, v50, s9, -v48
	v_fmamk_f32 v54, v50, 0xb102e308, v51
	v_pk_add_f32 v[50:51], v[48:49], v[54:55]
	v_mov_b32_e32 v64, v48
	v_sub_f32_e32 v55, v51, v55
	v_sub_f32_e32 v55, v49, v55
	v_add_f32_e32 v65, v53, v55
	v_pk_add_f32 v[48:49], v[50:51], v[48:49] neg_lo:[0,1] neg_hi:[0,1]
	v_pk_add_f32 v[66:67], v[50:51], v[64:65]
	v_mov_b32_e32 v55, v50
	v_mov_b32_e32 v49, v67
	v_pk_add_f32 v[70:71], v[54:55], v[48:49] neg_lo:[0,1] neg_hi:[0,1]
	v_pk_add_f32 v[48:49], v[54:55], v[48:49]
	v_mov_b32_e32 v64, v65
	v_mov_b32_e32 v54, v49
	v_pk_add_f32 v[146:147], v[54:55], v[50:51] neg_lo:[0,1] neg_hi:[0,1]
	v_mov_b32_e32 v48, v67
	v_mov_b32_e32 v53, v146
	v_pk_add_f32 v[148:149], v[66:67], v[52:53] neg_lo:[0,1] neg_hi:[0,1]
	v_mov_b32_e32 v66, v51
	v_mov_b32_e32 v67, v146
	v_mov_b32_e32 v71, v49
	v_pk_add_f32 v[48:49], v[48:49], v[66:67] neg_lo:[0,1] neg_hi:[0,1]
	v_mov_b32_e32 v65, v50
	v_pk_add_f32 v[48:49], v[64:65], v[48:49] neg_lo:[0,1] neg_hi:[0,1]
	v_mov_b32_e32 v148, v70
	v_pk_add_f32 v[50:51], v[148:149], v[48:49]
	s_mov_b32 s9, 0x33800000
	v_mov_b32_e32 v64, v51
	v_pk_add_f32 v[64:65], v[50:51], v[64:65]
	v_cmp_lt_f32_e64 s[10:11], |v68|, s9
	v_pk_add_f32 v[54:55], v[54:55], v[64:65]
	v_mov_b32_e32 v49, v64
	v_mov_b32_e32 v51, v54
	v_pk_add_f32 v[66:67], v[50:51], v[70:71] neg_lo:[0,1] neg_hi:[0,1]
	s_or_b64 vcc, vcc, s[10:11]
	v_sub_f32_e32 v50, v50, v66
	v_pk_add_f32 v[48:49], v[48:49], v[66:67] neg_lo:[0,1] neg_hi:[0,1]
	v_sub_f32_e32 v50, v70, v50
	v_add_f32_e32 v48, v48, v50
	v_add_f32_e32 v48, v48, v49
	v_add_f32_e32 v48, v54, v48
	v_cndmask_b32_e32 v48, v48, v68, vcc
	v_add_f32_e32 v49, v39, v48
.LBB479_234:
	s_or_b64 exec, exec, s[6:7]
	v_bfe_u32 v39, v49, 16, 1
	s_movk_i32 s9, 0x7fff
	v_add3_u32 v39, v49, v39, s9
	v_lshrrev_b32_e32 v39, 16, v39
	v_mov_b32_e32 v48, 0x7fc0
	v_cmp_o_f32_e32 vcc, v49, v49
	s_nop 1
	v_cndmask_b32_e32 v39, v48, v39, vcc
	v_lshlrev_b32_e32 v50, 16, v39
	v_max_f32_e32 v49, v50, v50
	v_min_f32_e32 v51, v49, v83
	v_cmp_u_f32_e32 vcc, v50, v50
	v_max_f32_e32 v49, v49, v83
	s_nop 0
	v_cndmask_b32_e32 v51, v51, v50, vcc
	v_cndmask_b32_e32 v49, v49, v50, vcc
	v_cndmask_b32_e64 v51, v51, v69, s[18:19]
	v_cndmask_b32_e64 v49, v49, v69, s[18:19]
	v_cmp_neq_f32_e32 vcc, v51, v49
	v_cmp_class_f32_e64 s[6:7], v51, s8
	s_or_b64 s[10:11], vcc, s[6:7]
	s_and_saveexec_b64 s[6:7], s[10:11]
	s_cbranch_execz .LBB479_236
; %bb.235:
	v_sub_f32_e32 v50, v51, v49
	s_mov_b32 s8, 0x3fb8aa3b
	v_mul_f32_e32 v51, 0x3fb8aa3b, v50
	v_fma_f32 v53, v50, s8, -v51
	v_rndne_f32_e32 v54, v51
	v_fmamk_f32 v53, v50, 0x32a5705f, v53
	v_sub_f32_e32 v51, v51, v54
	v_add_f32_e32 v51, v51, v53
	v_exp_f32_e32 v51, v51
	v_cvt_i32_f32_e32 v53, v54
	s_mov_b32 s8, 0xc2ce8ed0
	v_cmp_ngt_f32_e32 vcc, s8, v50
	s_mov_b32 s8, 0x42b17218
	v_ldexp_f32 v51, v51, v53
	v_cndmask_b32_e32 v51, 0, v51, vcc
	v_mov_b32_e32 v53, 0x7f800000
	v_cmp_nlt_f32_e32 vcc, s8, v50
	s_mov_b32 s8, 0x3f2aaaab
	s_mov_b32 s10, 0x7f800000
	v_cndmask_b32_e32 v148, v53, v51, vcc
	v_add_f32_e32 v53, 1.0, v148
	v_add_f32_e32 v50, -1.0, v53
	v_sub_f32_e32 v51, v50, v53
	v_add_f32_e32 v51, 1.0, v51
	v_sub_f32_e32 v50, v148, v50
	v_add_f32_e32 v54, v50, v51
	v_frexp_mant_f32_e32 v55, v53
	v_cvt_f64_f32_e32 v[50:51], v53
	v_frexp_exp_i32_f64_e32 v50, v[50:51]
	v_cmp_gt_f32_e32 vcc, s8, v55
	s_mov_b32 s8, 0x3f317218
	s_nop 0
	v_subbrev_co_u32_e32 v68, vcc, 0, v50, vcc
	v_sub_u32_e32 v50, 0, v68
	v_ldexp_f32 v51, v53, v50
	v_add_f32_e32 v53, -1.0, v51
	v_add_f32_e32 v55, 1.0, v51
	v_ldexp_f32 v50, v54, v50
	v_add_f32_e32 v54, 1.0, v53
	v_add_f32_e32 v64, -1.0, v55
	v_sub_f32_e32 v54, v51, v54
	v_sub_f32_e32 v51, v51, v64
	v_add_f32_e32 v54, v50, v54
	v_add_f32_e32 v50, v50, v51
	;; [unrolled: 1-line block ×3, first 2 shown]
	v_rcp_f32_e32 v71, v69
	v_sub_f32_e32 v51, v55, v69
	v_add_f32_e32 v70, v50, v51
	v_add_f32_e32 v51, v53, v54
	v_sub_f32_e32 v50, v53, v51
	v_mul_f32_e32 v82, v51, v71
	v_add_f32_e32 v53, v54, v50
	v_mul_f32_e32 v54, v69, v82
	v_fma_f32 v64, v82, v69, -v54
	v_fmac_f32_e32 v64, v82, v70
	v_add_f32_e32 v50, v54, v64
	v_sub_f32_e32 v55, v51, v50
	v_pk_add_f32 v[66:67], v[50:51], v[54:55] neg_lo:[0,1] neg_hi:[0,1]
	v_mov_b32_e32 v65, v50
	v_pk_add_f32 v[50:51], v[66:67], v[64:65] neg_lo:[0,1] neg_hi:[0,1]
	v_cmp_eq_f32_e32 vcc, s10, v148
	v_add_f32_e32 v51, v53, v51
	v_add_f32_e32 v50, v50, v51
	;; [unrolled: 1-line block ×3, first 2 shown]
	v_mul_f32_e32 v53, v71, v51
	v_mul_f32_e32 v54, v69, v53
	v_fma_f32 v64, v53, v69, -v54
	v_fmac_f32_e32 v64, v53, v70
	v_sub_f32_e32 v55, v55, v51
	v_add_f32_e32 v69, v50, v55
	v_add_f32_e32 v50, v54, v64
	v_sub_f32_e32 v55, v51, v50
	v_pk_add_f32 v[66:67], v[50:51], v[54:55] neg_lo:[0,1] neg_hi:[0,1]
	v_mov_b32_e32 v65, v50
	v_pk_add_f32 v[50:51], v[66:67], v[64:65] neg_lo:[0,1] neg_hi:[0,1]
	v_cvt_f32_i32_e32 v54, v68
	v_add_f32_e32 v51, v69, v51
	v_add_f32_e32 v50, v50, v51
	;; [unrolled: 1-line block ×4, first 2 shown]
	v_sub_f32_e32 v51, v55, v82
	v_mul_f32_e32 v50, v71, v50
	v_sub_f32_e32 v51, v53, v51
	v_add_f32_e32 v50, v51, v50
	v_add_f32_e32 v53, v55, v50
	v_mul_f32_e32 v64, v53, v53
	v_mov_b32_e32 v51, 0x3ecc95a3
	v_sub_f32_e32 v55, v53, v55
	v_fmac_f32_e32 v51, 0x3e9b6dac, v64
	v_sub_f32_e32 v50, v50, v55
	v_fmaak_f32 v51, v64, v51, 0x3f2aaada
	v_ldexp_f32 v66, v50, 1
	v_mul_f32_e32 v55, v53, v64
	v_mov_b32_e32 v50, 0x3f317218
	v_pk_mul_f32 v[50:51], v[54:55], v[50:51]
	v_ldexp_f32 v65, v53, 1
	v_fma_f32 v53, v54, s8, -v50
	v_fmamk_f32 v64, v54, 0xb102e308, v53
	v_pk_add_f32 v[54:55], v[50:51], v[64:65]
	s_mov_b32 s8, 0x33800000
	v_sub_f32_e32 v53, v55, v65
	v_sub_f32_e32 v53, v51, v53
	v_add_f32_e32 v67, v66, v53
	v_mov_b32_e32 v66, v50
	v_pk_add_f32 v[50:51], v[54:55], v[50:51] neg_lo:[0,1] neg_hi:[0,1]
	v_pk_add_f32 v[68:69], v[54:55], v[66:67]
	v_mov_b32_e32 v65, v54
	v_mov_b32_e32 v51, v69
	v_pk_add_f32 v[70:71], v[64:65], v[50:51] neg_lo:[0,1] neg_hi:[0,1]
	v_pk_add_f32 v[50:51], v[64:65], v[50:51]
	v_mov_b32_e32 v66, v67
	v_mov_b32_e32 v64, v51
	v_pk_add_f32 v[82:83], v[64:65], v[54:55] neg_lo:[0,1] neg_hi:[0,1]
	v_mov_b32_e32 v50, v69
	v_mov_b32_e32 v53, v82
	v_pk_add_f32 v[146:147], v[68:69], v[52:53] neg_lo:[0,1] neg_hi:[0,1]
	v_mov_b32_e32 v68, v55
	v_mov_b32_e32 v69, v82
	;; [unrolled: 1-line block ×3, first 2 shown]
	v_pk_add_f32 v[50:51], v[50:51], v[68:69] neg_lo:[0,1] neg_hi:[0,1]
	v_mov_b32_e32 v67, v54
	v_pk_add_f32 v[50:51], v[66:67], v[50:51] neg_lo:[0,1] neg_hi:[0,1]
	v_mov_b32_e32 v146, v70
	v_pk_add_f32 v[54:55], v[146:147], v[50:51]
	v_cmp_lt_f32_e64 s[10:11], |v148|, s8
	v_mov_b32_e32 v66, v55
	v_pk_add_f32 v[66:67], v[54:55], v[66:67]
	s_or_b64 vcc, vcc, s[10:11]
	v_pk_add_f32 v[64:65], v[64:65], v[66:67]
	v_mov_b32_e32 v51, v66
	v_mov_b32_e32 v55, v64
	v_pk_add_f32 v[68:69], v[54:55], v[70:71] neg_lo:[0,1] neg_hi:[0,1]
	s_nop 0
	v_sub_f32_e32 v53, v54, v68
	v_pk_add_f32 v[50:51], v[50:51], v[68:69] neg_lo:[0,1] neg_hi:[0,1]
	v_sub_f32_e32 v53, v70, v53
	v_add_f32_e32 v50, v50, v53
	v_add_f32_e32 v50, v50, v51
	;; [unrolled: 1-line block ×3, first 2 shown]
	v_cndmask_b32_e32 v50, v50, v148, vcc
	v_add_f32_e32 v50, v49, v50
.LBB479_236:
	s_or_b64 exec, exec, s[6:7]
	v_bfe_u32 v49, v50, 16, 1
	v_add3_u32 v49, v50, v49, s9
	v_lshrrev_b32_e32 v49, 16, v49
	v_cmp_o_f32_e32 vcc, v50, v50
	s_movk_i32 s8, 0x1f8
	s_nop 0
	v_cndmask_b32_e32 v49, v48, v49, vcc
	v_lshlrev_b32_e32 v51, 16, v49
	v_max_f32_e32 v48, v51, v51
	v_min_f32_e32 v50, v48, v86
	v_cmp_u_f32_e32 vcc, v51, v51
	v_max_f32_e32 v48, v48, v86
	s_nop 0
	v_cndmask_b32_e32 v50, v50, v51, vcc
	v_cndmask_b32_e32 v48, v48, v51, vcc
	v_cndmask_b32_e64 v50, v50, v80, s[20:21]
	v_cndmask_b32_e64 v48, v48, v80, s[20:21]
	v_cmp_neq_f32_e32 vcc, v50, v48
	v_cmp_class_f32_e64 s[6:7], v50, s8
	s_or_b64 s[10:11], vcc, s[6:7]
	s_and_saveexec_b64 s[6:7], s[10:11]
	s_cbranch_execz .LBB479_238
; %bb.237:
	v_sub_f32_e32 v50, v50, v48
	s_mov_b32 s9, 0x3fb8aa3b
	v_mul_f32_e32 v51, 0x3fb8aa3b, v50
	v_fma_f32 v53, v50, s9, -v51
	v_rndne_f32_e32 v54, v51
	v_fmamk_f32 v53, v50, 0x32a5705f, v53
	v_sub_f32_e32 v51, v51, v54
	v_add_f32_e32 v51, v51, v53
	v_exp_f32_e32 v51, v51
	v_cvt_i32_f32_e32 v53, v54
	s_mov_b32 s9, 0xc2ce8ed0
	v_cmp_ngt_f32_e32 vcc, s9, v50
	s_mov_b32 s9, 0x42b17218
	v_ldexp_f32 v51, v51, v53
	v_cndmask_b32_e32 v51, 0, v51, vcc
	v_mov_b32_e32 v53, 0x7f800000
	v_cmp_nlt_f32_e32 vcc, s9, v50
	s_mov_b32 s9, 0x3f2aaaab
	s_mov_b32 s10, 0x7f800000
	v_cndmask_b32_e32 v80, v53, v51, vcc
	v_add_f32_e32 v53, 1.0, v80
	v_add_f32_e32 v50, -1.0, v53
	v_sub_f32_e32 v51, v50, v53
	v_add_f32_e32 v51, 1.0, v51
	v_sub_f32_e32 v50, v80, v50
	v_add_f32_e32 v54, v50, v51
	v_frexp_mant_f32_e32 v55, v53
	v_cvt_f64_f32_e32 v[50:51], v53
	v_frexp_exp_i32_f64_e32 v50, v[50:51]
	v_cmp_gt_f32_e32 vcc, s9, v55
	s_mov_b32 s9, 0x3f317218
	s_nop 0
	v_subbrev_co_u32_e32 v68, vcc, 0, v50, vcc
	v_sub_u32_e32 v50, 0, v68
	v_ldexp_f32 v51, v53, v50
	v_add_f32_e32 v53, -1.0, v51
	v_add_f32_e32 v55, 1.0, v51
	v_ldexp_f32 v50, v54, v50
	v_add_f32_e32 v54, 1.0, v53
	v_add_f32_e32 v64, -1.0, v55
	v_sub_f32_e32 v54, v51, v54
	v_sub_f32_e32 v51, v51, v64
	v_add_f32_e32 v54, v50, v54
	v_add_f32_e32 v50, v50, v51
	;; [unrolled: 1-line block ×3, first 2 shown]
	v_rcp_f32_e32 v71, v69
	v_sub_f32_e32 v51, v55, v69
	v_add_f32_e32 v70, v50, v51
	v_add_f32_e32 v51, v53, v54
	v_sub_f32_e32 v50, v53, v51
	v_mul_f32_e32 v82, v51, v71
	v_add_f32_e32 v53, v54, v50
	v_mul_f32_e32 v54, v69, v82
	v_fma_f32 v64, v82, v69, -v54
	v_fmac_f32_e32 v64, v82, v70
	v_add_f32_e32 v50, v54, v64
	v_sub_f32_e32 v55, v51, v50
	v_pk_add_f32 v[66:67], v[50:51], v[54:55] neg_lo:[0,1] neg_hi:[0,1]
	v_mov_b32_e32 v65, v50
	v_pk_add_f32 v[50:51], v[66:67], v[64:65] neg_lo:[0,1] neg_hi:[0,1]
	v_cmp_eq_f32_e32 vcc, s10, v80
	v_add_f32_e32 v51, v53, v51
	v_add_f32_e32 v50, v50, v51
	;; [unrolled: 1-line block ×3, first 2 shown]
	v_mul_f32_e32 v53, v71, v51
	v_mul_f32_e32 v54, v69, v53
	v_fma_f32 v64, v53, v69, -v54
	v_fmac_f32_e32 v64, v53, v70
	v_sub_f32_e32 v55, v55, v51
	v_add_f32_e32 v69, v50, v55
	v_add_f32_e32 v50, v54, v64
	v_sub_f32_e32 v55, v51, v50
	v_pk_add_f32 v[66:67], v[50:51], v[54:55] neg_lo:[0,1] neg_hi:[0,1]
	v_mov_b32_e32 v65, v50
	v_pk_add_f32 v[50:51], v[66:67], v[64:65] neg_lo:[0,1] neg_hi:[0,1]
	v_cvt_f32_i32_e32 v54, v68
	v_add_f32_e32 v51, v69, v51
	v_add_f32_e32 v50, v50, v51
	;; [unrolled: 1-line block ×4, first 2 shown]
	v_sub_f32_e32 v51, v55, v82
	v_mul_f32_e32 v50, v71, v50
	v_sub_f32_e32 v51, v53, v51
	v_add_f32_e32 v50, v51, v50
	v_add_f32_e32 v53, v55, v50
	v_mul_f32_e32 v64, v53, v53
	v_mov_b32_e32 v51, 0x3ecc95a3
	v_sub_f32_e32 v55, v53, v55
	v_fmac_f32_e32 v51, 0x3e9b6dac, v64
	v_sub_f32_e32 v50, v50, v55
	v_fmaak_f32 v51, v64, v51, 0x3f2aaada
	v_ldexp_f32 v66, v50, 1
	v_mul_f32_e32 v55, v53, v64
	v_mov_b32_e32 v50, 0x3f317218
	v_pk_mul_f32 v[50:51], v[54:55], v[50:51]
	v_ldexp_f32 v65, v53, 1
	v_fma_f32 v53, v54, s9, -v50
	v_fmamk_f32 v64, v54, 0xb102e308, v53
	v_pk_add_f32 v[54:55], v[50:51], v[64:65]
	s_mov_b32 s9, 0x33800000
	v_sub_f32_e32 v53, v55, v65
	v_sub_f32_e32 v53, v51, v53
	v_add_f32_e32 v67, v66, v53
	v_mov_b32_e32 v66, v50
	v_pk_add_f32 v[50:51], v[54:55], v[50:51] neg_lo:[0,1] neg_hi:[0,1]
	v_pk_add_f32 v[68:69], v[54:55], v[66:67]
	v_mov_b32_e32 v65, v54
	v_mov_b32_e32 v51, v69
	v_pk_add_f32 v[70:71], v[64:65], v[50:51] neg_lo:[0,1] neg_hi:[0,1]
	v_pk_add_f32 v[50:51], v[64:65], v[50:51]
	v_mov_b32_e32 v66, v67
	v_mov_b32_e32 v64, v51
	v_pk_add_f32 v[82:83], v[64:65], v[54:55] neg_lo:[0,1] neg_hi:[0,1]
	v_mov_b32_e32 v50, v69
	v_mov_b32_e32 v53, v82
	v_pk_add_f32 v[146:147], v[68:69], v[52:53] neg_lo:[0,1] neg_hi:[0,1]
	v_mov_b32_e32 v68, v55
	v_mov_b32_e32 v69, v82
	;; [unrolled: 1-line block ×3, first 2 shown]
	v_pk_add_f32 v[50:51], v[50:51], v[68:69] neg_lo:[0,1] neg_hi:[0,1]
	v_mov_b32_e32 v67, v54
	v_pk_add_f32 v[50:51], v[66:67], v[50:51] neg_lo:[0,1] neg_hi:[0,1]
	v_mov_b32_e32 v146, v70
	v_pk_add_f32 v[54:55], v[146:147], v[50:51]
	v_cmp_lt_f32_e64 s[10:11], |v80|, s9
	v_mov_b32_e32 v66, v55
	v_pk_add_f32 v[66:67], v[54:55], v[66:67]
	s_or_b64 vcc, vcc, s[10:11]
	v_pk_add_f32 v[64:65], v[64:65], v[66:67]
	v_mov_b32_e32 v51, v66
	v_mov_b32_e32 v55, v64
	v_pk_add_f32 v[68:69], v[54:55], v[70:71] neg_lo:[0,1] neg_hi:[0,1]
	s_nop 0
	v_sub_f32_e32 v53, v54, v68
	v_pk_add_f32 v[50:51], v[50:51], v[68:69] neg_lo:[0,1] neg_hi:[0,1]
	v_sub_f32_e32 v53, v70, v53
	v_add_f32_e32 v50, v50, v53
	v_add_f32_e32 v50, v50, v51
	v_add_f32_e32 v50, v64, v50
	v_cndmask_b32_e32 v50, v50, v80, vcc
	v_add_f32_e32 v51, v48, v50
.LBB479_238:
	s_or_b64 exec, exec, s[6:7]
	v_bfe_u32 v48, v51, 16, 1
	s_movk_i32 s9, 0x7fff
	v_add3_u32 v48, v51, v48, s9
	v_lshrrev_b32_e32 v48, 16, v48
	v_mov_b32_e32 v50, 0x7fc0
	v_cmp_o_f32_e32 vcc, v51, v51
	s_nop 1
	v_cndmask_b32_e32 v48, v50, v48, vcc
	v_lshlrev_b32_e32 v53, 16, v48
	v_max_f32_e32 v51, v53, v53
	v_min_f32_e32 v54, v51, v87
	v_cmp_u_f32_e32 vcc, v53, v53
	v_max_f32_e32 v51, v51, v87
	s_nop 0
	v_cndmask_b32_e32 v54, v54, v53, vcc
	v_cndmask_b32_e32 v51, v51, v53, vcc
	v_cndmask_b32_e64 v54, v54, v81, s[22:23]
	v_cndmask_b32_e64 v51, v51, v81, s[22:23]
	v_cmp_neq_f32_e32 vcc, v54, v51
	v_cmp_class_f32_e64 s[6:7], v54, s8
	s_or_b64 s[10:11], vcc, s[6:7]
	s_and_saveexec_b64 s[6:7], s[10:11]
	s_cbranch_execz .LBB479_240
; %bb.239:
	v_sub_f32_e32 v53, v54, v51
	s_mov_b32 s8, 0x3fb8aa3b
	v_mul_f32_e32 v54, 0x3fb8aa3b, v53
	v_fma_f32 v55, v53, s8, -v54
	v_rndne_f32_e32 v64, v54
	v_fmamk_f32 v55, v53, 0x32a5705f, v55
	v_sub_f32_e32 v54, v54, v64
	v_add_f32_e32 v54, v54, v55
	v_exp_f32_e32 v54, v54
	v_cvt_i32_f32_e32 v55, v64
	s_mov_b32 s8, 0xc2ce8ed0
	v_cmp_ngt_f32_e32 vcc, s8, v53
	s_mov_b32 s8, 0x42b17218
	v_ldexp_f32 v54, v54, v55
	v_cndmask_b32_e32 v54, 0, v54, vcc
	v_mov_b32_e32 v55, 0x7f800000
	v_cmp_nlt_f32_e32 vcc, s8, v53
	s_mov_b32 s8, 0x3f2aaaab
	s_mov_b32 s10, 0x7f800000
	v_cndmask_b32_e32 v146, v55, v54, vcc
	v_add_f32_e32 v53, 1.0, v146
	v_add_f32_e32 v54, -1.0, v53
	v_sub_f32_e32 v55, v54, v53
	v_add_f32_e32 v55, 1.0, v55
	v_sub_f32_e32 v54, v146, v54
	v_add_f32_e32 v64, v54, v55
	v_frexp_mant_f32_e32 v65, v53
	v_cvt_f64_f32_e32 v[54:55], v53
	v_frexp_exp_i32_f64_e32 v54, v[54:55]
	v_cmp_gt_f32_e32 vcc, s8, v65
	s_mov_b32 s8, 0x3f317218
	s_nop 0
	v_subbrev_co_u32_e32 v70, vcc, 0, v54, vcc
	v_sub_u32_e32 v54, 0, v70
	v_ldexp_f32 v53, v53, v54
	v_ldexp_f32 v54, v64, v54
	v_add_f32_e32 v64, -1.0, v53
	v_add_f32_e32 v55, 1.0, v64
	v_sub_f32_e32 v55, v53, v55
	v_add_f32_e32 v65, v54, v55
	v_add_f32_e32 v55, 1.0, v53
	v_add_f32_e32 v66, -1.0, v55
	v_sub_f32_e32 v53, v53, v66
	v_add_f32_e32 v53, v54, v53
	v_add_f32_e32 v71, v55, v53
	v_rcp_f32_e32 v80, v71
	v_sub_f32_e32 v54, v55, v71
	v_add_f32_e32 v55, v64, v65
	v_add_f32_e32 v53, v53, v54
	v_mul_f32_e32 v82, v55, v80
	v_sub_f32_e32 v54, v64, v55
	v_mul_f32_e32 v64, v71, v82
	v_fma_f32 v66, v82, v71, -v64
	v_fmac_f32_e32 v66, v82, v53
	v_add_f32_e32 v81, v65, v54
	v_add_f32_e32 v54, v64, v66
	v_sub_f32_e32 v65, v55, v54
	v_pk_add_f32 v[68:69], v[54:55], v[64:65] neg_lo:[0,1] neg_hi:[0,1]
	v_mov_b32_e32 v67, v54
	v_pk_add_f32 v[54:55], v[68:69], v[66:67] neg_lo:[0,1] neg_hi:[0,1]
	v_cmp_eq_f32_e32 vcc, s10, v146
	v_add_f32_e32 v55, v81, v55
	v_add_f32_e32 v54, v54, v55
	;; [unrolled: 1-line block ×3, first 2 shown]
	v_mul_f32_e32 v81, v80, v55
	v_mul_f32_e32 v64, v71, v81
	v_fma_f32 v66, v81, v71, -v64
	v_fmac_f32_e32 v66, v81, v53
	v_sub_f32_e32 v53, v65, v55
	v_add_f32_e32 v53, v54, v53
	v_add_f32_e32 v54, v64, v66
	v_sub_f32_e32 v65, v55, v54
	v_pk_add_f32 v[68:69], v[54:55], v[64:65] neg_lo:[0,1] neg_hi:[0,1]
	v_mov_b32_e32 v67, v54
	v_pk_add_f32 v[54:55], v[68:69], v[66:67] neg_lo:[0,1] neg_hi:[0,1]
	v_cvt_f32_i32_e32 v64, v70
	v_add_f32_e32 v53, v53, v55
	v_add_f32_e32 v53, v54, v53
	;; [unrolled: 1-line block ×4, first 2 shown]
	v_sub_f32_e32 v55, v54, v82
	v_mul_f32_e32 v53, v80, v53
	v_sub_f32_e32 v55, v81, v55
	v_add_f32_e32 v53, v55, v53
	v_add_f32_e32 v65, v54, v53
	v_mul_f32_e32 v66, v65, v65
	v_mov_b32_e32 v55, 0x3ecc95a3
	v_fmac_f32_e32 v55, 0x3e9b6dac, v66
	v_sub_f32_e32 v54, v65, v54
	v_fmaak_f32 v55, v66, v55, 0x3f2aaada
	v_sub_f32_e32 v53, v53, v54
	v_ldexp_f32 v67, v65, 1
	v_mul_f32_e32 v65, v65, v66
	v_mov_b32_e32 v54, 0x3f317218
	v_pk_mul_f32 v[54:55], v[64:65], v[54:55]
	v_ldexp_f32 v53, v53, 1
	v_fma_f32 v65, v64, s8, -v54
	v_fmamk_f32 v66, v64, 0xb102e308, v65
	v_pk_add_f32 v[64:65], v[54:55], v[66:67]
	v_mov_b32_e32 v68, v54
	v_sub_f32_e32 v67, v65, v67
	v_sub_f32_e32 v67, v55, v67
	v_add_f32_e32 v69, v53, v67
	v_pk_add_f32 v[54:55], v[64:65], v[54:55] neg_lo:[0,1] neg_hi:[0,1]
	v_pk_add_f32 v[70:71], v[64:65], v[68:69]
	v_mov_b32_e32 v67, v64
	v_mov_b32_e32 v55, v71
	v_pk_add_f32 v[80:81], v[66:67], v[54:55] neg_lo:[0,1] neg_hi:[0,1]
	v_pk_add_f32 v[54:55], v[66:67], v[54:55]
	v_mov_b32_e32 v68, v69
	v_mov_b32_e32 v66, v55
	v_pk_add_f32 v[82:83], v[66:67], v[64:65] neg_lo:[0,1] neg_hi:[0,1]
	v_mov_b32_e32 v54, v71
	v_mov_b32_e32 v53, v82
	v_pk_add_f32 v[86:87], v[70:71], v[52:53] neg_lo:[0,1] neg_hi:[0,1]
	v_mov_b32_e32 v70, v65
	v_mov_b32_e32 v71, v82
	;; [unrolled: 1-line block ×3, first 2 shown]
	v_pk_add_f32 v[54:55], v[54:55], v[70:71] neg_lo:[0,1] neg_hi:[0,1]
	v_mov_b32_e32 v69, v64
	v_pk_add_f32 v[54:55], v[68:69], v[54:55] neg_lo:[0,1] neg_hi:[0,1]
	v_mov_b32_e32 v86, v80
	v_pk_add_f32 v[64:65], v[86:87], v[54:55]
	s_mov_b32 s8, 0x33800000
	v_mov_b32_e32 v68, v65
	v_pk_add_f32 v[68:69], v[64:65], v[68:69]
	v_cmp_lt_f32_e64 s[10:11], |v146|, s8
	v_pk_add_f32 v[66:67], v[66:67], v[68:69]
	v_mov_b32_e32 v55, v68
	v_mov_b32_e32 v65, v66
	v_pk_add_f32 v[70:71], v[64:65], v[80:81] neg_lo:[0,1] neg_hi:[0,1]
	s_or_b64 vcc, vcc, s[10:11]
	v_sub_f32_e32 v53, v64, v70
	v_pk_add_f32 v[54:55], v[54:55], v[70:71] neg_lo:[0,1] neg_hi:[0,1]
	v_sub_f32_e32 v53, v80, v53
	v_add_f32_e32 v53, v54, v53
	v_add_f32_e32 v53, v53, v55
	;; [unrolled: 1-line block ×3, first 2 shown]
	v_cndmask_b32_e32 v53, v53, v146, vcc
	v_add_f32_e32 v53, v51, v53
.LBB479_240:
	s_or_b64 exec, exec, s[6:7]
	v_bfe_u32 v51, v53, 16, 1
	v_add3_u32 v51, v53, v51, s9
	v_lshrrev_b32_e32 v51, 16, v51
	v_cmp_o_f32_e32 vcc, v53, v53
	s_movk_i32 s8, 0x1f8
	s_nop 0
	v_cndmask_b32_e32 v51, v50, v51, vcc
	v_lshlrev_b32_e32 v54, 16, v51
	v_max_f32_e32 v50, v54, v54
	v_min_f32_e32 v53, v50, v98
	v_cmp_u_f32_e32 vcc, v54, v54
	v_max_f32_e32 v50, v50, v98
	s_nop 0
	v_cndmask_b32_e32 v53, v53, v54, vcc
	v_cndmask_b32_e32 v50, v50, v54, vcc
	v_cndmask_b32_e64 v53, v53, v84, s[24:25]
	v_cndmask_b32_e64 v50, v50, v84, s[24:25]
	v_cmp_neq_f32_e32 vcc, v53, v50
	v_cmp_class_f32_e64 s[6:7], v53, s8
	s_or_b64 s[10:11], vcc, s[6:7]
	s_and_saveexec_b64 s[6:7], s[10:11]
	s_cbranch_execz .LBB479_242
; %bb.241:
	v_sub_f32_e32 v53, v53, v50
	s_mov_b32 s9, 0x3fb8aa3b
	v_mul_f32_e32 v54, 0x3fb8aa3b, v53
	v_fma_f32 v55, v53, s9, -v54
	v_rndne_f32_e32 v64, v54
	v_fmamk_f32 v55, v53, 0x32a5705f, v55
	v_sub_f32_e32 v54, v54, v64
	v_add_f32_e32 v54, v54, v55
	v_exp_f32_e32 v54, v54
	v_cvt_i32_f32_e32 v55, v64
	s_mov_b32 s9, 0xc2ce8ed0
	v_cmp_ngt_f32_e32 vcc, s9, v53
	s_mov_b32 s9, 0x42b17218
	v_ldexp_f32 v54, v54, v55
	v_cndmask_b32_e32 v54, 0, v54, vcc
	v_mov_b32_e32 v55, 0x7f800000
	v_cmp_nlt_f32_e32 vcc, s9, v53
	s_mov_b32 s9, 0x3f2aaaab
	s_mov_b32 s10, 0x7f800000
	v_cndmask_b32_e32 v84, v55, v54, vcc
	v_add_f32_e32 v53, 1.0, v84
	v_add_f32_e32 v54, -1.0, v53
	v_sub_f32_e32 v55, v54, v53
	v_add_f32_e32 v55, 1.0, v55
	v_sub_f32_e32 v54, v84, v54
	v_add_f32_e32 v64, v54, v55
	v_frexp_mant_f32_e32 v65, v53
	v_cvt_f64_f32_e32 v[54:55], v53
	v_frexp_exp_i32_f64_e32 v54, v[54:55]
	v_cmp_gt_f32_e32 vcc, s9, v65
	s_mov_b32 s9, 0x3f317218
	s_nop 0
	v_subbrev_co_u32_e32 v70, vcc, 0, v54, vcc
	v_sub_u32_e32 v54, 0, v70
	v_ldexp_f32 v53, v53, v54
	v_ldexp_f32 v54, v64, v54
	v_add_f32_e32 v64, -1.0, v53
	v_add_f32_e32 v55, 1.0, v64
	v_sub_f32_e32 v55, v53, v55
	v_add_f32_e32 v65, v54, v55
	v_add_f32_e32 v55, 1.0, v53
	v_add_f32_e32 v66, -1.0, v55
	v_sub_f32_e32 v53, v53, v66
	v_add_f32_e32 v53, v54, v53
	v_add_f32_e32 v71, v55, v53
	v_rcp_f32_e32 v80, v71
	v_sub_f32_e32 v54, v55, v71
	v_add_f32_e32 v55, v64, v65
	v_add_f32_e32 v53, v53, v54
	v_mul_f32_e32 v82, v55, v80
	v_sub_f32_e32 v54, v64, v55
	v_mul_f32_e32 v64, v71, v82
	v_fma_f32 v66, v82, v71, -v64
	v_fmac_f32_e32 v66, v82, v53
	v_add_f32_e32 v81, v65, v54
	v_add_f32_e32 v54, v64, v66
	v_sub_f32_e32 v65, v55, v54
	v_pk_add_f32 v[68:69], v[54:55], v[64:65] neg_lo:[0,1] neg_hi:[0,1]
	v_mov_b32_e32 v67, v54
	v_pk_add_f32 v[54:55], v[68:69], v[66:67] neg_lo:[0,1] neg_hi:[0,1]
	v_cmp_eq_f32_e32 vcc, s10, v84
	v_add_f32_e32 v55, v81, v55
	v_add_f32_e32 v54, v54, v55
	;; [unrolled: 1-line block ×3, first 2 shown]
	v_mul_f32_e32 v81, v80, v55
	v_mul_f32_e32 v64, v71, v81
	v_fma_f32 v66, v81, v71, -v64
	v_fmac_f32_e32 v66, v81, v53
	v_sub_f32_e32 v53, v65, v55
	v_add_f32_e32 v53, v54, v53
	v_add_f32_e32 v54, v64, v66
	v_sub_f32_e32 v65, v55, v54
	v_pk_add_f32 v[68:69], v[54:55], v[64:65] neg_lo:[0,1] neg_hi:[0,1]
	v_mov_b32_e32 v67, v54
	v_pk_add_f32 v[54:55], v[68:69], v[66:67] neg_lo:[0,1] neg_hi:[0,1]
	v_cvt_f32_i32_e32 v64, v70
	v_add_f32_e32 v53, v53, v55
	v_add_f32_e32 v53, v54, v53
	;; [unrolled: 1-line block ×4, first 2 shown]
	v_sub_f32_e32 v55, v54, v82
	v_mul_f32_e32 v53, v80, v53
	v_sub_f32_e32 v55, v81, v55
	v_add_f32_e32 v53, v55, v53
	v_add_f32_e32 v65, v54, v53
	v_mul_f32_e32 v66, v65, v65
	v_mov_b32_e32 v55, 0x3ecc95a3
	v_fmac_f32_e32 v55, 0x3e9b6dac, v66
	v_sub_f32_e32 v54, v65, v54
	v_fmaak_f32 v55, v66, v55, 0x3f2aaada
	v_sub_f32_e32 v53, v53, v54
	v_ldexp_f32 v67, v65, 1
	v_mul_f32_e32 v65, v65, v66
	v_mov_b32_e32 v54, 0x3f317218
	v_pk_mul_f32 v[54:55], v[64:65], v[54:55]
	v_ldexp_f32 v53, v53, 1
	v_fma_f32 v65, v64, s9, -v54
	v_fmamk_f32 v66, v64, 0xb102e308, v65
	v_pk_add_f32 v[64:65], v[54:55], v[66:67]
	v_mov_b32_e32 v68, v54
	v_sub_f32_e32 v67, v65, v67
	v_sub_f32_e32 v67, v55, v67
	v_add_f32_e32 v69, v53, v67
	v_pk_add_f32 v[54:55], v[64:65], v[54:55] neg_lo:[0,1] neg_hi:[0,1]
	v_pk_add_f32 v[70:71], v[64:65], v[68:69]
	v_mov_b32_e32 v67, v64
	v_mov_b32_e32 v55, v71
	v_pk_add_f32 v[80:81], v[66:67], v[54:55] neg_lo:[0,1] neg_hi:[0,1]
	v_pk_add_f32 v[54:55], v[66:67], v[54:55]
	v_mov_b32_e32 v68, v69
	v_mov_b32_e32 v66, v55
	v_pk_add_f32 v[82:83], v[66:67], v[64:65] neg_lo:[0,1] neg_hi:[0,1]
	v_mov_b32_e32 v54, v71
	v_mov_b32_e32 v53, v82
	v_pk_add_f32 v[86:87], v[70:71], v[52:53] neg_lo:[0,1] neg_hi:[0,1]
	v_mov_b32_e32 v70, v65
	v_mov_b32_e32 v71, v82
	;; [unrolled: 1-line block ×3, first 2 shown]
	v_pk_add_f32 v[54:55], v[54:55], v[70:71] neg_lo:[0,1] neg_hi:[0,1]
	v_mov_b32_e32 v69, v64
	v_pk_add_f32 v[54:55], v[68:69], v[54:55] neg_lo:[0,1] neg_hi:[0,1]
	v_mov_b32_e32 v86, v80
	v_pk_add_f32 v[64:65], v[86:87], v[54:55]
	s_mov_b32 s9, 0x33800000
	v_mov_b32_e32 v68, v65
	v_pk_add_f32 v[68:69], v[64:65], v[68:69]
	v_cmp_lt_f32_e64 s[10:11], |v84|, s9
	v_pk_add_f32 v[66:67], v[66:67], v[68:69]
	v_mov_b32_e32 v55, v68
	v_mov_b32_e32 v65, v66
	v_pk_add_f32 v[70:71], v[64:65], v[80:81] neg_lo:[0,1] neg_hi:[0,1]
	s_or_b64 vcc, vcc, s[10:11]
	v_sub_f32_e32 v53, v64, v70
	v_pk_add_f32 v[54:55], v[54:55], v[70:71] neg_lo:[0,1] neg_hi:[0,1]
	v_sub_f32_e32 v53, v80, v53
	v_add_f32_e32 v53, v54, v53
	v_add_f32_e32 v53, v53, v55
	;; [unrolled: 1-line block ×3, first 2 shown]
	v_cndmask_b32_e32 v53, v53, v84, vcc
	v_add_f32_e32 v54, v50, v53
.LBB479_242:
	s_or_b64 exec, exec, s[6:7]
	v_bfe_u32 v50, v54, 16, 1
	s_movk_i32 s9, 0x7fff
	v_add3_u32 v50, v54, v50, s9
	v_lshrrev_b32_e32 v50, 16, v50
	v_mov_b32_e32 v53, 0x7fc0
	v_cmp_o_f32_e32 vcc, v54, v54
	s_nop 1
	v_cndmask_b32_e32 v50, v53, v50, vcc
	v_lshlrev_b32_e32 v55, 16, v50
	v_max_f32_e32 v54, v55, v55
	v_min_f32_e32 v64, v54, v99
	v_cmp_u_f32_e32 vcc, v55, v55
	v_max_f32_e32 v54, v54, v99
	s_nop 0
	v_cndmask_b32_e32 v64, v64, v55, vcc
	v_cndmask_b32_e32 v54, v54, v55, vcc
	v_cndmask_b32_e64 v64, v64, v85, s[26:27]
	v_cndmask_b32_e64 v54, v54, v85, s[26:27]
	v_cmp_neq_f32_e32 vcc, v64, v54
	v_cmp_class_f32_e64 s[6:7], v64, s8
	s_or_b64 s[10:11], vcc, s[6:7]
	s_and_saveexec_b64 s[6:7], s[10:11]
	s_cbranch_execz .LBB479_244
; %bb.243:
	v_sub_f32_e32 v55, v64, v54
	s_mov_b32 s8, 0x3fb8aa3b
	v_mul_f32_e32 v64, 0x3fb8aa3b, v55
	v_fma_f32 v65, v55, s8, -v64
	v_rndne_f32_e32 v66, v64
	v_fmamk_f32 v65, v55, 0x32a5705f, v65
	v_sub_f32_e32 v64, v64, v66
	v_add_f32_e32 v64, v64, v65
	v_exp_f32_e32 v64, v64
	v_cvt_i32_f32_e32 v65, v66
	s_mov_b32 s8, 0xc2ce8ed0
	v_cmp_ngt_f32_e32 vcc, s8, v55
	s_mov_b32 s8, 0x42b17218
	v_ldexp_f32 v64, v64, v65
	v_cndmask_b32_e32 v64, 0, v64, vcc
	v_mov_b32_e32 v65, 0x7f800000
	v_cmp_nlt_f32_e32 vcc, s8, v55
	s_mov_b32 s8, 0x3f2aaaab
	s_mov_b32 s10, 0x7f800000
	v_cndmask_b32_e32 v98, v65, v64, vcc
	v_add_f32_e32 v55, 1.0, v98
	v_add_f32_e32 v64, -1.0, v55
	v_sub_f32_e32 v65, v64, v55
	v_add_f32_e32 v65, 1.0, v65
	v_sub_f32_e32 v64, v98, v64
	v_add_f32_e32 v66, v64, v65
	v_frexp_mant_f32_e32 v67, v55
	v_cvt_f64_f32_e32 v[64:65], v55
	v_frexp_exp_i32_f64_e32 v64, v[64:65]
	v_cmp_gt_f32_e32 vcc, s8, v67
	s_mov_b32 s8, 0x3f317218
	s_nop 0
	v_subbrev_co_u32_e32 v80, vcc, 0, v64, vcc
	v_sub_u32_e32 v64, 0, v80
	v_ldexp_f32 v55, v55, v64
	v_ldexp_f32 v64, v66, v64
	v_add_f32_e32 v66, -1.0, v55
	v_add_f32_e32 v65, 1.0, v66
	v_sub_f32_e32 v65, v55, v65
	v_add_f32_e32 v67, v64, v65
	v_add_f32_e32 v65, 1.0, v55
	v_add_f32_e32 v68, -1.0, v65
	v_sub_f32_e32 v55, v55, v68
	v_add_f32_e32 v55, v64, v55
	v_add_f32_e32 v81, v65, v55
	v_rcp_f32_e32 v82, v81
	v_sub_f32_e32 v64, v65, v81
	v_add_f32_e32 v65, v66, v67
	v_add_f32_e32 v55, v55, v64
	v_mul_f32_e32 v84, v65, v82
	v_sub_f32_e32 v64, v66, v65
	v_mul_f32_e32 v66, v81, v84
	v_fma_f32 v68, v84, v81, -v66
	v_fmac_f32_e32 v68, v84, v55
	v_add_f32_e32 v83, v67, v64
	v_add_f32_e32 v64, v66, v68
	v_sub_f32_e32 v67, v65, v64
	v_pk_add_f32 v[70:71], v[64:65], v[66:67] neg_lo:[0,1] neg_hi:[0,1]
	v_mov_b32_e32 v69, v64
	v_pk_add_f32 v[64:65], v[70:71], v[68:69] neg_lo:[0,1] neg_hi:[0,1]
	v_cmp_eq_f32_e32 vcc, s10, v98
	v_add_f32_e32 v65, v83, v65
	v_add_f32_e32 v64, v64, v65
	;; [unrolled: 1-line block ×3, first 2 shown]
	v_mul_f32_e32 v83, v82, v65
	v_mul_f32_e32 v66, v81, v83
	v_fma_f32 v68, v83, v81, -v66
	v_fmac_f32_e32 v68, v83, v55
	v_sub_f32_e32 v55, v67, v65
	v_add_f32_e32 v55, v64, v55
	v_add_f32_e32 v64, v66, v68
	v_sub_f32_e32 v67, v65, v64
	v_pk_add_f32 v[70:71], v[64:65], v[66:67] neg_lo:[0,1] neg_hi:[0,1]
	v_mov_b32_e32 v69, v64
	v_pk_add_f32 v[64:65], v[70:71], v[68:69] neg_lo:[0,1] neg_hi:[0,1]
	v_cvt_f32_i32_e32 v66, v80
	v_add_f32_e32 v55, v55, v65
	v_add_f32_e32 v55, v64, v55
	;; [unrolled: 1-line block ×4, first 2 shown]
	v_sub_f32_e32 v65, v64, v84
	v_mul_f32_e32 v55, v82, v55
	v_sub_f32_e32 v65, v83, v65
	v_add_f32_e32 v55, v65, v55
	v_add_f32_e32 v67, v64, v55
	v_mul_f32_e32 v68, v67, v67
	v_mov_b32_e32 v65, 0x3ecc95a3
	v_fmac_f32_e32 v65, 0x3e9b6dac, v68
	v_sub_f32_e32 v64, v67, v64
	v_fmaak_f32 v65, v68, v65, 0x3f2aaada
	v_sub_f32_e32 v55, v55, v64
	v_ldexp_f32 v69, v67, 1
	v_mul_f32_e32 v67, v67, v68
	v_mov_b32_e32 v64, 0x3f317218
	v_pk_mul_f32 v[64:65], v[66:67], v[64:65]
	v_ldexp_f32 v55, v55, 1
	v_fma_f32 v67, v66, s8, -v64
	v_fmamk_f32 v68, v66, 0xb102e308, v67
	v_pk_add_f32 v[66:67], v[64:65], v[68:69]
	v_mov_b32_e32 v70, v64
	v_sub_f32_e32 v69, v67, v69
	v_sub_f32_e32 v69, v65, v69
	v_add_f32_e32 v71, v55, v69
	v_pk_add_f32 v[64:65], v[66:67], v[64:65] neg_lo:[0,1] neg_hi:[0,1]
	v_pk_add_f32 v[80:81], v[66:67], v[70:71]
	v_mov_b32_e32 v69, v66
	v_mov_b32_e32 v65, v81
	v_pk_add_f32 v[82:83], v[68:69], v[64:65] neg_lo:[0,1] neg_hi:[0,1]
	v_pk_add_f32 v[64:65], v[68:69], v[64:65]
	v_mov_b32_e32 v70, v71
	v_mov_b32_e32 v68, v65
	v_pk_add_f32 v[84:85], v[68:69], v[66:67] neg_lo:[0,1] neg_hi:[0,1]
	v_mov_b32_e32 v64, v81
	v_mov_b32_e32 v55, v84
	v_pk_add_f32 v[86:87], v[80:81], v[54:55] neg_lo:[0,1] neg_hi:[0,1]
	v_mov_b32_e32 v80, v67
	v_mov_b32_e32 v81, v84
	;; [unrolled: 1-line block ×3, first 2 shown]
	v_pk_add_f32 v[64:65], v[64:65], v[80:81] neg_lo:[0,1] neg_hi:[0,1]
	v_mov_b32_e32 v71, v66
	v_pk_add_f32 v[64:65], v[70:71], v[64:65] neg_lo:[0,1] neg_hi:[0,1]
	v_mov_b32_e32 v86, v82
	v_pk_add_f32 v[66:67], v[86:87], v[64:65]
	s_mov_b32 s8, 0x33800000
	v_mov_b32_e32 v70, v67
	v_pk_add_f32 v[70:71], v[66:67], v[70:71]
	v_cmp_lt_f32_e64 s[10:11], |v98|, s8
	v_pk_add_f32 v[68:69], v[68:69], v[70:71]
	v_mov_b32_e32 v65, v70
	v_mov_b32_e32 v67, v68
	v_pk_add_f32 v[80:81], v[66:67], v[82:83] neg_lo:[0,1] neg_hi:[0,1]
	s_or_b64 vcc, vcc, s[10:11]
	v_sub_f32_e32 v55, v66, v80
	v_pk_add_f32 v[64:65], v[64:65], v[80:81] neg_lo:[0,1] neg_hi:[0,1]
	v_sub_f32_e32 v55, v82, v55
	v_add_f32_e32 v55, v64, v55
	v_add_f32_e32 v55, v55, v65
	;; [unrolled: 1-line block ×3, first 2 shown]
	v_cndmask_b32_e32 v55, v55, v98, vcc
	v_add_f32_e32 v55, v54, v55
.LBB479_244:
	s_or_b64 exec, exec, s[6:7]
	v_bfe_u32 v54, v55, 16, 1
	v_add3_u32 v54, v55, v54, s9
	v_lshrrev_b32_e32 v54, 16, v54
	v_cmp_o_f32_e32 vcc, v55, v55
	s_movk_i32 s8, 0x1f8
	s_nop 0
	v_cndmask_b32_e32 v53, v53, v54, vcc
	v_lshlrev_b32_e32 v64, 16, v53
	v_max_f32_e32 v54, v64, v64
	v_min_f32_e32 v55, v54, v102
	v_cmp_u_f32_e32 vcc, v64, v64
	v_max_f32_e32 v54, v54, v102
	s_nop 0
	v_cndmask_b32_e32 v55, v55, v64, vcc
	v_cndmask_b32_e32 v54, v54, v64, vcc
	v_cndmask_b32_e64 v55, v55, v96, s[28:29]
	v_cndmask_b32_e64 v54, v54, v96, s[28:29]
	v_cmp_neq_f32_e32 vcc, v55, v54
	v_cmp_class_f32_e64 s[6:7], v55, s8
	s_or_b64 s[10:11], vcc, s[6:7]
	s_and_saveexec_b64 s[6:7], s[10:11]
	s_cbranch_execz .LBB479_246
; %bb.245:
	v_sub_f32_e32 v55, v55, v54
	s_mov_b32 s9, 0x3fb8aa3b
	v_mul_f32_e32 v64, 0x3fb8aa3b, v55
	v_fma_f32 v65, v55, s9, -v64
	v_rndne_f32_e32 v66, v64
	v_fmamk_f32 v65, v55, 0x32a5705f, v65
	v_sub_f32_e32 v64, v64, v66
	v_add_f32_e32 v64, v64, v65
	v_exp_f32_e32 v64, v64
	v_cvt_i32_f32_e32 v65, v66
	s_mov_b32 s9, 0xc2ce8ed0
	v_cmp_ngt_f32_e32 vcc, s9, v55
	s_mov_b32 s9, 0x42b17218
	v_ldexp_f32 v64, v64, v65
	v_cndmask_b32_e32 v64, 0, v64, vcc
	v_mov_b32_e32 v65, 0x7f800000
	v_cmp_nlt_f32_e32 vcc, s9, v55
	s_mov_b32 s9, 0x3f2aaaab
	s_mov_b32 s10, 0x7f800000
	v_cndmask_b32_e32 v96, v65, v64, vcc
	v_add_f32_e32 v55, 1.0, v96
	v_add_f32_e32 v64, -1.0, v55
	v_sub_f32_e32 v65, v64, v55
	v_add_f32_e32 v65, 1.0, v65
	v_sub_f32_e32 v64, v96, v64
	v_add_f32_e32 v66, v64, v65
	v_frexp_mant_f32_e32 v67, v55
	v_cvt_f64_f32_e32 v[64:65], v55
	v_frexp_exp_i32_f64_e32 v64, v[64:65]
	v_cmp_gt_f32_e32 vcc, s9, v67
	s_mov_b32 s9, 0x3f317218
	s_nop 0
	v_subbrev_co_u32_e32 v80, vcc, 0, v64, vcc
	v_sub_u32_e32 v64, 0, v80
	v_ldexp_f32 v55, v55, v64
	v_ldexp_f32 v64, v66, v64
	v_add_f32_e32 v66, -1.0, v55
	v_add_f32_e32 v65, 1.0, v66
	v_sub_f32_e32 v65, v55, v65
	v_add_f32_e32 v67, v64, v65
	v_add_f32_e32 v65, 1.0, v55
	v_add_f32_e32 v68, -1.0, v65
	v_sub_f32_e32 v55, v55, v68
	v_add_f32_e32 v55, v64, v55
	v_add_f32_e32 v81, v65, v55
	v_rcp_f32_e32 v82, v81
	v_sub_f32_e32 v64, v65, v81
	v_add_f32_e32 v65, v66, v67
	v_add_f32_e32 v55, v55, v64
	v_mul_f32_e32 v84, v65, v82
	v_sub_f32_e32 v64, v66, v65
	v_mul_f32_e32 v66, v81, v84
	v_fma_f32 v68, v84, v81, -v66
	v_fmac_f32_e32 v68, v84, v55
	v_add_f32_e32 v83, v67, v64
	v_add_f32_e32 v64, v66, v68
	v_sub_f32_e32 v67, v65, v64
	v_pk_add_f32 v[70:71], v[64:65], v[66:67] neg_lo:[0,1] neg_hi:[0,1]
	v_mov_b32_e32 v69, v64
	v_pk_add_f32 v[64:65], v[70:71], v[68:69] neg_lo:[0,1] neg_hi:[0,1]
	v_cmp_eq_f32_e32 vcc, s10, v96
	v_add_f32_e32 v65, v83, v65
	v_add_f32_e32 v64, v64, v65
	;; [unrolled: 1-line block ×3, first 2 shown]
	v_mul_f32_e32 v83, v82, v65
	v_mul_f32_e32 v66, v81, v83
	v_fma_f32 v68, v83, v81, -v66
	v_fmac_f32_e32 v68, v83, v55
	v_sub_f32_e32 v55, v67, v65
	v_add_f32_e32 v55, v64, v55
	v_add_f32_e32 v64, v66, v68
	v_sub_f32_e32 v67, v65, v64
	v_pk_add_f32 v[70:71], v[64:65], v[66:67] neg_lo:[0,1] neg_hi:[0,1]
	v_mov_b32_e32 v69, v64
	v_pk_add_f32 v[64:65], v[70:71], v[68:69] neg_lo:[0,1] neg_hi:[0,1]
	v_cvt_f32_i32_e32 v66, v80
	v_add_f32_e32 v55, v55, v65
	v_add_f32_e32 v55, v64, v55
	;; [unrolled: 1-line block ×4, first 2 shown]
	v_sub_f32_e32 v65, v64, v84
	v_mul_f32_e32 v55, v82, v55
	v_sub_f32_e32 v65, v83, v65
	v_add_f32_e32 v55, v65, v55
	v_add_f32_e32 v67, v64, v55
	v_mul_f32_e32 v68, v67, v67
	v_mov_b32_e32 v65, 0x3ecc95a3
	v_fmac_f32_e32 v65, 0x3e9b6dac, v68
	v_sub_f32_e32 v64, v67, v64
	v_fmaak_f32 v65, v68, v65, 0x3f2aaada
	v_sub_f32_e32 v55, v55, v64
	v_ldexp_f32 v69, v67, 1
	v_mul_f32_e32 v67, v67, v68
	v_mov_b32_e32 v64, 0x3f317218
	v_pk_mul_f32 v[64:65], v[66:67], v[64:65]
	v_ldexp_f32 v55, v55, 1
	v_fma_f32 v67, v66, s9, -v64
	v_fmamk_f32 v68, v66, 0xb102e308, v67
	v_pk_add_f32 v[66:67], v[64:65], v[68:69]
	v_mov_b32_e32 v70, v64
	v_sub_f32_e32 v69, v67, v69
	v_sub_f32_e32 v69, v65, v69
	v_add_f32_e32 v71, v55, v69
	v_pk_add_f32 v[64:65], v[66:67], v[64:65] neg_lo:[0,1] neg_hi:[0,1]
	v_pk_add_f32 v[80:81], v[66:67], v[70:71]
	v_mov_b32_e32 v69, v66
	v_mov_b32_e32 v65, v81
	v_pk_add_f32 v[82:83], v[68:69], v[64:65] neg_lo:[0,1] neg_hi:[0,1]
	v_pk_add_f32 v[64:65], v[68:69], v[64:65]
	v_mov_b32_e32 v70, v71
	v_mov_b32_e32 v68, v65
	v_pk_add_f32 v[84:85], v[68:69], v[66:67] neg_lo:[0,1] neg_hi:[0,1]
	v_mov_b32_e32 v64, v81
	v_mov_b32_e32 v55, v84
	v_pk_add_f32 v[86:87], v[80:81], v[54:55] neg_lo:[0,1] neg_hi:[0,1]
	v_mov_b32_e32 v80, v67
	v_mov_b32_e32 v81, v84
	;; [unrolled: 1-line block ×3, first 2 shown]
	v_pk_add_f32 v[64:65], v[64:65], v[80:81] neg_lo:[0,1] neg_hi:[0,1]
	v_mov_b32_e32 v71, v66
	v_pk_add_f32 v[64:65], v[70:71], v[64:65] neg_lo:[0,1] neg_hi:[0,1]
	v_mov_b32_e32 v86, v82
	v_pk_add_f32 v[66:67], v[86:87], v[64:65]
	s_mov_b32 s9, 0x33800000
	v_mov_b32_e32 v70, v67
	v_pk_add_f32 v[70:71], v[66:67], v[70:71]
	v_cmp_lt_f32_e64 s[10:11], |v96|, s9
	v_pk_add_f32 v[68:69], v[68:69], v[70:71]
	v_mov_b32_e32 v65, v70
	v_mov_b32_e32 v67, v68
	v_pk_add_f32 v[80:81], v[66:67], v[82:83] neg_lo:[0,1] neg_hi:[0,1]
	s_or_b64 vcc, vcc, s[10:11]
	v_sub_f32_e32 v55, v66, v80
	v_pk_add_f32 v[64:65], v[64:65], v[80:81] neg_lo:[0,1] neg_hi:[0,1]
	v_sub_f32_e32 v55, v82, v55
	v_add_f32_e32 v55, v64, v55
	v_add_f32_e32 v55, v55, v65
	;; [unrolled: 1-line block ×3, first 2 shown]
	v_cndmask_b32_e32 v55, v55, v96, vcc
	v_add_f32_e32 v64, v54, v55
.LBB479_246:
	s_or_b64 exec, exec, s[6:7]
	v_bfe_u32 v54, v64, 16, 1
	s_movk_i32 s9, 0x7fff
	v_add3_u32 v54, v64, v54, s9
	v_lshrrev_b32_e32 v54, 16, v54
	v_mov_b32_e32 v55, 0x7fc0
	v_cmp_o_f32_e32 vcc, v64, v64
	s_nop 1
	v_cndmask_b32_e32 v54, v55, v54, vcc
	v_lshlrev_b32_e32 v65, 16, v54
	v_max_f32_e32 v64, v65, v65
	v_min_f32_e32 v66, v64, v103
	v_cmp_u_f32_e32 vcc, v65, v65
	v_max_f32_e32 v64, v64, v103
	s_nop 0
	v_cndmask_b32_e32 v66, v66, v65, vcc
	v_cndmask_b32_e32 v64, v64, v65, vcc
	v_cndmask_b32_e64 v66, v66, v97, s[30:31]
	v_cndmask_b32_e64 v64, v64, v97, s[30:31]
	v_cmp_neq_f32_e32 vcc, v66, v64
	v_cmp_class_f32_e64 s[6:7], v66, s8
	s_or_b64 s[10:11], vcc, s[6:7]
	s_and_saveexec_b64 s[6:7], s[10:11]
	s_cbranch_execz .LBB479_248
; %bb.247:
	v_sub_f32_e32 v65, v66, v64
	s_mov_b32 s8, 0x3fb8aa3b
	v_mul_f32_e32 v66, 0x3fb8aa3b, v65
	v_fma_f32 v67, v65, s8, -v66
	v_rndne_f32_e32 v68, v66
	v_fmamk_f32 v67, v65, 0x32a5705f, v67
	v_sub_f32_e32 v66, v66, v68
	v_add_f32_e32 v66, v66, v67
	v_exp_f32_e32 v66, v66
	v_cvt_i32_f32_e32 v67, v68
	s_mov_b32 s8, 0xc2ce8ed0
	v_cmp_ngt_f32_e32 vcc, s8, v65
	s_mov_b32 s8, 0x42b17218
	v_ldexp_f32 v66, v66, v67
	v_cndmask_b32_e32 v66, 0, v66, vcc
	v_mov_b32_e32 v67, 0x7f800000
	v_cmp_nlt_f32_e32 vcc, s8, v65
	s_mov_b32 s8, 0x3f2aaaab
	s_mov_b32 s10, 0x7f800000
	v_cndmask_b32_e32 v98, v67, v66, vcc
	v_add_f32_e32 v65, 1.0, v98
	v_add_f32_e32 v66, -1.0, v65
	v_sub_f32_e32 v67, v66, v65
	v_add_f32_e32 v67, 1.0, v67
	v_sub_f32_e32 v66, v98, v66
	v_add_f32_e32 v68, v66, v67
	v_frexp_mant_f32_e32 v69, v65
	v_cvt_f64_f32_e32 v[66:67], v65
	v_frexp_exp_i32_f64_e32 v66, v[66:67]
	v_cmp_gt_f32_e32 vcc, s8, v69
	s_mov_b32 s8, 0x3f317218
	s_nop 0
	v_subbrev_co_u32_e32 v82, vcc, 0, v66, vcc
	v_sub_u32_e32 v66, 0, v82
	v_ldexp_f32 v65, v65, v66
	v_ldexp_f32 v66, v68, v66
	v_add_f32_e32 v68, -1.0, v65
	v_add_f32_e32 v67, 1.0, v68
	v_sub_f32_e32 v67, v65, v67
	v_add_f32_e32 v69, v66, v67
	v_add_f32_e32 v67, 1.0, v65
	v_add_f32_e32 v70, -1.0, v67
	v_sub_f32_e32 v65, v65, v70
	v_add_f32_e32 v65, v66, v65
	v_add_f32_e32 v83, v67, v65
	v_rcp_f32_e32 v84, v83
	v_sub_f32_e32 v66, v67, v83
	v_add_f32_e32 v67, v68, v69
	v_add_f32_e32 v65, v65, v66
	v_mul_f32_e32 v86, v67, v84
	v_sub_f32_e32 v66, v68, v67
	v_mul_f32_e32 v68, v83, v86
	v_fma_f32 v70, v86, v83, -v68
	v_fmac_f32_e32 v70, v86, v65
	v_add_f32_e32 v85, v69, v66
	v_add_f32_e32 v66, v68, v70
	v_sub_f32_e32 v69, v67, v66
	v_pk_add_f32 v[80:81], v[66:67], v[68:69] neg_lo:[0,1] neg_hi:[0,1]
	v_mov_b32_e32 v71, v66
	v_pk_add_f32 v[66:67], v[80:81], v[70:71] neg_lo:[0,1] neg_hi:[0,1]
	v_cmp_eq_f32_e32 vcc, s10, v98
	v_add_f32_e32 v67, v85, v67
	v_add_f32_e32 v66, v66, v67
	;; [unrolled: 1-line block ×3, first 2 shown]
	v_mul_f32_e32 v85, v84, v67
	v_mul_f32_e32 v68, v83, v85
	v_fma_f32 v70, v85, v83, -v68
	v_fmac_f32_e32 v70, v85, v65
	v_sub_f32_e32 v65, v69, v67
	v_add_f32_e32 v65, v66, v65
	v_add_f32_e32 v66, v68, v70
	v_sub_f32_e32 v69, v67, v66
	v_pk_add_f32 v[80:81], v[66:67], v[68:69] neg_lo:[0,1] neg_hi:[0,1]
	v_mov_b32_e32 v71, v66
	v_pk_add_f32 v[66:67], v[80:81], v[70:71] neg_lo:[0,1] neg_hi:[0,1]
	v_cvt_f32_i32_e32 v68, v82
	v_add_f32_e32 v65, v65, v67
	v_add_f32_e32 v65, v66, v65
	v_add_f32_e32 v66, v86, v85
	v_add_f32_e32 v65, v69, v65
	v_sub_f32_e32 v67, v66, v86
	v_mul_f32_e32 v65, v84, v65
	v_sub_f32_e32 v67, v85, v67
	v_add_f32_e32 v65, v67, v65
	v_add_f32_e32 v69, v66, v65
	v_mul_f32_e32 v70, v69, v69
	v_mov_b32_e32 v67, 0x3ecc95a3
	v_fmac_f32_e32 v67, 0x3e9b6dac, v70
	v_sub_f32_e32 v66, v69, v66
	v_fmaak_f32 v67, v70, v67, 0x3f2aaada
	v_sub_f32_e32 v65, v65, v66
	v_ldexp_f32 v71, v69, 1
	v_mul_f32_e32 v69, v69, v70
	v_mov_b32_e32 v66, 0x3f317218
	v_pk_mul_f32 v[66:67], v[68:69], v[66:67]
	v_ldexp_f32 v65, v65, 1
	v_fma_f32 v69, v68, s8, -v66
	v_fmamk_f32 v70, v68, 0xb102e308, v69
	v_pk_add_f32 v[68:69], v[66:67], v[70:71]
	v_mov_b32_e32 v80, v66
	v_sub_f32_e32 v71, v69, v71
	v_sub_f32_e32 v71, v67, v71
	v_add_f32_e32 v81, v65, v71
	v_pk_add_f32 v[66:67], v[68:69], v[66:67] neg_lo:[0,1] neg_hi:[0,1]
	v_pk_add_f32 v[82:83], v[68:69], v[80:81]
	v_mov_b32_e32 v71, v68
	v_mov_b32_e32 v67, v83
	v_pk_add_f32 v[84:85], v[70:71], v[66:67] neg_lo:[0,1] neg_hi:[0,1]
	v_pk_add_f32 v[66:67], v[70:71], v[66:67]
	v_mov_b32_e32 v80, v81
	v_mov_b32_e32 v70, v67
	v_pk_add_f32 v[86:87], v[70:71], v[68:69] neg_lo:[0,1] neg_hi:[0,1]
	v_mov_b32_e32 v66, v83
	v_mov_b32_e32 v65, v86
	v_pk_add_f32 v[96:97], v[82:83], v[64:65] neg_lo:[0,1] neg_hi:[0,1]
	v_mov_b32_e32 v82, v69
	v_mov_b32_e32 v83, v86
	;; [unrolled: 1-line block ×3, first 2 shown]
	v_pk_add_f32 v[66:67], v[66:67], v[82:83] neg_lo:[0,1] neg_hi:[0,1]
	v_mov_b32_e32 v81, v68
	v_pk_add_f32 v[66:67], v[80:81], v[66:67] neg_lo:[0,1] neg_hi:[0,1]
	v_mov_b32_e32 v96, v84
	v_pk_add_f32 v[68:69], v[96:97], v[66:67]
	s_mov_b32 s8, 0x33800000
	v_mov_b32_e32 v80, v69
	v_pk_add_f32 v[80:81], v[68:69], v[80:81]
	v_cmp_lt_f32_e64 s[10:11], |v98|, s8
	v_pk_add_f32 v[70:71], v[70:71], v[80:81]
	v_mov_b32_e32 v67, v80
	v_mov_b32_e32 v69, v70
	v_pk_add_f32 v[82:83], v[68:69], v[84:85] neg_lo:[0,1] neg_hi:[0,1]
	s_or_b64 vcc, vcc, s[10:11]
	v_sub_f32_e32 v65, v68, v82
	v_pk_add_f32 v[66:67], v[66:67], v[82:83] neg_lo:[0,1] neg_hi:[0,1]
	v_sub_f32_e32 v65, v84, v65
	v_add_f32_e32 v65, v66, v65
	v_add_f32_e32 v65, v65, v67
	;; [unrolled: 1-line block ×3, first 2 shown]
	v_cndmask_b32_e32 v65, v65, v98, vcc
	v_add_f32_e32 v65, v64, v65
.LBB479_248:
	s_or_b64 exec, exec, s[6:7]
	v_bfe_u32 v64, v65, 16, 1
	v_add3_u32 v64, v65, v64, s9
	v_lshrrev_b32_e32 v64, 16, v64
	v_cmp_o_f32_e32 vcc, v65, v65
	s_movk_i32 s8, 0x1f8
	s_nop 0
	v_cndmask_b32_e32 v55, v55, v64, vcc
	v_lshlrev_b32_e32 v66, 16, v55
	v_max_f32_e32 v64, v66, v66
	v_min_f32_e32 v65, v64, v114
	v_cmp_u_f32_e32 vcc, v66, v66
	v_max_f32_e32 v64, v64, v114
	s_nop 0
	v_cndmask_b32_e32 v65, v65, v66, vcc
	v_cndmask_b32_e32 v64, v64, v66, vcc
	v_cndmask_b32_e64 v65, v65, v100, s[34:35]
	v_cndmask_b32_e64 v64, v64, v100, s[34:35]
	v_cmp_neq_f32_e32 vcc, v65, v64
	v_cmp_class_f32_e64 s[6:7], v65, s8
	s_or_b64 s[10:11], vcc, s[6:7]
	s_and_saveexec_b64 s[6:7], s[10:11]
	s_cbranch_execz .LBB479_250
; %bb.249:
	v_sub_f32_e32 v65, v65, v64
	s_mov_b32 s9, 0x3fb8aa3b
	v_mul_f32_e32 v66, 0x3fb8aa3b, v65
	v_fma_f32 v67, v65, s9, -v66
	v_rndne_f32_e32 v68, v66
	v_fmamk_f32 v67, v65, 0x32a5705f, v67
	v_sub_f32_e32 v66, v66, v68
	v_add_f32_e32 v66, v66, v67
	v_exp_f32_e32 v66, v66
	v_cvt_i32_f32_e32 v67, v68
	s_mov_b32 s9, 0xc2ce8ed0
	v_cmp_ngt_f32_e32 vcc, s9, v65
	s_mov_b32 s9, 0x42b17218
	v_ldexp_f32 v66, v66, v67
	v_cndmask_b32_e32 v66, 0, v66, vcc
	v_mov_b32_e32 v67, 0x7f800000
	v_cmp_nlt_f32_e32 vcc, s9, v65
	s_mov_b32 s9, 0x3f2aaaab
	s_mov_b32 s10, 0x7f800000
	v_cndmask_b32_e32 v98, v67, v66, vcc
	v_add_f32_e32 v65, 1.0, v98
	v_add_f32_e32 v66, -1.0, v65
	v_sub_f32_e32 v67, v66, v65
	v_add_f32_e32 v67, 1.0, v67
	v_sub_f32_e32 v66, v98, v66
	v_add_f32_e32 v68, v66, v67
	v_frexp_mant_f32_e32 v69, v65
	v_cvt_f64_f32_e32 v[66:67], v65
	v_frexp_exp_i32_f64_e32 v66, v[66:67]
	v_cmp_gt_f32_e32 vcc, s9, v69
	s_mov_b32 s9, 0x3f317218
	s_nop 0
	v_subbrev_co_u32_e32 v82, vcc, 0, v66, vcc
	v_sub_u32_e32 v66, 0, v82
	v_ldexp_f32 v65, v65, v66
	v_ldexp_f32 v66, v68, v66
	v_add_f32_e32 v68, -1.0, v65
	v_add_f32_e32 v67, 1.0, v68
	v_sub_f32_e32 v67, v65, v67
	v_add_f32_e32 v69, v66, v67
	v_add_f32_e32 v67, 1.0, v65
	v_add_f32_e32 v70, -1.0, v67
	v_sub_f32_e32 v65, v65, v70
	v_add_f32_e32 v65, v66, v65
	v_add_f32_e32 v83, v67, v65
	v_rcp_f32_e32 v84, v83
	v_sub_f32_e32 v66, v67, v83
	v_add_f32_e32 v67, v68, v69
	v_add_f32_e32 v65, v65, v66
	v_mul_f32_e32 v86, v67, v84
	v_sub_f32_e32 v66, v68, v67
	v_mul_f32_e32 v68, v83, v86
	v_fma_f32 v70, v86, v83, -v68
	v_fmac_f32_e32 v70, v86, v65
	v_add_f32_e32 v85, v69, v66
	v_add_f32_e32 v66, v68, v70
	v_sub_f32_e32 v69, v67, v66
	v_pk_add_f32 v[80:81], v[66:67], v[68:69] neg_lo:[0,1] neg_hi:[0,1]
	v_mov_b32_e32 v71, v66
	v_pk_add_f32 v[66:67], v[80:81], v[70:71] neg_lo:[0,1] neg_hi:[0,1]
	v_cmp_eq_f32_e32 vcc, s10, v98
	v_add_f32_e32 v67, v85, v67
	v_add_f32_e32 v66, v66, v67
	;; [unrolled: 1-line block ×3, first 2 shown]
	v_mul_f32_e32 v85, v84, v67
	v_mul_f32_e32 v68, v83, v85
	v_fma_f32 v70, v85, v83, -v68
	v_fmac_f32_e32 v70, v85, v65
	v_sub_f32_e32 v65, v69, v67
	v_add_f32_e32 v65, v66, v65
	v_add_f32_e32 v66, v68, v70
	v_sub_f32_e32 v69, v67, v66
	v_pk_add_f32 v[80:81], v[66:67], v[68:69] neg_lo:[0,1] neg_hi:[0,1]
	v_mov_b32_e32 v71, v66
	v_pk_add_f32 v[66:67], v[80:81], v[70:71] neg_lo:[0,1] neg_hi:[0,1]
	v_cvt_f32_i32_e32 v68, v82
	v_add_f32_e32 v65, v65, v67
	v_add_f32_e32 v65, v66, v65
	;; [unrolled: 1-line block ×4, first 2 shown]
	v_sub_f32_e32 v67, v66, v86
	v_mul_f32_e32 v65, v84, v65
	v_sub_f32_e32 v67, v85, v67
	v_add_f32_e32 v65, v67, v65
	v_add_f32_e32 v69, v66, v65
	v_mul_f32_e32 v70, v69, v69
	v_mov_b32_e32 v67, 0x3ecc95a3
	v_fmac_f32_e32 v67, 0x3e9b6dac, v70
	v_sub_f32_e32 v66, v69, v66
	v_fmaak_f32 v67, v70, v67, 0x3f2aaada
	v_sub_f32_e32 v65, v65, v66
	v_ldexp_f32 v71, v69, 1
	v_mul_f32_e32 v69, v69, v70
	v_mov_b32_e32 v66, 0x3f317218
	v_pk_mul_f32 v[66:67], v[68:69], v[66:67]
	v_ldexp_f32 v65, v65, 1
	v_fma_f32 v69, v68, s9, -v66
	v_fmamk_f32 v70, v68, 0xb102e308, v69
	v_pk_add_f32 v[68:69], v[66:67], v[70:71]
	v_mov_b32_e32 v80, v66
	v_sub_f32_e32 v71, v69, v71
	v_sub_f32_e32 v71, v67, v71
	v_add_f32_e32 v81, v65, v71
	v_pk_add_f32 v[66:67], v[68:69], v[66:67] neg_lo:[0,1] neg_hi:[0,1]
	v_pk_add_f32 v[82:83], v[68:69], v[80:81]
	v_mov_b32_e32 v71, v68
	v_mov_b32_e32 v67, v83
	v_pk_add_f32 v[84:85], v[70:71], v[66:67] neg_lo:[0,1] neg_hi:[0,1]
	v_pk_add_f32 v[66:67], v[70:71], v[66:67]
	v_mov_b32_e32 v80, v81
	v_mov_b32_e32 v70, v67
	v_pk_add_f32 v[86:87], v[70:71], v[68:69] neg_lo:[0,1] neg_hi:[0,1]
	v_mov_b32_e32 v66, v83
	v_mov_b32_e32 v65, v86
	v_pk_add_f32 v[96:97], v[82:83], v[64:65] neg_lo:[0,1] neg_hi:[0,1]
	v_mov_b32_e32 v82, v69
	v_mov_b32_e32 v83, v86
	;; [unrolled: 1-line block ×3, first 2 shown]
	v_pk_add_f32 v[66:67], v[66:67], v[82:83] neg_lo:[0,1] neg_hi:[0,1]
	v_mov_b32_e32 v81, v68
	v_pk_add_f32 v[66:67], v[80:81], v[66:67] neg_lo:[0,1] neg_hi:[0,1]
	v_mov_b32_e32 v96, v84
	v_pk_add_f32 v[68:69], v[96:97], v[66:67]
	s_mov_b32 s9, 0x33800000
	v_mov_b32_e32 v80, v69
	v_pk_add_f32 v[80:81], v[68:69], v[80:81]
	v_cmp_lt_f32_e64 s[10:11], |v98|, s9
	v_pk_add_f32 v[70:71], v[70:71], v[80:81]
	v_mov_b32_e32 v67, v80
	v_mov_b32_e32 v69, v70
	v_pk_add_f32 v[82:83], v[68:69], v[84:85] neg_lo:[0,1] neg_hi:[0,1]
	s_or_b64 vcc, vcc, s[10:11]
	v_sub_f32_e32 v65, v68, v82
	v_pk_add_f32 v[66:67], v[66:67], v[82:83] neg_lo:[0,1] neg_hi:[0,1]
	v_sub_f32_e32 v65, v84, v65
	v_add_f32_e32 v65, v66, v65
	v_add_f32_e32 v65, v65, v67
	;; [unrolled: 1-line block ×3, first 2 shown]
	v_cndmask_b32_e32 v65, v65, v98, vcc
	v_add_f32_e32 v66, v64, v65
.LBB479_250:
	s_or_b64 exec, exec, s[6:7]
	v_bfe_u32 v64, v66, 16, 1
	s_movk_i32 s9, 0x7fff
	v_add3_u32 v64, v66, v64, s9
	v_lshrrev_b32_e32 v64, 16, v64
	v_mov_b32_e32 v65, 0x7fc0
	v_cmp_o_f32_e32 vcc, v66, v66
	s_nop 1
	v_cndmask_b32_e32 v64, v65, v64, vcc
	v_lshlrev_b32_e32 v67, 16, v64
	v_max_f32_e32 v66, v67, v67
	v_min_f32_e32 v68, v66, v115
	v_cmp_u_f32_e32 vcc, v67, v67
	v_max_f32_e32 v66, v66, v115
	s_nop 0
	v_cndmask_b32_e32 v68, v68, v67, vcc
	v_cndmask_b32_e32 v66, v66, v67, vcc
	v_cndmask_b32_e64 v68, v68, v101, s[36:37]
	v_cndmask_b32_e64 v66, v66, v101, s[36:37]
	v_cmp_neq_f32_e32 vcc, v68, v66
	v_cmp_class_f32_e64 s[6:7], v68, s8
	s_or_b64 s[10:11], vcc, s[6:7]
	s_and_saveexec_b64 s[6:7], s[10:11]
	s_cbranch_execz .LBB479_252
; %bb.251:
	v_sub_f32_e32 v67, v68, v66
	s_mov_b32 s8, 0x3fb8aa3b
	v_mul_f32_e32 v68, 0x3fb8aa3b, v67
	v_fma_f32 v69, v67, s8, -v68
	v_rndne_f32_e32 v70, v68
	v_fmamk_f32 v69, v67, 0x32a5705f, v69
	v_sub_f32_e32 v68, v68, v70
	v_add_f32_e32 v68, v68, v69
	v_exp_f32_e32 v68, v68
	v_cvt_i32_f32_e32 v69, v70
	s_mov_b32 s8, 0xc2ce8ed0
	v_cmp_ngt_f32_e32 vcc, s8, v67
	s_mov_b32 s8, 0x42b17218
	v_ldexp_f32 v68, v68, v69
	v_cndmask_b32_e32 v68, 0, v68, vcc
	v_mov_b32_e32 v69, 0x7f800000
	v_cmp_nlt_f32_e32 vcc, s8, v67
	s_mov_b32 s8, 0x3f2aaaab
	s_mov_b32 s10, 0x7f800000
	v_cndmask_b32_e32 v100, v69, v68, vcc
	v_add_f32_e32 v67, 1.0, v100
	v_add_f32_e32 v68, -1.0, v67
	v_sub_f32_e32 v69, v68, v67
	v_add_f32_e32 v69, 1.0, v69
	v_sub_f32_e32 v68, v100, v68
	v_add_f32_e32 v70, v68, v69
	v_frexp_mant_f32_e32 v71, v67
	v_cvt_f64_f32_e32 v[68:69], v67
	v_frexp_exp_i32_f64_e32 v68, v[68:69]
	v_cmp_gt_f32_e32 vcc, s8, v71
	s_mov_b32 s8, 0x3f317218
	s_nop 0
	v_subbrev_co_u32_e32 v84, vcc, 0, v68, vcc
	v_sub_u32_e32 v68, 0, v84
	v_ldexp_f32 v67, v67, v68
	v_ldexp_f32 v68, v70, v68
	v_add_f32_e32 v70, -1.0, v67
	v_add_f32_e32 v69, 1.0, v70
	v_sub_f32_e32 v69, v67, v69
	v_add_f32_e32 v71, v68, v69
	v_add_f32_e32 v69, 1.0, v67
	v_add_f32_e32 v80, -1.0, v69
	v_sub_f32_e32 v67, v67, v80
	v_add_f32_e32 v67, v68, v67
	v_add_f32_e32 v85, v69, v67
	v_rcp_f32_e32 v86, v85
	v_sub_f32_e32 v68, v69, v85
	v_add_f32_e32 v69, v70, v71
	v_add_f32_e32 v67, v67, v68
	v_mul_f32_e32 v96, v69, v86
	v_sub_f32_e32 v68, v70, v69
	v_mul_f32_e32 v70, v85, v96
	v_fma_f32 v80, v96, v85, -v70
	v_fmac_f32_e32 v80, v96, v67
	v_add_f32_e32 v87, v71, v68
	v_add_f32_e32 v68, v70, v80
	v_sub_f32_e32 v71, v69, v68
	v_pk_add_f32 v[82:83], v[68:69], v[70:71] neg_lo:[0,1] neg_hi:[0,1]
	v_mov_b32_e32 v81, v68
	v_pk_add_f32 v[68:69], v[82:83], v[80:81] neg_lo:[0,1] neg_hi:[0,1]
	v_cmp_eq_f32_e32 vcc, s10, v100
	v_add_f32_e32 v69, v87, v69
	v_add_f32_e32 v68, v68, v69
	;; [unrolled: 1-line block ×3, first 2 shown]
	v_mul_f32_e32 v87, v86, v69
	v_mul_f32_e32 v70, v85, v87
	v_fma_f32 v80, v87, v85, -v70
	v_fmac_f32_e32 v80, v87, v67
	v_sub_f32_e32 v67, v71, v69
	v_add_f32_e32 v67, v68, v67
	v_add_f32_e32 v68, v70, v80
	v_sub_f32_e32 v71, v69, v68
	v_pk_add_f32 v[82:83], v[68:69], v[70:71] neg_lo:[0,1] neg_hi:[0,1]
	v_mov_b32_e32 v81, v68
	v_pk_add_f32 v[68:69], v[82:83], v[80:81] neg_lo:[0,1] neg_hi:[0,1]
	v_cvt_f32_i32_e32 v70, v84
	v_add_f32_e32 v67, v67, v69
	v_add_f32_e32 v67, v68, v67
	;; [unrolled: 1-line block ×4, first 2 shown]
	v_sub_f32_e32 v69, v68, v96
	v_mul_f32_e32 v67, v86, v67
	v_sub_f32_e32 v69, v87, v69
	v_add_f32_e32 v67, v69, v67
	v_add_f32_e32 v71, v68, v67
	v_mul_f32_e32 v80, v71, v71
	v_mov_b32_e32 v69, 0x3ecc95a3
	v_fmac_f32_e32 v69, 0x3e9b6dac, v80
	v_sub_f32_e32 v68, v71, v68
	v_fmaak_f32 v69, v80, v69, 0x3f2aaada
	v_sub_f32_e32 v67, v67, v68
	v_ldexp_f32 v81, v71, 1
	v_mul_f32_e32 v71, v71, v80
	v_mov_b32_e32 v68, 0x3f317218
	v_pk_mul_f32 v[68:69], v[70:71], v[68:69]
	v_ldexp_f32 v67, v67, 1
	v_fma_f32 v71, v70, s8, -v68
	v_fmamk_f32 v80, v70, 0xb102e308, v71
	v_pk_add_f32 v[70:71], v[68:69], v[80:81]
	v_mov_b32_e32 v82, v68
	v_sub_f32_e32 v81, v71, v81
	v_sub_f32_e32 v81, v69, v81
	v_add_f32_e32 v83, v67, v81
	v_pk_add_f32 v[68:69], v[70:71], v[68:69] neg_lo:[0,1] neg_hi:[0,1]
	v_pk_add_f32 v[84:85], v[70:71], v[82:83]
	v_mov_b32_e32 v81, v70
	v_mov_b32_e32 v69, v85
	v_pk_add_f32 v[86:87], v[80:81], v[68:69] neg_lo:[0,1] neg_hi:[0,1]
	v_pk_add_f32 v[68:69], v[80:81], v[68:69]
	v_mov_b32_e32 v82, v83
	v_mov_b32_e32 v80, v69
	v_pk_add_f32 v[96:97], v[80:81], v[70:71] neg_lo:[0,1] neg_hi:[0,1]
	v_mov_b32_e32 v68, v85
	v_mov_b32_e32 v67, v96
	v_pk_add_f32 v[98:99], v[84:85], v[66:67] neg_lo:[0,1] neg_hi:[0,1]
	v_mov_b32_e32 v84, v71
	v_mov_b32_e32 v85, v96
	;; [unrolled: 1-line block ×3, first 2 shown]
	v_pk_add_f32 v[68:69], v[68:69], v[84:85] neg_lo:[0,1] neg_hi:[0,1]
	v_mov_b32_e32 v83, v70
	v_pk_add_f32 v[68:69], v[82:83], v[68:69] neg_lo:[0,1] neg_hi:[0,1]
	v_mov_b32_e32 v98, v86
	v_pk_add_f32 v[70:71], v[98:99], v[68:69]
	s_mov_b32 s8, 0x33800000
	v_mov_b32_e32 v82, v71
	v_pk_add_f32 v[82:83], v[70:71], v[82:83]
	v_cmp_lt_f32_e64 s[10:11], |v100|, s8
	v_pk_add_f32 v[80:81], v[80:81], v[82:83]
	v_mov_b32_e32 v69, v82
	v_mov_b32_e32 v71, v80
	v_pk_add_f32 v[84:85], v[70:71], v[86:87] neg_lo:[0,1] neg_hi:[0,1]
	s_or_b64 vcc, vcc, s[10:11]
	v_sub_f32_e32 v67, v70, v84
	v_pk_add_f32 v[68:69], v[68:69], v[84:85] neg_lo:[0,1] neg_hi:[0,1]
	v_sub_f32_e32 v67, v86, v67
	v_add_f32_e32 v67, v68, v67
	v_add_f32_e32 v67, v67, v69
	;; [unrolled: 1-line block ×3, first 2 shown]
	v_cndmask_b32_e32 v67, v67, v100, vcc
	v_add_f32_e32 v67, v66, v67
.LBB479_252:
	s_or_b64 exec, exec, s[6:7]
	v_bfe_u32 v66, v67, 16, 1
	v_add3_u32 v66, v67, v66, s9
	v_lshrrev_b32_e32 v66, 16, v66
	v_cmp_o_f32_e32 vcc, v67, v67
	s_movk_i32 s8, 0x1f8
	s_nop 0
	v_cndmask_b32_e32 v65, v65, v66, vcc
	v_lshlrev_b32_e32 v68, 16, v65
	v_max_f32_e32 v66, v68, v68
	v_min_f32_e32 v67, v66, v118
	v_cmp_u_f32_e32 vcc, v68, v68
	v_max_f32_e32 v66, v66, v118
	s_nop 0
	v_cndmask_b32_e32 v67, v67, v68, vcc
	v_cndmask_b32_e32 v66, v66, v68, vcc
	v_cndmask_b32_e64 v67, v67, v112, s[38:39]
	v_cndmask_b32_e64 v66, v66, v112, s[38:39]
	v_cmp_neq_f32_e32 vcc, v67, v66
	v_cmp_class_f32_e64 s[6:7], v67, s8
	s_or_b64 s[10:11], vcc, s[6:7]
	s_and_saveexec_b64 s[6:7], s[10:11]
	s_cbranch_execz .LBB479_254
; %bb.253:
	v_sub_f32_e32 v67, v67, v66
	s_mov_b32 s9, 0x3fb8aa3b
	v_mul_f32_e32 v68, 0x3fb8aa3b, v67
	v_fma_f32 v69, v67, s9, -v68
	v_rndne_f32_e32 v70, v68
	v_fmamk_f32 v69, v67, 0x32a5705f, v69
	v_sub_f32_e32 v68, v68, v70
	v_add_f32_e32 v68, v68, v69
	v_exp_f32_e32 v68, v68
	v_cvt_i32_f32_e32 v69, v70
	s_mov_b32 s9, 0xc2ce8ed0
	v_cmp_ngt_f32_e32 vcc, s9, v67
	s_mov_b32 s9, 0x42b17218
	v_ldexp_f32 v68, v68, v69
	v_cndmask_b32_e32 v68, 0, v68, vcc
	v_mov_b32_e32 v69, 0x7f800000
	v_cmp_nlt_f32_e32 vcc, s9, v67
	s_mov_b32 s9, 0x3f2aaaab
	s_mov_b32 s10, 0x7f800000
	v_cndmask_b32_e32 v100, v69, v68, vcc
	v_add_f32_e32 v67, 1.0, v100
	v_add_f32_e32 v68, -1.0, v67
	v_sub_f32_e32 v69, v68, v67
	v_add_f32_e32 v69, 1.0, v69
	v_sub_f32_e32 v68, v100, v68
	v_add_f32_e32 v70, v68, v69
	v_frexp_mant_f32_e32 v71, v67
	v_cvt_f64_f32_e32 v[68:69], v67
	v_frexp_exp_i32_f64_e32 v68, v[68:69]
	v_cmp_gt_f32_e32 vcc, s9, v71
	s_mov_b32 s9, 0x3f317218
	s_nop 0
	v_subbrev_co_u32_e32 v84, vcc, 0, v68, vcc
	v_sub_u32_e32 v68, 0, v84
	v_ldexp_f32 v67, v67, v68
	v_ldexp_f32 v68, v70, v68
	v_add_f32_e32 v70, -1.0, v67
	v_add_f32_e32 v69, 1.0, v70
	v_sub_f32_e32 v69, v67, v69
	v_add_f32_e32 v71, v68, v69
	v_add_f32_e32 v69, 1.0, v67
	v_add_f32_e32 v80, -1.0, v69
	v_sub_f32_e32 v67, v67, v80
	v_add_f32_e32 v67, v68, v67
	v_add_f32_e32 v85, v69, v67
	v_rcp_f32_e32 v86, v85
	v_sub_f32_e32 v68, v69, v85
	v_add_f32_e32 v69, v70, v71
	v_add_f32_e32 v67, v67, v68
	v_mul_f32_e32 v96, v69, v86
	v_sub_f32_e32 v68, v70, v69
	v_mul_f32_e32 v70, v85, v96
	v_fma_f32 v80, v96, v85, -v70
	v_fmac_f32_e32 v80, v96, v67
	v_add_f32_e32 v87, v71, v68
	v_add_f32_e32 v68, v70, v80
	v_sub_f32_e32 v71, v69, v68
	v_pk_add_f32 v[82:83], v[68:69], v[70:71] neg_lo:[0,1] neg_hi:[0,1]
	v_mov_b32_e32 v81, v68
	v_pk_add_f32 v[68:69], v[82:83], v[80:81] neg_lo:[0,1] neg_hi:[0,1]
	v_cmp_eq_f32_e32 vcc, s10, v100
	v_add_f32_e32 v69, v87, v69
	v_add_f32_e32 v68, v68, v69
	v_add_f32_e32 v69, v71, v68
	v_mul_f32_e32 v87, v86, v69
	v_mul_f32_e32 v70, v85, v87
	v_fma_f32 v80, v87, v85, -v70
	v_fmac_f32_e32 v80, v87, v67
	v_sub_f32_e32 v67, v71, v69
	v_add_f32_e32 v67, v68, v67
	v_add_f32_e32 v68, v70, v80
	v_sub_f32_e32 v71, v69, v68
	v_pk_add_f32 v[82:83], v[68:69], v[70:71] neg_lo:[0,1] neg_hi:[0,1]
	v_mov_b32_e32 v81, v68
	v_pk_add_f32 v[68:69], v[82:83], v[80:81] neg_lo:[0,1] neg_hi:[0,1]
	v_cvt_f32_i32_e32 v70, v84
	v_add_f32_e32 v67, v67, v69
	v_add_f32_e32 v67, v68, v67
	;; [unrolled: 1-line block ×4, first 2 shown]
	v_sub_f32_e32 v69, v68, v96
	v_mul_f32_e32 v67, v86, v67
	v_sub_f32_e32 v69, v87, v69
	v_add_f32_e32 v67, v69, v67
	v_add_f32_e32 v71, v68, v67
	v_mul_f32_e32 v80, v71, v71
	v_mov_b32_e32 v69, 0x3ecc95a3
	v_fmac_f32_e32 v69, 0x3e9b6dac, v80
	v_sub_f32_e32 v68, v71, v68
	v_fmaak_f32 v69, v80, v69, 0x3f2aaada
	v_sub_f32_e32 v67, v67, v68
	v_ldexp_f32 v81, v71, 1
	v_mul_f32_e32 v71, v71, v80
	v_mov_b32_e32 v68, 0x3f317218
	v_pk_mul_f32 v[68:69], v[70:71], v[68:69]
	v_ldexp_f32 v67, v67, 1
	v_fma_f32 v71, v70, s9, -v68
	v_fmamk_f32 v80, v70, 0xb102e308, v71
	v_pk_add_f32 v[70:71], v[68:69], v[80:81]
	v_mov_b32_e32 v82, v68
	v_sub_f32_e32 v81, v71, v81
	v_sub_f32_e32 v81, v69, v81
	v_add_f32_e32 v83, v67, v81
	v_pk_add_f32 v[68:69], v[70:71], v[68:69] neg_lo:[0,1] neg_hi:[0,1]
	v_pk_add_f32 v[84:85], v[70:71], v[82:83]
	v_mov_b32_e32 v81, v70
	v_mov_b32_e32 v69, v85
	v_pk_add_f32 v[86:87], v[80:81], v[68:69] neg_lo:[0,1] neg_hi:[0,1]
	v_pk_add_f32 v[68:69], v[80:81], v[68:69]
	v_mov_b32_e32 v82, v83
	v_mov_b32_e32 v80, v69
	v_pk_add_f32 v[96:97], v[80:81], v[70:71] neg_lo:[0,1] neg_hi:[0,1]
	v_mov_b32_e32 v68, v85
	v_mov_b32_e32 v67, v96
	v_pk_add_f32 v[98:99], v[84:85], v[66:67] neg_lo:[0,1] neg_hi:[0,1]
	v_mov_b32_e32 v84, v71
	v_mov_b32_e32 v85, v96
	;; [unrolled: 1-line block ×3, first 2 shown]
	v_pk_add_f32 v[68:69], v[68:69], v[84:85] neg_lo:[0,1] neg_hi:[0,1]
	v_mov_b32_e32 v83, v70
	v_pk_add_f32 v[68:69], v[82:83], v[68:69] neg_lo:[0,1] neg_hi:[0,1]
	v_mov_b32_e32 v98, v86
	v_pk_add_f32 v[70:71], v[98:99], v[68:69]
	s_mov_b32 s9, 0x33800000
	v_mov_b32_e32 v82, v71
	v_pk_add_f32 v[82:83], v[70:71], v[82:83]
	v_cmp_lt_f32_e64 s[10:11], |v100|, s9
	v_pk_add_f32 v[80:81], v[80:81], v[82:83]
	v_mov_b32_e32 v69, v82
	v_mov_b32_e32 v71, v80
	v_pk_add_f32 v[84:85], v[70:71], v[86:87] neg_lo:[0,1] neg_hi:[0,1]
	s_or_b64 vcc, vcc, s[10:11]
	v_sub_f32_e32 v67, v70, v84
	v_pk_add_f32 v[68:69], v[68:69], v[84:85] neg_lo:[0,1] neg_hi:[0,1]
	v_sub_f32_e32 v67, v86, v67
	v_add_f32_e32 v67, v68, v67
	v_add_f32_e32 v67, v67, v69
	;; [unrolled: 1-line block ×3, first 2 shown]
	v_cndmask_b32_e32 v67, v67, v100, vcc
	v_add_f32_e32 v68, v66, v67
.LBB479_254:
	s_or_b64 exec, exec, s[6:7]
	v_bfe_u32 v66, v68, 16, 1
	s_movk_i32 s9, 0x7fff
	v_add3_u32 v66, v68, v66, s9
	v_lshrrev_b32_e32 v66, 16, v66
	v_mov_b32_e32 v67, 0x7fc0
	v_cmp_o_f32_e32 vcc, v68, v68
	s_nop 1
	v_cndmask_b32_e32 v66, v67, v66, vcc
	v_lshlrev_b32_e32 v69, 16, v66
	v_max_f32_e32 v68, v69, v69
	v_min_f32_e32 v70, v68, v119
	v_cmp_u_f32_e32 vcc, v69, v69
	v_max_f32_e32 v68, v68, v119
	s_nop 0
	v_cndmask_b32_e32 v70, v70, v69, vcc
	v_cndmask_b32_e32 v68, v68, v69, vcc
	v_cndmask_b32_e64 v70, v70, v113, s[40:41]
	v_cndmask_b32_e64 v68, v68, v113, s[40:41]
	v_cmp_neq_f32_e32 vcc, v70, v68
	v_cmp_class_f32_e64 s[6:7], v70, s8
	s_or_b64 s[10:11], vcc, s[6:7]
	s_and_saveexec_b64 s[6:7], s[10:11]
	s_cbranch_execz .LBB479_256
; %bb.255:
	v_sub_f32_e32 v69, v70, v68
	s_mov_b32 s8, 0x3fb8aa3b
	v_mul_f32_e32 v70, 0x3fb8aa3b, v69
	v_fma_f32 v71, v69, s8, -v70
	v_rndne_f32_e32 v80, v70
	v_fmamk_f32 v71, v69, 0x32a5705f, v71
	v_sub_f32_e32 v70, v70, v80
	v_add_f32_e32 v70, v70, v71
	v_exp_f32_e32 v70, v70
	v_cvt_i32_f32_e32 v71, v80
	s_mov_b32 s8, 0xc2ce8ed0
	v_cmp_ngt_f32_e32 vcc, s8, v69
	s_mov_b32 s8, 0x42b17218
	v_ldexp_f32 v70, v70, v71
	v_cndmask_b32_e32 v70, 0, v70, vcc
	v_mov_b32_e32 v71, 0x7f800000
	v_cmp_nlt_f32_e32 vcc, s8, v69
	s_mov_b32 s8, 0x3f2aaaab
	s_mov_b32 s10, 0x7f800000
	v_cndmask_b32_e32 v102, v71, v70, vcc
	v_add_f32_e32 v69, 1.0, v102
	v_add_f32_e32 v70, -1.0, v69
	v_sub_f32_e32 v71, v70, v69
	v_add_f32_e32 v71, 1.0, v71
	v_sub_f32_e32 v70, v102, v70
	v_add_f32_e32 v80, v70, v71
	v_frexp_mant_f32_e32 v81, v69
	v_cvt_f64_f32_e32 v[70:71], v69
	v_frexp_exp_i32_f64_e32 v70, v[70:71]
	v_cmp_gt_f32_e32 vcc, s8, v81
	s_mov_b32 s8, 0x3f317218
	s_nop 0
	v_subbrev_co_u32_e32 v86, vcc, 0, v70, vcc
	v_sub_u32_e32 v70, 0, v86
	v_ldexp_f32 v69, v69, v70
	v_ldexp_f32 v70, v80, v70
	v_add_f32_e32 v80, -1.0, v69
	v_add_f32_e32 v71, 1.0, v80
	v_sub_f32_e32 v71, v69, v71
	v_add_f32_e32 v81, v70, v71
	v_add_f32_e32 v71, 1.0, v69
	v_add_f32_e32 v82, -1.0, v71
	v_sub_f32_e32 v69, v69, v82
	v_add_f32_e32 v69, v70, v69
	v_add_f32_e32 v87, v71, v69
	v_rcp_f32_e32 v96, v87
	v_sub_f32_e32 v70, v71, v87
	v_add_f32_e32 v71, v80, v81
	v_add_f32_e32 v69, v69, v70
	v_mul_f32_e32 v98, v71, v96
	v_sub_f32_e32 v70, v80, v71
	v_mul_f32_e32 v80, v87, v98
	v_fma_f32 v82, v98, v87, -v80
	v_fmac_f32_e32 v82, v98, v69
	v_add_f32_e32 v97, v81, v70
	v_add_f32_e32 v70, v80, v82
	v_sub_f32_e32 v81, v71, v70
	v_pk_add_f32 v[84:85], v[70:71], v[80:81] neg_lo:[0,1] neg_hi:[0,1]
	v_mov_b32_e32 v83, v70
	v_pk_add_f32 v[70:71], v[84:85], v[82:83] neg_lo:[0,1] neg_hi:[0,1]
	v_cmp_eq_f32_e32 vcc, s10, v102
	v_add_f32_e32 v71, v97, v71
	v_add_f32_e32 v70, v70, v71
	;; [unrolled: 1-line block ×3, first 2 shown]
	v_mul_f32_e32 v97, v96, v71
	v_mul_f32_e32 v80, v87, v97
	v_fma_f32 v82, v97, v87, -v80
	v_fmac_f32_e32 v82, v97, v69
	v_sub_f32_e32 v69, v81, v71
	v_add_f32_e32 v69, v70, v69
	v_add_f32_e32 v70, v80, v82
	v_sub_f32_e32 v81, v71, v70
	v_pk_add_f32 v[84:85], v[70:71], v[80:81] neg_lo:[0,1] neg_hi:[0,1]
	v_mov_b32_e32 v83, v70
	v_pk_add_f32 v[70:71], v[84:85], v[82:83] neg_lo:[0,1] neg_hi:[0,1]
	v_cvt_f32_i32_e32 v80, v86
	v_add_f32_e32 v69, v69, v71
	v_add_f32_e32 v69, v70, v69
	;; [unrolled: 1-line block ×4, first 2 shown]
	v_sub_f32_e32 v71, v70, v98
	v_mul_f32_e32 v69, v96, v69
	v_sub_f32_e32 v71, v97, v71
	v_add_f32_e32 v69, v71, v69
	v_add_f32_e32 v81, v70, v69
	v_mul_f32_e32 v82, v81, v81
	v_mov_b32_e32 v71, 0x3ecc95a3
	v_fmac_f32_e32 v71, 0x3e9b6dac, v82
	v_sub_f32_e32 v70, v81, v70
	v_fmaak_f32 v71, v82, v71, 0x3f2aaada
	v_sub_f32_e32 v69, v69, v70
	v_ldexp_f32 v83, v81, 1
	v_mul_f32_e32 v81, v81, v82
	v_mov_b32_e32 v70, 0x3f317218
	v_pk_mul_f32 v[70:71], v[80:81], v[70:71]
	v_ldexp_f32 v69, v69, 1
	v_fma_f32 v81, v80, s8, -v70
	v_fmamk_f32 v82, v80, 0xb102e308, v81
	v_pk_add_f32 v[80:81], v[70:71], v[82:83]
	v_mov_b32_e32 v84, v70
	v_sub_f32_e32 v83, v81, v83
	v_sub_f32_e32 v83, v71, v83
	v_add_f32_e32 v85, v69, v83
	v_pk_add_f32 v[70:71], v[80:81], v[70:71] neg_lo:[0,1] neg_hi:[0,1]
	v_pk_add_f32 v[86:87], v[80:81], v[84:85]
	v_mov_b32_e32 v83, v80
	v_mov_b32_e32 v71, v87
	v_pk_add_f32 v[96:97], v[82:83], v[70:71] neg_lo:[0,1] neg_hi:[0,1]
	v_pk_add_f32 v[70:71], v[82:83], v[70:71]
	v_mov_b32_e32 v84, v85
	v_mov_b32_e32 v82, v71
	v_pk_add_f32 v[98:99], v[82:83], v[80:81] neg_lo:[0,1] neg_hi:[0,1]
	v_mov_b32_e32 v70, v87
	v_mov_b32_e32 v69, v98
	v_pk_add_f32 v[100:101], v[86:87], v[68:69] neg_lo:[0,1] neg_hi:[0,1]
	v_mov_b32_e32 v86, v81
	v_mov_b32_e32 v87, v98
	;; [unrolled: 1-line block ×3, first 2 shown]
	v_pk_add_f32 v[70:71], v[70:71], v[86:87] neg_lo:[0,1] neg_hi:[0,1]
	v_mov_b32_e32 v85, v80
	v_pk_add_f32 v[70:71], v[84:85], v[70:71] neg_lo:[0,1] neg_hi:[0,1]
	v_mov_b32_e32 v100, v96
	v_pk_add_f32 v[80:81], v[100:101], v[70:71]
	s_mov_b32 s8, 0x33800000
	v_mov_b32_e32 v84, v81
	v_pk_add_f32 v[84:85], v[80:81], v[84:85]
	v_cmp_lt_f32_e64 s[10:11], |v102|, s8
	v_pk_add_f32 v[82:83], v[82:83], v[84:85]
	v_mov_b32_e32 v71, v84
	v_mov_b32_e32 v81, v82
	v_pk_add_f32 v[86:87], v[80:81], v[96:97] neg_lo:[0,1] neg_hi:[0,1]
	s_or_b64 vcc, vcc, s[10:11]
	v_sub_f32_e32 v69, v80, v86
	v_pk_add_f32 v[70:71], v[70:71], v[86:87] neg_lo:[0,1] neg_hi:[0,1]
	v_sub_f32_e32 v69, v96, v69
	v_add_f32_e32 v69, v70, v69
	v_add_f32_e32 v69, v69, v71
	;; [unrolled: 1-line block ×3, first 2 shown]
	v_cndmask_b32_e32 v69, v69, v102, vcc
	v_add_f32_e32 v69, v68, v69
.LBB479_256:
	s_or_b64 exec, exec, s[6:7]
	v_bfe_u32 v68, v69, 16, 1
	v_add3_u32 v68, v69, v68, s9
	v_lshrrev_b32_e32 v68, 16, v68
	v_cmp_o_f32_e32 vcc, v69, v69
	s_movk_i32 s8, 0x1f8
	s_nop 0
	v_cndmask_b32_e32 v67, v67, v68, vcc
	v_lshlrev_b32_e32 v70, 16, v67
	v_max_f32_e32 v68, v70, v70
	v_min_f32_e32 v69, v68, v130
	v_cmp_u_f32_e32 vcc, v70, v70
	v_max_f32_e32 v68, v68, v130
	s_nop 0
	v_cndmask_b32_e32 v69, v69, v70, vcc
	v_cndmask_b32_e32 v68, v68, v70, vcc
	v_cndmask_b32_e64 v69, v69, v116, s[42:43]
	v_cndmask_b32_e64 v68, v68, v116, s[42:43]
	v_cmp_neq_f32_e32 vcc, v69, v68
	v_cmp_class_f32_e64 s[6:7], v69, s8
	s_or_b64 s[10:11], vcc, s[6:7]
	s_and_saveexec_b64 s[6:7], s[10:11]
	s_cbranch_execz .LBB479_258
; %bb.257:
	v_sub_f32_e32 v69, v69, v68
	s_mov_b32 s9, 0x3fb8aa3b
	v_mul_f32_e32 v70, 0x3fb8aa3b, v69
	v_fma_f32 v71, v69, s9, -v70
	v_rndne_f32_e32 v80, v70
	v_fmamk_f32 v71, v69, 0x32a5705f, v71
	v_sub_f32_e32 v70, v70, v80
	v_add_f32_e32 v70, v70, v71
	v_exp_f32_e32 v70, v70
	v_cvt_i32_f32_e32 v71, v80
	s_mov_b32 s9, 0xc2ce8ed0
	v_cmp_ngt_f32_e32 vcc, s9, v69
	s_mov_b32 s9, 0x42b17218
	v_ldexp_f32 v70, v70, v71
	v_cndmask_b32_e32 v70, 0, v70, vcc
	v_mov_b32_e32 v71, 0x7f800000
	v_cmp_nlt_f32_e32 vcc, s9, v69
	s_mov_b32 s9, 0x3f2aaaab
	s_mov_b32 s10, 0x7f800000
	v_cndmask_b32_e32 v102, v71, v70, vcc
	v_add_f32_e32 v69, 1.0, v102
	v_add_f32_e32 v70, -1.0, v69
	v_sub_f32_e32 v71, v70, v69
	v_add_f32_e32 v71, 1.0, v71
	v_sub_f32_e32 v70, v102, v70
	v_add_f32_e32 v80, v70, v71
	v_frexp_mant_f32_e32 v81, v69
	v_cvt_f64_f32_e32 v[70:71], v69
	v_frexp_exp_i32_f64_e32 v70, v[70:71]
	v_cmp_gt_f32_e32 vcc, s9, v81
	s_mov_b32 s9, 0x3f317218
	s_nop 0
	v_subbrev_co_u32_e32 v86, vcc, 0, v70, vcc
	v_sub_u32_e32 v70, 0, v86
	v_ldexp_f32 v69, v69, v70
	v_ldexp_f32 v70, v80, v70
	v_add_f32_e32 v80, -1.0, v69
	v_add_f32_e32 v71, 1.0, v80
	v_sub_f32_e32 v71, v69, v71
	v_add_f32_e32 v81, v70, v71
	v_add_f32_e32 v71, 1.0, v69
	v_add_f32_e32 v82, -1.0, v71
	v_sub_f32_e32 v69, v69, v82
	v_add_f32_e32 v69, v70, v69
	v_add_f32_e32 v87, v71, v69
	v_rcp_f32_e32 v96, v87
	v_sub_f32_e32 v70, v71, v87
	v_add_f32_e32 v71, v80, v81
	v_add_f32_e32 v69, v69, v70
	v_mul_f32_e32 v98, v71, v96
	v_sub_f32_e32 v70, v80, v71
	v_mul_f32_e32 v80, v87, v98
	v_fma_f32 v82, v98, v87, -v80
	v_fmac_f32_e32 v82, v98, v69
	v_add_f32_e32 v97, v81, v70
	v_add_f32_e32 v70, v80, v82
	v_sub_f32_e32 v81, v71, v70
	v_pk_add_f32 v[84:85], v[70:71], v[80:81] neg_lo:[0,1] neg_hi:[0,1]
	v_mov_b32_e32 v83, v70
	v_pk_add_f32 v[70:71], v[84:85], v[82:83] neg_lo:[0,1] neg_hi:[0,1]
	v_cmp_eq_f32_e32 vcc, s10, v102
	v_add_f32_e32 v71, v97, v71
	v_add_f32_e32 v70, v70, v71
	;; [unrolled: 1-line block ×3, first 2 shown]
	v_mul_f32_e32 v97, v96, v71
	v_mul_f32_e32 v80, v87, v97
	v_fma_f32 v82, v97, v87, -v80
	v_fmac_f32_e32 v82, v97, v69
	v_sub_f32_e32 v69, v81, v71
	v_add_f32_e32 v69, v70, v69
	v_add_f32_e32 v70, v80, v82
	v_sub_f32_e32 v81, v71, v70
	v_pk_add_f32 v[84:85], v[70:71], v[80:81] neg_lo:[0,1] neg_hi:[0,1]
	v_mov_b32_e32 v83, v70
	v_pk_add_f32 v[70:71], v[84:85], v[82:83] neg_lo:[0,1] neg_hi:[0,1]
	v_cvt_f32_i32_e32 v80, v86
	v_add_f32_e32 v69, v69, v71
	v_add_f32_e32 v69, v70, v69
	;; [unrolled: 1-line block ×4, first 2 shown]
	v_sub_f32_e32 v71, v70, v98
	v_mul_f32_e32 v69, v96, v69
	v_sub_f32_e32 v71, v97, v71
	v_add_f32_e32 v69, v71, v69
	v_add_f32_e32 v81, v70, v69
	v_mul_f32_e32 v82, v81, v81
	v_mov_b32_e32 v71, 0x3ecc95a3
	v_fmac_f32_e32 v71, 0x3e9b6dac, v82
	v_sub_f32_e32 v70, v81, v70
	v_fmaak_f32 v71, v82, v71, 0x3f2aaada
	v_sub_f32_e32 v69, v69, v70
	v_ldexp_f32 v83, v81, 1
	v_mul_f32_e32 v81, v81, v82
	v_mov_b32_e32 v70, 0x3f317218
	v_pk_mul_f32 v[70:71], v[80:81], v[70:71]
	v_ldexp_f32 v69, v69, 1
	v_fma_f32 v81, v80, s9, -v70
	v_fmamk_f32 v82, v80, 0xb102e308, v81
	v_pk_add_f32 v[80:81], v[70:71], v[82:83]
	v_mov_b32_e32 v84, v70
	v_sub_f32_e32 v83, v81, v83
	v_sub_f32_e32 v83, v71, v83
	v_add_f32_e32 v85, v69, v83
	v_pk_add_f32 v[70:71], v[80:81], v[70:71] neg_lo:[0,1] neg_hi:[0,1]
	v_pk_add_f32 v[86:87], v[80:81], v[84:85]
	v_mov_b32_e32 v83, v80
	v_mov_b32_e32 v71, v87
	v_pk_add_f32 v[96:97], v[82:83], v[70:71] neg_lo:[0,1] neg_hi:[0,1]
	v_pk_add_f32 v[70:71], v[82:83], v[70:71]
	v_mov_b32_e32 v84, v85
	v_mov_b32_e32 v82, v71
	v_pk_add_f32 v[98:99], v[82:83], v[80:81] neg_lo:[0,1] neg_hi:[0,1]
	v_mov_b32_e32 v70, v87
	v_mov_b32_e32 v69, v98
	v_pk_add_f32 v[100:101], v[86:87], v[68:69] neg_lo:[0,1] neg_hi:[0,1]
	v_mov_b32_e32 v86, v81
	v_mov_b32_e32 v87, v98
	v_mov_b32_e32 v97, v71
	v_pk_add_f32 v[70:71], v[70:71], v[86:87] neg_lo:[0,1] neg_hi:[0,1]
	v_mov_b32_e32 v85, v80
	v_pk_add_f32 v[70:71], v[84:85], v[70:71] neg_lo:[0,1] neg_hi:[0,1]
	v_mov_b32_e32 v100, v96
	v_pk_add_f32 v[80:81], v[100:101], v[70:71]
	s_mov_b32 s9, 0x33800000
	v_mov_b32_e32 v84, v81
	v_pk_add_f32 v[84:85], v[80:81], v[84:85]
	v_cmp_lt_f32_e64 s[10:11], |v102|, s9
	v_pk_add_f32 v[82:83], v[82:83], v[84:85]
	v_mov_b32_e32 v71, v84
	v_mov_b32_e32 v81, v82
	v_pk_add_f32 v[86:87], v[80:81], v[96:97] neg_lo:[0,1] neg_hi:[0,1]
	s_or_b64 vcc, vcc, s[10:11]
	v_sub_f32_e32 v69, v80, v86
	v_pk_add_f32 v[70:71], v[70:71], v[86:87] neg_lo:[0,1] neg_hi:[0,1]
	v_sub_f32_e32 v69, v96, v69
	v_add_f32_e32 v69, v70, v69
	v_add_f32_e32 v69, v69, v71
	;; [unrolled: 1-line block ×3, first 2 shown]
	v_cndmask_b32_e32 v69, v69, v102, vcc
	v_add_f32_e32 v70, v68, v69
.LBB479_258:
	s_or_b64 exec, exec, s[6:7]
	v_bfe_u32 v68, v70, 16, 1
	s_movk_i32 s9, 0x7fff
	v_add3_u32 v68, v70, v68, s9
	v_lshrrev_b32_e32 v68, 16, v68
	v_mov_b32_e32 v69, 0x7fc0
	v_cmp_o_f32_e32 vcc, v70, v70
	s_nop 1
	v_cndmask_b32_e32 v68, v69, v68, vcc
	v_lshlrev_b32_e32 v71, 16, v68
	v_max_f32_e32 v70, v71, v71
	v_min_f32_e32 v80, v70, v131
	v_cmp_u_f32_e32 vcc, v71, v71
	v_max_f32_e32 v70, v70, v131
	s_nop 0
	v_cndmask_b32_e32 v80, v80, v71, vcc
	v_cndmask_b32_e32 v70, v70, v71, vcc
	v_cndmask_b32_e64 v80, v80, v117, s[44:45]
	v_cndmask_b32_e64 v70, v70, v117, s[44:45]
	v_cmp_neq_f32_e32 vcc, v80, v70
	v_cmp_class_f32_e64 s[6:7], v80, s8
	s_or_b64 s[10:11], vcc, s[6:7]
	s_and_saveexec_b64 s[6:7], s[10:11]
	s_cbranch_execz .LBB479_260
; %bb.259:
	v_sub_f32_e32 v71, v80, v70
	s_mov_b32 s8, 0x3fb8aa3b
	v_mul_f32_e32 v80, 0x3fb8aa3b, v71
	v_fma_f32 v81, v71, s8, -v80
	v_rndne_f32_e32 v82, v80
	v_fmamk_f32 v81, v71, 0x32a5705f, v81
	v_sub_f32_e32 v80, v80, v82
	v_add_f32_e32 v80, v80, v81
	v_exp_f32_e32 v80, v80
	v_cvt_i32_f32_e32 v81, v82
	s_mov_b32 s8, 0xc2ce8ed0
	v_cmp_ngt_f32_e32 vcc, s8, v71
	s_mov_b32 s8, 0x42b17218
	v_ldexp_f32 v80, v80, v81
	v_cndmask_b32_e32 v80, 0, v80, vcc
	v_mov_b32_e32 v81, 0x7f800000
	v_cmp_nlt_f32_e32 vcc, s8, v71
	s_mov_b32 s8, 0x3f2aaaab
	s_mov_b32 s10, 0x7f800000
	v_cndmask_b32_e32 v112, v81, v80, vcc
	v_add_f32_e32 v71, 1.0, v112
	v_add_f32_e32 v80, -1.0, v71
	v_sub_f32_e32 v81, v80, v71
	v_add_f32_e32 v81, 1.0, v81
	v_sub_f32_e32 v80, v112, v80
	v_add_f32_e32 v82, v80, v81
	v_frexp_mant_f32_e32 v83, v71
	v_cvt_f64_f32_e32 v[80:81], v71
	v_frexp_exp_i32_f64_e32 v80, v[80:81]
	v_cmp_gt_f32_e32 vcc, s8, v83
	s_mov_b32 s8, 0x3f317218
	s_nop 0
	v_subbrev_co_u32_e32 v96, vcc, 0, v80, vcc
	v_sub_u32_e32 v80, 0, v96
	v_ldexp_f32 v71, v71, v80
	v_ldexp_f32 v80, v82, v80
	v_add_f32_e32 v82, -1.0, v71
	v_add_f32_e32 v81, 1.0, v82
	v_sub_f32_e32 v81, v71, v81
	v_add_f32_e32 v83, v80, v81
	v_add_f32_e32 v81, 1.0, v71
	v_add_f32_e32 v84, -1.0, v81
	v_sub_f32_e32 v71, v71, v84
	v_add_f32_e32 v71, v80, v71
	v_add_f32_e32 v97, v81, v71
	v_rcp_f32_e32 v98, v97
	v_sub_f32_e32 v80, v81, v97
	v_add_f32_e32 v81, v82, v83
	v_add_f32_e32 v71, v71, v80
	v_mul_f32_e32 v100, v81, v98
	v_sub_f32_e32 v80, v82, v81
	v_mul_f32_e32 v82, v97, v100
	v_fma_f32 v84, v100, v97, -v82
	v_fmac_f32_e32 v84, v100, v71
	v_add_f32_e32 v99, v83, v80
	v_add_f32_e32 v80, v82, v84
	v_sub_f32_e32 v83, v81, v80
	v_pk_add_f32 v[86:87], v[80:81], v[82:83] neg_lo:[0,1] neg_hi:[0,1]
	v_mov_b32_e32 v85, v80
	v_pk_add_f32 v[80:81], v[86:87], v[84:85] neg_lo:[0,1] neg_hi:[0,1]
	v_cmp_eq_f32_e32 vcc, s10, v112
	v_add_f32_e32 v81, v99, v81
	v_add_f32_e32 v80, v80, v81
	;; [unrolled: 1-line block ×3, first 2 shown]
	v_mul_f32_e32 v99, v98, v81
	v_mul_f32_e32 v82, v97, v99
	v_fma_f32 v84, v99, v97, -v82
	v_fmac_f32_e32 v84, v99, v71
	v_sub_f32_e32 v71, v83, v81
	v_add_f32_e32 v71, v80, v71
	v_add_f32_e32 v80, v82, v84
	v_sub_f32_e32 v83, v81, v80
	v_pk_add_f32 v[86:87], v[80:81], v[82:83] neg_lo:[0,1] neg_hi:[0,1]
	v_mov_b32_e32 v85, v80
	v_pk_add_f32 v[80:81], v[86:87], v[84:85] neg_lo:[0,1] neg_hi:[0,1]
	v_cvt_f32_i32_e32 v82, v96
	v_add_f32_e32 v71, v71, v81
	v_add_f32_e32 v71, v80, v71
	;; [unrolled: 1-line block ×4, first 2 shown]
	v_sub_f32_e32 v81, v80, v100
	v_mul_f32_e32 v71, v98, v71
	v_sub_f32_e32 v81, v99, v81
	v_add_f32_e32 v71, v81, v71
	v_add_f32_e32 v83, v80, v71
	v_mul_f32_e32 v84, v83, v83
	v_mov_b32_e32 v81, 0x3ecc95a3
	v_fmac_f32_e32 v81, 0x3e9b6dac, v84
	v_sub_f32_e32 v80, v83, v80
	v_fmaak_f32 v81, v84, v81, 0x3f2aaada
	v_sub_f32_e32 v71, v71, v80
	v_ldexp_f32 v85, v83, 1
	v_mul_f32_e32 v83, v83, v84
	v_mov_b32_e32 v80, 0x3f317218
	v_pk_mul_f32 v[80:81], v[82:83], v[80:81]
	v_ldexp_f32 v71, v71, 1
	v_fma_f32 v83, v82, s8, -v80
	v_fmamk_f32 v84, v82, 0xb102e308, v83
	v_pk_add_f32 v[82:83], v[80:81], v[84:85]
	v_mov_b32_e32 v86, v80
	v_sub_f32_e32 v85, v83, v85
	v_sub_f32_e32 v85, v81, v85
	v_add_f32_e32 v87, v71, v85
	v_pk_add_f32 v[80:81], v[82:83], v[80:81] neg_lo:[0,1] neg_hi:[0,1]
	v_pk_add_f32 v[96:97], v[82:83], v[86:87]
	v_mov_b32_e32 v85, v82
	v_mov_b32_e32 v81, v97
	v_pk_add_f32 v[98:99], v[84:85], v[80:81] neg_lo:[0,1] neg_hi:[0,1]
	v_pk_add_f32 v[80:81], v[84:85], v[80:81]
	v_mov_b32_e32 v86, v87
	v_mov_b32_e32 v84, v81
	v_pk_add_f32 v[100:101], v[84:85], v[82:83] neg_lo:[0,1] neg_hi:[0,1]
	v_mov_b32_e32 v80, v97
	v_mov_b32_e32 v71, v100
	v_pk_add_f32 v[102:103], v[96:97], v[70:71] neg_lo:[0,1] neg_hi:[0,1]
	v_mov_b32_e32 v96, v83
	v_mov_b32_e32 v97, v100
	;; [unrolled: 1-line block ×3, first 2 shown]
	v_pk_add_f32 v[80:81], v[80:81], v[96:97] neg_lo:[0,1] neg_hi:[0,1]
	v_mov_b32_e32 v87, v82
	v_pk_add_f32 v[80:81], v[86:87], v[80:81] neg_lo:[0,1] neg_hi:[0,1]
	v_mov_b32_e32 v102, v98
	v_pk_add_f32 v[82:83], v[102:103], v[80:81]
	s_mov_b32 s8, 0x33800000
	v_mov_b32_e32 v86, v83
	v_pk_add_f32 v[86:87], v[82:83], v[86:87]
	v_cmp_lt_f32_e64 s[10:11], |v112|, s8
	v_pk_add_f32 v[84:85], v[84:85], v[86:87]
	v_mov_b32_e32 v81, v86
	v_mov_b32_e32 v83, v84
	v_pk_add_f32 v[96:97], v[82:83], v[98:99] neg_lo:[0,1] neg_hi:[0,1]
	s_or_b64 vcc, vcc, s[10:11]
	v_sub_f32_e32 v71, v82, v96
	v_pk_add_f32 v[80:81], v[80:81], v[96:97] neg_lo:[0,1] neg_hi:[0,1]
	v_sub_f32_e32 v71, v98, v71
	v_add_f32_e32 v71, v80, v71
	v_add_f32_e32 v71, v71, v81
	;; [unrolled: 1-line block ×3, first 2 shown]
	v_cndmask_b32_e32 v71, v71, v112, vcc
	v_add_f32_e32 v71, v70, v71
.LBB479_260:
	s_or_b64 exec, exec, s[6:7]
	v_bfe_u32 v70, v71, 16, 1
	v_add3_u32 v70, v71, v70, s9
	v_lshrrev_b32_e32 v70, 16, v70
	v_cmp_o_f32_e32 vcc, v71, v71
	s_movk_i32 s8, 0x1f8
	s_nop 0
	v_cndmask_b32_e32 v69, v69, v70, vcc
	v_lshlrev_b32_e32 v80, 16, v69
	v_max_f32_e32 v70, v80, v80
	v_min_f32_e32 v71, v70, v134
	v_cmp_u_f32_e32 vcc, v80, v80
	v_max_f32_e32 v70, v70, v134
	s_nop 0
	v_cndmask_b32_e32 v71, v71, v80, vcc
	v_cndmask_b32_e32 v70, v70, v80, vcc
	v_cndmask_b32_e64 v71, v71, v128, s[46:47]
	v_cndmask_b32_e64 v70, v70, v128, s[46:47]
	v_cmp_neq_f32_e32 vcc, v71, v70
	v_cmp_class_f32_e64 s[6:7], v71, s8
	s_or_b64 s[10:11], vcc, s[6:7]
	s_and_saveexec_b64 s[6:7], s[10:11]
	s_cbranch_execz .LBB479_262
; %bb.261:
	v_sub_f32_e32 v71, v71, v70
	s_mov_b32 s9, 0x3fb8aa3b
	v_mul_f32_e32 v80, 0x3fb8aa3b, v71
	v_fma_f32 v81, v71, s9, -v80
	v_rndne_f32_e32 v82, v80
	v_fmamk_f32 v81, v71, 0x32a5705f, v81
	v_sub_f32_e32 v80, v80, v82
	v_add_f32_e32 v80, v80, v81
	v_exp_f32_e32 v80, v80
	v_cvt_i32_f32_e32 v81, v82
	s_mov_b32 s9, 0xc2ce8ed0
	v_cmp_ngt_f32_e32 vcc, s9, v71
	s_mov_b32 s9, 0x42b17218
	v_ldexp_f32 v80, v80, v81
	v_cndmask_b32_e32 v80, 0, v80, vcc
	v_mov_b32_e32 v81, 0x7f800000
	v_cmp_nlt_f32_e32 vcc, s9, v71
	s_mov_b32 s9, 0x3f2aaaab
	s_mov_b32 s10, 0x7f800000
	v_cndmask_b32_e32 v112, v81, v80, vcc
	v_add_f32_e32 v71, 1.0, v112
	v_add_f32_e32 v80, -1.0, v71
	v_sub_f32_e32 v81, v80, v71
	v_add_f32_e32 v81, 1.0, v81
	v_sub_f32_e32 v80, v112, v80
	v_add_f32_e32 v82, v80, v81
	v_frexp_mant_f32_e32 v83, v71
	v_cvt_f64_f32_e32 v[80:81], v71
	v_frexp_exp_i32_f64_e32 v80, v[80:81]
	v_cmp_gt_f32_e32 vcc, s9, v83
	s_mov_b32 s9, 0x3f317218
	s_nop 0
	v_subbrev_co_u32_e32 v96, vcc, 0, v80, vcc
	v_sub_u32_e32 v80, 0, v96
	v_ldexp_f32 v71, v71, v80
	v_ldexp_f32 v80, v82, v80
	v_add_f32_e32 v82, -1.0, v71
	v_add_f32_e32 v81, 1.0, v82
	v_sub_f32_e32 v81, v71, v81
	v_add_f32_e32 v83, v80, v81
	v_add_f32_e32 v81, 1.0, v71
	v_add_f32_e32 v84, -1.0, v81
	v_sub_f32_e32 v71, v71, v84
	v_add_f32_e32 v71, v80, v71
	v_add_f32_e32 v97, v81, v71
	v_rcp_f32_e32 v98, v97
	v_sub_f32_e32 v80, v81, v97
	v_add_f32_e32 v81, v82, v83
	v_add_f32_e32 v71, v71, v80
	v_mul_f32_e32 v100, v81, v98
	v_sub_f32_e32 v80, v82, v81
	v_mul_f32_e32 v82, v97, v100
	v_fma_f32 v84, v100, v97, -v82
	v_fmac_f32_e32 v84, v100, v71
	v_add_f32_e32 v99, v83, v80
	v_add_f32_e32 v80, v82, v84
	v_sub_f32_e32 v83, v81, v80
	v_pk_add_f32 v[86:87], v[80:81], v[82:83] neg_lo:[0,1] neg_hi:[0,1]
	v_mov_b32_e32 v85, v80
	v_pk_add_f32 v[80:81], v[86:87], v[84:85] neg_lo:[0,1] neg_hi:[0,1]
	v_cmp_eq_f32_e32 vcc, s10, v112
	v_add_f32_e32 v81, v99, v81
	v_add_f32_e32 v80, v80, v81
	;; [unrolled: 1-line block ×3, first 2 shown]
	v_mul_f32_e32 v99, v98, v81
	v_mul_f32_e32 v82, v97, v99
	v_fma_f32 v84, v99, v97, -v82
	v_fmac_f32_e32 v84, v99, v71
	v_sub_f32_e32 v71, v83, v81
	v_add_f32_e32 v71, v80, v71
	v_add_f32_e32 v80, v82, v84
	v_sub_f32_e32 v83, v81, v80
	v_pk_add_f32 v[86:87], v[80:81], v[82:83] neg_lo:[0,1] neg_hi:[0,1]
	v_mov_b32_e32 v85, v80
	v_pk_add_f32 v[80:81], v[86:87], v[84:85] neg_lo:[0,1] neg_hi:[0,1]
	v_cvt_f32_i32_e32 v82, v96
	v_add_f32_e32 v71, v71, v81
	v_add_f32_e32 v71, v80, v71
	;; [unrolled: 1-line block ×4, first 2 shown]
	v_sub_f32_e32 v81, v80, v100
	v_mul_f32_e32 v71, v98, v71
	v_sub_f32_e32 v81, v99, v81
	v_add_f32_e32 v71, v81, v71
	v_add_f32_e32 v83, v80, v71
	v_mul_f32_e32 v84, v83, v83
	v_mov_b32_e32 v81, 0x3ecc95a3
	v_fmac_f32_e32 v81, 0x3e9b6dac, v84
	v_sub_f32_e32 v80, v83, v80
	v_fmaak_f32 v81, v84, v81, 0x3f2aaada
	v_sub_f32_e32 v71, v71, v80
	v_ldexp_f32 v85, v83, 1
	v_mul_f32_e32 v83, v83, v84
	v_mov_b32_e32 v80, 0x3f317218
	v_pk_mul_f32 v[80:81], v[82:83], v[80:81]
	v_ldexp_f32 v71, v71, 1
	v_fma_f32 v83, v82, s9, -v80
	v_fmamk_f32 v84, v82, 0xb102e308, v83
	v_pk_add_f32 v[82:83], v[80:81], v[84:85]
	v_mov_b32_e32 v86, v80
	v_sub_f32_e32 v85, v83, v85
	v_sub_f32_e32 v85, v81, v85
	v_add_f32_e32 v87, v71, v85
	v_pk_add_f32 v[80:81], v[82:83], v[80:81] neg_lo:[0,1] neg_hi:[0,1]
	v_pk_add_f32 v[96:97], v[82:83], v[86:87]
	v_mov_b32_e32 v85, v82
	v_mov_b32_e32 v81, v97
	v_pk_add_f32 v[98:99], v[84:85], v[80:81] neg_lo:[0,1] neg_hi:[0,1]
	v_pk_add_f32 v[80:81], v[84:85], v[80:81]
	v_mov_b32_e32 v86, v87
	v_mov_b32_e32 v84, v81
	v_pk_add_f32 v[100:101], v[84:85], v[82:83] neg_lo:[0,1] neg_hi:[0,1]
	v_mov_b32_e32 v80, v97
	v_mov_b32_e32 v71, v100
	v_pk_add_f32 v[102:103], v[96:97], v[70:71] neg_lo:[0,1] neg_hi:[0,1]
	v_mov_b32_e32 v96, v83
	v_mov_b32_e32 v97, v100
	;; [unrolled: 1-line block ×3, first 2 shown]
	v_pk_add_f32 v[80:81], v[80:81], v[96:97] neg_lo:[0,1] neg_hi:[0,1]
	v_mov_b32_e32 v87, v82
	v_pk_add_f32 v[80:81], v[86:87], v[80:81] neg_lo:[0,1] neg_hi:[0,1]
	v_mov_b32_e32 v102, v98
	v_pk_add_f32 v[82:83], v[102:103], v[80:81]
	s_mov_b32 s9, 0x33800000
	v_mov_b32_e32 v86, v83
	v_pk_add_f32 v[86:87], v[82:83], v[86:87]
	v_cmp_lt_f32_e64 s[10:11], |v112|, s9
	v_pk_add_f32 v[84:85], v[84:85], v[86:87]
	v_mov_b32_e32 v81, v86
	v_mov_b32_e32 v83, v84
	v_pk_add_f32 v[96:97], v[82:83], v[98:99] neg_lo:[0,1] neg_hi:[0,1]
	s_or_b64 vcc, vcc, s[10:11]
	v_sub_f32_e32 v71, v82, v96
	v_pk_add_f32 v[80:81], v[80:81], v[96:97] neg_lo:[0,1] neg_hi:[0,1]
	v_sub_f32_e32 v71, v98, v71
	v_add_f32_e32 v71, v80, v71
	v_add_f32_e32 v71, v71, v81
	;; [unrolled: 1-line block ×3, first 2 shown]
	v_cndmask_b32_e32 v71, v71, v112, vcc
	v_add_f32_e32 v80, v70, v71
.LBB479_262:
	s_or_b64 exec, exec, s[6:7]
	v_bfe_u32 v70, v80, 16, 1
	s_movk_i32 s9, 0x7fff
	v_add3_u32 v70, v80, v70, s9
	v_lshrrev_b32_e32 v70, 16, v70
	v_mov_b32_e32 v71, 0x7fc0
	v_cmp_o_f32_e32 vcc, v80, v80
	s_nop 1
	v_cndmask_b32_e32 v70, v71, v70, vcc
	v_lshlrev_b32_e32 v81, 16, v70
	v_max_f32_e32 v80, v81, v81
	v_min_f32_e32 v82, v80, v135
	v_cmp_u_f32_e32 vcc, v81, v81
	v_max_f32_e32 v80, v80, v135
	s_nop 0
	v_cndmask_b32_e32 v82, v82, v81, vcc
	v_cndmask_b32_e32 v80, v80, v81, vcc
	v_cndmask_b32_e64 v82, v82, v129, s[48:49]
	v_cndmask_b32_e64 v80, v80, v129, s[48:49]
	v_cmp_neq_f32_e32 vcc, v82, v80
	v_cmp_class_f32_e64 s[6:7], v82, s8
	s_or_b64 s[10:11], vcc, s[6:7]
	s_and_saveexec_b64 s[6:7], s[10:11]
	s_cbranch_execz .LBB479_264
; %bb.263:
	v_sub_f32_e32 v81, v82, v80
	s_mov_b32 s8, 0x3fb8aa3b
	v_mul_f32_e32 v82, 0x3fb8aa3b, v81
	v_fma_f32 v83, v81, s8, -v82
	v_rndne_f32_e32 v84, v82
	v_fmamk_f32 v83, v81, 0x32a5705f, v83
	v_sub_f32_e32 v82, v82, v84
	v_add_f32_e32 v82, v82, v83
	v_exp_f32_e32 v82, v82
	v_cvt_i32_f32_e32 v83, v84
	s_mov_b32 s8, 0xc2ce8ed0
	v_cmp_ngt_f32_e32 vcc, s8, v81
	s_mov_b32 s8, 0x42b17218
	v_ldexp_f32 v82, v82, v83
	v_cndmask_b32_e32 v82, 0, v82, vcc
	v_mov_b32_e32 v83, 0x7f800000
	v_cmp_nlt_f32_e32 vcc, s8, v81
	s_mov_b32 s8, 0x3f2aaaab
	s_mov_b32 s10, 0x7f800000
	v_cndmask_b32_e32 v114, v83, v82, vcc
	v_add_f32_e32 v81, 1.0, v114
	v_add_f32_e32 v82, -1.0, v81
	v_sub_f32_e32 v83, v82, v81
	v_add_f32_e32 v83, 1.0, v83
	v_sub_f32_e32 v82, v114, v82
	v_add_f32_e32 v84, v82, v83
	v_frexp_mant_f32_e32 v85, v81
	v_cvt_f64_f32_e32 v[82:83], v81
	v_frexp_exp_i32_f64_e32 v82, v[82:83]
	v_cmp_gt_f32_e32 vcc, s8, v85
	s_mov_b32 s8, 0x3f317218
	s_nop 0
	v_subbrev_co_u32_e32 v98, vcc, 0, v82, vcc
	v_sub_u32_e32 v82, 0, v98
	v_ldexp_f32 v81, v81, v82
	v_ldexp_f32 v82, v84, v82
	v_add_f32_e32 v84, -1.0, v81
	v_add_f32_e32 v83, 1.0, v84
	v_sub_f32_e32 v83, v81, v83
	v_add_f32_e32 v85, v82, v83
	v_add_f32_e32 v83, 1.0, v81
	v_add_f32_e32 v86, -1.0, v83
	v_sub_f32_e32 v81, v81, v86
	v_add_f32_e32 v81, v82, v81
	v_add_f32_e32 v99, v83, v81
	v_rcp_f32_e32 v100, v99
	v_sub_f32_e32 v82, v83, v99
	v_add_f32_e32 v83, v84, v85
	v_add_f32_e32 v81, v81, v82
	v_mul_f32_e32 v102, v83, v100
	v_sub_f32_e32 v82, v84, v83
	v_mul_f32_e32 v84, v99, v102
	v_fma_f32 v86, v102, v99, -v84
	v_fmac_f32_e32 v86, v102, v81
	v_add_f32_e32 v101, v85, v82
	v_add_f32_e32 v82, v84, v86
	v_sub_f32_e32 v85, v83, v82
	v_pk_add_f32 v[96:97], v[82:83], v[84:85] neg_lo:[0,1] neg_hi:[0,1]
	v_mov_b32_e32 v87, v82
	v_pk_add_f32 v[82:83], v[96:97], v[86:87] neg_lo:[0,1] neg_hi:[0,1]
	v_cmp_eq_f32_e32 vcc, s10, v114
	v_add_f32_e32 v83, v101, v83
	v_add_f32_e32 v82, v82, v83
	;; [unrolled: 1-line block ×3, first 2 shown]
	v_mul_f32_e32 v101, v100, v83
	v_mul_f32_e32 v84, v99, v101
	v_fma_f32 v86, v101, v99, -v84
	v_fmac_f32_e32 v86, v101, v81
	v_sub_f32_e32 v81, v85, v83
	v_add_f32_e32 v81, v82, v81
	v_add_f32_e32 v82, v84, v86
	v_sub_f32_e32 v85, v83, v82
	v_pk_add_f32 v[96:97], v[82:83], v[84:85] neg_lo:[0,1] neg_hi:[0,1]
	v_mov_b32_e32 v87, v82
	v_pk_add_f32 v[82:83], v[96:97], v[86:87] neg_lo:[0,1] neg_hi:[0,1]
	v_cvt_f32_i32_e32 v84, v98
	v_add_f32_e32 v81, v81, v83
	v_add_f32_e32 v81, v82, v81
	;; [unrolled: 1-line block ×4, first 2 shown]
	v_sub_f32_e32 v83, v82, v102
	v_mul_f32_e32 v81, v100, v81
	v_sub_f32_e32 v83, v101, v83
	v_add_f32_e32 v81, v83, v81
	v_add_f32_e32 v85, v82, v81
	v_mul_f32_e32 v86, v85, v85
	v_mov_b32_e32 v83, 0x3ecc95a3
	v_fmac_f32_e32 v83, 0x3e9b6dac, v86
	v_sub_f32_e32 v82, v85, v82
	v_fmaak_f32 v83, v86, v83, 0x3f2aaada
	v_sub_f32_e32 v81, v81, v82
	v_ldexp_f32 v87, v85, 1
	v_mul_f32_e32 v85, v85, v86
	v_mov_b32_e32 v82, 0x3f317218
	v_pk_mul_f32 v[82:83], v[84:85], v[82:83]
	v_ldexp_f32 v81, v81, 1
	v_fma_f32 v85, v84, s8, -v82
	v_fmamk_f32 v86, v84, 0xb102e308, v85
	v_pk_add_f32 v[84:85], v[82:83], v[86:87]
	v_mov_b32_e32 v96, v82
	v_sub_f32_e32 v87, v85, v87
	v_sub_f32_e32 v87, v83, v87
	v_add_f32_e32 v97, v81, v87
	v_pk_add_f32 v[82:83], v[84:85], v[82:83] neg_lo:[0,1] neg_hi:[0,1]
	v_pk_add_f32 v[98:99], v[84:85], v[96:97]
	v_mov_b32_e32 v87, v84
	v_mov_b32_e32 v83, v99
	v_pk_add_f32 v[100:101], v[86:87], v[82:83] neg_lo:[0,1] neg_hi:[0,1]
	v_pk_add_f32 v[82:83], v[86:87], v[82:83]
	v_mov_b32_e32 v96, v97
	v_mov_b32_e32 v86, v83
	v_pk_add_f32 v[102:103], v[86:87], v[84:85] neg_lo:[0,1] neg_hi:[0,1]
	v_mov_b32_e32 v82, v99
	v_mov_b32_e32 v81, v102
	v_pk_add_f32 v[112:113], v[98:99], v[80:81] neg_lo:[0,1] neg_hi:[0,1]
	v_mov_b32_e32 v98, v85
	v_mov_b32_e32 v99, v102
	;; [unrolled: 1-line block ×3, first 2 shown]
	v_pk_add_f32 v[82:83], v[82:83], v[98:99] neg_lo:[0,1] neg_hi:[0,1]
	v_mov_b32_e32 v97, v84
	v_pk_add_f32 v[82:83], v[96:97], v[82:83] neg_lo:[0,1] neg_hi:[0,1]
	v_mov_b32_e32 v112, v100
	v_pk_add_f32 v[84:85], v[112:113], v[82:83]
	s_mov_b32 s8, 0x33800000
	v_mov_b32_e32 v96, v85
	v_pk_add_f32 v[96:97], v[84:85], v[96:97]
	v_cmp_lt_f32_e64 s[10:11], |v114|, s8
	v_pk_add_f32 v[86:87], v[86:87], v[96:97]
	v_mov_b32_e32 v83, v96
	v_mov_b32_e32 v85, v86
	v_pk_add_f32 v[98:99], v[84:85], v[100:101] neg_lo:[0,1] neg_hi:[0,1]
	s_or_b64 vcc, vcc, s[10:11]
	v_sub_f32_e32 v81, v84, v98
	v_pk_add_f32 v[82:83], v[82:83], v[98:99] neg_lo:[0,1] neg_hi:[0,1]
	v_sub_f32_e32 v81, v100, v81
	v_add_f32_e32 v81, v82, v81
	v_add_f32_e32 v81, v81, v83
	;; [unrolled: 1-line block ×3, first 2 shown]
	v_cndmask_b32_e32 v81, v81, v114, vcc
	v_add_f32_e32 v81, v80, v81
.LBB479_264:
	s_or_b64 exec, exec, s[6:7]
	v_bfe_u32 v80, v81, 16, 1
	v_add3_u32 v80, v81, v80, s9
	v_lshrrev_b32_e32 v80, 16, v80
	v_cmp_o_f32_e32 vcc, v81, v81
	s_movk_i32 s8, 0x1f8
	s_nop 0
	v_cndmask_b32_e32 v71, v71, v80, vcc
	v_lshlrev_b32_e32 v82, 16, v71
	v_max_f32_e32 v80, v82, v82
	v_min_f32_e32 v81, v80, v144
	v_cmp_u_f32_e32 vcc, v82, v82
	v_max_f32_e32 v80, v80, v144
	s_nop 0
	v_cndmask_b32_e32 v81, v81, v82, vcc
	v_cndmask_b32_e32 v80, v80, v82, vcc
	v_cndmask_b32_e64 v81, v81, v132, s[50:51]
	v_cndmask_b32_e64 v80, v80, v132, s[50:51]
	v_cmp_neq_f32_e32 vcc, v81, v80
	v_cmp_class_f32_e64 s[6:7], v81, s8
	s_or_b64 s[10:11], vcc, s[6:7]
	s_and_saveexec_b64 s[6:7], s[10:11]
	s_cbranch_execz .LBB479_266
; %bb.265:
	v_sub_f32_e32 v81, v81, v80
	s_mov_b32 s9, 0x3fb8aa3b
	v_mul_f32_e32 v82, 0x3fb8aa3b, v81
	v_fma_f32 v83, v81, s9, -v82
	v_rndne_f32_e32 v84, v82
	v_fmamk_f32 v83, v81, 0x32a5705f, v83
	v_sub_f32_e32 v82, v82, v84
	v_add_f32_e32 v82, v82, v83
	v_exp_f32_e32 v82, v82
	v_cvt_i32_f32_e32 v83, v84
	s_mov_b32 s9, 0xc2ce8ed0
	v_cmp_ngt_f32_e32 vcc, s9, v81
	s_mov_b32 s9, 0x42b17218
	v_ldexp_f32 v82, v82, v83
	v_cndmask_b32_e32 v82, 0, v82, vcc
	v_mov_b32_e32 v83, 0x7f800000
	v_cmp_nlt_f32_e32 vcc, s9, v81
	s_mov_b32 s9, 0x3f2aaaab
	s_mov_b32 s10, 0x7f800000
	v_cndmask_b32_e32 v114, v83, v82, vcc
	v_add_f32_e32 v81, 1.0, v114
	v_add_f32_e32 v82, -1.0, v81
	v_sub_f32_e32 v83, v82, v81
	v_add_f32_e32 v83, 1.0, v83
	v_sub_f32_e32 v82, v114, v82
	v_add_f32_e32 v84, v82, v83
	v_frexp_mant_f32_e32 v85, v81
	v_cvt_f64_f32_e32 v[82:83], v81
	v_frexp_exp_i32_f64_e32 v82, v[82:83]
	v_cmp_gt_f32_e32 vcc, s9, v85
	s_mov_b32 s9, 0x3f317218
	s_nop 0
	v_subbrev_co_u32_e32 v98, vcc, 0, v82, vcc
	v_sub_u32_e32 v82, 0, v98
	v_ldexp_f32 v81, v81, v82
	v_ldexp_f32 v82, v84, v82
	v_add_f32_e32 v84, -1.0, v81
	v_add_f32_e32 v83, 1.0, v84
	v_sub_f32_e32 v83, v81, v83
	v_add_f32_e32 v85, v82, v83
	v_add_f32_e32 v83, 1.0, v81
	v_add_f32_e32 v86, -1.0, v83
	v_sub_f32_e32 v81, v81, v86
	v_add_f32_e32 v81, v82, v81
	v_add_f32_e32 v99, v83, v81
	v_rcp_f32_e32 v100, v99
	v_sub_f32_e32 v82, v83, v99
	v_add_f32_e32 v83, v84, v85
	v_add_f32_e32 v81, v81, v82
	v_mul_f32_e32 v102, v83, v100
	v_sub_f32_e32 v82, v84, v83
	v_mul_f32_e32 v84, v99, v102
	v_fma_f32 v86, v102, v99, -v84
	v_fmac_f32_e32 v86, v102, v81
	v_add_f32_e32 v101, v85, v82
	v_add_f32_e32 v82, v84, v86
	v_sub_f32_e32 v85, v83, v82
	v_pk_add_f32 v[96:97], v[82:83], v[84:85] neg_lo:[0,1] neg_hi:[0,1]
	v_mov_b32_e32 v87, v82
	v_pk_add_f32 v[82:83], v[96:97], v[86:87] neg_lo:[0,1] neg_hi:[0,1]
	v_cmp_eq_f32_e32 vcc, s10, v114
	v_add_f32_e32 v83, v101, v83
	v_add_f32_e32 v82, v82, v83
	;; [unrolled: 1-line block ×3, first 2 shown]
	v_mul_f32_e32 v101, v100, v83
	v_mul_f32_e32 v84, v99, v101
	v_fma_f32 v86, v101, v99, -v84
	v_fmac_f32_e32 v86, v101, v81
	v_sub_f32_e32 v81, v85, v83
	v_add_f32_e32 v81, v82, v81
	v_add_f32_e32 v82, v84, v86
	v_sub_f32_e32 v85, v83, v82
	v_pk_add_f32 v[96:97], v[82:83], v[84:85] neg_lo:[0,1] neg_hi:[0,1]
	v_mov_b32_e32 v87, v82
	v_pk_add_f32 v[82:83], v[96:97], v[86:87] neg_lo:[0,1] neg_hi:[0,1]
	v_cvt_f32_i32_e32 v84, v98
	v_add_f32_e32 v81, v81, v83
	v_add_f32_e32 v81, v82, v81
	;; [unrolled: 1-line block ×4, first 2 shown]
	v_sub_f32_e32 v83, v82, v102
	v_mul_f32_e32 v81, v100, v81
	v_sub_f32_e32 v83, v101, v83
	v_add_f32_e32 v81, v83, v81
	v_add_f32_e32 v85, v82, v81
	v_mul_f32_e32 v86, v85, v85
	v_mov_b32_e32 v83, 0x3ecc95a3
	v_fmac_f32_e32 v83, 0x3e9b6dac, v86
	v_sub_f32_e32 v82, v85, v82
	v_fmaak_f32 v83, v86, v83, 0x3f2aaada
	v_sub_f32_e32 v81, v81, v82
	v_ldexp_f32 v87, v85, 1
	v_mul_f32_e32 v85, v85, v86
	v_mov_b32_e32 v82, 0x3f317218
	v_pk_mul_f32 v[82:83], v[84:85], v[82:83]
	v_ldexp_f32 v81, v81, 1
	v_fma_f32 v85, v84, s9, -v82
	v_fmamk_f32 v86, v84, 0xb102e308, v85
	v_pk_add_f32 v[84:85], v[82:83], v[86:87]
	v_mov_b32_e32 v96, v82
	v_sub_f32_e32 v87, v85, v87
	v_sub_f32_e32 v87, v83, v87
	v_add_f32_e32 v97, v81, v87
	v_pk_add_f32 v[82:83], v[84:85], v[82:83] neg_lo:[0,1] neg_hi:[0,1]
	v_pk_add_f32 v[98:99], v[84:85], v[96:97]
	v_mov_b32_e32 v87, v84
	v_mov_b32_e32 v83, v99
	v_pk_add_f32 v[100:101], v[86:87], v[82:83] neg_lo:[0,1] neg_hi:[0,1]
	v_pk_add_f32 v[82:83], v[86:87], v[82:83]
	v_mov_b32_e32 v96, v97
	v_mov_b32_e32 v86, v83
	v_pk_add_f32 v[102:103], v[86:87], v[84:85] neg_lo:[0,1] neg_hi:[0,1]
	v_mov_b32_e32 v82, v99
	v_mov_b32_e32 v81, v102
	v_pk_add_f32 v[112:113], v[98:99], v[80:81] neg_lo:[0,1] neg_hi:[0,1]
	v_mov_b32_e32 v98, v85
	v_mov_b32_e32 v99, v102
	v_mov_b32_e32 v101, v83
	v_pk_add_f32 v[82:83], v[82:83], v[98:99] neg_lo:[0,1] neg_hi:[0,1]
	v_mov_b32_e32 v97, v84
	v_pk_add_f32 v[82:83], v[96:97], v[82:83] neg_lo:[0,1] neg_hi:[0,1]
	v_mov_b32_e32 v112, v100
	v_pk_add_f32 v[84:85], v[112:113], v[82:83]
	s_mov_b32 s9, 0x33800000
	v_mov_b32_e32 v96, v85
	v_pk_add_f32 v[96:97], v[84:85], v[96:97]
	v_cmp_lt_f32_e64 s[10:11], |v114|, s9
	v_pk_add_f32 v[86:87], v[86:87], v[96:97]
	v_mov_b32_e32 v83, v96
	v_mov_b32_e32 v85, v86
	v_pk_add_f32 v[98:99], v[84:85], v[100:101] neg_lo:[0,1] neg_hi:[0,1]
	s_or_b64 vcc, vcc, s[10:11]
	v_sub_f32_e32 v81, v84, v98
	v_pk_add_f32 v[82:83], v[82:83], v[98:99] neg_lo:[0,1] neg_hi:[0,1]
	v_sub_f32_e32 v81, v100, v81
	v_add_f32_e32 v81, v82, v81
	v_add_f32_e32 v81, v81, v83
	;; [unrolled: 1-line block ×3, first 2 shown]
	v_cndmask_b32_e32 v81, v81, v114, vcc
	v_add_f32_e32 v82, v80, v81
.LBB479_266:
	s_or_b64 exec, exec, s[6:7]
	v_bfe_u32 v80, v82, 16, 1
	s_movk_i32 s9, 0x7fff
	v_add3_u32 v80, v82, v80, s9
	v_lshrrev_b32_e32 v80, 16, v80
	v_mov_b32_e32 v81, 0x7fc0
	v_cmp_o_f32_e32 vcc, v82, v82
	s_nop 1
	v_cndmask_b32_e32 v80, v81, v80, vcc
	v_lshlrev_b32_e32 v83, 16, v80
	v_max_f32_e32 v82, v83, v83
	v_min_f32_e32 v84, v82, v145
	v_cmp_u_f32_e32 vcc, v83, v83
	v_max_f32_e32 v82, v82, v145
	s_nop 0
	v_cndmask_b32_e32 v84, v84, v83, vcc
	v_cndmask_b32_e32 v82, v82, v83, vcc
	v_cndmask_b32_e64 v84, v84, v133, s[52:53]
	v_cndmask_b32_e64 v82, v82, v133, s[52:53]
	v_cmp_neq_f32_e32 vcc, v84, v82
	v_cmp_class_f32_e64 s[6:7], v84, s8
	s_or_b64 s[10:11], vcc, s[6:7]
	s_and_saveexec_b64 s[6:7], s[10:11]
	s_cbranch_execz .LBB479_268
; %bb.267:
	v_sub_f32_e32 v83, v84, v82
	s_mov_b32 s8, 0x3fb8aa3b
	v_mul_f32_e32 v84, 0x3fb8aa3b, v83
	v_fma_f32 v85, v83, s8, -v84
	v_rndne_f32_e32 v86, v84
	v_fmamk_f32 v85, v83, 0x32a5705f, v85
	v_sub_f32_e32 v84, v84, v86
	v_add_f32_e32 v84, v84, v85
	v_exp_f32_e32 v84, v84
	v_cvt_i32_f32_e32 v85, v86
	s_mov_b32 s8, 0xc2ce8ed0
	v_cmp_ngt_f32_e32 vcc, s8, v83
	s_mov_b32 s8, 0x42b17218
	v_ldexp_f32 v84, v84, v85
	v_cndmask_b32_e32 v84, 0, v84, vcc
	v_mov_b32_e32 v85, 0x7f800000
	v_cmp_nlt_f32_e32 vcc, s8, v83
	s_mov_b32 s8, 0x3f2aaaab
	s_mov_b32 s10, 0x7f800000
	v_cndmask_b32_e32 v116, v85, v84, vcc
	v_add_f32_e32 v83, 1.0, v116
	v_add_f32_e32 v84, -1.0, v83
	v_sub_f32_e32 v85, v84, v83
	v_add_f32_e32 v85, 1.0, v85
	v_sub_f32_e32 v84, v116, v84
	v_add_f32_e32 v86, v84, v85
	v_frexp_mant_f32_e32 v87, v83
	v_cvt_f64_f32_e32 v[84:85], v83
	v_frexp_exp_i32_f64_e32 v84, v[84:85]
	v_cmp_gt_f32_e32 vcc, s8, v87
	s_mov_b32 s8, 0x3f317218
	s_nop 0
	v_subbrev_co_u32_e32 v100, vcc, 0, v84, vcc
	v_sub_u32_e32 v84, 0, v100
	v_ldexp_f32 v83, v83, v84
	v_ldexp_f32 v84, v86, v84
	v_add_f32_e32 v86, -1.0, v83
	v_add_f32_e32 v85, 1.0, v86
	v_sub_f32_e32 v85, v83, v85
	v_add_f32_e32 v87, v84, v85
	v_add_f32_e32 v85, 1.0, v83
	v_add_f32_e32 v96, -1.0, v85
	v_sub_f32_e32 v83, v83, v96
	v_add_f32_e32 v83, v84, v83
	v_add_f32_e32 v101, v85, v83
	v_rcp_f32_e32 v102, v101
	v_sub_f32_e32 v84, v85, v101
	v_add_f32_e32 v85, v86, v87
	v_add_f32_e32 v83, v83, v84
	v_mul_f32_e32 v112, v85, v102
	v_sub_f32_e32 v84, v86, v85
	v_mul_f32_e32 v86, v101, v112
	v_fma_f32 v96, v112, v101, -v86
	v_fmac_f32_e32 v96, v112, v83
	v_add_f32_e32 v103, v87, v84
	v_add_f32_e32 v84, v86, v96
	v_sub_f32_e32 v87, v85, v84
	v_pk_add_f32 v[98:99], v[84:85], v[86:87] neg_lo:[0,1] neg_hi:[0,1]
	v_mov_b32_e32 v97, v84
	v_pk_add_f32 v[84:85], v[98:99], v[96:97] neg_lo:[0,1] neg_hi:[0,1]
	v_cmp_eq_f32_e32 vcc, s10, v116
	v_add_f32_e32 v85, v103, v85
	v_add_f32_e32 v84, v84, v85
	;; [unrolled: 1-line block ×3, first 2 shown]
	v_mul_f32_e32 v103, v102, v85
	v_mul_f32_e32 v86, v101, v103
	v_fma_f32 v96, v103, v101, -v86
	v_fmac_f32_e32 v96, v103, v83
	v_sub_f32_e32 v83, v87, v85
	v_add_f32_e32 v83, v84, v83
	v_add_f32_e32 v84, v86, v96
	v_sub_f32_e32 v87, v85, v84
	v_pk_add_f32 v[98:99], v[84:85], v[86:87] neg_lo:[0,1] neg_hi:[0,1]
	v_mov_b32_e32 v97, v84
	v_pk_add_f32 v[84:85], v[98:99], v[96:97] neg_lo:[0,1] neg_hi:[0,1]
	v_cvt_f32_i32_e32 v86, v100
	v_add_f32_e32 v83, v83, v85
	v_add_f32_e32 v83, v84, v83
	;; [unrolled: 1-line block ×4, first 2 shown]
	v_sub_f32_e32 v85, v84, v112
	v_mul_f32_e32 v83, v102, v83
	v_sub_f32_e32 v85, v103, v85
	v_add_f32_e32 v83, v85, v83
	v_add_f32_e32 v87, v84, v83
	v_mul_f32_e32 v96, v87, v87
	v_mov_b32_e32 v85, 0x3ecc95a3
	v_fmac_f32_e32 v85, 0x3e9b6dac, v96
	v_sub_f32_e32 v84, v87, v84
	v_fmaak_f32 v85, v96, v85, 0x3f2aaada
	v_sub_f32_e32 v83, v83, v84
	v_ldexp_f32 v97, v87, 1
	v_mul_f32_e32 v87, v87, v96
	v_mov_b32_e32 v84, 0x3f317218
	v_pk_mul_f32 v[84:85], v[86:87], v[84:85]
	v_ldexp_f32 v83, v83, 1
	v_fma_f32 v87, v86, s8, -v84
	v_fmamk_f32 v96, v86, 0xb102e308, v87
	v_pk_add_f32 v[86:87], v[84:85], v[96:97]
	v_mov_b32_e32 v98, v84
	v_sub_f32_e32 v97, v87, v97
	v_sub_f32_e32 v97, v85, v97
	v_add_f32_e32 v99, v83, v97
	v_pk_add_f32 v[84:85], v[86:87], v[84:85] neg_lo:[0,1] neg_hi:[0,1]
	v_pk_add_f32 v[100:101], v[86:87], v[98:99]
	v_mov_b32_e32 v97, v86
	v_mov_b32_e32 v85, v101
	v_pk_add_f32 v[102:103], v[96:97], v[84:85] neg_lo:[0,1] neg_hi:[0,1]
	v_pk_add_f32 v[84:85], v[96:97], v[84:85]
	v_mov_b32_e32 v98, v99
	v_mov_b32_e32 v96, v85
	v_pk_add_f32 v[112:113], v[96:97], v[86:87] neg_lo:[0,1] neg_hi:[0,1]
	v_mov_b32_e32 v84, v101
	v_mov_b32_e32 v83, v112
	v_pk_add_f32 v[114:115], v[100:101], v[82:83] neg_lo:[0,1] neg_hi:[0,1]
	v_mov_b32_e32 v100, v87
	v_mov_b32_e32 v101, v112
	;; [unrolled: 1-line block ×3, first 2 shown]
	v_pk_add_f32 v[84:85], v[84:85], v[100:101] neg_lo:[0,1] neg_hi:[0,1]
	v_mov_b32_e32 v99, v86
	v_pk_add_f32 v[84:85], v[98:99], v[84:85] neg_lo:[0,1] neg_hi:[0,1]
	v_mov_b32_e32 v114, v102
	v_pk_add_f32 v[86:87], v[114:115], v[84:85]
	s_mov_b32 s8, 0x33800000
	v_mov_b32_e32 v98, v87
	v_pk_add_f32 v[98:99], v[86:87], v[98:99]
	v_cmp_lt_f32_e64 s[10:11], |v116|, s8
	v_pk_add_f32 v[96:97], v[96:97], v[98:99]
	v_mov_b32_e32 v85, v98
	v_mov_b32_e32 v87, v96
	v_pk_add_f32 v[100:101], v[86:87], v[102:103] neg_lo:[0,1] neg_hi:[0,1]
	s_or_b64 vcc, vcc, s[10:11]
	v_sub_f32_e32 v83, v86, v100
	v_pk_add_f32 v[84:85], v[84:85], v[100:101] neg_lo:[0,1] neg_hi:[0,1]
	v_sub_f32_e32 v83, v102, v83
	v_add_f32_e32 v83, v84, v83
	v_add_f32_e32 v83, v83, v85
	;; [unrolled: 1-line block ×3, first 2 shown]
	v_cndmask_b32_e32 v83, v83, v116, vcc
	v_add_f32_e32 v83, v82, v83
.LBB479_268:
	s_or_b64 exec, exec, s[6:7]
	v_bfe_u32 v82, v83, 16, 1
	v_add3_u32 v82, v83, v82, s9
	v_lshrrev_b32_e32 v82, 16, v82
	v_cmp_o_f32_e32 vcc, v83, v83
	s_nop 1
	v_cndmask_b32_e32 v81, v81, v82, vcc
	s_branch .LBB479_413
.LBB479_269:
                                        ; implicit-def: $vgpr30
                                        ; implicit-def: $vgpr31
                                        ; implicit-def: $vgpr33
                                        ; implicit-def: $vgpr36
                                        ; implicit-def: $vgpr37
                                        ; implicit-def: $vgpr38
                                        ; implicit-def: $vgpr39
                                        ; implicit-def: $vgpr49
                                        ; implicit-def: $vgpr48
                                        ; implicit-def: $vgpr51
                                        ; implicit-def: $vgpr50
                                        ; implicit-def: $vgpr53
                                        ; implicit-def: $vgpr54
                                        ; implicit-def: $vgpr55
                                        ; implicit-def: $vgpr64
                                        ; implicit-def: $vgpr65
                                        ; implicit-def: $vgpr66
                                        ; implicit-def: $vgpr67
                                        ; implicit-def: $vgpr68
                                        ; implicit-def: $vgpr69
                                        ; implicit-def: $vgpr70
                                        ; implicit-def: $vgpr71
                                        ; implicit-def: $vgpr80
                                        ; implicit-def: $vgpr81
	s_cbranch_execz .LBB479_413
; %bb.270:
	v_cmp_ne_u64_e32 vcc, 0, v[6:7]
	s_and_b64 s[6:7], s[4:5], vcc
	v_mov_b32_e32 v30, v24
	s_and_saveexec_b64 s[4:5], s[6:7]
	s_cbranch_execz .LBB479_274
; %bb.271:
	flat_load_ushort v2, v[2:3]
	v_lshlrev_b32_e32 v7, 16, v24
	v_max_f32_e32 v6, v7, v7
	s_movk_i32 s6, 0x1f8
	s_waitcnt vmcnt(0) lgkmcnt(0)
	v_lshlrev_b32_e32 v3, 16, v2
	v_max_f32_e32 v2, v3, v3
	v_min_f32_e32 v30, v2, v6
	v_max_f32_e32 v2, v2, v6
	v_cmp_u_f32_e32 vcc, v3, v3
	s_nop 1
	v_cndmask_b32_e32 v6, v30, v3, vcc
	v_cndmask_b32_e32 v2, v2, v3, vcc
	v_cmp_u_f32_e32 vcc, v7, v7
	s_nop 1
	v_cndmask_b32_e32 v6, v6, v7, vcc
	v_cndmask_b32_e32 v2, v2, v7, vcc
	v_cmp_neq_f32_e32 vcc, v6, v2
	v_cmp_class_f32_e64 s[6:7], v6, s6
	s_or_b64 s[8:9], vcc, s[6:7]
	s_and_saveexec_b64 s[6:7], s[8:9]
	s_cbranch_execz .LBB479_273
; %bb.272:
	v_sub_f32_e32 v3, v6, v2
	s_mov_b32 s8, 0x3fb8aa3b
	v_mul_f32_e32 v6, 0x3fb8aa3b, v3
	v_fma_f32 v7, v3, s8, -v6
	v_rndne_f32_e32 v30, v6
	v_fmamk_f32 v7, v3, 0x32a5705f, v7
	v_sub_f32_e32 v6, v6, v30
	v_add_f32_e32 v6, v6, v7
	v_exp_f32_e32 v6, v6
	v_cvt_i32_f32_e32 v7, v30
	s_mov_b32 s8, 0xc2ce8ed0
	v_cmp_ngt_f32_e32 vcc, s8, v3
	s_mov_b32 s8, 0x42b17218
	v_ldexp_f32 v6, v6, v7
	v_cndmask_b32_e32 v6, 0, v6, vcc
	v_mov_b32_e32 v7, 0x7f800000
	v_cmp_nlt_f32_e32 vcc, s8, v3
	s_mov_b32 s8, 0x3f2aaaab
	s_mov_b32 s9, 0x7f800000
	v_cndmask_b32_e32 v33, v7, v6, vcc
	v_add_f32_e32 v3, 1.0, v33
	v_add_f32_e32 v6, -1.0, v3
	v_sub_f32_e32 v7, v6, v3
	v_add_f32_e32 v7, 1.0, v7
	v_sub_f32_e32 v6, v33, v6
	v_add_f32_e32 v30, v6, v7
	v_frexp_mant_f32_e32 v31, v3
	v_cvt_f64_f32_e32 v[6:7], v3
	v_frexp_exp_i32_f64_e32 v6, v[6:7]
	v_cmp_gt_f32_e32 vcc, s8, v31
	s_mov_b32 s8, 0x3f317218
	s_nop 0
	v_subbrev_co_u32_e32 v48, vcc, 0, v6, vcc
	v_sub_u32_e32 v6, 0, v48
	v_ldexp_f32 v3, v3, v6
	v_ldexp_f32 v6, v30, v6
	v_add_f32_e32 v30, -1.0, v3
	v_add_f32_e32 v7, 1.0, v30
	v_sub_f32_e32 v7, v3, v7
	v_add_f32_e32 v31, v6, v7
	v_add_f32_e32 v7, 1.0, v3
	v_add_f32_e32 v36, -1.0, v7
	v_sub_f32_e32 v3, v3, v36
	v_add_f32_e32 v3, v6, v3
	v_add_f32_e32 v49, v7, v3
	v_rcp_f32_e32 v50, v49
	v_sub_f32_e32 v6, v7, v49
	v_add_f32_e32 v7, v30, v31
	v_add_f32_e32 v3, v3, v6
	v_mul_f32_e32 v53, v7, v50
	v_sub_f32_e32 v6, v30, v7
	v_mul_f32_e32 v30, v49, v53
	v_fma_f32 v36, v53, v49, -v30
	v_fmac_f32_e32 v36, v53, v3
	v_add_f32_e32 v51, v31, v6
	v_add_f32_e32 v6, v30, v36
	v_sub_f32_e32 v31, v7, v6
	v_pk_add_f32 v[38:39], v[6:7], v[30:31] neg_lo:[0,1] neg_hi:[0,1]
	v_mov_b32_e32 v37, v6
	v_pk_add_f32 v[6:7], v[38:39], v[36:37] neg_lo:[0,1] neg_hi:[0,1]
	v_cmp_eq_f32_e32 vcc, s9, v33
	v_add_f32_e32 v7, v51, v7
	v_add_f32_e32 v6, v6, v7
	;; [unrolled: 1-line block ×3, first 2 shown]
	v_mul_f32_e32 v51, v50, v7
	v_mul_f32_e32 v30, v49, v51
	v_fma_f32 v36, v51, v49, -v30
	v_fmac_f32_e32 v36, v51, v3
	v_sub_f32_e32 v3, v31, v7
	v_add_f32_e32 v3, v6, v3
	v_add_f32_e32 v6, v30, v36
	v_sub_f32_e32 v31, v7, v6
	v_pk_add_f32 v[38:39], v[6:7], v[30:31] neg_lo:[0,1] neg_hi:[0,1]
	v_mov_b32_e32 v37, v6
	v_pk_add_f32 v[6:7], v[38:39], v[36:37] neg_lo:[0,1] neg_hi:[0,1]
	v_cvt_f32_i32_e32 v30, v48
	v_add_f32_e32 v3, v3, v7
	v_add_f32_e32 v3, v6, v3
	;; [unrolled: 1-line block ×4, first 2 shown]
	v_sub_f32_e32 v7, v6, v53
	v_mul_f32_e32 v3, v50, v3
	v_sub_f32_e32 v7, v51, v7
	v_add_f32_e32 v3, v7, v3
	v_add_f32_e32 v31, v6, v3
	v_mul_f32_e32 v36, v31, v31
	v_mov_b32_e32 v7, 0x3ecc95a3
	v_fmac_f32_e32 v7, 0x3e9b6dac, v36
	v_sub_f32_e32 v6, v31, v6
	v_fmaak_f32 v7, v36, v7, 0x3f2aaada
	v_sub_f32_e32 v3, v3, v6
	v_ldexp_f32 v37, v31, 1
	v_mul_f32_e32 v31, v31, v36
	v_mov_b32_e32 v6, 0x3f317218
	v_pk_mul_f32 v[6:7], v[30:31], v[6:7]
	v_ldexp_f32 v3, v3, 1
	v_fma_f32 v31, v30, s8, -v6
	v_fmamk_f32 v36, v30, 0xb102e308, v31
	v_pk_add_f32 v[30:31], v[6:7], v[36:37]
	v_mov_b32_e32 v38, v6
	v_sub_f32_e32 v37, v31, v37
	v_sub_f32_e32 v37, v7, v37
	v_add_f32_e32 v39, v3, v37
	v_pk_add_f32 v[6:7], v[30:31], v[6:7] neg_lo:[0,1] neg_hi:[0,1]
	v_pk_add_f32 v[48:49], v[30:31], v[38:39]
	v_mov_b32_e32 v37, v30
	v_mov_b32_e32 v7, v49
	v_pk_add_f32 v[50:51], v[36:37], v[6:7] neg_lo:[0,1] neg_hi:[0,1]
	v_pk_add_f32 v[6:7], v[36:37], v[6:7]
	v_mov_b32_e32 v38, v39
	v_mov_b32_e32 v36, v7
	v_pk_add_f32 v[54:55], v[36:37], v[30:31] neg_lo:[0,1] neg_hi:[0,1]
	v_mov_b32_e32 v6, v49
	v_mov_b32_e32 v3, v54
	v_pk_add_f32 v[64:65], v[48:49], v[2:3] neg_lo:[0,1] neg_hi:[0,1]
	v_mov_b32_e32 v48, v31
	v_mov_b32_e32 v49, v54
	;; [unrolled: 1-line block ×3, first 2 shown]
	v_pk_add_f32 v[6:7], v[6:7], v[48:49] neg_lo:[0,1] neg_hi:[0,1]
	v_mov_b32_e32 v39, v30
	v_pk_add_f32 v[6:7], v[38:39], v[6:7] neg_lo:[0,1] neg_hi:[0,1]
	v_mov_b32_e32 v64, v50
	v_pk_add_f32 v[30:31], v[64:65], v[6:7]
	s_mov_b32 s8, 0x33800000
	v_mov_b32_e32 v38, v31
	v_pk_add_f32 v[38:39], v[30:31], v[38:39]
	v_cmp_lt_f32_e64 s[8:9], |v33|, s8
	v_pk_add_f32 v[36:37], v[36:37], v[38:39]
	v_mov_b32_e32 v7, v38
	v_mov_b32_e32 v31, v36
	v_pk_add_f32 v[48:49], v[30:31], v[50:51] neg_lo:[0,1] neg_hi:[0,1]
	s_or_b64 vcc, vcc, s[8:9]
	v_sub_f32_e32 v3, v30, v48
	v_pk_add_f32 v[6:7], v[6:7], v[48:49] neg_lo:[0,1] neg_hi:[0,1]
	v_sub_f32_e32 v3, v50, v3
	v_add_f32_e32 v3, v6, v3
	v_add_f32_e32 v3, v3, v7
	;; [unrolled: 1-line block ×3, first 2 shown]
	v_cndmask_b32_e32 v3, v3, v33, vcc
	v_add_f32_e32 v3, v2, v3
.LBB479_273:
	s_or_b64 exec, exec, s[6:7]
	v_bfe_u32 v2, v3, 16, 1
	s_movk_i32 s6, 0x7fff
	v_add3_u32 v2, v3, v2, s6
	v_lshrrev_b32_e32 v2, 16, v2
	v_mov_b32_e32 v6, 0x7fc0
	v_cmp_o_f32_e32 vcc, v3, v3
	s_nop 1
	v_cndmask_b32_e32 v30, v6, v2, vcc
.LBB479_274:
	s_or_b64 exec, exec, s[4:5]
	v_mov_b32_e32 v3, 16
	v_lshlrev_b32_e32 v33, 16, v30
	v_lshlrev_b32_sdwa v2, v3, v24 dst_sel:DWORD dst_unused:UNUSED_PAD src0_sel:DWORD src1_sel:WORD_1
	v_max_f32_e32 v31, v2, v2
	v_max_f32_e32 v99, v33, v33
	v_min_f32_e32 v98, v99, v31
	v_cmp_u_f32_e64 s[50:51], v33, v33
	v_cmp_u_f32_e32 vcc, v2, v2
	v_max_f32_e32 v100, v99, v31
	v_cndmask_b32_e64 v6, v98, v33, s[50:51]
	v_cndmask_b32_e32 v24, v6, v2, vcc
	v_cndmask_b32_e64 v6, v100, v33, s[50:51]
	v_cndmask_b32_e32 v6, v6, v2, vcc
	s_movk_i32 s8, 0x1f8
	v_cmp_neq_f32_e64 s[4:5], v24, v6
	v_cmp_class_f32_e64 s[6:7], v24, s8
	s_or_b64 s[4:5], s[4:5], s[6:7]
	v_mov_b32_e32 v7, v33
	s_and_saveexec_b64 s[6:7], s[4:5]
	s_cbranch_execz .LBB479_276
; %bb.275:
	v_sub_f32_e32 v7, v24, v6
	s_mov_b32 s4, 0x3fb8aa3b
	v_mul_f32_e32 v24, 0x3fb8aa3b, v7
	v_fma_f32 v36, v7, s4, -v24
	v_rndne_f32_e32 v37, v24
	v_fmamk_f32 v36, v7, 0x32a5705f, v36
	v_sub_f32_e32 v24, v24, v37
	v_add_f32_e32 v24, v24, v36
	v_exp_f32_e32 v24, v24
	v_cvt_i32_f32_e32 v36, v37
	s_mov_b32 s4, 0xc2ce8ed0
	v_cmp_ngt_f32_e64 s[4:5], s4, v7
	s_mov_b32 s9, 0x7f800000
	v_ldexp_f32 v24, v24, v36
	v_cndmask_b32_e64 v24, 0, v24, s[4:5]
	s_mov_b32 s4, 0x42b17218
	v_mov_b32_e32 v36, 0x7f800000
	v_cmp_nlt_f32_e64 s[4:5], s4, v7
	s_nop 1
	v_cndmask_b32_e64 v53, v36, v24, s[4:5]
	v_add_f32_e32 v7, 1.0, v53
	v_add_f32_e32 v24, -1.0, v7
	v_sub_f32_e32 v36, v24, v7
	v_add_f32_e32 v36, 1.0, v36
	v_sub_f32_e32 v24, v53, v24
	v_add_f32_e32 v24, v24, v36
	v_frexp_mant_f32_e32 v38, v7
	s_mov_b32 s4, 0x3f2aaaab
	v_cvt_f64_f32_e32 v[36:37], v7
	v_frexp_exp_i32_f64_e32 v36, v[36:37]
	v_cmp_gt_f32_e64 s[4:5], s4, v38
	s_nop 1
	v_subbrev_co_u32_e64 v54, s[4:5], 0, v36, s[4:5]
	v_sub_u32_e32 v36, 0, v54
	v_ldexp_f32 v7, v7, v36
	v_ldexp_f32 v24, v24, v36
	v_add_f32_e32 v36, -1.0, v7
	v_add_f32_e32 v37, 1.0, v36
	v_sub_f32_e32 v37, v7, v37
	v_add_f32_e32 v38, v24, v37
	v_add_f32_e32 v37, 1.0, v7
	v_add_f32_e32 v39, -1.0, v37
	v_sub_f32_e32 v7, v7, v39
	v_add_f32_e32 v7, v24, v7
	v_add_f32_e32 v24, v37, v7
	v_rcp_f32_e32 v55, v24
	v_sub_f32_e32 v37, v37, v24
	v_add_f32_e32 v7, v7, v37
	v_add_f32_e32 v37, v36, v38
	v_sub_f32_e32 v36, v36, v37
	v_mul_f32_e32 v65, v37, v55
	v_add_f32_e32 v64, v38, v36
	v_mul_f32_e32 v38, v24, v65
	v_fma_f32 v48, v65, v24, -v38
	v_fmac_f32_e32 v48, v65, v7
	v_add_f32_e32 v36, v38, v48
	v_sub_f32_e32 v39, v37, v36
	v_pk_add_f32 v[50:51], v[36:37], v[38:39] neg_lo:[0,1] neg_hi:[0,1]
	v_mov_b32_e32 v49, v36
	v_pk_add_f32 v[36:37], v[50:51], v[48:49] neg_lo:[0,1] neg_hi:[0,1]
	s_mov_b32 s4, 0x3f317218
	v_add_f32_e32 v37, v64, v37
	v_add_f32_e32 v36, v36, v37
	;; [unrolled: 1-line block ×3, first 2 shown]
	v_mul_f32_e32 v64, v55, v37
	v_mul_f32_e32 v38, v24, v64
	v_fma_f32 v48, v64, v24, -v38
	v_fmac_f32_e32 v48, v64, v7
	v_sub_f32_e32 v7, v39, v37
	v_add_f32_e32 v7, v36, v7
	v_add_f32_e32 v36, v38, v48
	v_sub_f32_e32 v39, v37, v36
	v_pk_add_f32 v[50:51], v[36:37], v[38:39] neg_lo:[0,1] neg_hi:[0,1]
	v_mov_b32_e32 v49, v36
	v_pk_add_f32 v[36:37], v[50:51], v[48:49] neg_lo:[0,1] neg_hi:[0,1]
	v_add_f32_e32 v24, v65, v64
	v_add_f32_e32 v7, v7, v37
	;; [unrolled: 1-line block ×4, first 2 shown]
	v_sub_f32_e32 v36, v24, v65
	v_mul_f32_e32 v7, v55, v7
	v_sub_f32_e32 v36, v64, v36
	v_add_f32_e32 v7, v36, v7
	v_add_f32_e32 v36, v24, v7
	v_cvt_f32_i32_e32 v38, v54
	v_mul_f32_e32 v39, v36, v36
	v_mov_b32_e32 v37, 0x3ecc95a3
	v_fmac_f32_e32 v37, 0x3e9b6dac, v39
	v_fmaak_f32 v37, v39, v37, 0x3f2aaada
	v_sub_f32_e32 v24, v36, v24
	v_ldexp_f32 v49, v36, 1
	v_mul_f32_e32 v39, v36, v39
	v_mov_b32_e32 v36, 0x3f317218
	v_pk_mul_f32 v[36:37], v[38:39], v[36:37]
	v_sub_f32_e32 v7, v7, v24
	v_fma_f32 v24, v38, s4, -v36
	v_fmamk_f32 v48, v38, 0xb102e308, v24
	v_pk_add_f32 v[38:39], v[36:37], v[48:49]
	v_ldexp_f32 v7, v7, 1
	v_sub_f32_e32 v24, v39, v49
	v_sub_f32_e32 v24, v37, v24
	v_add_f32_e32 v51, v7, v24
	v_mov_b32_e32 v50, v36
	v_pk_add_f32 v[36:37], v[38:39], v[36:37] neg_lo:[0,1] neg_hi:[0,1]
	v_pk_add_f32 v[54:55], v[38:39], v[50:51]
	v_mov_b32_e32 v49, v38
	v_mov_b32_e32 v37, v55
	v_pk_add_f32 v[64:65], v[48:49], v[36:37] neg_lo:[0,1] neg_hi:[0,1]
	v_pk_add_f32 v[36:37], v[48:49], v[36:37]
	v_cmp_eq_f32_e64 s[4:5], s9, v53
	v_mov_b32_e32 v24, v37
	v_pk_add_f32 v[48:49], v[24:25], v[38:39] neg_lo:[0,1] neg_hi:[0,1]
	v_mov_b32_e32 v36, v55
	v_mov_b32_e32 v7, v48
	v_pk_add_f32 v[66:67], v[54:55], v[6:7] neg_lo:[0,1] neg_hi:[0,1]
	v_mov_b32_e32 v54, v39
	v_mov_b32_e32 v55, v48
	;; [unrolled: 1-line block ×3, first 2 shown]
	v_pk_add_f32 v[36:37], v[36:37], v[54:55] neg_lo:[0,1] neg_hi:[0,1]
	v_mov_b32_e32 v48, v51
	v_mov_b32_e32 v49, v38
	v_pk_add_f32 v[36:37], v[48:49], v[36:37] neg_lo:[0,1] neg_hi:[0,1]
	v_mov_b32_e32 v66, v64
	v_pk_add_f32 v[38:39], v[66:67], v[36:37]
	s_mov_b32 s9, 0x33800000
	v_mov_b32_e32 v48, v39
	v_pk_add_f32 v[48:49], v[38:39], v[48:49]
	v_cmp_lt_f32_e64 s[10:11], |v53|, s9
	v_pk_add_f32 v[50:51], v[24:25], v[48:49]
	v_mov_b32_e32 v37, v48
	v_mov_b32_e32 v39, v50
	v_pk_add_f32 v[54:55], v[38:39], v[64:65] neg_lo:[0,1] neg_hi:[0,1]
	s_or_b64 s[4:5], s[4:5], s[10:11]
	v_sub_f32_e32 v7, v38, v54
	v_pk_add_f32 v[36:37], v[36:37], v[54:55] neg_lo:[0,1] neg_hi:[0,1]
	v_sub_f32_e32 v7, v64, v7
	v_add_f32_e32 v7, v36, v7
	v_add_f32_e32 v7, v7, v37
	;; [unrolled: 1-line block ×3, first 2 shown]
	v_cndmask_b32_e64 v7, v7, v53, s[4:5]
	v_add_f32_e32 v7, v6, v7
.LBB479_276:
	s_or_b64 exec, exec, s[6:7]
	v_bfe_u32 v6, v7, 16, 1
	s_movk_i32 s10, 0x7fff
	v_add3_u32 v6, v7, v6, s10
	v_and_b32_e32 v24, 0xffff0000, v6
	v_mov_b32_e32 v6, 0x7fc00000
	v_cmp_o_f32_e64 s[4:5], v7, v7
	v_lshlrev_b32_sdwa v3, v3, v25 dst_sel:DWORD dst_unused:UNUSED_PAD src0_sel:DWORD src1_sel:WORD_0
	s_nop 0
	v_cndmask_b32_e64 v36, v6, v24, s[4:5]
	v_max_f32_e32 v7, v36, v36
	v_max_f32_e32 v24, v3, v3
	v_min_f32_e32 v37, v7, v24
	v_cmp_u_f32_e64 s[6:7], v36, v36
	v_max_f32_e32 v7, v7, v24
	v_cmp_u_f32_e64 s[4:5], v3, v3
	v_cndmask_b32_e64 v37, v37, v36, s[6:7]
	v_cndmask_b32_e64 v7, v7, v36, s[6:7]
	;; [unrolled: 1-line block ×4, first 2 shown]
	v_cmp_neq_f32_e64 s[6:7], v37, v7
	v_cmp_class_f32_e64 s[8:9], v37, s8
	s_or_b64 s[6:7], s[6:7], s[8:9]
	s_and_saveexec_b64 s[8:9], s[6:7]
	s_cbranch_execz .LBB479_278
; %bb.277:
	v_sub_f32_e32 v36, v37, v7
	s_mov_b32 s6, 0x3fb8aa3b
	v_mul_f32_e32 v37, 0x3fb8aa3b, v36
	v_fma_f32 v38, v36, s6, -v37
	v_rndne_f32_e32 v39, v37
	v_fmamk_f32 v38, v36, 0x32a5705f, v38
	v_sub_f32_e32 v37, v37, v39
	v_add_f32_e32 v37, v37, v38
	v_exp_f32_e32 v37, v37
	v_cvt_i32_f32_e32 v38, v39
	s_mov_b32 s6, 0xc2ce8ed0
	v_cmp_ngt_f32_e64 s[6:7], s6, v36
	s_mov_b32 s11, 0x7f800000
	v_ldexp_f32 v37, v37, v38
	v_cndmask_b32_e64 v37, 0, v37, s[6:7]
	s_mov_b32 s6, 0x42b17218
	v_mov_b32_e32 v38, 0x7f800000
	v_cmp_nlt_f32_e64 s[6:7], s6, v36
	s_nop 1
	v_cndmask_b32_e64 v53, v38, v37, s[6:7]
	v_add_f32_e32 v38, 1.0, v53
	v_add_f32_e32 v36, -1.0, v38
	v_sub_f32_e32 v37, v36, v38
	v_add_f32_e32 v37, 1.0, v37
	v_sub_f32_e32 v36, v53, v36
	v_add_f32_e32 v39, v36, v37
	v_frexp_mant_f32_e32 v48, v38
	s_mov_b32 s6, 0x3f2aaaab
	v_cvt_f64_f32_e32 v[36:37], v38
	v_frexp_exp_i32_f64_e32 v36, v[36:37]
	v_cmp_gt_f32_e64 s[6:7], s6, v48
	s_nop 1
	v_subbrev_co_u32_e64 v54, s[6:7], 0, v36, s[6:7]
	v_sub_u32_e32 v36, 0, v54
	v_ldexp_f32 v37, v38, v36
	v_add_f32_e32 v38, -1.0, v37
	v_add_f32_e32 v48, 1.0, v37
	v_ldexp_f32 v36, v39, v36
	v_add_f32_e32 v39, 1.0, v38
	v_add_f32_e32 v49, -1.0, v48
	v_sub_f32_e32 v39, v37, v39
	v_sub_f32_e32 v37, v37, v49
	v_add_f32_e32 v39, v36, v39
	v_add_f32_e32 v36, v36, v37
	v_add_f32_e32 v55, v48, v36
	v_rcp_f32_e32 v65, v55
	v_sub_f32_e32 v37, v48, v55
	v_add_f32_e32 v64, v36, v37
	v_add_f32_e32 v37, v38, v39
	v_mul_f32_e32 v67, v37, v65
	v_sub_f32_e32 v36, v38, v37
	v_mul_f32_e32 v38, v55, v67
	v_fma_f32 v48, v67, v55, -v38
	v_fmac_f32_e32 v48, v67, v64
	v_add_f32_e32 v66, v39, v36
	v_add_f32_e32 v36, v38, v48
	v_sub_f32_e32 v39, v37, v36
	v_pk_add_f32 v[50:51], v[36:37], v[38:39] neg_lo:[0,1] neg_hi:[0,1]
	v_mov_b32_e32 v49, v36
	v_pk_add_f32 v[36:37], v[50:51], v[48:49] neg_lo:[0,1] neg_hi:[0,1]
	s_mov_b32 s6, 0x3f317218
	v_add_f32_e32 v37, v66, v37
	v_add_f32_e32 v36, v36, v37
	;; [unrolled: 1-line block ×3, first 2 shown]
	v_mul_f32_e32 v66, v65, v37
	v_mul_f32_e32 v38, v55, v66
	v_fma_f32 v48, v66, v55, -v38
	v_fmac_f32_e32 v48, v66, v64
	v_sub_f32_e32 v39, v39, v37
	v_add_f32_e32 v55, v36, v39
	v_add_f32_e32 v36, v38, v48
	v_sub_f32_e32 v39, v37, v36
	v_pk_add_f32 v[50:51], v[36:37], v[38:39] neg_lo:[0,1] neg_hi:[0,1]
	v_mov_b32_e32 v49, v36
	v_pk_add_f32 v[36:37], v[50:51], v[48:49] neg_lo:[0,1] neg_hi:[0,1]
	v_cvt_f32_i32_e32 v38, v54
	v_add_f32_e32 v37, v55, v37
	v_add_f32_e32 v36, v36, v37
	;; [unrolled: 1-line block ×4, first 2 shown]
	v_sub_f32_e32 v37, v39, v67
	v_mul_f32_e32 v36, v65, v36
	v_sub_f32_e32 v37, v66, v37
	v_add_f32_e32 v36, v37, v36
	v_add_f32_e32 v48, v39, v36
	v_mul_f32_e32 v50, v48, v48
	v_mov_b32_e32 v37, 0x3ecc95a3
	v_sub_f32_e32 v39, v48, v39
	v_fmac_f32_e32 v37, 0x3e9b6dac, v50
	v_sub_f32_e32 v36, v36, v39
	v_fmaak_f32 v37, v50, v37, 0x3f2aaada
	v_ldexp_f32 v51, v36, 1
	v_mul_f32_e32 v39, v48, v50
	v_mov_b32_e32 v36, 0x3f317218
	v_pk_mul_f32 v[36:37], v[38:39], v[36:37]
	v_ldexp_f32 v49, v48, 1
	v_fma_f32 v39, v38, s6, -v36
	v_fmamk_f32 v48, v38, 0xb102e308, v39
	v_pk_add_f32 v[38:39], v[36:37], v[48:49]
	v_mov_b32_e32 v50, v36
	v_sub_f32_e32 v49, v39, v49
	v_sub_f32_e32 v49, v37, v49
	v_add_f32_e32 v51, v51, v49
	v_pk_add_f32 v[36:37], v[38:39], v[36:37] neg_lo:[0,1] neg_hi:[0,1]
	v_pk_add_f32 v[54:55], v[38:39], v[50:51]
	v_mov_b32_e32 v49, v38
	v_mov_b32_e32 v37, v55
	v_pk_add_f32 v[64:65], v[48:49], v[36:37] neg_lo:[0,1] neg_hi:[0,1]
	v_pk_add_f32 v[36:37], v[48:49], v[36:37]
	v_mov_b32_e32 v50, v51
	v_mov_b32_e32 v48, v37
	v_pk_add_f32 v[66:67], v[48:49], v[38:39] neg_lo:[0,1] neg_hi:[0,1]
	v_mov_b32_e32 v36, v55
	v_mov_b32_e32 v49, v66
	v_pk_add_f32 v[68:69], v[54:55], v[48:49] neg_lo:[0,1] neg_hi:[0,1]
	v_mov_b32_e32 v54, v39
	v_mov_b32_e32 v55, v66
	;; [unrolled: 1-line block ×3, first 2 shown]
	v_pk_add_f32 v[36:37], v[36:37], v[54:55] neg_lo:[0,1] neg_hi:[0,1]
	v_mov_b32_e32 v51, v38
	v_pk_add_f32 v[36:37], v[50:51], v[36:37] neg_lo:[0,1] neg_hi:[0,1]
	v_mov_b32_e32 v68, v64
	v_pk_add_f32 v[38:39], v[68:69], v[36:37]
	v_cmp_eq_f32_e64 s[6:7], s11, v53
	v_mov_b32_e32 v50, v39
	v_pk_add_f32 v[50:51], v[38:39], v[50:51]
	s_mov_b32 s11, 0x33800000
	v_pk_add_f32 v[48:49], v[48:49], v[50:51]
	v_mov_b32_e32 v37, v50
	v_mov_b32_e32 v39, v48
	v_pk_add_f32 v[54:55], v[38:39], v[64:65] neg_lo:[0,1] neg_hi:[0,1]
	v_cmp_lt_f32_e64 s[12:13], |v53|, s11
	v_sub_f32_e32 v38, v38, v54
	v_pk_add_f32 v[36:37], v[36:37], v[54:55] neg_lo:[0,1] neg_hi:[0,1]
	v_sub_f32_e32 v38, v64, v38
	v_add_f32_e32 v36, v36, v38
	v_add_f32_e32 v36, v36, v37
	;; [unrolled: 1-line block ×3, first 2 shown]
	s_or_b64 s[6:7], s[6:7], s[12:13]
	v_cndmask_b32_e64 v36, v36, v53, s[6:7]
	v_add_f32_e32 v36, v7, v36
.LBB479_278:
	s_or_b64 exec, exec, s[8:9]
	v_bfe_u32 v7, v36, 16, 1
	v_add3_u32 v7, v36, v7, s10
	v_and_b32_e32 v7, 0xffff0000, v7
	v_cmp_o_f32_e64 s[6:7], v36, v36
	s_movk_i32 s12, 0x1f8
	s_nop 0
	v_cndmask_b32_e64 v37, v6, v7, s[6:7]
	v_mov_b32_e32 v7, 16
	v_lshlrev_b32_sdwa v6, v7, v25 dst_sel:DWORD dst_unused:UNUSED_PAD src0_sel:DWORD src1_sel:WORD_1
	v_max_f32_e32 v25, v37, v37
	v_max_f32_e32 v36, v6, v6
	v_min_f32_e32 v38, v25, v36
	v_cmp_u_f32_e64 s[8:9], v37, v37
	v_max_f32_e32 v25, v25, v36
	v_cmp_u_f32_e64 s[6:7], v6, v6
	v_cndmask_b32_e64 v38, v38, v37, s[8:9]
	v_cndmask_b32_e64 v25, v25, v37, s[8:9]
	;; [unrolled: 1-line block ×4, first 2 shown]
	v_cmp_neq_f32_e64 s[8:9], v38, v25
	v_cmp_class_f32_e64 s[10:11], v38, s12
	s_or_b64 s[8:9], s[8:9], s[10:11]
	s_and_saveexec_b64 s[10:11], s[8:9]
	s_cbranch_execz .LBB479_280
; %bb.279:
	v_sub_f32_e32 v37, v38, v25
	s_mov_b32 s8, 0x3fb8aa3b
	v_mul_f32_e32 v38, 0x3fb8aa3b, v37
	v_fma_f32 v39, v37, s8, -v38
	v_rndne_f32_e32 v48, v38
	v_fmamk_f32 v39, v37, 0x32a5705f, v39
	v_sub_f32_e32 v38, v38, v48
	v_add_f32_e32 v38, v38, v39
	v_exp_f32_e32 v38, v38
	v_cvt_i32_f32_e32 v39, v48
	s_mov_b32 s8, 0xc2ce8ed0
	v_cmp_ngt_f32_e64 s[8:9], s8, v37
	s_mov_b32 s13, 0x7f800000
	v_ldexp_f32 v38, v38, v39
	v_cndmask_b32_e64 v38, 0, v38, s[8:9]
	s_mov_b32 s8, 0x42b17218
	v_mov_b32_e32 v39, 0x7f800000
	v_cmp_nlt_f32_e64 s[8:9], s8, v37
	s_nop 1
	v_cndmask_b32_e64 v53, v39, v38, s[8:9]
	v_add_f32_e32 v37, 1.0, v53
	v_add_f32_e32 v38, -1.0, v37
	v_sub_f32_e32 v39, v38, v37
	v_add_f32_e32 v39, 1.0, v39
	v_sub_f32_e32 v38, v53, v38
	v_add_f32_e32 v48, v38, v39
	v_frexp_mant_f32_e32 v49, v37
	s_mov_b32 s8, 0x3f2aaaab
	v_cvt_f64_f32_e32 v[38:39], v37
	v_frexp_exp_i32_f64_e32 v38, v[38:39]
	v_cmp_gt_f32_e64 s[8:9], s8, v49
	s_nop 1
	v_subbrev_co_u32_e64 v64, s[8:9], 0, v38, s[8:9]
	v_sub_u32_e32 v38, 0, v64
	v_ldexp_f32 v37, v37, v38
	v_ldexp_f32 v38, v48, v38
	v_add_f32_e32 v48, -1.0, v37
	v_add_f32_e32 v39, 1.0, v48
	v_sub_f32_e32 v39, v37, v39
	v_add_f32_e32 v49, v38, v39
	v_add_f32_e32 v39, 1.0, v37
	v_add_f32_e32 v50, -1.0, v39
	v_sub_f32_e32 v37, v37, v50
	v_add_f32_e32 v37, v38, v37
	v_add_f32_e32 v65, v39, v37
	v_rcp_f32_e32 v66, v65
	v_sub_f32_e32 v38, v39, v65
	v_add_f32_e32 v39, v48, v49
	v_add_f32_e32 v37, v37, v38
	v_mul_f32_e32 v68, v39, v66
	v_sub_f32_e32 v38, v48, v39
	v_mul_f32_e32 v48, v65, v68
	v_fma_f32 v50, v68, v65, -v48
	v_fmac_f32_e32 v50, v68, v37
	v_add_f32_e32 v67, v49, v38
	v_add_f32_e32 v38, v48, v50
	v_sub_f32_e32 v49, v39, v38
	v_pk_add_f32 v[54:55], v[38:39], v[48:49] neg_lo:[0,1] neg_hi:[0,1]
	v_mov_b32_e32 v51, v38
	v_pk_add_f32 v[38:39], v[54:55], v[50:51] neg_lo:[0,1] neg_hi:[0,1]
	s_mov_b32 s8, 0x3f317218
	v_add_f32_e32 v39, v67, v39
	v_add_f32_e32 v38, v38, v39
	;; [unrolled: 1-line block ×3, first 2 shown]
	v_mul_f32_e32 v67, v66, v39
	v_mul_f32_e32 v48, v65, v67
	v_fma_f32 v50, v67, v65, -v48
	v_fmac_f32_e32 v50, v67, v37
	v_sub_f32_e32 v37, v49, v39
	v_add_f32_e32 v37, v38, v37
	v_add_f32_e32 v38, v48, v50
	v_sub_f32_e32 v49, v39, v38
	v_pk_add_f32 v[54:55], v[38:39], v[48:49] neg_lo:[0,1] neg_hi:[0,1]
	v_mov_b32_e32 v51, v38
	v_pk_add_f32 v[38:39], v[54:55], v[50:51] neg_lo:[0,1] neg_hi:[0,1]
	v_cvt_f32_i32_e32 v48, v64
	v_add_f32_e32 v37, v37, v39
	v_add_f32_e32 v37, v38, v37
	;; [unrolled: 1-line block ×4, first 2 shown]
	v_sub_f32_e32 v39, v38, v68
	v_mul_f32_e32 v37, v66, v37
	v_sub_f32_e32 v39, v67, v39
	v_add_f32_e32 v37, v39, v37
	v_add_f32_e32 v49, v38, v37
	v_mul_f32_e32 v50, v49, v49
	v_mov_b32_e32 v39, 0x3ecc95a3
	v_fmac_f32_e32 v39, 0x3e9b6dac, v50
	v_sub_f32_e32 v38, v49, v38
	v_fmaak_f32 v39, v50, v39, 0x3f2aaada
	v_sub_f32_e32 v37, v37, v38
	v_ldexp_f32 v51, v49, 1
	v_mul_f32_e32 v49, v49, v50
	v_mov_b32_e32 v38, 0x3f317218
	v_pk_mul_f32 v[38:39], v[48:49], v[38:39]
	v_ldexp_f32 v37, v37, 1
	v_fma_f32 v49, v48, s8, -v38
	v_fmamk_f32 v50, v48, 0xb102e308, v49
	v_pk_add_f32 v[48:49], v[38:39], v[50:51]
	v_mov_b32_e32 v54, v38
	v_sub_f32_e32 v51, v49, v51
	v_sub_f32_e32 v51, v39, v51
	v_add_f32_e32 v55, v37, v51
	v_pk_add_f32 v[38:39], v[48:49], v[38:39] neg_lo:[0,1] neg_hi:[0,1]
	v_pk_add_f32 v[64:65], v[48:49], v[54:55]
	v_mov_b32_e32 v51, v48
	v_mov_b32_e32 v39, v65
	v_pk_add_f32 v[66:67], v[50:51], v[38:39] neg_lo:[0,1] neg_hi:[0,1]
	v_pk_add_f32 v[38:39], v[50:51], v[38:39]
	v_mov_b32_e32 v54, v55
	v_mov_b32_e32 v50, v39
	v_pk_add_f32 v[68:69], v[50:51], v[48:49] neg_lo:[0,1] neg_hi:[0,1]
	v_mov_b32_e32 v38, v65
	v_mov_b32_e32 v37, v68
	v_pk_add_f32 v[70:71], v[64:65], v[36:37] neg_lo:[0,1] neg_hi:[0,1]
	v_mov_b32_e32 v64, v49
	v_mov_b32_e32 v65, v68
	v_mov_b32_e32 v67, v39
	v_pk_add_f32 v[38:39], v[38:39], v[64:65] neg_lo:[0,1] neg_hi:[0,1]
	v_mov_b32_e32 v55, v48
	v_pk_add_f32 v[38:39], v[54:55], v[38:39] neg_lo:[0,1] neg_hi:[0,1]
	v_mov_b32_e32 v70, v66
	v_pk_add_f32 v[48:49], v[70:71], v[38:39]
	v_cmp_eq_f32_e64 s[8:9], s13, v53
	v_mov_b32_e32 v54, v49
	v_pk_add_f32 v[54:55], v[48:49], v[54:55]
	s_mov_b32 s13, 0x33800000
	v_pk_add_f32 v[50:51], v[50:51], v[54:55]
	v_mov_b32_e32 v39, v54
	v_mov_b32_e32 v49, v50
	v_pk_add_f32 v[64:65], v[48:49], v[66:67] neg_lo:[0,1] neg_hi:[0,1]
	v_cmp_lt_f32_e64 s[14:15], |v53|, s13
	v_sub_f32_e32 v37, v48, v64
	v_pk_add_f32 v[38:39], v[38:39], v[64:65] neg_lo:[0,1] neg_hi:[0,1]
	v_sub_f32_e32 v37, v66, v37
	v_add_f32_e32 v37, v38, v37
	v_add_f32_e32 v37, v37, v39
	;; [unrolled: 1-line block ×3, first 2 shown]
	s_or_b64 s[8:9], s[8:9], s[14:15]
	v_cndmask_b32_e64 v37, v37, v53, s[8:9]
	v_add_f32_e32 v37, v25, v37
.LBB479_280:
	s_or_b64 exec, exec, s[10:11]
	v_bfe_u32 v25, v37, 16, 1
	s_movk_i32 s14, 0x7fff
	v_add3_u32 v25, v37, v25, s14
	v_and_b32_e32 v38, 0xffff0000, v25
	v_mov_b32_e32 v25, 0x7fc00000
	v_cmp_o_f32_e64 s[8:9], v37, v37
	v_lshlrev_b32_sdwa v7, v7, v26 dst_sel:DWORD dst_unused:UNUSED_PAD src0_sel:DWORD src1_sel:WORD_0
	v_max_f32_e32 v37, v7, v7
	v_cndmask_b32_e64 v39, v25, v38, s[8:9]
	v_max_f32_e32 v38, v39, v39
	v_min_f32_e32 v48, v38, v37
	v_cmp_u_f32_e64 s[10:11], v39, v39
	v_max_f32_e32 v38, v38, v37
	v_cmp_u_f32_e64 s[8:9], v7, v7
	v_cndmask_b32_e64 v48, v48, v39, s[10:11]
	v_cndmask_b32_e64 v38, v38, v39, s[10:11]
	;; [unrolled: 1-line block ×4, first 2 shown]
	v_cmp_neq_f32_e64 s[10:11], v48, v38
	v_cmp_class_f32_e64 s[12:13], v48, s12
	s_or_b64 s[10:11], s[10:11], s[12:13]
	s_and_saveexec_b64 s[12:13], s[10:11]
	s_cbranch_execz .LBB479_282
; %bb.281:
	v_sub_f32_e32 v39, v48, v38
	s_mov_b32 s10, 0x3fb8aa3b
	v_mul_f32_e32 v48, 0x3fb8aa3b, v39
	v_fma_f32 v49, v39, s10, -v48
	v_rndne_f32_e32 v50, v48
	v_fmamk_f32 v49, v39, 0x32a5705f, v49
	v_sub_f32_e32 v48, v48, v50
	v_add_f32_e32 v48, v48, v49
	v_exp_f32_e32 v48, v48
	v_cvt_i32_f32_e32 v49, v50
	s_mov_b32 s10, 0xc2ce8ed0
	v_cmp_ngt_f32_e64 s[10:11], s10, v39
	s_mov_b32 s15, 0x7f800000
	v_ldexp_f32 v48, v48, v49
	v_cndmask_b32_e64 v48, 0, v48, s[10:11]
	s_mov_b32 s10, 0x42b17218
	v_mov_b32_e32 v49, 0x7f800000
	v_cmp_nlt_f32_e64 s[10:11], s10, v39
	s_nop 1
	v_cndmask_b32_e64 v53, v49, v48, s[10:11]
	v_add_f32_e32 v39, 1.0, v53
	v_add_f32_e32 v48, -1.0, v39
	v_sub_f32_e32 v49, v48, v39
	v_add_f32_e32 v49, 1.0, v49
	v_sub_f32_e32 v48, v53, v48
	v_add_f32_e32 v50, v48, v49
	v_frexp_mant_f32_e32 v51, v39
	s_mov_b32 s10, 0x3f2aaaab
	v_cvt_f64_f32_e32 v[48:49], v39
	v_frexp_exp_i32_f64_e32 v48, v[48:49]
	v_cmp_gt_f32_e64 s[10:11], s10, v51
	s_nop 1
	v_subbrev_co_u32_e64 v66, s[10:11], 0, v48, s[10:11]
	v_sub_u32_e32 v48, 0, v66
	v_ldexp_f32 v39, v39, v48
	v_ldexp_f32 v48, v50, v48
	v_add_f32_e32 v50, -1.0, v39
	v_add_f32_e32 v49, 1.0, v50
	v_sub_f32_e32 v49, v39, v49
	v_add_f32_e32 v51, v48, v49
	v_add_f32_e32 v49, 1.0, v39
	v_add_f32_e32 v54, -1.0, v49
	v_sub_f32_e32 v39, v39, v54
	v_add_f32_e32 v39, v48, v39
	v_add_f32_e32 v67, v49, v39
	v_rcp_f32_e32 v68, v67
	v_sub_f32_e32 v48, v49, v67
	v_add_f32_e32 v49, v50, v51
	v_add_f32_e32 v39, v39, v48
	v_mul_f32_e32 v70, v49, v68
	v_sub_f32_e32 v48, v50, v49
	v_mul_f32_e32 v50, v67, v70
	v_fma_f32 v54, v70, v67, -v50
	v_fmac_f32_e32 v54, v70, v39
	v_add_f32_e32 v69, v51, v48
	v_add_f32_e32 v48, v50, v54
	v_sub_f32_e32 v51, v49, v48
	v_pk_add_f32 v[64:65], v[48:49], v[50:51] neg_lo:[0,1] neg_hi:[0,1]
	v_mov_b32_e32 v55, v48
	v_pk_add_f32 v[48:49], v[64:65], v[54:55] neg_lo:[0,1] neg_hi:[0,1]
	s_mov_b32 s10, 0x3f317218
	v_add_f32_e32 v49, v69, v49
	v_add_f32_e32 v48, v48, v49
	;; [unrolled: 1-line block ×3, first 2 shown]
	v_mul_f32_e32 v69, v68, v49
	v_mul_f32_e32 v50, v67, v69
	v_fma_f32 v54, v69, v67, -v50
	v_fmac_f32_e32 v54, v69, v39
	v_sub_f32_e32 v39, v51, v49
	v_add_f32_e32 v39, v48, v39
	v_add_f32_e32 v48, v50, v54
	v_sub_f32_e32 v51, v49, v48
	v_pk_add_f32 v[64:65], v[48:49], v[50:51] neg_lo:[0,1] neg_hi:[0,1]
	v_mov_b32_e32 v55, v48
	v_pk_add_f32 v[48:49], v[64:65], v[54:55] neg_lo:[0,1] neg_hi:[0,1]
	v_cvt_f32_i32_e32 v50, v66
	v_add_f32_e32 v39, v39, v49
	v_add_f32_e32 v39, v48, v39
	;; [unrolled: 1-line block ×4, first 2 shown]
	v_sub_f32_e32 v49, v48, v70
	v_mul_f32_e32 v39, v68, v39
	v_sub_f32_e32 v49, v69, v49
	v_add_f32_e32 v39, v49, v39
	v_add_f32_e32 v51, v48, v39
	v_mul_f32_e32 v54, v51, v51
	v_mov_b32_e32 v49, 0x3ecc95a3
	v_fmac_f32_e32 v49, 0x3e9b6dac, v54
	v_sub_f32_e32 v48, v51, v48
	v_fmaak_f32 v49, v54, v49, 0x3f2aaada
	v_sub_f32_e32 v39, v39, v48
	v_ldexp_f32 v55, v51, 1
	v_mul_f32_e32 v51, v51, v54
	v_mov_b32_e32 v48, 0x3f317218
	v_pk_mul_f32 v[48:49], v[50:51], v[48:49]
	v_ldexp_f32 v39, v39, 1
	v_fma_f32 v51, v50, s10, -v48
	v_fmamk_f32 v54, v50, 0xb102e308, v51
	v_pk_add_f32 v[50:51], v[48:49], v[54:55]
	v_mov_b32_e32 v64, v48
	v_sub_f32_e32 v55, v51, v55
	v_sub_f32_e32 v55, v49, v55
	v_add_f32_e32 v65, v39, v55
	v_pk_add_f32 v[48:49], v[50:51], v[48:49] neg_lo:[0,1] neg_hi:[0,1]
	v_pk_add_f32 v[66:67], v[50:51], v[64:65]
	v_mov_b32_e32 v55, v50
	v_mov_b32_e32 v49, v67
	v_pk_add_f32 v[68:69], v[54:55], v[48:49] neg_lo:[0,1] neg_hi:[0,1]
	v_pk_add_f32 v[48:49], v[54:55], v[48:49]
	v_mov_b32_e32 v64, v65
	v_mov_b32_e32 v54, v49
	v_pk_add_f32 v[70:71], v[54:55], v[50:51] neg_lo:[0,1] neg_hi:[0,1]
	v_mov_b32_e32 v48, v67
	v_mov_b32_e32 v39, v70
	v_pk_add_f32 v[80:81], v[66:67], v[38:39] neg_lo:[0,1] neg_hi:[0,1]
	v_mov_b32_e32 v66, v51
	v_mov_b32_e32 v67, v70
	;; [unrolled: 1-line block ×3, first 2 shown]
	v_pk_add_f32 v[48:49], v[48:49], v[66:67] neg_lo:[0,1] neg_hi:[0,1]
	v_mov_b32_e32 v65, v50
	v_pk_add_f32 v[48:49], v[64:65], v[48:49] neg_lo:[0,1] neg_hi:[0,1]
	v_mov_b32_e32 v80, v68
	v_pk_add_f32 v[50:51], v[80:81], v[48:49]
	v_cmp_eq_f32_e64 s[10:11], s15, v53
	v_mov_b32_e32 v64, v51
	v_pk_add_f32 v[64:65], v[50:51], v[64:65]
	s_mov_b32 s15, 0x33800000
	v_pk_add_f32 v[54:55], v[54:55], v[64:65]
	v_mov_b32_e32 v49, v64
	v_mov_b32_e32 v51, v54
	v_pk_add_f32 v[66:67], v[50:51], v[68:69] neg_lo:[0,1] neg_hi:[0,1]
	v_cmp_lt_f32_e64 s[16:17], |v53|, s15
	v_sub_f32_e32 v39, v50, v66
	v_pk_add_f32 v[48:49], v[48:49], v[66:67] neg_lo:[0,1] neg_hi:[0,1]
	v_sub_f32_e32 v39, v68, v39
	v_add_f32_e32 v39, v48, v39
	v_add_f32_e32 v39, v39, v49
	;; [unrolled: 1-line block ×3, first 2 shown]
	s_or_b64 s[10:11], s[10:11], s[16:17]
	v_cndmask_b32_e64 v39, v39, v53, s[10:11]
	v_add_f32_e32 v39, v38, v39
.LBB479_282:
	s_or_b64 exec, exec, s[12:13]
	v_bfe_u32 v38, v39, 16, 1
	v_add3_u32 v38, v39, v38, s14
	v_and_b32_e32 v38, 0xffff0000, v38
	v_cmp_o_f32_e64 s[10:11], v39, v39
	v_mov_b32_e32 v39, 16
	s_movk_i32 s16, 0x1f8
	v_cndmask_b32_e64 v49, v25, v38, s[10:11]
	v_lshlrev_b32_sdwa v25, v39, v26 dst_sel:DWORD dst_unused:UNUSED_PAD src0_sel:DWORD src1_sel:WORD_1
	v_max_f32_e32 v26, v49, v49
	v_max_f32_e32 v38, v25, v25
	v_min_f32_e32 v48, v26, v38
	v_cmp_u_f32_e64 s[12:13], v49, v49
	v_max_f32_e32 v26, v26, v38
	v_cmp_u_f32_e64 s[10:11], v25, v25
	v_cndmask_b32_e64 v48, v48, v49, s[12:13]
	v_cndmask_b32_e64 v26, v26, v49, s[12:13]
	;; [unrolled: 1-line block ×4, first 2 shown]
	v_cmp_neq_f32_e64 s[12:13], v48, v26
	v_cmp_class_f32_e64 s[14:15], v48, s16
	s_or_b64 s[12:13], s[12:13], s[14:15]
	s_and_saveexec_b64 s[14:15], s[12:13]
	s_cbranch_execz .LBB479_284
; %bb.283:
	v_sub_f32_e32 v48, v48, v26
	s_mov_b32 s12, 0x3fb8aa3b
	v_mul_f32_e32 v49, 0x3fb8aa3b, v48
	v_fma_f32 v50, v48, s12, -v49
	v_rndne_f32_e32 v51, v49
	v_fmamk_f32 v50, v48, 0x32a5705f, v50
	v_sub_f32_e32 v49, v49, v51
	v_add_f32_e32 v49, v49, v50
	v_exp_f32_e32 v49, v49
	v_cvt_i32_f32_e32 v50, v51
	s_mov_b32 s12, 0xc2ce8ed0
	v_cmp_ngt_f32_e64 s[12:13], s12, v48
	s_mov_b32 s17, 0x7f800000
	v_ldexp_f32 v49, v49, v50
	v_cndmask_b32_e64 v49, 0, v49, s[12:13]
	s_mov_b32 s12, 0x42b17218
	v_mov_b32_e32 v50, 0x7f800000
	v_cmp_nlt_f32_e64 s[12:13], s12, v48
	s_nop 1
	v_cndmask_b32_e64 v82, v50, v49, s[12:13]
	v_add_f32_e32 v50, 1.0, v82
	v_add_f32_e32 v48, -1.0, v50
	v_sub_f32_e32 v49, v48, v50
	v_add_f32_e32 v49, 1.0, v49
	v_sub_f32_e32 v48, v82, v48
	v_add_f32_e32 v51, v48, v49
	v_frexp_mant_f32_e32 v53, v50
	s_mov_b32 s12, 0x3f2aaaab
	v_cvt_f64_f32_e32 v[48:49], v50
	v_frexp_exp_i32_f64_e32 v48, v[48:49]
	v_cmp_gt_f32_e64 s[12:13], s12, v53
	s_nop 1
	v_subbrev_co_u32_e64 v53, s[12:13], 0, v48, s[12:13]
	v_sub_u32_e32 v48, 0, v53
	v_ldexp_f32 v49, v50, v48
	v_add_f32_e32 v50, -1.0, v49
	v_add_f32_e32 v54, 1.0, v49
	v_ldexp_f32 v48, v51, v48
	v_add_f32_e32 v51, 1.0, v50
	v_add_f32_e32 v55, -1.0, v54
	v_sub_f32_e32 v51, v49, v51
	v_sub_f32_e32 v49, v49, v55
	v_add_f32_e32 v51, v48, v51
	v_add_f32_e32 v48, v48, v49
	;; [unrolled: 1-line block ×3, first 2 shown]
	v_rcp_f32_e32 v68, v66
	v_sub_f32_e32 v49, v54, v66
	v_add_f32_e32 v67, v48, v49
	v_add_f32_e32 v49, v50, v51
	v_mul_f32_e32 v70, v49, v68
	v_sub_f32_e32 v48, v50, v49
	v_mul_f32_e32 v50, v66, v70
	v_fma_f32 v54, v70, v66, -v50
	v_fmac_f32_e32 v54, v70, v67
	v_add_f32_e32 v69, v51, v48
	v_add_f32_e32 v48, v50, v54
	v_sub_f32_e32 v51, v49, v48
	v_pk_add_f32 v[64:65], v[48:49], v[50:51] neg_lo:[0,1] neg_hi:[0,1]
	v_mov_b32_e32 v55, v48
	v_pk_add_f32 v[48:49], v[64:65], v[54:55] neg_lo:[0,1] neg_hi:[0,1]
	s_mov_b32 s12, 0x3f317218
	v_add_f32_e32 v49, v69, v49
	v_add_f32_e32 v48, v48, v49
	;; [unrolled: 1-line block ×3, first 2 shown]
	v_mul_f32_e32 v69, v68, v49
	v_mul_f32_e32 v50, v66, v69
	v_fma_f32 v54, v69, v66, -v50
	v_fmac_f32_e32 v54, v69, v67
	v_sub_f32_e32 v51, v51, v49
	v_add_f32_e32 v66, v48, v51
	v_add_f32_e32 v48, v50, v54
	v_sub_f32_e32 v51, v49, v48
	v_pk_add_f32 v[64:65], v[48:49], v[50:51] neg_lo:[0,1] neg_hi:[0,1]
	v_mov_b32_e32 v55, v48
	v_pk_add_f32 v[48:49], v[64:65], v[54:55] neg_lo:[0,1] neg_hi:[0,1]
	v_cvt_f32_i32_e32 v50, v53
	v_add_f32_e32 v49, v66, v49
	v_add_f32_e32 v48, v48, v49
	;; [unrolled: 1-line block ×4, first 2 shown]
	v_sub_f32_e32 v49, v51, v70
	v_mul_f32_e32 v48, v68, v48
	v_sub_f32_e32 v49, v69, v49
	v_add_f32_e32 v48, v49, v48
	v_add_f32_e32 v54, v51, v48
	v_mul_f32_e32 v64, v54, v54
	v_mov_b32_e32 v49, 0x3ecc95a3
	v_sub_f32_e32 v51, v54, v51
	v_fmac_f32_e32 v49, 0x3e9b6dac, v64
	v_sub_f32_e32 v48, v48, v51
	v_fmaak_f32 v49, v64, v49, 0x3f2aaada
	v_ldexp_f32 v53, v48, 1
	v_mul_f32_e32 v51, v54, v64
	v_mov_b32_e32 v48, 0x3f317218
	v_pk_mul_f32 v[48:49], v[50:51], v[48:49]
	v_ldexp_f32 v55, v54, 1
	v_fma_f32 v51, v50, s12, -v48
	v_fmamk_f32 v54, v50, 0xb102e308, v51
	v_pk_add_f32 v[50:51], v[48:49], v[54:55]
	v_mov_b32_e32 v64, v48
	v_sub_f32_e32 v55, v51, v55
	v_sub_f32_e32 v55, v49, v55
	v_add_f32_e32 v65, v53, v55
	v_pk_add_f32 v[48:49], v[50:51], v[48:49] neg_lo:[0,1] neg_hi:[0,1]
	v_pk_add_f32 v[66:67], v[50:51], v[64:65]
	v_mov_b32_e32 v55, v50
	v_mov_b32_e32 v49, v67
	v_pk_add_f32 v[68:69], v[54:55], v[48:49] neg_lo:[0,1] neg_hi:[0,1]
	v_pk_add_f32 v[48:49], v[54:55], v[48:49]
	v_mov_b32_e32 v64, v65
	v_mov_b32_e32 v54, v49
	v_pk_add_f32 v[70:71], v[54:55], v[50:51] neg_lo:[0,1] neg_hi:[0,1]
	v_mov_b32_e32 v48, v67
	v_mov_b32_e32 v53, v70
	v_pk_add_f32 v[80:81], v[66:67], v[52:53] neg_lo:[0,1] neg_hi:[0,1]
	v_mov_b32_e32 v66, v51
	v_mov_b32_e32 v67, v70
	;; [unrolled: 1-line block ×3, first 2 shown]
	v_pk_add_f32 v[48:49], v[48:49], v[66:67] neg_lo:[0,1] neg_hi:[0,1]
	v_mov_b32_e32 v65, v50
	v_pk_add_f32 v[48:49], v[64:65], v[48:49] neg_lo:[0,1] neg_hi:[0,1]
	v_mov_b32_e32 v80, v68
	v_pk_add_f32 v[50:51], v[80:81], v[48:49]
	v_cmp_eq_f32_e64 s[12:13], s17, v82
	v_mov_b32_e32 v64, v51
	v_pk_add_f32 v[64:65], v[50:51], v[64:65]
	s_mov_b32 s17, 0x33800000
	v_pk_add_f32 v[54:55], v[54:55], v[64:65]
	v_mov_b32_e32 v49, v64
	v_mov_b32_e32 v51, v54
	v_pk_add_f32 v[66:67], v[50:51], v[68:69] neg_lo:[0,1] neg_hi:[0,1]
	v_cmp_lt_f32_e64 s[18:19], |v82|, s17
	v_sub_f32_e32 v50, v50, v66
	v_pk_add_f32 v[48:49], v[48:49], v[66:67] neg_lo:[0,1] neg_hi:[0,1]
	v_sub_f32_e32 v50, v68, v50
	v_add_f32_e32 v48, v48, v50
	v_add_f32_e32 v48, v48, v49
	;; [unrolled: 1-line block ×3, first 2 shown]
	s_or_b64 s[12:13], s[12:13], s[18:19]
	v_cndmask_b32_e64 v48, v48, v82, s[12:13]
	v_add_f32_e32 v49, v26, v48
.LBB479_284:
	s_or_b64 exec, exec, s[14:15]
	v_bfe_u32 v26, v49, 16, 1
	s_movk_i32 s18, 0x7fff
	v_add3_u32 v26, v49, v26, s18
	v_and_b32_e32 v26, 0xffff0000, v26
	v_mov_b32_e32 v48, 0x7fc00000
	v_cmp_o_f32_e64 s[12:13], v49, v49
	s_nop 1
	v_cndmask_b32_e64 v50, v48, v26, s[12:13]
	v_lshlrev_b32_sdwa v26, v39, v27 dst_sel:DWORD dst_unused:UNUSED_PAD src0_sel:DWORD src1_sel:WORD_0
	v_max_f32_e32 v49, v50, v50
	v_max_f32_e32 v39, v26, v26
	v_min_f32_e32 v51, v49, v39
	v_cmp_u_f32_e64 s[14:15], v50, v50
	v_max_f32_e32 v49, v49, v39
	v_cmp_u_f32_e64 s[12:13], v26, v26
	v_cndmask_b32_e64 v51, v51, v50, s[14:15]
	v_cndmask_b32_e64 v49, v49, v50, s[14:15]
	v_cndmask_b32_e64 v51, v51, v26, s[12:13]
	v_cndmask_b32_e64 v49, v49, v26, s[12:13]
	v_cmp_neq_f32_e64 s[14:15], v51, v49
	v_cmp_class_f32_e64 s[16:17], v51, s16
	s_or_b64 s[14:15], s[14:15], s[16:17]
	s_and_saveexec_b64 s[16:17], s[14:15]
	s_cbranch_execz .LBB479_286
; %bb.285:
	v_sub_f32_e32 v50, v51, v49
	s_mov_b32 s14, 0x3fb8aa3b
	v_mul_f32_e32 v51, 0x3fb8aa3b, v50
	v_fma_f32 v53, v50, s14, -v51
	v_rndne_f32_e32 v54, v51
	v_fmamk_f32 v53, v50, 0x32a5705f, v53
	v_sub_f32_e32 v51, v51, v54
	v_add_f32_e32 v51, v51, v53
	v_exp_f32_e32 v51, v51
	v_cvt_i32_f32_e32 v53, v54
	s_mov_b32 s14, 0xc2ce8ed0
	v_cmp_ngt_f32_e64 s[14:15], s14, v50
	s_mov_b32 s19, 0x7f800000
	v_ldexp_f32 v51, v51, v53
	v_cndmask_b32_e64 v51, 0, v51, s[14:15]
	s_mov_b32 s14, 0x42b17218
	v_mov_b32_e32 v53, 0x7f800000
	v_cmp_nlt_f32_e64 s[14:15], s14, v50
	s_nop 1
	v_cndmask_b32_e64 v84, v53, v51, s[14:15]
	v_add_f32_e32 v53, 1.0, v84
	v_add_f32_e32 v50, -1.0, v53
	v_sub_f32_e32 v51, v50, v53
	v_add_f32_e32 v51, 1.0, v51
	v_sub_f32_e32 v50, v84, v50
	v_add_f32_e32 v54, v50, v51
	v_frexp_mant_f32_e32 v55, v53
	s_mov_b32 s14, 0x3f2aaaab
	v_cvt_f64_f32_e32 v[50:51], v53
	v_frexp_exp_i32_f64_e32 v50, v[50:51]
	v_cmp_gt_f32_e64 s[14:15], s14, v55
	s_nop 1
	v_subbrev_co_u32_e64 v68, s[14:15], 0, v50, s[14:15]
	v_sub_u32_e32 v50, 0, v68
	v_ldexp_f32 v51, v53, v50
	v_add_f32_e32 v53, -1.0, v51
	v_add_f32_e32 v55, 1.0, v51
	v_ldexp_f32 v50, v54, v50
	v_add_f32_e32 v54, 1.0, v53
	v_add_f32_e32 v64, -1.0, v55
	v_sub_f32_e32 v54, v51, v54
	v_sub_f32_e32 v51, v51, v64
	v_add_f32_e32 v54, v50, v54
	v_add_f32_e32 v50, v50, v51
	;; [unrolled: 1-line block ×3, first 2 shown]
	v_rcp_f32_e32 v71, v69
	v_sub_f32_e32 v51, v55, v69
	v_add_f32_e32 v70, v50, v51
	v_add_f32_e32 v51, v53, v54
	v_sub_f32_e32 v50, v53, v51
	v_mul_f32_e32 v80, v51, v71
	v_add_f32_e32 v53, v54, v50
	v_mul_f32_e32 v54, v69, v80
	v_fma_f32 v64, v80, v69, -v54
	v_fmac_f32_e32 v64, v80, v70
	v_add_f32_e32 v50, v54, v64
	v_sub_f32_e32 v55, v51, v50
	v_pk_add_f32 v[66:67], v[50:51], v[54:55] neg_lo:[0,1] neg_hi:[0,1]
	v_mov_b32_e32 v65, v50
	v_pk_add_f32 v[50:51], v[66:67], v[64:65] neg_lo:[0,1] neg_hi:[0,1]
	s_mov_b32 s14, 0x3f317218
	v_add_f32_e32 v51, v53, v51
	v_add_f32_e32 v50, v50, v51
	;; [unrolled: 1-line block ×3, first 2 shown]
	v_mul_f32_e32 v53, v71, v51
	v_mul_f32_e32 v54, v69, v53
	v_fma_f32 v64, v53, v69, -v54
	v_fmac_f32_e32 v64, v53, v70
	v_sub_f32_e32 v55, v55, v51
	v_add_f32_e32 v69, v50, v55
	v_add_f32_e32 v50, v54, v64
	v_sub_f32_e32 v55, v51, v50
	v_pk_add_f32 v[66:67], v[50:51], v[54:55] neg_lo:[0,1] neg_hi:[0,1]
	v_mov_b32_e32 v65, v50
	v_pk_add_f32 v[50:51], v[66:67], v[64:65] neg_lo:[0,1] neg_hi:[0,1]
	v_cvt_f32_i32_e32 v54, v68
	v_add_f32_e32 v51, v69, v51
	v_add_f32_e32 v50, v50, v51
	;; [unrolled: 1-line block ×4, first 2 shown]
	v_sub_f32_e32 v51, v55, v80
	v_mul_f32_e32 v50, v71, v50
	v_sub_f32_e32 v51, v53, v51
	v_add_f32_e32 v50, v51, v50
	v_add_f32_e32 v53, v55, v50
	v_mul_f32_e32 v64, v53, v53
	v_mov_b32_e32 v51, 0x3ecc95a3
	v_sub_f32_e32 v55, v53, v55
	v_fmac_f32_e32 v51, 0x3e9b6dac, v64
	v_sub_f32_e32 v50, v50, v55
	v_fmaak_f32 v51, v64, v51, 0x3f2aaada
	v_ldexp_f32 v66, v50, 1
	v_mul_f32_e32 v55, v53, v64
	v_mov_b32_e32 v50, 0x3f317218
	v_pk_mul_f32 v[50:51], v[54:55], v[50:51]
	v_ldexp_f32 v65, v53, 1
	v_fma_f32 v53, v54, s14, -v50
	v_fmamk_f32 v64, v54, 0xb102e308, v53
	v_pk_add_f32 v[54:55], v[50:51], v[64:65]
	v_cmp_eq_f32_e64 s[14:15], s19, v84
	v_sub_f32_e32 v53, v55, v65
	v_sub_f32_e32 v53, v51, v53
	v_add_f32_e32 v67, v66, v53
	v_mov_b32_e32 v66, v50
	v_pk_add_f32 v[50:51], v[54:55], v[50:51] neg_lo:[0,1] neg_hi:[0,1]
	v_pk_add_f32 v[68:69], v[54:55], v[66:67]
	v_mov_b32_e32 v65, v54
	v_mov_b32_e32 v51, v69
	v_pk_add_f32 v[70:71], v[64:65], v[50:51] neg_lo:[0,1] neg_hi:[0,1]
	v_pk_add_f32 v[50:51], v[64:65], v[50:51]
	v_mov_b32_e32 v66, v67
	v_mov_b32_e32 v64, v51
	v_pk_add_f32 v[80:81], v[64:65], v[54:55] neg_lo:[0,1] neg_hi:[0,1]
	v_mov_b32_e32 v50, v69
	v_mov_b32_e32 v53, v80
	v_pk_add_f32 v[82:83], v[68:69], v[52:53] neg_lo:[0,1] neg_hi:[0,1]
	v_mov_b32_e32 v68, v55
	v_mov_b32_e32 v69, v80
	;; [unrolled: 1-line block ×3, first 2 shown]
	v_pk_add_f32 v[50:51], v[50:51], v[68:69] neg_lo:[0,1] neg_hi:[0,1]
	v_mov_b32_e32 v67, v54
	v_pk_add_f32 v[50:51], v[66:67], v[50:51] neg_lo:[0,1] neg_hi:[0,1]
	v_mov_b32_e32 v82, v70
	v_pk_add_f32 v[54:55], v[82:83], v[50:51]
	s_mov_b32 s19, 0x33800000
	v_mov_b32_e32 v66, v55
	v_pk_add_f32 v[66:67], v[54:55], v[66:67]
	v_cmp_lt_f32_e64 s[20:21], |v84|, s19
	v_pk_add_f32 v[64:65], v[64:65], v[66:67]
	v_mov_b32_e32 v51, v66
	v_mov_b32_e32 v55, v64
	v_pk_add_f32 v[68:69], v[54:55], v[70:71] neg_lo:[0,1] neg_hi:[0,1]
	s_or_b64 s[14:15], s[14:15], s[20:21]
	v_sub_f32_e32 v53, v54, v68
	v_pk_add_f32 v[50:51], v[50:51], v[68:69] neg_lo:[0,1] neg_hi:[0,1]
	v_sub_f32_e32 v53, v70, v53
	v_add_f32_e32 v50, v50, v53
	v_add_f32_e32 v50, v50, v51
	;; [unrolled: 1-line block ×3, first 2 shown]
	v_cndmask_b32_e64 v50, v50, v84, s[14:15]
	v_add_f32_e32 v50, v49, v50
.LBB479_286:
	s_or_b64 exec, exec, s[16:17]
	v_bfe_u32 v49, v50, 16, 1
	v_add3_u32 v49, v50, v49, s18
	v_and_b32_e32 v49, 0xffff0000, v49
	v_cmp_o_f32_e64 s[14:15], v50, v50
	s_movk_i32 s20, 0x1f8
	s_nop 0
	v_cndmask_b32_e64 v51, v48, v49, s[14:15]
	v_mov_b32_e32 v48, 16
	v_lshlrev_b32_sdwa v27, v48, v27 dst_sel:DWORD dst_unused:UNUSED_PAD src0_sel:DWORD src1_sel:WORD_1
	v_max_f32_e32 v50, v51, v51
	v_max_f32_e32 v49, v27, v27
	v_min_f32_e32 v53, v50, v49
	v_cmp_u_f32_e64 s[16:17], v51, v51
	v_max_f32_e32 v50, v50, v49
	v_cmp_u_f32_e64 s[14:15], v27, v27
	v_cndmask_b32_e64 v53, v53, v51, s[16:17]
	v_cndmask_b32_e64 v50, v50, v51, s[16:17]
	;; [unrolled: 1-line block ×4, first 2 shown]
	v_cmp_neq_f32_e64 s[16:17], v53, v50
	v_cmp_class_f32_e64 s[18:19], v53, s20
	s_or_b64 s[16:17], s[16:17], s[18:19]
	s_and_saveexec_b64 s[18:19], s[16:17]
	s_cbranch_execz .LBB479_288
; %bb.287:
	v_sub_f32_e32 v51, v53, v50
	s_mov_b32 s16, 0x3fb8aa3b
	v_mul_f32_e32 v53, 0x3fb8aa3b, v51
	v_fma_f32 v54, v51, s16, -v53
	v_rndne_f32_e32 v55, v53
	v_fmamk_f32 v54, v51, 0x32a5705f, v54
	v_sub_f32_e32 v53, v53, v55
	v_add_f32_e32 v53, v53, v54
	v_exp_f32_e32 v53, v53
	v_cvt_i32_f32_e32 v54, v55
	s_mov_b32 s16, 0xc2ce8ed0
	v_cmp_ngt_f32_e64 s[16:17], s16, v51
	s_mov_b32 s21, 0x7f800000
	v_ldexp_f32 v53, v53, v54
	v_cndmask_b32_e64 v53, 0, v53, s[16:17]
	s_mov_b32 s16, 0x42b17218
	v_mov_b32_e32 v54, 0x7f800000
	v_cmp_nlt_f32_e64 s[16:17], s16, v51
	s_nop 1
	v_cndmask_b32_e64 v53, v54, v53, s[16:17]
	v_add_f32_e32 v51, 1.0, v53
	v_add_f32_e32 v54, -1.0, v51
	v_sub_f32_e32 v55, v54, v51
	v_add_f32_e32 v55, 1.0, v55
	v_sub_f32_e32 v54, v53, v54
	v_add_f32_e32 v64, v54, v55
	v_frexp_mant_f32_e32 v65, v51
	s_mov_b32 s16, 0x3f2aaaab
	v_cvt_f64_f32_e32 v[54:55], v51
	v_frexp_exp_i32_f64_e32 v54, v[54:55]
	v_cmp_gt_f32_e64 s[16:17], s16, v65
	s_nop 1
	v_subbrev_co_u32_e64 v70, s[16:17], 0, v54, s[16:17]
	v_sub_u32_e32 v54, 0, v70
	v_ldexp_f32 v51, v51, v54
	v_ldexp_f32 v54, v64, v54
	v_add_f32_e32 v64, -1.0, v51
	v_add_f32_e32 v55, 1.0, v64
	v_sub_f32_e32 v55, v51, v55
	v_add_f32_e32 v65, v54, v55
	v_add_f32_e32 v55, 1.0, v51
	v_add_f32_e32 v66, -1.0, v55
	v_sub_f32_e32 v51, v51, v66
	v_add_f32_e32 v51, v54, v51
	v_add_f32_e32 v71, v55, v51
	v_rcp_f32_e32 v80, v71
	v_sub_f32_e32 v54, v55, v71
	v_add_f32_e32 v55, v64, v65
	v_add_f32_e32 v51, v51, v54
	v_mul_f32_e32 v82, v55, v80
	v_sub_f32_e32 v54, v64, v55
	v_mul_f32_e32 v64, v71, v82
	v_fma_f32 v66, v82, v71, -v64
	v_fmac_f32_e32 v66, v82, v51
	v_add_f32_e32 v81, v65, v54
	v_add_f32_e32 v54, v64, v66
	v_sub_f32_e32 v65, v55, v54
	v_pk_add_f32 v[68:69], v[54:55], v[64:65] neg_lo:[0,1] neg_hi:[0,1]
	v_mov_b32_e32 v67, v54
	v_pk_add_f32 v[54:55], v[68:69], v[66:67] neg_lo:[0,1] neg_hi:[0,1]
	s_mov_b32 s16, 0x3f317218
	v_add_f32_e32 v55, v81, v55
	v_add_f32_e32 v54, v54, v55
	v_add_f32_e32 v55, v65, v54
	v_mul_f32_e32 v81, v80, v55
	v_mul_f32_e32 v64, v71, v81
	v_fma_f32 v66, v81, v71, -v64
	v_fmac_f32_e32 v66, v81, v51
	v_sub_f32_e32 v51, v65, v55
	v_add_f32_e32 v51, v54, v51
	v_add_f32_e32 v54, v64, v66
	v_sub_f32_e32 v65, v55, v54
	v_pk_add_f32 v[68:69], v[54:55], v[64:65] neg_lo:[0,1] neg_hi:[0,1]
	v_mov_b32_e32 v67, v54
	v_pk_add_f32 v[54:55], v[68:69], v[66:67] neg_lo:[0,1] neg_hi:[0,1]
	v_cvt_f32_i32_e32 v64, v70
	v_add_f32_e32 v51, v51, v55
	v_add_f32_e32 v51, v54, v51
	;; [unrolled: 1-line block ×4, first 2 shown]
	v_sub_f32_e32 v55, v54, v82
	v_mul_f32_e32 v51, v80, v51
	v_sub_f32_e32 v55, v81, v55
	v_add_f32_e32 v51, v55, v51
	v_add_f32_e32 v65, v54, v51
	v_mul_f32_e32 v66, v65, v65
	v_mov_b32_e32 v55, 0x3ecc95a3
	v_fmac_f32_e32 v55, 0x3e9b6dac, v66
	v_sub_f32_e32 v54, v65, v54
	v_fmaak_f32 v55, v66, v55, 0x3f2aaada
	v_sub_f32_e32 v51, v51, v54
	v_ldexp_f32 v67, v65, 1
	v_mul_f32_e32 v65, v65, v66
	v_mov_b32_e32 v54, 0x3f317218
	v_pk_mul_f32 v[54:55], v[64:65], v[54:55]
	v_ldexp_f32 v51, v51, 1
	v_fma_f32 v65, v64, s16, -v54
	v_fmamk_f32 v66, v64, 0xb102e308, v65
	v_pk_add_f32 v[64:65], v[54:55], v[66:67]
	v_mov_b32_e32 v68, v54
	v_sub_f32_e32 v67, v65, v67
	v_sub_f32_e32 v67, v55, v67
	v_add_f32_e32 v69, v51, v67
	v_pk_add_f32 v[54:55], v[64:65], v[54:55] neg_lo:[0,1] neg_hi:[0,1]
	v_pk_add_f32 v[70:71], v[64:65], v[68:69]
	v_mov_b32_e32 v67, v64
	v_mov_b32_e32 v55, v71
	v_pk_add_f32 v[80:81], v[66:67], v[54:55] neg_lo:[0,1] neg_hi:[0,1]
	v_pk_add_f32 v[54:55], v[66:67], v[54:55]
	v_mov_b32_e32 v68, v69
	v_mov_b32_e32 v66, v55
	v_pk_add_f32 v[82:83], v[66:67], v[64:65] neg_lo:[0,1] neg_hi:[0,1]
	v_mov_b32_e32 v54, v71
	v_mov_b32_e32 v51, v82
	v_pk_add_f32 v[84:85], v[70:71], v[50:51] neg_lo:[0,1] neg_hi:[0,1]
	v_mov_b32_e32 v70, v65
	v_mov_b32_e32 v71, v82
	;; [unrolled: 1-line block ×3, first 2 shown]
	v_pk_add_f32 v[54:55], v[54:55], v[70:71] neg_lo:[0,1] neg_hi:[0,1]
	v_mov_b32_e32 v69, v64
	v_pk_add_f32 v[54:55], v[68:69], v[54:55] neg_lo:[0,1] neg_hi:[0,1]
	v_mov_b32_e32 v84, v80
	v_pk_add_f32 v[64:65], v[84:85], v[54:55]
	v_cmp_eq_f32_e64 s[16:17], s21, v53
	v_mov_b32_e32 v68, v65
	v_pk_add_f32 v[68:69], v[64:65], v[68:69]
	s_mov_b32 s21, 0x33800000
	v_pk_add_f32 v[66:67], v[66:67], v[68:69]
	v_mov_b32_e32 v55, v68
	v_mov_b32_e32 v65, v66
	v_pk_add_f32 v[70:71], v[64:65], v[80:81] neg_lo:[0,1] neg_hi:[0,1]
	v_cmp_lt_f32_e64 s[22:23], |v53|, s21
	v_sub_f32_e32 v51, v64, v70
	v_pk_add_f32 v[54:55], v[54:55], v[70:71] neg_lo:[0,1] neg_hi:[0,1]
	v_sub_f32_e32 v51, v80, v51
	v_add_f32_e32 v51, v54, v51
	v_add_f32_e32 v51, v51, v55
	;; [unrolled: 1-line block ×3, first 2 shown]
	s_or_b64 s[16:17], s[16:17], s[22:23]
	v_cndmask_b32_e64 v51, v51, v53, s[16:17]
	v_add_f32_e32 v51, v50, v51
.LBB479_288:
	s_or_b64 exec, exec, s[18:19]
	v_bfe_u32 v50, v51, 16, 1
	s_movk_i32 s22, 0x7fff
	v_add3_u32 v50, v51, v50, s22
	v_and_b32_e32 v53, 0xffff0000, v50
	v_mov_b32_e32 v50, 0x7fc00000
	v_cmp_o_f32_e64 s[16:17], v51, v51
	v_lshlrev_b32_sdwa v48, v48, v20 dst_sel:DWORD dst_unused:UNUSED_PAD src0_sel:DWORD src1_sel:WORD_0
	v_max_f32_e32 v51, v48, v48
	v_cndmask_b32_e64 v54, v50, v53, s[16:17]
	v_max_f32_e32 v53, v54, v54
	v_min_f32_e32 v55, v53, v51
	v_cmp_u_f32_e64 s[18:19], v54, v54
	v_max_f32_e32 v53, v53, v51
	v_cmp_u_f32_e64 s[16:17], v48, v48
	v_cndmask_b32_e64 v55, v55, v54, s[18:19]
	v_cndmask_b32_e64 v53, v53, v54, s[18:19]
	;; [unrolled: 1-line block ×4, first 2 shown]
	v_cmp_neq_f32_e64 s[18:19], v55, v53
	v_cmp_class_f32_e64 s[20:21], v55, s20
	s_or_b64 s[18:19], s[18:19], s[20:21]
	s_and_saveexec_b64 s[20:21], s[18:19]
	s_cbranch_execz .LBB479_290
; %bb.289:
	v_sub_f32_e32 v54, v55, v53
	s_mov_b32 s18, 0x3fb8aa3b
	v_mul_f32_e32 v55, 0x3fb8aa3b, v54
	v_fma_f32 v64, v54, s18, -v55
	v_rndne_f32_e32 v65, v55
	v_fmamk_f32 v64, v54, 0x32a5705f, v64
	v_sub_f32_e32 v55, v55, v65
	v_add_f32_e32 v55, v55, v64
	v_exp_f32_e32 v55, v55
	v_cvt_i32_f32_e32 v64, v65
	s_mov_b32 s18, 0xc2ce8ed0
	v_cmp_ngt_f32_e64 s[18:19], s18, v54
	s_mov_b32 s23, 0x7f800000
	v_ldexp_f32 v55, v55, v64
	v_cndmask_b32_e64 v55, 0, v55, s[18:19]
	s_mov_b32 s18, 0x42b17218
	v_mov_b32_e32 v64, 0x7f800000
	v_cmp_nlt_f32_e64 s[18:19], s18, v54
	s_nop 1
	v_cndmask_b32_e64 v86, v64, v55, s[18:19]
	v_add_f32_e32 v64, 1.0, v86
	v_add_f32_e32 v54, -1.0, v64
	v_sub_f32_e32 v55, v54, v64
	v_add_f32_e32 v55, 1.0, v55
	v_sub_f32_e32 v54, v86, v54
	v_add_f32_e32 v65, v54, v55
	v_frexp_mant_f32_e32 v66, v64
	s_mov_b32 s18, 0x3f2aaaab
	v_cvt_f64_f32_e32 v[54:55], v64
	v_frexp_exp_i32_f64_e32 v54, v[54:55]
	v_cmp_gt_f32_e64 s[18:19], s18, v66
	s_nop 1
	v_subbrev_co_u32_e64 v70, s[18:19], 0, v54, s[18:19]
	v_sub_u32_e32 v54, 0, v70
	v_ldexp_f32 v55, v64, v54
	v_add_f32_e32 v64, -1.0, v55
	v_add_f32_e32 v66, 1.0, v55
	v_ldexp_f32 v54, v65, v54
	v_add_f32_e32 v65, 1.0, v64
	v_add_f32_e32 v67, -1.0, v66
	v_sub_f32_e32 v65, v55, v65
	v_sub_f32_e32 v55, v55, v67
	v_add_f32_e32 v65, v54, v65
	v_add_f32_e32 v54, v54, v55
	;; [unrolled: 1-line block ×3, first 2 shown]
	v_rcp_f32_e32 v81, v71
	v_sub_f32_e32 v55, v66, v71
	v_add_f32_e32 v80, v54, v55
	v_add_f32_e32 v55, v64, v65
	v_mul_f32_e32 v83, v55, v81
	v_sub_f32_e32 v54, v64, v55
	v_mul_f32_e32 v64, v71, v83
	v_fma_f32 v66, v83, v71, -v64
	v_fmac_f32_e32 v66, v83, v80
	v_add_f32_e32 v82, v65, v54
	v_add_f32_e32 v54, v64, v66
	v_sub_f32_e32 v65, v55, v54
	v_pk_add_f32 v[68:69], v[54:55], v[64:65] neg_lo:[0,1] neg_hi:[0,1]
	v_mov_b32_e32 v67, v54
	v_pk_add_f32 v[54:55], v[68:69], v[66:67] neg_lo:[0,1] neg_hi:[0,1]
	s_mov_b32 s18, 0x3f317218
	v_add_f32_e32 v55, v82, v55
	v_add_f32_e32 v54, v54, v55
	;; [unrolled: 1-line block ×3, first 2 shown]
	v_mul_f32_e32 v82, v81, v55
	v_mul_f32_e32 v64, v71, v82
	v_fma_f32 v66, v82, v71, -v64
	v_fmac_f32_e32 v66, v82, v80
	v_sub_f32_e32 v65, v65, v55
	v_add_f32_e32 v71, v54, v65
	v_add_f32_e32 v54, v64, v66
	v_sub_f32_e32 v65, v55, v54
	v_pk_add_f32 v[68:69], v[54:55], v[64:65] neg_lo:[0,1] neg_hi:[0,1]
	v_mov_b32_e32 v67, v54
	v_pk_add_f32 v[54:55], v[68:69], v[66:67] neg_lo:[0,1] neg_hi:[0,1]
	v_cvt_f32_i32_e32 v64, v70
	v_add_f32_e32 v55, v71, v55
	v_add_f32_e32 v54, v54, v55
	v_add_f32_e32 v54, v65, v54
	v_add_f32_e32 v65, v83, v82
	v_sub_f32_e32 v55, v65, v83
	v_mul_f32_e32 v54, v81, v54
	v_sub_f32_e32 v55, v82, v55
	v_add_f32_e32 v54, v55, v54
	v_add_f32_e32 v66, v65, v54
	v_mul_f32_e32 v68, v66, v66
	v_mov_b32_e32 v55, 0x3ecc95a3
	v_sub_f32_e32 v65, v66, v65
	v_fmac_f32_e32 v55, 0x3e9b6dac, v68
	v_sub_f32_e32 v54, v54, v65
	v_fmaak_f32 v55, v68, v55, 0x3f2aaada
	v_ldexp_f32 v69, v54, 1
	v_mul_f32_e32 v65, v66, v68
	v_mov_b32_e32 v54, 0x3f317218
	v_pk_mul_f32 v[54:55], v[64:65], v[54:55]
	v_ldexp_f32 v67, v66, 1
	v_fma_f32 v65, v64, s18, -v54
	v_fmamk_f32 v66, v64, 0xb102e308, v65
	v_pk_add_f32 v[64:65], v[54:55], v[66:67]
	v_mov_b32_e32 v68, v54
	v_sub_f32_e32 v67, v65, v67
	v_sub_f32_e32 v67, v55, v67
	v_add_f32_e32 v69, v69, v67
	v_pk_add_f32 v[54:55], v[64:65], v[54:55] neg_lo:[0,1] neg_hi:[0,1]
	v_pk_add_f32 v[70:71], v[64:65], v[68:69]
	v_mov_b32_e32 v67, v64
	v_mov_b32_e32 v55, v71
	v_pk_add_f32 v[80:81], v[66:67], v[54:55] neg_lo:[0,1] neg_hi:[0,1]
	v_pk_add_f32 v[54:55], v[66:67], v[54:55]
	v_mov_b32_e32 v68, v69
	v_mov_b32_e32 v66, v55
	v_pk_add_f32 v[82:83], v[66:67], v[64:65] neg_lo:[0,1] neg_hi:[0,1]
	v_mov_b32_e32 v54, v71
	v_mov_b32_e32 v67, v82
	v_pk_add_f32 v[84:85], v[70:71], v[66:67] neg_lo:[0,1] neg_hi:[0,1]
	v_mov_b32_e32 v70, v65
	v_mov_b32_e32 v71, v82
	;; [unrolled: 1-line block ×3, first 2 shown]
	v_pk_add_f32 v[54:55], v[54:55], v[70:71] neg_lo:[0,1] neg_hi:[0,1]
	v_mov_b32_e32 v69, v64
	v_pk_add_f32 v[54:55], v[68:69], v[54:55] neg_lo:[0,1] neg_hi:[0,1]
	v_mov_b32_e32 v84, v80
	v_pk_add_f32 v[64:65], v[84:85], v[54:55]
	v_cmp_eq_f32_e64 s[18:19], s23, v86
	v_mov_b32_e32 v68, v65
	v_pk_add_f32 v[68:69], v[64:65], v[68:69]
	s_mov_b32 s23, 0x33800000
	v_pk_add_f32 v[66:67], v[66:67], v[68:69]
	v_mov_b32_e32 v55, v68
	v_mov_b32_e32 v65, v66
	v_pk_add_f32 v[70:71], v[64:65], v[80:81] neg_lo:[0,1] neg_hi:[0,1]
	v_cmp_lt_f32_e64 s[24:25], |v86|, s23
	v_sub_f32_e32 v64, v64, v70
	v_pk_add_f32 v[54:55], v[54:55], v[70:71] neg_lo:[0,1] neg_hi:[0,1]
	v_sub_f32_e32 v64, v80, v64
	v_add_f32_e32 v54, v54, v64
	v_add_f32_e32 v54, v54, v55
	;; [unrolled: 1-line block ×3, first 2 shown]
	s_or_b64 s[18:19], s[18:19], s[24:25]
	v_cndmask_b32_e64 v54, v54, v86, s[18:19]
	v_add_f32_e32 v54, v53, v54
.LBB479_290:
	s_or_b64 exec, exec, s[20:21]
	v_bfe_u32 v53, v54, 16, 1
	v_add3_u32 v53, v54, v53, s22
	v_and_b32_e32 v53, 0xffff0000, v53
	v_cmp_o_f32_e64 s[18:19], v54, v54
	s_movk_i32 s24, 0x1f8
	s_nop 0
	v_cndmask_b32_e64 v55, v50, v53, s[18:19]
	v_mov_b32_e32 v50, 16
	v_lshlrev_b32_sdwa v20, v50, v20 dst_sel:DWORD dst_unused:UNUSED_PAD src0_sel:DWORD src1_sel:WORD_1
	v_max_f32_e32 v54, v55, v55
	v_max_f32_e32 v53, v20, v20
	v_min_f32_e32 v64, v54, v53
	v_cmp_u_f32_e64 s[20:21], v55, v55
	v_max_f32_e32 v54, v54, v53
	v_cmp_u_f32_e64 s[18:19], v20, v20
	v_cndmask_b32_e64 v64, v64, v55, s[20:21]
	v_cndmask_b32_e64 v54, v54, v55, s[20:21]
	;; [unrolled: 1-line block ×4, first 2 shown]
	v_cmp_neq_f32_e64 s[20:21], v64, v54
	v_cmp_class_f32_e64 s[22:23], v64, s24
	s_or_b64 s[20:21], s[20:21], s[22:23]
	s_and_saveexec_b64 s[22:23], s[20:21]
	s_cbranch_execz .LBB479_292
; %bb.291:
	v_sub_f32_e32 v55, v64, v54
	s_mov_b32 s20, 0x3fb8aa3b
	v_mul_f32_e32 v64, 0x3fb8aa3b, v55
	v_fma_f32 v65, v55, s20, -v64
	v_rndne_f32_e32 v66, v64
	v_fmamk_f32 v65, v55, 0x32a5705f, v65
	v_sub_f32_e32 v64, v64, v66
	v_add_f32_e32 v64, v64, v65
	v_exp_f32_e32 v64, v64
	v_cvt_i32_f32_e32 v65, v66
	s_mov_b32 s20, 0xc2ce8ed0
	v_cmp_ngt_f32_e64 s[20:21], s20, v55
	s_mov_b32 s25, 0x7f800000
	v_ldexp_f32 v64, v64, v65
	v_cndmask_b32_e64 v64, 0, v64, s[20:21]
	s_mov_b32 s20, 0x42b17218
	v_mov_b32_e32 v65, 0x7f800000
	v_cmp_nlt_f32_e64 s[20:21], s20, v55
	s_nop 1
	v_cndmask_b32_e64 v96, v65, v64, s[20:21]
	v_add_f32_e32 v55, 1.0, v96
	v_add_f32_e32 v64, -1.0, v55
	v_sub_f32_e32 v65, v64, v55
	v_add_f32_e32 v65, 1.0, v65
	v_sub_f32_e32 v64, v96, v64
	v_add_f32_e32 v66, v64, v65
	v_frexp_mant_f32_e32 v67, v55
	s_mov_b32 s20, 0x3f2aaaab
	v_cvt_f64_f32_e32 v[64:65], v55
	v_frexp_exp_i32_f64_e32 v64, v[64:65]
	v_cmp_gt_f32_e64 s[20:21], s20, v67
	s_nop 1
	v_subbrev_co_u32_e64 v80, s[20:21], 0, v64, s[20:21]
	v_sub_u32_e32 v64, 0, v80
	v_ldexp_f32 v55, v55, v64
	v_ldexp_f32 v64, v66, v64
	v_add_f32_e32 v66, -1.0, v55
	v_add_f32_e32 v65, 1.0, v66
	v_sub_f32_e32 v65, v55, v65
	v_add_f32_e32 v67, v64, v65
	v_add_f32_e32 v65, 1.0, v55
	v_add_f32_e32 v68, -1.0, v65
	v_sub_f32_e32 v55, v55, v68
	v_add_f32_e32 v55, v64, v55
	v_add_f32_e32 v81, v65, v55
	v_rcp_f32_e32 v82, v81
	v_sub_f32_e32 v64, v65, v81
	v_add_f32_e32 v65, v66, v67
	v_add_f32_e32 v55, v55, v64
	v_mul_f32_e32 v84, v65, v82
	v_sub_f32_e32 v64, v66, v65
	v_mul_f32_e32 v66, v81, v84
	v_fma_f32 v68, v84, v81, -v66
	v_fmac_f32_e32 v68, v84, v55
	v_add_f32_e32 v83, v67, v64
	v_add_f32_e32 v64, v66, v68
	v_sub_f32_e32 v67, v65, v64
	v_pk_add_f32 v[70:71], v[64:65], v[66:67] neg_lo:[0,1] neg_hi:[0,1]
	v_mov_b32_e32 v69, v64
	v_pk_add_f32 v[64:65], v[70:71], v[68:69] neg_lo:[0,1] neg_hi:[0,1]
	s_mov_b32 s20, 0x3f317218
	v_add_f32_e32 v65, v83, v65
	v_add_f32_e32 v64, v64, v65
	;; [unrolled: 1-line block ×3, first 2 shown]
	v_mul_f32_e32 v83, v82, v65
	v_mul_f32_e32 v66, v81, v83
	v_fma_f32 v68, v83, v81, -v66
	v_fmac_f32_e32 v68, v83, v55
	v_sub_f32_e32 v55, v67, v65
	v_add_f32_e32 v55, v64, v55
	v_add_f32_e32 v64, v66, v68
	v_sub_f32_e32 v67, v65, v64
	v_pk_add_f32 v[70:71], v[64:65], v[66:67] neg_lo:[0,1] neg_hi:[0,1]
	v_mov_b32_e32 v69, v64
	v_pk_add_f32 v[64:65], v[70:71], v[68:69] neg_lo:[0,1] neg_hi:[0,1]
	v_cvt_f32_i32_e32 v66, v80
	v_add_f32_e32 v55, v55, v65
	v_add_f32_e32 v55, v64, v55
	;; [unrolled: 1-line block ×4, first 2 shown]
	v_sub_f32_e32 v65, v64, v84
	v_mul_f32_e32 v55, v82, v55
	v_sub_f32_e32 v65, v83, v65
	v_add_f32_e32 v55, v65, v55
	v_add_f32_e32 v67, v64, v55
	v_mul_f32_e32 v68, v67, v67
	v_mov_b32_e32 v65, 0x3ecc95a3
	v_fmac_f32_e32 v65, 0x3e9b6dac, v68
	v_sub_f32_e32 v64, v67, v64
	v_fmaak_f32 v65, v68, v65, 0x3f2aaada
	v_sub_f32_e32 v55, v55, v64
	v_ldexp_f32 v69, v67, 1
	v_mul_f32_e32 v67, v67, v68
	v_mov_b32_e32 v64, 0x3f317218
	v_pk_mul_f32 v[64:65], v[66:67], v[64:65]
	v_ldexp_f32 v55, v55, 1
	v_fma_f32 v67, v66, s20, -v64
	v_fmamk_f32 v68, v66, 0xb102e308, v67
	v_pk_add_f32 v[66:67], v[64:65], v[68:69]
	v_mov_b32_e32 v70, v64
	v_sub_f32_e32 v69, v67, v69
	v_sub_f32_e32 v69, v65, v69
	v_add_f32_e32 v71, v55, v69
	v_pk_add_f32 v[64:65], v[66:67], v[64:65] neg_lo:[0,1] neg_hi:[0,1]
	v_pk_add_f32 v[80:81], v[66:67], v[70:71]
	v_mov_b32_e32 v69, v66
	v_mov_b32_e32 v65, v81
	v_pk_add_f32 v[82:83], v[68:69], v[64:65] neg_lo:[0,1] neg_hi:[0,1]
	v_pk_add_f32 v[64:65], v[68:69], v[64:65]
	v_mov_b32_e32 v70, v71
	v_mov_b32_e32 v68, v65
	v_pk_add_f32 v[84:85], v[68:69], v[66:67] neg_lo:[0,1] neg_hi:[0,1]
	v_mov_b32_e32 v64, v81
	v_mov_b32_e32 v55, v84
	v_pk_add_f32 v[86:87], v[80:81], v[54:55] neg_lo:[0,1] neg_hi:[0,1]
	v_mov_b32_e32 v80, v67
	v_mov_b32_e32 v81, v84
	;; [unrolled: 1-line block ×3, first 2 shown]
	v_pk_add_f32 v[64:65], v[64:65], v[80:81] neg_lo:[0,1] neg_hi:[0,1]
	v_mov_b32_e32 v71, v66
	v_pk_add_f32 v[64:65], v[70:71], v[64:65] neg_lo:[0,1] neg_hi:[0,1]
	v_mov_b32_e32 v86, v82
	v_pk_add_f32 v[66:67], v[86:87], v[64:65]
	v_cmp_eq_f32_e64 s[20:21], s25, v96
	v_mov_b32_e32 v70, v67
	v_pk_add_f32 v[70:71], v[66:67], v[70:71]
	s_mov_b32 s25, 0x33800000
	v_pk_add_f32 v[68:69], v[68:69], v[70:71]
	v_mov_b32_e32 v65, v70
	v_mov_b32_e32 v67, v68
	v_pk_add_f32 v[80:81], v[66:67], v[82:83] neg_lo:[0,1] neg_hi:[0,1]
	v_cmp_lt_f32_e64 s[26:27], |v96|, s25
	v_sub_f32_e32 v55, v66, v80
	v_pk_add_f32 v[64:65], v[64:65], v[80:81] neg_lo:[0,1] neg_hi:[0,1]
	v_sub_f32_e32 v55, v82, v55
	v_add_f32_e32 v55, v64, v55
	v_add_f32_e32 v55, v55, v65
	;; [unrolled: 1-line block ×3, first 2 shown]
	s_or_b64 s[20:21], s[20:21], s[26:27]
	v_cndmask_b32_e64 v55, v55, v96, s[20:21]
	v_add_f32_e32 v55, v54, v55
.LBB479_292:
	s_or_b64 exec, exec, s[22:23]
	v_bfe_u32 v54, v55, 16, 1
	s_movk_i32 s26, 0x7fff
	v_add3_u32 v54, v55, v54, s26
	v_and_b32_e32 v64, 0xffff0000, v54
	v_mov_b32_e32 v54, 0x7fc00000
	v_cmp_o_f32_e64 s[20:21], v55, v55
	v_lshlrev_b32_sdwa v50, v50, v21 dst_sel:DWORD dst_unused:UNUSED_PAD src0_sel:DWORD src1_sel:WORD_0
	v_max_f32_e32 v55, v50, v50
	v_cndmask_b32_e64 v65, v54, v64, s[20:21]
	v_max_f32_e32 v64, v65, v65
	v_min_f32_e32 v66, v64, v55
	v_cmp_u_f32_e64 s[22:23], v65, v65
	v_max_f32_e32 v64, v64, v55
	v_cmp_u_f32_e64 s[20:21], v50, v50
	v_cndmask_b32_e64 v66, v66, v65, s[22:23]
	v_cndmask_b32_e64 v64, v64, v65, s[22:23]
	;; [unrolled: 1-line block ×4, first 2 shown]
	v_cmp_neq_f32_e64 s[22:23], v66, v64
	v_cmp_class_f32_e64 s[24:25], v66, s24
	s_or_b64 s[22:23], s[22:23], s[24:25]
	s_and_saveexec_b64 s[24:25], s[22:23]
	s_cbranch_execz .LBB479_294
; %bb.293:
	v_sub_f32_e32 v65, v66, v64
	s_mov_b32 s22, 0x3fb8aa3b
	v_mul_f32_e32 v66, 0x3fb8aa3b, v65
	v_fma_f32 v67, v65, s22, -v66
	v_rndne_f32_e32 v68, v66
	v_fmamk_f32 v67, v65, 0x32a5705f, v67
	v_sub_f32_e32 v66, v66, v68
	v_add_f32_e32 v66, v66, v67
	v_exp_f32_e32 v66, v66
	v_cvt_i32_f32_e32 v67, v68
	s_mov_b32 s22, 0xc2ce8ed0
	v_cmp_ngt_f32_e64 s[22:23], s22, v65
	s_mov_b32 s27, 0x7f800000
	v_ldexp_f32 v66, v66, v67
	v_cndmask_b32_e64 v66, 0, v66, s[22:23]
	s_mov_b32 s22, 0x42b17218
	v_mov_b32_e32 v67, 0x7f800000
	v_cmp_nlt_f32_e64 s[22:23], s22, v65
	s_nop 1
	v_cndmask_b32_e64 v101, v67, v66, s[22:23]
	v_add_f32_e32 v65, 1.0, v101
	v_add_f32_e32 v66, -1.0, v65
	v_sub_f32_e32 v67, v66, v65
	v_add_f32_e32 v67, 1.0, v67
	v_sub_f32_e32 v66, v101, v66
	v_add_f32_e32 v68, v66, v67
	v_frexp_mant_f32_e32 v69, v65
	s_mov_b32 s22, 0x3f2aaaab
	v_cvt_f64_f32_e32 v[66:67], v65
	v_frexp_exp_i32_f64_e32 v66, v[66:67]
	v_cmp_gt_f32_e64 s[22:23], s22, v69
	s_nop 1
	v_subbrev_co_u32_e64 v82, s[22:23], 0, v66, s[22:23]
	v_sub_u32_e32 v66, 0, v82
	v_ldexp_f32 v65, v65, v66
	v_ldexp_f32 v66, v68, v66
	v_add_f32_e32 v68, -1.0, v65
	v_add_f32_e32 v67, 1.0, v68
	v_sub_f32_e32 v67, v65, v67
	v_add_f32_e32 v69, v66, v67
	v_add_f32_e32 v67, 1.0, v65
	v_add_f32_e32 v70, -1.0, v67
	v_sub_f32_e32 v65, v65, v70
	v_add_f32_e32 v65, v66, v65
	v_add_f32_e32 v83, v67, v65
	v_rcp_f32_e32 v84, v83
	v_sub_f32_e32 v66, v67, v83
	v_add_f32_e32 v67, v68, v69
	v_add_f32_e32 v65, v65, v66
	v_mul_f32_e32 v86, v67, v84
	v_sub_f32_e32 v66, v68, v67
	v_mul_f32_e32 v68, v83, v86
	v_fma_f32 v70, v86, v83, -v68
	v_fmac_f32_e32 v70, v86, v65
	v_add_f32_e32 v85, v69, v66
	v_add_f32_e32 v66, v68, v70
	v_sub_f32_e32 v69, v67, v66
	v_pk_add_f32 v[80:81], v[66:67], v[68:69] neg_lo:[0,1] neg_hi:[0,1]
	v_mov_b32_e32 v71, v66
	v_pk_add_f32 v[66:67], v[80:81], v[70:71] neg_lo:[0,1] neg_hi:[0,1]
	s_mov_b32 s22, 0x3f317218
	v_add_f32_e32 v67, v85, v67
	v_add_f32_e32 v66, v66, v67
	;; [unrolled: 1-line block ×3, first 2 shown]
	v_mul_f32_e32 v85, v84, v67
	v_mul_f32_e32 v68, v83, v85
	v_fma_f32 v70, v85, v83, -v68
	v_fmac_f32_e32 v70, v85, v65
	v_sub_f32_e32 v65, v69, v67
	v_add_f32_e32 v65, v66, v65
	v_add_f32_e32 v66, v68, v70
	v_sub_f32_e32 v69, v67, v66
	v_pk_add_f32 v[80:81], v[66:67], v[68:69] neg_lo:[0,1] neg_hi:[0,1]
	v_mov_b32_e32 v71, v66
	v_pk_add_f32 v[66:67], v[80:81], v[70:71] neg_lo:[0,1] neg_hi:[0,1]
	v_cvt_f32_i32_e32 v68, v82
	v_add_f32_e32 v65, v65, v67
	v_add_f32_e32 v65, v66, v65
	;; [unrolled: 1-line block ×4, first 2 shown]
	v_sub_f32_e32 v67, v66, v86
	v_mul_f32_e32 v65, v84, v65
	v_sub_f32_e32 v67, v85, v67
	v_add_f32_e32 v65, v67, v65
	v_add_f32_e32 v69, v66, v65
	v_mul_f32_e32 v70, v69, v69
	v_mov_b32_e32 v67, 0x3ecc95a3
	v_fmac_f32_e32 v67, 0x3e9b6dac, v70
	v_sub_f32_e32 v66, v69, v66
	v_fmaak_f32 v67, v70, v67, 0x3f2aaada
	v_sub_f32_e32 v65, v65, v66
	v_ldexp_f32 v71, v69, 1
	v_mul_f32_e32 v69, v69, v70
	v_mov_b32_e32 v66, 0x3f317218
	v_pk_mul_f32 v[66:67], v[68:69], v[66:67]
	v_ldexp_f32 v65, v65, 1
	v_fma_f32 v69, v68, s22, -v66
	v_fmamk_f32 v70, v68, 0xb102e308, v69
	v_pk_add_f32 v[68:69], v[66:67], v[70:71]
	v_mov_b32_e32 v80, v66
	v_sub_f32_e32 v71, v69, v71
	v_sub_f32_e32 v71, v67, v71
	v_add_f32_e32 v81, v65, v71
	v_pk_add_f32 v[66:67], v[68:69], v[66:67] neg_lo:[0,1] neg_hi:[0,1]
	v_pk_add_f32 v[82:83], v[68:69], v[80:81]
	v_mov_b32_e32 v71, v68
	v_mov_b32_e32 v67, v83
	v_pk_add_f32 v[84:85], v[70:71], v[66:67] neg_lo:[0,1] neg_hi:[0,1]
	v_pk_add_f32 v[66:67], v[70:71], v[66:67]
	v_mov_b32_e32 v80, v81
	v_mov_b32_e32 v70, v67
	v_pk_add_f32 v[86:87], v[70:71], v[68:69] neg_lo:[0,1] neg_hi:[0,1]
	v_mov_b32_e32 v66, v83
	v_mov_b32_e32 v65, v86
	v_pk_add_f32 v[96:97], v[82:83], v[64:65] neg_lo:[0,1] neg_hi:[0,1]
	v_mov_b32_e32 v82, v69
	v_mov_b32_e32 v83, v86
	;; [unrolled: 1-line block ×3, first 2 shown]
	v_pk_add_f32 v[66:67], v[66:67], v[82:83] neg_lo:[0,1] neg_hi:[0,1]
	v_mov_b32_e32 v81, v68
	v_pk_add_f32 v[66:67], v[80:81], v[66:67] neg_lo:[0,1] neg_hi:[0,1]
	v_mov_b32_e32 v96, v84
	v_pk_add_f32 v[68:69], v[96:97], v[66:67]
	v_cmp_eq_f32_e64 s[22:23], s27, v101
	v_mov_b32_e32 v80, v69
	v_pk_add_f32 v[80:81], v[68:69], v[80:81]
	s_mov_b32 s27, 0x33800000
	v_pk_add_f32 v[70:71], v[70:71], v[80:81]
	v_mov_b32_e32 v67, v80
	v_mov_b32_e32 v69, v70
	v_pk_add_f32 v[82:83], v[68:69], v[84:85] neg_lo:[0,1] neg_hi:[0,1]
	v_cmp_lt_f32_e64 s[28:29], |v101|, s27
	v_sub_f32_e32 v65, v68, v82
	v_pk_add_f32 v[66:67], v[66:67], v[82:83] neg_lo:[0,1] neg_hi:[0,1]
	v_sub_f32_e32 v65, v84, v65
	v_add_f32_e32 v65, v66, v65
	v_add_f32_e32 v65, v65, v67
	;; [unrolled: 1-line block ×3, first 2 shown]
	s_or_b64 s[22:23], s[22:23], s[28:29]
	v_cndmask_b32_e64 v65, v65, v101, s[22:23]
	v_add_f32_e32 v65, v64, v65
.LBB479_294:
	s_or_b64 exec, exec, s[24:25]
	v_bfe_u32 v64, v65, 16, 1
	v_add3_u32 v64, v65, v64, s26
	v_and_b32_e32 v64, 0xffff0000, v64
	v_cmp_o_f32_e64 s[22:23], v65, v65
	s_movk_i32 s28, 0x1f8
	s_nop 0
	v_cndmask_b32_e64 v66, v54, v64, s[22:23]
	v_mov_b32_e32 v54, 16
	v_lshlrev_b32_sdwa v21, v54, v21 dst_sel:DWORD dst_unused:UNUSED_PAD src0_sel:DWORD src1_sel:WORD_1
	v_max_f32_e32 v65, v66, v66
	v_max_f32_e32 v64, v21, v21
	v_min_f32_e32 v67, v65, v64
	v_cmp_u_f32_e64 s[24:25], v66, v66
	v_max_f32_e32 v65, v65, v64
	v_cmp_u_f32_e64 s[22:23], v21, v21
	v_cndmask_b32_e64 v67, v67, v66, s[24:25]
	v_cndmask_b32_e64 v65, v65, v66, s[24:25]
	;; [unrolled: 1-line block ×4, first 2 shown]
	v_cmp_neq_f32_e64 s[24:25], v67, v65
	v_cmp_class_f32_e64 s[26:27], v67, s28
	s_or_b64 s[24:25], s[24:25], s[26:27]
	s_and_saveexec_b64 s[26:27], s[24:25]
	s_cbranch_execz .LBB479_296
; %bb.295:
	v_sub_f32_e32 v66, v67, v65
	s_mov_b32 s24, 0x3fb8aa3b
	v_mul_f32_e32 v67, 0x3fb8aa3b, v66
	v_fma_f32 v68, v66, s24, -v67
	v_rndne_f32_e32 v69, v67
	v_fmamk_f32 v68, v66, 0x32a5705f, v68
	v_sub_f32_e32 v67, v67, v69
	v_add_f32_e32 v67, v67, v68
	v_exp_f32_e32 v67, v67
	v_cvt_i32_f32_e32 v68, v69
	s_mov_b32 s24, 0xc2ce8ed0
	v_cmp_ngt_f32_e64 s[24:25], s24, v66
	s_mov_b32 s29, 0x7f800000
	v_ldexp_f32 v67, v67, v68
	v_cndmask_b32_e64 v67, 0, v67, s[24:25]
	s_mov_b32 s24, 0x42b17218
	v_mov_b32_e32 v68, 0x7f800000
	v_cmp_nlt_f32_e64 s[24:25], s24, v66
	s_nop 1
	v_cndmask_b32_e64 v101, v68, v67, s[24:25]
	v_add_f32_e32 v68, 1.0, v101
	v_add_f32_e32 v66, -1.0, v68
	v_sub_f32_e32 v67, v66, v68
	v_add_f32_e32 v67, 1.0, v67
	v_sub_f32_e32 v66, v101, v66
	v_add_f32_e32 v69, v66, v67
	v_frexp_mant_f32_e32 v70, v68
	s_mov_b32 s24, 0x3f2aaaab
	v_cvt_f64_f32_e32 v[66:67], v68
	v_frexp_exp_i32_f64_e32 v66, v[66:67]
	v_cmp_gt_f32_e64 s[24:25], s24, v70
	s_nop 1
	v_subbrev_co_u32_e64 v82, s[24:25], 0, v66, s[24:25]
	v_sub_u32_e32 v66, 0, v82
	v_ldexp_f32 v67, v68, v66
	v_add_f32_e32 v68, -1.0, v67
	v_add_f32_e32 v70, 1.0, v67
	v_ldexp_f32 v66, v69, v66
	v_add_f32_e32 v69, 1.0, v68
	v_add_f32_e32 v71, -1.0, v70
	v_sub_f32_e32 v69, v67, v69
	v_sub_f32_e32 v67, v67, v71
	v_add_f32_e32 v69, v66, v69
	v_add_f32_e32 v66, v66, v67
	;; [unrolled: 1-line block ×3, first 2 shown]
	v_rcp_f32_e32 v85, v83
	v_sub_f32_e32 v67, v70, v83
	v_add_f32_e32 v84, v66, v67
	v_add_f32_e32 v67, v68, v69
	v_mul_f32_e32 v87, v67, v85
	v_sub_f32_e32 v66, v68, v67
	v_mul_f32_e32 v68, v83, v87
	v_fma_f32 v70, v87, v83, -v68
	v_fmac_f32_e32 v70, v87, v84
	v_add_f32_e32 v86, v69, v66
	v_add_f32_e32 v66, v68, v70
	v_sub_f32_e32 v69, v67, v66
	v_pk_add_f32 v[80:81], v[66:67], v[68:69] neg_lo:[0,1] neg_hi:[0,1]
	v_mov_b32_e32 v71, v66
	v_pk_add_f32 v[66:67], v[80:81], v[70:71] neg_lo:[0,1] neg_hi:[0,1]
	s_mov_b32 s24, 0x3f317218
	v_add_f32_e32 v67, v86, v67
	v_add_f32_e32 v66, v66, v67
	;; [unrolled: 1-line block ×3, first 2 shown]
	v_mul_f32_e32 v86, v85, v67
	v_mul_f32_e32 v68, v83, v86
	v_fma_f32 v70, v86, v83, -v68
	v_fmac_f32_e32 v70, v86, v84
	v_sub_f32_e32 v69, v69, v67
	v_add_f32_e32 v83, v66, v69
	v_add_f32_e32 v66, v68, v70
	v_sub_f32_e32 v69, v67, v66
	v_pk_add_f32 v[80:81], v[66:67], v[68:69] neg_lo:[0,1] neg_hi:[0,1]
	v_mov_b32_e32 v71, v66
	v_pk_add_f32 v[66:67], v[80:81], v[70:71] neg_lo:[0,1] neg_hi:[0,1]
	v_cvt_f32_i32_e32 v68, v82
	v_add_f32_e32 v67, v83, v67
	v_add_f32_e32 v66, v66, v67
	;; [unrolled: 1-line block ×4, first 2 shown]
	v_sub_f32_e32 v67, v69, v87
	v_mul_f32_e32 v66, v85, v66
	v_sub_f32_e32 v67, v86, v67
	v_add_f32_e32 v66, v67, v66
	v_add_f32_e32 v70, v69, v66
	v_mul_f32_e32 v80, v70, v70
	v_mov_b32_e32 v67, 0x3ecc95a3
	v_sub_f32_e32 v69, v70, v69
	v_fmac_f32_e32 v67, 0x3e9b6dac, v80
	v_sub_f32_e32 v66, v66, v69
	v_fmaak_f32 v67, v80, v67, 0x3f2aaada
	v_ldexp_f32 v81, v66, 1
	v_mul_f32_e32 v69, v70, v80
	v_mov_b32_e32 v66, 0x3f317218
	v_pk_mul_f32 v[66:67], v[68:69], v[66:67]
	v_ldexp_f32 v71, v70, 1
	v_fma_f32 v69, v68, s24, -v66
	v_fmamk_f32 v70, v68, 0xb102e308, v69
	v_pk_add_f32 v[68:69], v[66:67], v[70:71]
	v_mov_b32_e32 v80, v66
	v_sub_f32_e32 v71, v69, v71
	v_sub_f32_e32 v71, v67, v71
	v_add_f32_e32 v81, v81, v71
	v_pk_add_f32 v[66:67], v[68:69], v[66:67] neg_lo:[0,1] neg_hi:[0,1]
	v_pk_add_f32 v[82:83], v[68:69], v[80:81]
	v_mov_b32_e32 v71, v68
	v_mov_b32_e32 v67, v83
	v_pk_add_f32 v[84:85], v[70:71], v[66:67] neg_lo:[0,1] neg_hi:[0,1]
	v_pk_add_f32 v[66:67], v[70:71], v[66:67]
	v_mov_b32_e32 v80, v81
	v_mov_b32_e32 v70, v67
	v_pk_add_f32 v[86:87], v[70:71], v[68:69] neg_lo:[0,1] neg_hi:[0,1]
	v_mov_b32_e32 v66, v83
	v_mov_b32_e32 v71, v86
	v_pk_add_f32 v[96:97], v[82:83], v[70:71] neg_lo:[0,1] neg_hi:[0,1]
	v_mov_b32_e32 v82, v69
	v_mov_b32_e32 v83, v86
	;; [unrolled: 1-line block ×3, first 2 shown]
	v_pk_add_f32 v[66:67], v[66:67], v[82:83] neg_lo:[0,1] neg_hi:[0,1]
	v_mov_b32_e32 v81, v68
	v_pk_add_f32 v[66:67], v[80:81], v[66:67] neg_lo:[0,1] neg_hi:[0,1]
	v_mov_b32_e32 v96, v84
	v_pk_add_f32 v[68:69], v[96:97], v[66:67]
	v_cmp_eq_f32_e64 s[24:25], s29, v101
	v_mov_b32_e32 v80, v69
	v_pk_add_f32 v[80:81], v[68:69], v[80:81]
	s_mov_b32 s29, 0x33800000
	v_pk_add_f32 v[70:71], v[70:71], v[80:81]
	v_mov_b32_e32 v67, v80
	v_mov_b32_e32 v69, v70
	v_pk_add_f32 v[82:83], v[68:69], v[84:85] neg_lo:[0,1] neg_hi:[0,1]
	v_cmp_lt_f32_e64 s[30:31], |v101|, s29
	v_sub_f32_e32 v68, v68, v82
	v_pk_add_f32 v[66:67], v[66:67], v[82:83] neg_lo:[0,1] neg_hi:[0,1]
	v_sub_f32_e32 v68, v84, v68
	v_add_f32_e32 v66, v66, v68
	v_add_f32_e32 v66, v66, v67
	;; [unrolled: 1-line block ×3, first 2 shown]
	s_or_b64 s[24:25], s[24:25], s[30:31]
	v_cndmask_b32_e64 v66, v66, v101, s[24:25]
	v_add_f32_e32 v66, v65, v66
.LBB479_296:
	s_or_b64 exec, exec, s[26:27]
	v_bfe_u32 v65, v66, 16, 1
	s_movk_i32 s30, 0x7fff
	v_add3_u32 v65, v66, v65, s30
	v_and_b32_e32 v67, 0xffff0000, v65
	v_mov_b32_e32 v65, 0x7fc00000
	v_cmp_o_f32_e64 s[24:25], v66, v66
	v_lshlrev_b32_sdwa v54, v54, v22 dst_sel:DWORD dst_unused:UNUSED_PAD src0_sel:DWORD src1_sel:WORD_0
	v_max_f32_e32 v66, v54, v54
	v_cndmask_b32_e64 v68, v65, v67, s[24:25]
	v_max_f32_e32 v67, v68, v68
	v_min_f32_e32 v69, v67, v66
	v_cmp_u_f32_e64 s[26:27], v68, v68
	v_max_f32_e32 v67, v67, v66
	v_cmp_u_f32_e64 s[24:25], v54, v54
	v_cndmask_b32_e64 v69, v69, v68, s[26:27]
	v_cndmask_b32_e64 v67, v67, v68, s[26:27]
	;; [unrolled: 1-line block ×4, first 2 shown]
	v_cmp_neq_f32_e64 s[26:27], v69, v67
	v_cmp_class_f32_e64 s[28:29], v69, s28
	s_or_b64 s[26:27], s[26:27], s[28:29]
	s_and_saveexec_b64 s[28:29], s[26:27]
	s_cbranch_execz .LBB479_298
; %bb.297:
	v_sub_f32_e32 v68, v69, v67
	s_mov_b32 s26, 0x3fb8aa3b
	v_mul_f32_e32 v69, 0x3fb8aa3b, v68
	v_fma_f32 v70, v68, s26, -v69
	v_rndne_f32_e32 v71, v69
	v_fmamk_f32 v70, v68, 0x32a5705f, v70
	v_sub_f32_e32 v69, v69, v71
	v_add_f32_e32 v69, v69, v70
	v_exp_f32_e32 v69, v69
	v_cvt_i32_f32_e32 v70, v71
	s_mov_b32 s26, 0xc2ce8ed0
	v_cmp_ngt_f32_e64 s[26:27], s26, v68
	s_mov_b32 s31, 0x7f800000
	v_ldexp_f32 v69, v69, v70
	v_cndmask_b32_e64 v69, 0, v69, s[26:27]
	s_mov_b32 s26, 0x42b17218
	v_mov_b32_e32 v70, 0x7f800000
	v_cmp_nlt_f32_e64 s[26:27], s26, v68
	s_nop 1
	v_cndmask_b32_e64 v101, v70, v69, s[26:27]
	v_add_f32_e32 v70, 1.0, v101
	v_add_f32_e32 v68, -1.0, v70
	v_sub_f32_e32 v69, v68, v70
	v_add_f32_e32 v69, 1.0, v69
	v_sub_f32_e32 v68, v101, v68
	v_add_f32_e32 v71, v68, v69
	v_frexp_mant_f32_e32 v80, v70
	s_mov_b32 s26, 0x3f2aaaab
	v_cvt_f64_f32_e32 v[68:69], v70
	v_frexp_exp_i32_f64_e32 v68, v[68:69]
	v_cmp_gt_f32_e64 s[26:27], s26, v80
	s_nop 1
	v_subbrev_co_u32_e64 v84, s[26:27], 0, v68, s[26:27]
	v_sub_u32_e32 v68, 0, v84
	v_ldexp_f32 v69, v70, v68
	v_add_f32_e32 v70, -1.0, v69
	v_add_f32_e32 v80, 1.0, v69
	v_ldexp_f32 v68, v71, v68
	v_add_f32_e32 v71, 1.0, v70
	v_add_f32_e32 v81, -1.0, v80
	v_sub_f32_e32 v71, v69, v71
	v_sub_f32_e32 v69, v69, v81
	v_add_f32_e32 v71, v68, v71
	v_add_f32_e32 v68, v68, v69
	;; [unrolled: 1-line block ×3, first 2 shown]
	v_rcp_f32_e32 v87, v85
	v_sub_f32_e32 v69, v80, v85
	v_add_f32_e32 v86, v68, v69
	v_add_f32_e32 v69, v70, v71
	v_mul_f32_e32 v97, v69, v87
	v_sub_f32_e32 v68, v70, v69
	v_mul_f32_e32 v70, v85, v97
	v_fma_f32 v80, v97, v85, -v70
	v_fmac_f32_e32 v80, v97, v86
	v_add_f32_e32 v96, v71, v68
	v_add_f32_e32 v68, v70, v80
	v_sub_f32_e32 v71, v69, v68
	v_pk_add_f32 v[82:83], v[68:69], v[70:71] neg_lo:[0,1] neg_hi:[0,1]
	v_mov_b32_e32 v81, v68
	v_pk_add_f32 v[68:69], v[82:83], v[80:81] neg_lo:[0,1] neg_hi:[0,1]
	s_mov_b32 s26, 0x3f317218
	v_add_f32_e32 v69, v96, v69
	v_add_f32_e32 v68, v68, v69
	;; [unrolled: 1-line block ×3, first 2 shown]
	v_mul_f32_e32 v96, v87, v69
	v_mul_f32_e32 v70, v85, v96
	v_fma_f32 v80, v96, v85, -v70
	v_fmac_f32_e32 v80, v96, v86
	v_sub_f32_e32 v71, v71, v69
	v_add_f32_e32 v85, v68, v71
	v_add_f32_e32 v68, v70, v80
	v_sub_f32_e32 v71, v69, v68
	v_pk_add_f32 v[82:83], v[68:69], v[70:71] neg_lo:[0,1] neg_hi:[0,1]
	v_mov_b32_e32 v81, v68
	v_pk_add_f32 v[68:69], v[82:83], v[80:81] neg_lo:[0,1] neg_hi:[0,1]
	v_cvt_f32_i32_e32 v70, v84
	v_add_f32_e32 v69, v85, v69
	v_add_f32_e32 v68, v68, v69
	;; [unrolled: 1-line block ×4, first 2 shown]
	v_sub_f32_e32 v69, v71, v97
	v_mul_f32_e32 v68, v87, v68
	v_sub_f32_e32 v69, v96, v69
	v_add_f32_e32 v68, v69, v68
	v_add_f32_e32 v80, v71, v68
	v_mul_f32_e32 v82, v80, v80
	v_mov_b32_e32 v69, 0x3ecc95a3
	v_sub_f32_e32 v71, v80, v71
	v_fmac_f32_e32 v69, 0x3e9b6dac, v82
	v_sub_f32_e32 v68, v68, v71
	v_fmaak_f32 v69, v82, v69, 0x3f2aaada
	v_ldexp_f32 v83, v68, 1
	v_mul_f32_e32 v71, v80, v82
	v_mov_b32_e32 v68, 0x3f317218
	v_pk_mul_f32 v[68:69], v[70:71], v[68:69]
	v_ldexp_f32 v81, v80, 1
	v_fma_f32 v71, v70, s26, -v68
	v_fmamk_f32 v80, v70, 0xb102e308, v71
	v_pk_add_f32 v[70:71], v[68:69], v[80:81]
	v_mov_b32_e32 v82, v68
	v_sub_f32_e32 v81, v71, v81
	v_sub_f32_e32 v81, v69, v81
	v_add_f32_e32 v83, v83, v81
	v_pk_add_f32 v[68:69], v[70:71], v[68:69] neg_lo:[0,1] neg_hi:[0,1]
	v_pk_add_f32 v[84:85], v[70:71], v[82:83]
	v_mov_b32_e32 v81, v70
	v_mov_b32_e32 v69, v85
	v_pk_add_f32 v[86:87], v[80:81], v[68:69] neg_lo:[0,1] neg_hi:[0,1]
	v_pk_add_f32 v[68:69], v[80:81], v[68:69]
	v_mov_b32_e32 v82, v83
	v_mov_b32_e32 v80, v69
	v_pk_add_f32 v[96:97], v[80:81], v[70:71] neg_lo:[0,1] neg_hi:[0,1]
	v_mov_b32_e32 v68, v85
	v_mov_b32_e32 v81, v96
	v_pk_add_f32 v[102:103], v[84:85], v[80:81] neg_lo:[0,1] neg_hi:[0,1]
	v_mov_b32_e32 v84, v71
	v_mov_b32_e32 v85, v96
	;; [unrolled: 1-line block ×3, first 2 shown]
	v_pk_add_f32 v[68:69], v[68:69], v[84:85] neg_lo:[0,1] neg_hi:[0,1]
	v_mov_b32_e32 v83, v70
	v_pk_add_f32 v[68:69], v[82:83], v[68:69] neg_lo:[0,1] neg_hi:[0,1]
	v_mov_b32_e32 v102, v86
	v_pk_add_f32 v[70:71], v[102:103], v[68:69]
	v_cmp_eq_f32_e64 s[26:27], s31, v101
	v_mov_b32_e32 v82, v71
	v_pk_add_f32 v[82:83], v[70:71], v[82:83]
	s_mov_b32 s31, 0x33800000
	v_pk_add_f32 v[80:81], v[80:81], v[82:83]
	v_mov_b32_e32 v69, v82
	v_mov_b32_e32 v71, v80
	v_pk_add_f32 v[84:85], v[70:71], v[86:87] neg_lo:[0,1] neg_hi:[0,1]
	v_cmp_lt_f32_e64 s[34:35], |v101|, s31
	v_sub_f32_e32 v70, v70, v84
	v_pk_add_f32 v[68:69], v[68:69], v[84:85] neg_lo:[0,1] neg_hi:[0,1]
	v_sub_f32_e32 v70, v86, v70
	v_add_f32_e32 v68, v68, v70
	v_add_f32_e32 v68, v68, v69
	;; [unrolled: 1-line block ×3, first 2 shown]
	s_or_b64 s[26:27], s[26:27], s[34:35]
	v_cndmask_b32_e64 v68, v68, v101, s[26:27]
	v_add_f32_e32 v68, v67, v68
.LBB479_298:
	s_or_b64 exec, exec, s[28:29]
	v_bfe_u32 v67, v68, 16, 1
	v_add3_u32 v67, v68, v67, s30
	v_and_b32_e32 v67, 0xffff0000, v67
	v_cmp_o_f32_e64 s[26:27], v68, v68
	s_movk_i32 s34, 0x1f8
	s_nop 0
	v_cndmask_b32_e64 v69, v65, v67, s[26:27]
	v_mov_b32_e32 v65, 16
	v_lshlrev_b32_sdwa v22, v65, v22 dst_sel:DWORD dst_unused:UNUSED_PAD src0_sel:DWORD src1_sel:WORD_1
	v_max_f32_e32 v68, v69, v69
	v_max_f32_e32 v67, v22, v22
	v_min_f32_e32 v70, v68, v67
	v_cmp_u_f32_e64 s[28:29], v69, v69
	v_max_f32_e32 v68, v68, v67
	v_cmp_u_f32_e64 s[26:27], v22, v22
	v_cndmask_b32_e64 v70, v70, v69, s[28:29]
	v_cndmask_b32_e64 v68, v68, v69, s[28:29]
	;; [unrolled: 1-line block ×4, first 2 shown]
	v_cmp_neq_f32_e64 s[28:29], v70, v68
	v_cmp_class_f32_e64 s[30:31], v70, s34
	s_or_b64 s[28:29], s[28:29], s[30:31]
	s_and_saveexec_b64 s[30:31], s[28:29]
	s_cbranch_execz .LBB479_300
; %bb.299:
	v_sub_f32_e32 v69, v70, v68
	s_mov_b32 s28, 0x3fb8aa3b
	v_mul_f32_e32 v70, 0x3fb8aa3b, v69
	v_fma_f32 v71, v69, s28, -v70
	v_rndne_f32_e32 v80, v70
	v_fmamk_f32 v71, v69, 0x32a5705f, v71
	v_sub_f32_e32 v70, v70, v80
	v_add_f32_e32 v70, v70, v71
	v_exp_f32_e32 v70, v70
	v_cvt_i32_f32_e32 v71, v80
	s_mov_b32 s28, 0xc2ce8ed0
	v_cmp_ngt_f32_e64 s[28:29], s28, v69
	s_mov_b32 s35, 0x7f800000
	v_ldexp_f32 v70, v70, v71
	v_cndmask_b32_e64 v70, 0, v70, s[28:29]
	s_mov_b32 s28, 0x42b17218
	v_mov_b32_e32 v71, 0x7f800000
	v_cmp_nlt_f32_e64 s[28:29], s28, v69
	s_nop 1
	v_cndmask_b32_e64 v101, v71, v70, s[28:29]
	v_add_f32_e32 v69, 1.0, v101
	v_add_f32_e32 v70, -1.0, v69
	v_sub_f32_e32 v71, v70, v69
	v_add_f32_e32 v71, 1.0, v71
	v_sub_f32_e32 v70, v101, v70
	v_add_f32_e32 v80, v70, v71
	v_frexp_mant_f32_e32 v81, v69
	s_mov_b32 s28, 0x3f2aaaab
	v_cvt_f64_f32_e32 v[70:71], v69
	v_frexp_exp_i32_f64_e32 v70, v[70:71]
	v_cmp_gt_f32_e64 s[28:29], s28, v81
	s_nop 1
	v_subbrev_co_u32_e64 v86, s[28:29], 0, v70, s[28:29]
	v_sub_u32_e32 v70, 0, v86
	v_ldexp_f32 v69, v69, v70
	v_ldexp_f32 v70, v80, v70
	v_add_f32_e32 v80, -1.0, v69
	v_add_f32_e32 v71, 1.0, v80
	v_sub_f32_e32 v71, v69, v71
	v_add_f32_e32 v81, v70, v71
	v_add_f32_e32 v71, 1.0, v69
	v_add_f32_e32 v82, -1.0, v71
	v_sub_f32_e32 v69, v69, v82
	v_add_f32_e32 v69, v70, v69
	v_add_f32_e32 v87, v71, v69
	v_rcp_f32_e32 v96, v87
	v_sub_f32_e32 v70, v71, v87
	v_add_f32_e32 v71, v80, v81
	v_add_f32_e32 v69, v69, v70
	v_mul_f32_e32 v102, v71, v96
	v_sub_f32_e32 v70, v80, v71
	v_mul_f32_e32 v80, v87, v102
	v_fma_f32 v82, v102, v87, -v80
	v_fmac_f32_e32 v82, v102, v69
	v_add_f32_e32 v97, v81, v70
	v_add_f32_e32 v70, v80, v82
	v_sub_f32_e32 v81, v71, v70
	v_pk_add_f32 v[84:85], v[70:71], v[80:81] neg_lo:[0,1] neg_hi:[0,1]
	v_mov_b32_e32 v83, v70
	v_pk_add_f32 v[70:71], v[84:85], v[82:83] neg_lo:[0,1] neg_hi:[0,1]
	s_mov_b32 s28, 0x3f317218
	v_add_f32_e32 v71, v97, v71
	v_add_f32_e32 v70, v70, v71
	;; [unrolled: 1-line block ×3, first 2 shown]
	v_mul_f32_e32 v97, v96, v71
	v_mul_f32_e32 v80, v87, v97
	v_fma_f32 v82, v97, v87, -v80
	v_fmac_f32_e32 v82, v97, v69
	v_sub_f32_e32 v69, v81, v71
	v_add_f32_e32 v69, v70, v69
	v_add_f32_e32 v70, v80, v82
	v_sub_f32_e32 v81, v71, v70
	v_pk_add_f32 v[84:85], v[70:71], v[80:81] neg_lo:[0,1] neg_hi:[0,1]
	v_mov_b32_e32 v83, v70
	v_pk_add_f32 v[70:71], v[84:85], v[82:83] neg_lo:[0,1] neg_hi:[0,1]
	v_cvt_f32_i32_e32 v80, v86
	v_add_f32_e32 v69, v69, v71
	v_add_f32_e32 v69, v70, v69
	;; [unrolled: 1-line block ×4, first 2 shown]
	v_sub_f32_e32 v71, v70, v102
	v_mul_f32_e32 v69, v96, v69
	v_sub_f32_e32 v71, v97, v71
	v_add_f32_e32 v69, v71, v69
	v_add_f32_e32 v81, v70, v69
	v_mul_f32_e32 v82, v81, v81
	v_mov_b32_e32 v71, 0x3ecc95a3
	v_fmac_f32_e32 v71, 0x3e9b6dac, v82
	v_sub_f32_e32 v70, v81, v70
	v_fmaak_f32 v71, v82, v71, 0x3f2aaada
	v_sub_f32_e32 v69, v69, v70
	v_ldexp_f32 v83, v81, 1
	v_mul_f32_e32 v81, v81, v82
	v_mov_b32_e32 v70, 0x3f317218
	v_pk_mul_f32 v[70:71], v[80:81], v[70:71]
	v_ldexp_f32 v69, v69, 1
	v_fma_f32 v81, v80, s28, -v70
	v_fmamk_f32 v82, v80, 0xb102e308, v81
	v_pk_add_f32 v[80:81], v[70:71], v[82:83]
	v_mov_b32_e32 v84, v70
	v_sub_f32_e32 v83, v81, v83
	v_sub_f32_e32 v83, v71, v83
	v_add_f32_e32 v85, v69, v83
	v_pk_add_f32 v[70:71], v[80:81], v[70:71] neg_lo:[0,1] neg_hi:[0,1]
	v_pk_add_f32 v[86:87], v[80:81], v[84:85]
	v_mov_b32_e32 v83, v80
	v_mov_b32_e32 v71, v87
	v_pk_add_f32 v[96:97], v[82:83], v[70:71] neg_lo:[0,1] neg_hi:[0,1]
	v_pk_add_f32 v[70:71], v[82:83], v[70:71]
	v_mov_b32_e32 v84, v85
	v_mov_b32_e32 v82, v71
	v_pk_add_f32 v[102:103], v[82:83], v[80:81] neg_lo:[0,1] neg_hi:[0,1]
	v_mov_b32_e32 v70, v87
	v_mov_b32_e32 v69, v102
	v_pk_add_f32 v[112:113], v[86:87], v[68:69] neg_lo:[0,1] neg_hi:[0,1]
	v_mov_b32_e32 v86, v81
	v_mov_b32_e32 v87, v102
	;; [unrolled: 1-line block ×3, first 2 shown]
	v_pk_add_f32 v[70:71], v[70:71], v[86:87] neg_lo:[0,1] neg_hi:[0,1]
	v_mov_b32_e32 v85, v80
	v_pk_add_f32 v[70:71], v[84:85], v[70:71] neg_lo:[0,1] neg_hi:[0,1]
	v_mov_b32_e32 v112, v96
	v_pk_add_f32 v[80:81], v[112:113], v[70:71]
	v_cmp_eq_f32_e64 s[28:29], s35, v101
	v_mov_b32_e32 v84, v81
	v_pk_add_f32 v[84:85], v[80:81], v[84:85]
	s_mov_b32 s35, 0x33800000
	v_pk_add_f32 v[82:83], v[82:83], v[84:85]
	v_mov_b32_e32 v71, v84
	v_mov_b32_e32 v81, v82
	v_pk_add_f32 v[86:87], v[80:81], v[96:97] neg_lo:[0,1] neg_hi:[0,1]
	v_cmp_lt_f32_e64 s[36:37], |v101|, s35
	v_sub_f32_e32 v69, v80, v86
	v_pk_add_f32 v[70:71], v[70:71], v[86:87] neg_lo:[0,1] neg_hi:[0,1]
	v_sub_f32_e32 v69, v96, v69
	v_add_f32_e32 v69, v70, v69
	v_add_f32_e32 v69, v69, v71
	;; [unrolled: 1-line block ×3, first 2 shown]
	s_or_b64 s[28:29], s[28:29], s[36:37]
	v_cndmask_b32_e64 v69, v69, v101, s[28:29]
	v_add_f32_e32 v69, v68, v69
.LBB479_300:
	s_or_b64 exec, exec, s[30:31]
	v_bfe_u32 v68, v69, 16, 1
	s_movk_i32 s36, 0x7fff
	v_add3_u32 v68, v69, v68, s36
	v_and_b32_e32 v70, 0xffff0000, v68
	v_mov_b32_e32 v68, 0x7fc00000
	v_cmp_o_f32_e64 s[28:29], v69, v69
	v_lshlrev_b32_sdwa v65, v65, v23 dst_sel:DWORD dst_unused:UNUSED_PAD src0_sel:DWORD src1_sel:WORD_0
	v_max_f32_e32 v69, v65, v65
	v_cndmask_b32_e64 v71, v68, v70, s[28:29]
	v_max_f32_e32 v70, v71, v71
	v_min_f32_e32 v80, v70, v69
	v_cmp_u_f32_e64 s[30:31], v71, v71
	v_max_f32_e32 v70, v70, v69
	v_cmp_u_f32_e64 s[28:29], v65, v65
	v_cndmask_b32_e64 v80, v80, v71, s[30:31]
	v_cndmask_b32_e64 v70, v70, v71, s[30:31]
	;; [unrolled: 1-line block ×4, first 2 shown]
	v_cmp_neq_f32_e64 s[30:31], v80, v70
	v_cmp_class_f32_e64 s[34:35], v80, s34
	s_or_b64 s[30:31], s[30:31], s[34:35]
	s_and_saveexec_b64 s[34:35], s[30:31]
	s_cbranch_execz .LBB479_302
; %bb.301:
	v_sub_f32_e32 v71, v80, v70
	s_mov_b32 s30, 0x3fb8aa3b
	v_mul_f32_e32 v80, 0x3fb8aa3b, v71
	v_fma_f32 v81, v71, s30, -v80
	v_rndne_f32_e32 v82, v80
	v_fmamk_f32 v81, v71, 0x32a5705f, v81
	v_sub_f32_e32 v80, v80, v82
	v_add_f32_e32 v80, v80, v81
	v_exp_f32_e32 v80, v80
	v_cvt_i32_f32_e32 v81, v82
	s_mov_b32 s30, 0xc2ce8ed0
	v_cmp_ngt_f32_e64 s[30:31], s30, v71
	s_mov_b32 s37, 0x7f800000
	v_ldexp_f32 v80, v80, v81
	v_cndmask_b32_e64 v80, 0, v80, s[30:31]
	s_mov_b32 s30, 0x42b17218
	v_mov_b32_e32 v81, 0x7f800000
	v_cmp_nlt_f32_e64 s[30:31], s30, v71
	s_nop 1
	v_cndmask_b32_e64 v101, v81, v80, s[30:31]
	v_add_f32_e32 v71, 1.0, v101
	v_add_f32_e32 v80, -1.0, v71
	v_sub_f32_e32 v81, v80, v71
	v_add_f32_e32 v81, 1.0, v81
	v_sub_f32_e32 v80, v101, v80
	v_add_f32_e32 v82, v80, v81
	v_frexp_mant_f32_e32 v83, v71
	s_mov_b32 s30, 0x3f2aaaab
	v_cvt_f64_f32_e32 v[80:81], v71
	v_frexp_exp_i32_f64_e32 v80, v[80:81]
	v_cmp_gt_f32_e64 s[30:31], s30, v83
	s_nop 1
	v_subbrev_co_u32_e64 v96, s[30:31], 0, v80, s[30:31]
	v_sub_u32_e32 v80, 0, v96
	v_ldexp_f32 v71, v71, v80
	v_ldexp_f32 v80, v82, v80
	v_add_f32_e32 v82, -1.0, v71
	v_add_f32_e32 v81, 1.0, v82
	v_sub_f32_e32 v81, v71, v81
	v_add_f32_e32 v83, v80, v81
	v_add_f32_e32 v81, 1.0, v71
	v_add_f32_e32 v84, -1.0, v81
	v_sub_f32_e32 v71, v71, v84
	v_add_f32_e32 v71, v80, v71
	v_add_f32_e32 v97, v81, v71
	v_rcp_f32_e32 v102, v97
	v_sub_f32_e32 v80, v81, v97
	v_add_f32_e32 v81, v82, v83
	v_add_f32_e32 v71, v71, v80
	v_mul_f32_e32 v112, v81, v102
	v_sub_f32_e32 v80, v82, v81
	v_mul_f32_e32 v82, v97, v112
	v_fma_f32 v84, v112, v97, -v82
	v_fmac_f32_e32 v84, v112, v71
	v_add_f32_e32 v103, v83, v80
	v_add_f32_e32 v80, v82, v84
	v_sub_f32_e32 v83, v81, v80
	v_pk_add_f32 v[86:87], v[80:81], v[82:83] neg_lo:[0,1] neg_hi:[0,1]
	v_mov_b32_e32 v85, v80
	v_pk_add_f32 v[80:81], v[86:87], v[84:85] neg_lo:[0,1] neg_hi:[0,1]
	s_mov_b32 s30, 0x3f317218
	v_add_f32_e32 v81, v103, v81
	v_add_f32_e32 v80, v80, v81
	;; [unrolled: 1-line block ×3, first 2 shown]
	v_mul_f32_e32 v103, v102, v81
	v_mul_f32_e32 v82, v97, v103
	v_fma_f32 v84, v103, v97, -v82
	v_fmac_f32_e32 v84, v103, v71
	v_sub_f32_e32 v71, v83, v81
	v_add_f32_e32 v71, v80, v71
	v_add_f32_e32 v80, v82, v84
	v_sub_f32_e32 v83, v81, v80
	v_pk_add_f32 v[86:87], v[80:81], v[82:83] neg_lo:[0,1] neg_hi:[0,1]
	v_mov_b32_e32 v85, v80
	v_pk_add_f32 v[80:81], v[86:87], v[84:85] neg_lo:[0,1] neg_hi:[0,1]
	v_cvt_f32_i32_e32 v82, v96
	v_add_f32_e32 v71, v71, v81
	v_add_f32_e32 v71, v80, v71
	v_add_f32_e32 v80, v112, v103
	v_add_f32_e32 v71, v83, v71
	v_sub_f32_e32 v81, v80, v112
	v_mul_f32_e32 v71, v102, v71
	v_sub_f32_e32 v81, v103, v81
	v_add_f32_e32 v71, v81, v71
	v_add_f32_e32 v83, v80, v71
	v_mul_f32_e32 v84, v83, v83
	v_mov_b32_e32 v81, 0x3ecc95a3
	v_fmac_f32_e32 v81, 0x3e9b6dac, v84
	v_sub_f32_e32 v80, v83, v80
	v_fmaak_f32 v81, v84, v81, 0x3f2aaada
	v_sub_f32_e32 v71, v71, v80
	v_ldexp_f32 v85, v83, 1
	v_mul_f32_e32 v83, v83, v84
	v_mov_b32_e32 v80, 0x3f317218
	v_pk_mul_f32 v[80:81], v[82:83], v[80:81]
	v_ldexp_f32 v71, v71, 1
	v_fma_f32 v83, v82, s30, -v80
	v_fmamk_f32 v84, v82, 0xb102e308, v83
	v_pk_add_f32 v[82:83], v[80:81], v[84:85]
	v_mov_b32_e32 v86, v80
	v_sub_f32_e32 v85, v83, v85
	v_sub_f32_e32 v85, v81, v85
	v_add_f32_e32 v87, v71, v85
	v_pk_add_f32 v[80:81], v[82:83], v[80:81] neg_lo:[0,1] neg_hi:[0,1]
	v_pk_add_f32 v[96:97], v[82:83], v[86:87]
	v_mov_b32_e32 v85, v82
	v_mov_b32_e32 v81, v97
	v_pk_add_f32 v[102:103], v[84:85], v[80:81] neg_lo:[0,1] neg_hi:[0,1]
	v_pk_add_f32 v[80:81], v[84:85], v[80:81]
	v_mov_b32_e32 v86, v87
	v_mov_b32_e32 v84, v81
	v_pk_add_f32 v[112:113], v[84:85], v[82:83] neg_lo:[0,1] neg_hi:[0,1]
	v_mov_b32_e32 v80, v97
	v_mov_b32_e32 v71, v112
	v_pk_add_f32 v[114:115], v[96:97], v[70:71] neg_lo:[0,1] neg_hi:[0,1]
	v_mov_b32_e32 v96, v83
	v_mov_b32_e32 v97, v112
	;; [unrolled: 1-line block ×3, first 2 shown]
	v_pk_add_f32 v[80:81], v[80:81], v[96:97] neg_lo:[0,1] neg_hi:[0,1]
	v_mov_b32_e32 v87, v82
	v_pk_add_f32 v[80:81], v[86:87], v[80:81] neg_lo:[0,1] neg_hi:[0,1]
	v_mov_b32_e32 v114, v102
	v_pk_add_f32 v[82:83], v[114:115], v[80:81]
	v_cmp_eq_f32_e64 s[30:31], s37, v101
	v_mov_b32_e32 v86, v83
	v_pk_add_f32 v[86:87], v[82:83], v[86:87]
	s_mov_b32 s37, 0x33800000
	v_pk_add_f32 v[84:85], v[84:85], v[86:87]
	v_mov_b32_e32 v81, v86
	v_mov_b32_e32 v83, v84
	v_pk_add_f32 v[96:97], v[82:83], v[102:103] neg_lo:[0,1] neg_hi:[0,1]
	v_cmp_lt_f32_e64 s[38:39], |v101|, s37
	v_sub_f32_e32 v71, v82, v96
	v_pk_add_f32 v[80:81], v[80:81], v[96:97] neg_lo:[0,1] neg_hi:[0,1]
	v_sub_f32_e32 v71, v102, v71
	v_add_f32_e32 v71, v80, v71
	v_add_f32_e32 v71, v71, v81
	;; [unrolled: 1-line block ×3, first 2 shown]
	s_or_b64 s[30:31], s[30:31], s[38:39]
	v_cndmask_b32_e64 v71, v71, v101, s[30:31]
	v_add_f32_e32 v71, v70, v71
.LBB479_302:
	s_or_b64 exec, exec, s[34:35]
	v_bfe_u32 v70, v71, 16, 1
	v_add3_u32 v70, v71, v70, s36
	v_and_b32_e32 v70, 0xffff0000, v70
	v_cmp_o_f32_e64 s[30:31], v71, v71
	s_movk_i32 s38, 0x1f8
	s_nop 0
	v_cndmask_b32_e64 v80, v68, v70, s[30:31]
	v_mov_b32_e32 v68, 16
	v_lshlrev_b32_sdwa v23, v68, v23 dst_sel:DWORD dst_unused:UNUSED_PAD src0_sel:DWORD src1_sel:WORD_1
	v_max_f32_e32 v71, v80, v80
	v_max_f32_e32 v70, v23, v23
	v_min_f32_e32 v81, v71, v70
	v_cmp_u_f32_e64 s[34:35], v80, v80
	v_max_f32_e32 v71, v71, v70
	v_cmp_u_f32_e64 s[30:31], v23, v23
	v_cndmask_b32_e64 v81, v81, v80, s[34:35]
	v_cndmask_b32_e64 v71, v71, v80, s[34:35]
	;; [unrolled: 1-line block ×4, first 2 shown]
	v_cmp_neq_f32_e64 s[34:35], v81, v71
	v_cmp_class_f32_e64 s[36:37], v81, s38
	s_or_b64 s[34:35], s[34:35], s[36:37]
	s_and_saveexec_b64 s[36:37], s[34:35]
	s_cbranch_execz .LBB479_304
; %bb.303:
	v_sub_f32_e32 v80, v81, v71
	s_mov_b32 s34, 0x3fb8aa3b
	v_mul_f32_e32 v81, 0x3fb8aa3b, v80
	v_fma_f32 v82, v80, s34, -v81
	v_rndne_f32_e32 v83, v81
	v_fmamk_f32 v82, v80, 0x32a5705f, v82
	v_sub_f32_e32 v81, v81, v83
	v_add_f32_e32 v81, v81, v82
	v_exp_f32_e32 v81, v81
	v_cvt_i32_f32_e32 v82, v83
	s_mov_b32 s34, 0xc2ce8ed0
	v_cmp_ngt_f32_e64 s[34:35], s34, v80
	s_mov_b32 s39, 0x7f800000
	v_ldexp_f32 v81, v81, v82
	v_cndmask_b32_e64 v81, 0, v81, s[34:35]
	s_mov_b32 s34, 0x42b17218
	v_mov_b32_e32 v82, 0x7f800000
	v_cmp_nlt_f32_e64 s[34:35], s34, v80
	s_nop 1
	v_cndmask_b32_e64 v101, v82, v81, s[34:35]
	v_add_f32_e32 v82, 1.0, v101
	v_add_f32_e32 v80, -1.0, v82
	v_sub_f32_e32 v81, v80, v82
	v_add_f32_e32 v81, 1.0, v81
	v_sub_f32_e32 v80, v101, v80
	v_add_f32_e32 v83, v80, v81
	v_frexp_mant_f32_e32 v84, v82
	s_mov_b32 s34, 0x3f2aaaab
	v_cvt_f64_f32_e32 v[80:81], v82
	v_frexp_exp_i32_f64_e32 v80, v[80:81]
	v_cmp_gt_f32_e64 s[34:35], s34, v84
	s_nop 1
	v_subbrev_co_u32_e64 v96, s[34:35], 0, v80, s[34:35]
	v_sub_u32_e32 v80, 0, v96
	v_ldexp_f32 v81, v82, v80
	v_add_f32_e32 v82, -1.0, v81
	v_add_f32_e32 v84, 1.0, v81
	v_ldexp_f32 v80, v83, v80
	v_add_f32_e32 v83, 1.0, v82
	v_add_f32_e32 v85, -1.0, v84
	v_sub_f32_e32 v83, v81, v83
	v_sub_f32_e32 v81, v81, v85
	v_add_f32_e32 v83, v80, v83
	v_add_f32_e32 v80, v80, v81
	;; [unrolled: 1-line block ×3, first 2 shown]
	v_rcp_f32_e32 v103, v97
	v_sub_f32_e32 v81, v84, v97
	v_add_f32_e32 v102, v80, v81
	v_add_f32_e32 v81, v82, v83
	v_mul_f32_e32 v113, v81, v103
	v_sub_f32_e32 v80, v82, v81
	v_mul_f32_e32 v82, v97, v113
	v_fma_f32 v84, v113, v97, -v82
	v_fmac_f32_e32 v84, v113, v102
	v_add_f32_e32 v112, v83, v80
	v_add_f32_e32 v80, v82, v84
	v_sub_f32_e32 v83, v81, v80
	v_pk_add_f32 v[86:87], v[80:81], v[82:83] neg_lo:[0,1] neg_hi:[0,1]
	v_mov_b32_e32 v85, v80
	v_pk_add_f32 v[80:81], v[86:87], v[84:85] neg_lo:[0,1] neg_hi:[0,1]
	s_mov_b32 s34, 0x3f317218
	v_add_f32_e32 v81, v112, v81
	v_add_f32_e32 v80, v80, v81
	;; [unrolled: 1-line block ×3, first 2 shown]
	v_mul_f32_e32 v112, v103, v81
	v_mul_f32_e32 v82, v97, v112
	v_fma_f32 v84, v112, v97, -v82
	v_fmac_f32_e32 v84, v112, v102
	v_sub_f32_e32 v83, v83, v81
	v_add_f32_e32 v97, v80, v83
	v_add_f32_e32 v80, v82, v84
	v_sub_f32_e32 v83, v81, v80
	v_pk_add_f32 v[86:87], v[80:81], v[82:83] neg_lo:[0,1] neg_hi:[0,1]
	v_mov_b32_e32 v85, v80
	v_pk_add_f32 v[80:81], v[86:87], v[84:85] neg_lo:[0,1] neg_hi:[0,1]
	v_cvt_f32_i32_e32 v82, v96
	v_add_f32_e32 v81, v97, v81
	v_add_f32_e32 v80, v80, v81
	;; [unrolled: 1-line block ×4, first 2 shown]
	v_sub_f32_e32 v81, v83, v113
	v_mul_f32_e32 v80, v103, v80
	v_sub_f32_e32 v81, v112, v81
	v_add_f32_e32 v80, v81, v80
	v_add_f32_e32 v84, v83, v80
	v_mul_f32_e32 v86, v84, v84
	v_mov_b32_e32 v81, 0x3ecc95a3
	v_sub_f32_e32 v83, v84, v83
	v_fmac_f32_e32 v81, 0x3e9b6dac, v86
	v_sub_f32_e32 v80, v80, v83
	v_fmaak_f32 v81, v86, v81, 0x3f2aaada
	v_ldexp_f32 v87, v80, 1
	v_mul_f32_e32 v83, v84, v86
	v_mov_b32_e32 v80, 0x3f317218
	v_pk_mul_f32 v[80:81], v[82:83], v[80:81]
	v_ldexp_f32 v85, v84, 1
	v_fma_f32 v83, v82, s34, -v80
	v_fmamk_f32 v84, v82, 0xb102e308, v83
	v_pk_add_f32 v[82:83], v[80:81], v[84:85]
	v_mov_b32_e32 v86, v80
	v_sub_f32_e32 v85, v83, v85
	v_sub_f32_e32 v85, v81, v85
	v_add_f32_e32 v87, v87, v85
	v_pk_add_f32 v[80:81], v[82:83], v[80:81] neg_lo:[0,1] neg_hi:[0,1]
	v_pk_add_f32 v[96:97], v[82:83], v[86:87]
	v_mov_b32_e32 v85, v82
	v_mov_b32_e32 v81, v97
	v_pk_add_f32 v[102:103], v[84:85], v[80:81] neg_lo:[0,1] neg_hi:[0,1]
	v_pk_add_f32 v[80:81], v[84:85], v[80:81]
	v_mov_b32_e32 v86, v87
	v_mov_b32_e32 v84, v81
	v_pk_add_f32 v[112:113], v[84:85], v[82:83] neg_lo:[0,1] neg_hi:[0,1]
	v_mov_b32_e32 v80, v97
	v_mov_b32_e32 v85, v112
	v_pk_add_f32 v[114:115], v[96:97], v[84:85] neg_lo:[0,1] neg_hi:[0,1]
	v_mov_b32_e32 v96, v83
	v_mov_b32_e32 v97, v112
	;; [unrolled: 1-line block ×3, first 2 shown]
	v_pk_add_f32 v[80:81], v[80:81], v[96:97] neg_lo:[0,1] neg_hi:[0,1]
	v_mov_b32_e32 v87, v82
	v_pk_add_f32 v[80:81], v[86:87], v[80:81] neg_lo:[0,1] neg_hi:[0,1]
	v_mov_b32_e32 v114, v102
	v_pk_add_f32 v[82:83], v[114:115], v[80:81]
	v_cmp_eq_f32_e64 s[34:35], s39, v101
	v_mov_b32_e32 v86, v83
	v_pk_add_f32 v[86:87], v[82:83], v[86:87]
	s_mov_b32 s39, 0x33800000
	v_pk_add_f32 v[84:85], v[84:85], v[86:87]
	v_mov_b32_e32 v81, v86
	v_mov_b32_e32 v83, v84
	v_pk_add_f32 v[96:97], v[82:83], v[102:103] neg_lo:[0,1] neg_hi:[0,1]
	v_cmp_lt_f32_e64 s[40:41], |v101|, s39
	v_sub_f32_e32 v82, v82, v96
	v_pk_add_f32 v[80:81], v[80:81], v[96:97] neg_lo:[0,1] neg_hi:[0,1]
	v_sub_f32_e32 v82, v102, v82
	v_add_f32_e32 v80, v80, v82
	v_add_f32_e32 v80, v80, v81
	;; [unrolled: 1-line block ×3, first 2 shown]
	s_or_b64 s[34:35], s[34:35], s[40:41]
	v_cndmask_b32_e64 v80, v80, v101, s[34:35]
	v_add_f32_e32 v80, v71, v80
.LBB479_304:
	s_or_b64 exec, exec, s[36:37]
	v_bfe_u32 v71, v80, 16, 1
	s_movk_i32 s40, 0x7fff
	v_add3_u32 v71, v80, v71, s40
	v_and_b32_e32 v81, 0xffff0000, v71
	v_mov_b32_e32 v71, 0x7fc00000
	v_cmp_o_f32_e64 s[34:35], v80, v80
	v_lshlrev_b32_sdwa v68, v68, v16 dst_sel:DWORD dst_unused:UNUSED_PAD src0_sel:DWORD src1_sel:WORD_0
	v_max_f32_e32 v80, v68, v68
	v_cndmask_b32_e64 v82, v71, v81, s[34:35]
	v_max_f32_e32 v81, v82, v82
	v_min_f32_e32 v83, v81, v80
	v_cmp_u_f32_e64 s[36:37], v82, v82
	v_max_f32_e32 v81, v81, v80
	v_cmp_u_f32_e64 s[34:35], v68, v68
	v_cndmask_b32_e64 v83, v83, v82, s[36:37]
	v_cndmask_b32_e64 v81, v81, v82, s[36:37]
	;; [unrolled: 1-line block ×4, first 2 shown]
	v_cmp_neq_f32_e64 s[36:37], v83, v81
	v_cmp_class_f32_e64 s[38:39], v83, s38
	s_or_b64 s[36:37], s[36:37], s[38:39]
	s_and_saveexec_b64 s[38:39], s[36:37]
	s_cbranch_execz .LBB479_306
; %bb.305:
	v_sub_f32_e32 v82, v83, v81
	s_mov_b32 s36, 0x3fb8aa3b
	v_mul_f32_e32 v83, 0x3fb8aa3b, v82
	v_fma_f32 v84, v82, s36, -v83
	v_rndne_f32_e32 v85, v83
	v_fmamk_f32 v84, v82, 0x32a5705f, v84
	v_sub_f32_e32 v83, v83, v85
	v_add_f32_e32 v83, v83, v84
	v_exp_f32_e32 v83, v83
	v_cvt_i32_f32_e32 v84, v85
	s_mov_b32 s36, 0xc2ce8ed0
	v_cmp_ngt_f32_e64 s[36:37], s36, v82
	s_mov_b32 s41, 0x7f800000
	v_ldexp_f32 v83, v83, v84
	v_cndmask_b32_e64 v83, 0, v83, s[36:37]
	s_mov_b32 s36, 0x42b17218
	v_mov_b32_e32 v84, 0x7f800000
	v_cmp_nlt_f32_e64 s[36:37], s36, v82
	s_nop 1
	v_cndmask_b32_e64 v101, v84, v83, s[36:37]
	v_add_f32_e32 v84, 1.0, v101
	v_add_f32_e32 v82, -1.0, v84
	v_sub_f32_e32 v83, v82, v84
	v_add_f32_e32 v83, 1.0, v83
	v_sub_f32_e32 v82, v101, v82
	v_add_f32_e32 v85, v82, v83
	v_frexp_mant_f32_e32 v86, v84
	s_mov_b32 s36, 0x3f2aaaab
	v_cvt_f64_f32_e32 v[82:83], v84
	v_frexp_exp_i32_f64_e32 v82, v[82:83]
	v_cmp_gt_f32_e64 s[36:37], s36, v86
	s_nop 1
	v_subbrev_co_u32_e64 v102, s[36:37], 0, v82, s[36:37]
	v_sub_u32_e32 v82, 0, v102
	v_ldexp_f32 v83, v84, v82
	v_add_f32_e32 v84, -1.0, v83
	v_add_f32_e32 v86, 1.0, v83
	v_ldexp_f32 v82, v85, v82
	v_add_f32_e32 v85, 1.0, v84
	v_add_f32_e32 v87, -1.0, v86
	v_sub_f32_e32 v85, v83, v85
	v_sub_f32_e32 v83, v83, v87
	v_add_f32_e32 v85, v82, v85
	v_add_f32_e32 v82, v82, v83
	v_add_f32_e32 v103, v86, v82
	v_rcp_f32_e32 v113, v103
	v_sub_f32_e32 v83, v86, v103
	v_add_f32_e32 v112, v82, v83
	v_add_f32_e32 v83, v84, v85
	v_mul_f32_e32 v115, v83, v113
	v_sub_f32_e32 v82, v84, v83
	v_mul_f32_e32 v84, v103, v115
	v_fma_f32 v86, v115, v103, -v84
	v_fmac_f32_e32 v86, v115, v112
	v_add_f32_e32 v114, v85, v82
	v_add_f32_e32 v82, v84, v86
	v_sub_f32_e32 v85, v83, v82
	v_pk_add_f32 v[96:97], v[82:83], v[84:85] neg_lo:[0,1] neg_hi:[0,1]
	v_mov_b32_e32 v87, v82
	v_pk_add_f32 v[82:83], v[96:97], v[86:87] neg_lo:[0,1] neg_hi:[0,1]
	s_mov_b32 s36, 0x3f317218
	v_add_f32_e32 v83, v114, v83
	v_add_f32_e32 v82, v82, v83
	;; [unrolled: 1-line block ×3, first 2 shown]
	v_mul_f32_e32 v114, v113, v83
	v_mul_f32_e32 v84, v103, v114
	v_fma_f32 v86, v114, v103, -v84
	v_fmac_f32_e32 v86, v114, v112
	v_sub_f32_e32 v85, v85, v83
	v_add_f32_e32 v103, v82, v85
	v_add_f32_e32 v82, v84, v86
	v_sub_f32_e32 v85, v83, v82
	v_pk_add_f32 v[96:97], v[82:83], v[84:85] neg_lo:[0,1] neg_hi:[0,1]
	v_mov_b32_e32 v87, v82
	v_pk_add_f32 v[82:83], v[96:97], v[86:87] neg_lo:[0,1] neg_hi:[0,1]
	v_cvt_f32_i32_e32 v84, v102
	v_add_f32_e32 v83, v103, v83
	v_add_f32_e32 v82, v82, v83
	;; [unrolled: 1-line block ×4, first 2 shown]
	v_sub_f32_e32 v83, v85, v115
	v_mul_f32_e32 v82, v113, v82
	v_sub_f32_e32 v83, v114, v83
	v_add_f32_e32 v82, v83, v82
	v_add_f32_e32 v86, v85, v82
	v_mul_f32_e32 v96, v86, v86
	v_mov_b32_e32 v83, 0x3ecc95a3
	v_sub_f32_e32 v85, v86, v85
	v_fmac_f32_e32 v83, 0x3e9b6dac, v96
	v_sub_f32_e32 v82, v82, v85
	v_fmaak_f32 v83, v96, v83, 0x3f2aaada
	v_ldexp_f32 v97, v82, 1
	v_mul_f32_e32 v85, v86, v96
	v_mov_b32_e32 v82, 0x3f317218
	v_pk_mul_f32 v[82:83], v[84:85], v[82:83]
	v_ldexp_f32 v87, v86, 1
	v_fma_f32 v85, v84, s36, -v82
	v_fmamk_f32 v86, v84, 0xb102e308, v85
	v_pk_add_f32 v[84:85], v[82:83], v[86:87]
	v_mov_b32_e32 v96, v82
	v_sub_f32_e32 v87, v85, v87
	v_sub_f32_e32 v87, v83, v87
	v_add_f32_e32 v97, v97, v87
	v_pk_add_f32 v[82:83], v[84:85], v[82:83] neg_lo:[0,1] neg_hi:[0,1]
	v_pk_add_f32 v[102:103], v[84:85], v[96:97]
	v_mov_b32_e32 v87, v84
	v_mov_b32_e32 v83, v103
	v_pk_add_f32 v[112:113], v[86:87], v[82:83] neg_lo:[0,1] neg_hi:[0,1]
	v_pk_add_f32 v[82:83], v[86:87], v[82:83]
	v_mov_b32_e32 v96, v97
	v_mov_b32_e32 v86, v83
	v_pk_add_f32 v[114:115], v[86:87], v[84:85] neg_lo:[0,1] neg_hi:[0,1]
	v_mov_b32_e32 v82, v103
	v_mov_b32_e32 v87, v114
	v_pk_add_f32 v[116:117], v[102:103], v[86:87] neg_lo:[0,1] neg_hi:[0,1]
	v_mov_b32_e32 v102, v85
	v_mov_b32_e32 v103, v114
	;; [unrolled: 1-line block ×3, first 2 shown]
	v_pk_add_f32 v[82:83], v[82:83], v[102:103] neg_lo:[0,1] neg_hi:[0,1]
	v_mov_b32_e32 v97, v84
	v_pk_add_f32 v[82:83], v[96:97], v[82:83] neg_lo:[0,1] neg_hi:[0,1]
	v_mov_b32_e32 v116, v112
	v_pk_add_f32 v[84:85], v[116:117], v[82:83]
	v_cmp_eq_f32_e64 s[36:37], s41, v101
	v_mov_b32_e32 v96, v85
	v_pk_add_f32 v[96:97], v[84:85], v[96:97]
	s_mov_b32 s41, 0x33800000
	v_pk_add_f32 v[86:87], v[86:87], v[96:97]
	v_mov_b32_e32 v83, v96
	v_mov_b32_e32 v85, v86
	v_pk_add_f32 v[102:103], v[84:85], v[112:113] neg_lo:[0,1] neg_hi:[0,1]
	v_cmp_lt_f32_e64 s[42:43], |v101|, s41
	v_sub_f32_e32 v84, v84, v102
	v_pk_add_f32 v[82:83], v[82:83], v[102:103] neg_lo:[0,1] neg_hi:[0,1]
	v_sub_f32_e32 v84, v112, v84
	v_add_f32_e32 v82, v82, v84
	v_add_f32_e32 v82, v82, v83
	;; [unrolled: 1-line block ×3, first 2 shown]
	s_or_b64 s[36:37], s[36:37], s[42:43]
	v_cndmask_b32_e64 v82, v82, v101, s[36:37]
	v_add_f32_e32 v82, v81, v82
.LBB479_306:
	s_or_b64 exec, exec, s[38:39]
	v_bfe_u32 v81, v82, 16, 1
	v_add3_u32 v81, v82, v81, s40
	v_and_b32_e32 v81, 0xffff0000, v81
	v_cmp_o_f32_e64 s[36:37], v82, v82
	s_movk_i32 s42, 0x1f8
	s_nop 0
	v_cndmask_b32_e64 v83, v71, v81, s[36:37]
	v_mov_b32_e32 v71, 16
	v_lshlrev_b32_sdwa v16, v71, v16 dst_sel:DWORD dst_unused:UNUSED_PAD src0_sel:DWORD src1_sel:WORD_1
	v_max_f32_e32 v82, v83, v83
	v_max_f32_e32 v81, v16, v16
	v_min_f32_e32 v84, v82, v81
	v_cmp_u_f32_e64 s[38:39], v83, v83
	v_max_f32_e32 v82, v82, v81
	v_cmp_u_f32_e64 s[36:37], v16, v16
	v_cndmask_b32_e64 v84, v84, v83, s[38:39]
	v_cndmask_b32_e64 v82, v82, v83, s[38:39]
	v_cndmask_b32_e64 v84, v84, v16, s[36:37]
	v_cndmask_b32_e64 v82, v82, v16, s[36:37]
	v_cmp_neq_f32_e64 s[38:39], v84, v82
	v_cmp_class_f32_e64 s[40:41], v84, s42
	s_or_b64 s[38:39], s[38:39], s[40:41]
	s_and_saveexec_b64 s[40:41], s[38:39]
	s_cbranch_execz .LBB479_308
; %bb.307:
	v_sub_f32_e32 v83, v84, v82
	s_mov_b32 s38, 0x3fb8aa3b
	v_mul_f32_e32 v84, 0x3fb8aa3b, v83
	v_fma_f32 v85, v83, s38, -v84
	v_rndne_f32_e32 v86, v84
	v_fmamk_f32 v85, v83, 0x32a5705f, v85
	v_sub_f32_e32 v84, v84, v86
	v_add_f32_e32 v84, v84, v85
	v_exp_f32_e32 v84, v84
	v_cvt_i32_f32_e32 v85, v86
	s_mov_b32 s38, 0xc2ce8ed0
	v_cmp_ngt_f32_e64 s[38:39], s38, v83
	s_mov_b32 s43, 0x7f800000
	v_ldexp_f32 v84, v84, v85
	v_cndmask_b32_e64 v84, 0, v84, s[38:39]
	s_mov_b32 s38, 0x42b17218
	v_mov_b32_e32 v85, 0x7f800000
	v_cmp_nlt_f32_e64 s[38:39], s38, v83
	s_nop 1
	v_cndmask_b32_e64 v101, v85, v84, s[38:39]
	v_add_f32_e32 v83, 1.0, v101
	v_add_f32_e32 v84, -1.0, v83
	v_sub_f32_e32 v85, v84, v83
	v_add_f32_e32 v85, 1.0, v85
	v_sub_f32_e32 v84, v101, v84
	v_add_f32_e32 v86, v84, v85
	v_frexp_mant_f32_e32 v87, v83
	s_mov_b32 s38, 0x3f2aaaab
	v_cvt_f64_f32_e32 v[84:85], v83
	v_frexp_exp_i32_f64_e32 v84, v[84:85]
	v_cmp_gt_f32_e64 s[38:39], s38, v87
	s_nop 1
	v_subbrev_co_u32_e64 v112, s[38:39], 0, v84, s[38:39]
	v_sub_u32_e32 v84, 0, v112
	v_ldexp_f32 v83, v83, v84
	v_ldexp_f32 v84, v86, v84
	v_add_f32_e32 v86, -1.0, v83
	v_add_f32_e32 v85, 1.0, v86
	v_sub_f32_e32 v85, v83, v85
	v_add_f32_e32 v87, v84, v85
	v_add_f32_e32 v85, 1.0, v83
	v_add_f32_e32 v96, -1.0, v85
	v_sub_f32_e32 v83, v83, v96
	v_add_f32_e32 v83, v84, v83
	v_add_f32_e32 v113, v85, v83
	v_rcp_f32_e32 v114, v113
	v_sub_f32_e32 v84, v85, v113
	v_add_f32_e32 v85, v86, v87
	v_add_f32_e32 v83, v83, v84
	v_mul_f32_e32 v116, v85, v114
	v_sub_f32_e32 v84, v86, v85
	v_mul_f32_e32 v86, v113, v116
	v_fma_f32 v96, v116, v113, -v86
	v_fmac_f32_e32 v96, v116, v83
	v_add_f32_e32 v115, v87, v84
	v_add_f32_e32 v84, v86, v96
	v_sub_f32_e32 v87, v85, v84
	v_pk_add_f32 v[102:103], v[84:85], v[86:87] neg_lo:[0,1] neg_hi:[0,1]
	v_mov_b32_e32 v97, v84
	v_pk_add_f32 v[84:85], v[102:103], v[96:97] neg_lo:[0,1] neg_hi:[0,1]
	s_mov_b32 s38, 0x3f317218
	v_add_f32_e32 v85, v115, v85
	v_add_f32_e32 v84, v84, v85
	;; [unrolled: 1-line block ×3, first 2 shown]
	v_mul_f32_e32 v115, v114, v85
	v_mul_f32_e32 v86, v113, v115
	v_fma_f32 v96, v115, v113, -v86
	v_fmac_f32_e32 v96, v115, v83
	v_sub_f32_e32 v83, v87, v85
	v_add_f32_e32 v83, v84, v83
	v_add_f32_e32 v84, v86, v96
	v_sub_f32_e32 v87, v85, v84
	v_pk_add_f32 v[102:103], v[84:85], v[86:87] neg_lo:[0,1] neg_hi:[0,1]
	v_mov_b32_e32 v97, v84
	v_pk_add_f32 v[84:85], v[102:103], v[96:97] neg_lo:[0,1] neg_hi:[0,1]
	v_cvt_f32_i32_e32 v86, v112
	v_add_f32_e32 v83, v83, v85
	v_add_f32_e32 v83, v84, v83
	;; [unrolled: 1-line block ×4, first 2 shown]
	v_sub_f32_e32 v85, v84, v116
	v_mul_f32_e32 v83, v114, v83
	v_sub_f32_e32 v85, v115, v85
	v_add_f32_e32 v83, v85, v83
	v_add_f32_e32 v87, v84, v83
	v_mul_f32_e32 v96, v87, v87
	v_mov_b32_e32 v85, 0x3ecc95a3
	v_fmac_f32_e32 v85, 0x3e9b6dac, v96
	v_sub_f32_e32 v84, v87, v84
	v_fmaak_f32 v85, v96, v85, 0x3f2aaada
	v_sub_f32_e32 v83, v83, v84
	v_ldexp_f32 v97, v87, 1
	v_mul_f32_e32 v87, v87, v96
	v_mov_b32_e32 v84, 0x3f317218
	v_pk_mul_f32 v[84:85], v[86:87], v[84:85]
	v_ldexp_f32 v83, v83, 1
	v_fma_f32 v87, v86, s38, -v84
	v_fmamk_f32 v96, v86, 0xb102e308, v87
	v_pk_add_f32 v[86:87], v[84:85], v[96:97]
	v_mov_b32_e32 v102, v84
	v_sub_f32_e32 v97, v87, v97
	v_sub_f32_e32 v97, v85, v97
	v_add_f32_e32 v103, v83, v97
	v_pk_add_f32 v[84:85], v[86:87], v[84:85] neg_lo:[0,1] neg_hi:[0,1]
	v_pk_add_f32 v[112:113], v[86:87], v[102:103]
	v_mov_b32_e32 v97, v86
	v_mov_b32_e32 v85, v113
	v_pk_add_f32 v[114:115], v[96:97], v[84:85] neg_lo:[0,1] neg_hi:[0,1]
	v_pk_add_f32 v[84:85], v[96:97], v[84:85]
	v_mov_b32_e32 v102, v103
	v_mov_b32_e32 v96, v85
	v_pk_add_f32 v[116:117], v[96:97], v[86:87] neg_lo:[0,1] neg_hi:[0,1]
	v_mov_b32_e32 v84, v113
	v_mov_b32_e32 v83, v116
	v_pk_add_f32 v[118:119], v[112:113], v[82:83] neg_lo:[0,1] neg_hi:[0,1]
	v_mov_b32_e32 v112, v87
	v_mov_b32_e32 v113, v116
	;; [unrolled: 1-line block ×3, first 2 shown]
	v_pk_add_f32 v[84:85], v[84:85], v[112:113] neg_lo:[0,1] neg_hi:[0,1]
	v_mov_b32_e32 v103, v86
	v_pk_add_f32 v[84:85], v[102:103], v[84:85] neg_lo:[0,1] neg_hi:[0,1]
	v_mov_b32_e32 v118, v114
	v_pk_add_f32 v[86:87], v[118:119], v[84:85]
	v_cmp_eq_f32_e64 s[38:39], s43, v101
	v_mov_b32_e32 v102, v87
	v_pk_add_f32 v[102:103], v[86:87], v[102:103]
	s_mov_b32 s43, 0x33800000
	v_pk_add_f32 v[96:97], v[96:97], v[102:103]
	v_mov_b32_e32 v85, v102
	v_mov_b32_e32 v87, v96
	v_pk_add_f32 v[112:113], v[86:87], v[114:115] neg_lo:[0,1] neg_hi:[0,1]
	v_cmp_lt_f32_e64 s[44:45], |v101|, s43
	v_sub_f32_e32 v83, v86, v112
	v_pk_add_f32 v[84:85], v[84:85], v[112:113] neg_lo:[0,1] neg_hi:[0,1]
	v_sub_f32_e32 v83, v114, v83
	v_add_f32_e32 v83, v84, v83
	v_add_f32_e32 v83, v83, v85
	v_add_f32_e32 v83, v96, v83
	s_or_b64 s[38:39], s[38:39], s[44:45]
	v_cndmask_b32_e64 v83, v83, v101, s[38:39]
	v_add_f32_e32 v83, v82, v83
.LBB479_308:
	s_or_b64 exec, exec, s[40:41]
	v_bfe_u32 v82, v83, 16, 1
	s_movk_i32 s44, 0x7fff
	v_add3_u32 v82, v83, v82, s44
	v_and_b32_e32 v84, 0xffff0000, v82
	v_mov_b32_e32 v82, 0x7fc00000
	v_cmp_o_f32_e64 s[38:39], v83, v83
	v_lshlrev_b32_sdwa v71, v71, v17 dst_sel:DWORD dst_unused:UNUSED_PAD src0_sel:DWORD src1_sel:WORD_0
	v_max_f32_e32 v83, v71, v71
	v_cndmask_b32_e64 v85, v82, v84, s[38:39]
	v_max_f32_e32 v84, v85, v85
	v_min_f32_e32 v86, v84, v83
	v_cmp_u_f32_e64 s[40:41], v85, v85
	v_max_f32_e32 v84, v84, v83
	v_cmp_u_f32_e64 s[38:39], v71, v71
	v_cndmask_b32_e64 v86, v86, v85, s[40:41]
	v_cndmask_b32_e64 v84, v84, v85, s[40:41]
	v_cndmask_b32_e64 v86, v86, v71, s[38:39]
	v_cndmask_b32_e64 v84, v84, v71, s[38:39]
	v_cmp_neq_f32_e64 s[40:41], v86, v84
	v_cmp_class_f32_e64 s[42:43], v86, s42
	s_or_b64 s[40:41], s[40:41], s[42:43]
	s_and_saveexec_b64 s[42:43], s[40:41]
	s_cbranch_execz .LBB479_310
; %bb.309:
	v_sub_f32_e32 v85, v86, v84
	s_mov_b32 s40, 0x3fb8aa3b
	v_mul_f32_e32 v86, 0x3fb8aa3b, v85
	v_fma_f32 v87, v85, s40, -v86
	v_rndne_f32_e32 v96, v86
	v_fmamk_f32 v87, v85, 0x32a5705f, v87
	v_sub_f32_e32 v86, v86, v96
	v_add_f32_e32 v86, v86, v87
	v_exp_f32_e32 v86, v86
	v_cvt_i32_f32_e32 v87, v96
	s_mov_b32 s40, 0xc2ce8ed0
	v_cmp_ngt_f32_e64 s[40:41], s40, v85
	s_mov_b32 s45, 0x7f800000
	v_ldexp_f32 v86, v86, v87
	v_cndmask_b32_e64 v86, 0, v86, s[40:41]
	s_mov_b32 s40, 0x42b17218
	v_mov_b32_e32 v87, 0x7f800000
	v_cmp_nlt_f32_e64 s[40:41], s40, v85
	s_nop 1
	v_cndmask_b32_e64 v101, v87, v86, s[40:41]
	v_add_f32_e32 v85, 1.0, v101
	v_add_f32_e32 v86, -1.0, v85
	v_sub_f32_e32 v87, v86, v85
	v_add_f32_e32 v87, 1.0, v87
	v_sub_f32_e32 v86, v101, v86
	v_add_f32_e32 v96, v86, v87
	v_frexp_mant_f32_e32 v97, v85
	s_mov_b32 s40, 0x3f2aaaab
	v_cvt_f64_f32_e32 v[86:87], v85
	v_frexp_exp_i32_f64_e32 v86, v[86:87]
	v_cmp_gt_f32_e64 s[40:41], s40, v97
	s_nop 1
	v_subbrev_co_u32_e64 v114, s[40:41], 0, v86, s[40:41]
	v_sub_u32_e32 v86, 0, v114
	v_ldexp_f32 v85, v85, v86
	v_ldexp_f32 v86, v96, v86
	v_add_f32_e32 v96, -1.0, v85
	v_add_f32_e32 v87, 1.0, v96
	v_sub_f32_e32 v87, v85, v87
	v_add_f32_e32 v97, v86, v87
	v_add_f32_e32 v87, 1.0, v85
	v_add_f32_e32 v102, -1.0, v87
	v_sub_f32_e32 v85, v85, v102
	v_add_f32_e32 v85, v86, v85
	v_add_f32_e32 v115, v87, v85
	v_rcp_f32_e32 v116, v115
	v_sub_f32_e32 v86, v87, v115
	v_add_f32_e32 v87, v96, v97
	v_add_f32_e32 v85, v85, v86
	v_mul_f32_e32 v118, v87, v116
	v_sub_f32_e32 v86, v96, v87
	v_mul_f32_e32 v96, v115, v118
	v_fma_f32 v102, v118, v115, -v96
	v_fmac_f32_e32 v102, v118, v85
	v_add_f32_e32 v117, v97, v86
	v_add_f32_e32 v86, v96, v102
	v_sub_f32_e32 v97, v87, v86
	v_pk_add_f32 v[112:113], v[86:87], v[96:97] neg_lo:[0,1] neg_hi:[0,1]
	v_mov_b32_e32 v103, v86
	v_pk_add_f32 v[86:87], v[112:113], v[102:103] neg_lo:[0,1] neg_hi:[0,1]
	s_mov_b32 s40, 0x3f317218
	v_add_f32_e32 v87, v117, v87
	v_add_f32_e32 v86, v86, v87
	v_add_f32_e32 v87, v97, v86
	v_mul_f32_e32 v117, v116, v87
	v_mul_f32_e32 v96, v115, v117
	v_fma_f32 v102, v117, v115, -v96
	v_fmac_f32_e32 v102, v117, v85
	v_sub_f32_e32 v85, v97, v87
	v_add_f32_e32 v85, v86, v85
	v_add_f32_e32 v86, v96, v102
	v_sub_f32_e32 v97, v87, v86
	v_pk_add_f32 v[112:113], v[86:87], v[96:97] neg_lo:[0,1] neg_hi:[0,1]
	v_mov_b32_e32 v103, v86
	v_pk_add_f32 v[86:87], v[112:113], v[102:103] neg_lo:[0,1] neg_hi:[0,1]
	v_cvt_f32_i32_e32 v96, v114
	v_add_f32_e32 v85, v85, v87
	v_add_f32_e32 v85, v86, v85
	;; [unrolled: 1-line block ×4, first 2 shown]
	v_sub_f32_e32 v87, v86, v118
	v_mul_f32_e32 v85, v116, v85
	v_sub_f32_e32 v87, v117, v87
	v_add_f32_e32 v85, v87, v85
	v_add_f32_e32 v97, v86, v85
	v_mul_f32_e32 v102, v97, v97
	v_mov_b32_e32 v87, 0x3ecc95a3
	v_fmac_f32_e32 v87, 0x3e9b6dac, v102
	v_sub_f32_e32 v86, v97, v86
	v_fmaak_f32 v87, v102, v87, 0x3f2aaada
	v_sub_f32_e32 v85, v85, v86
	v_ldexp_f32 v103, v97, 1
	v_mul_f32_e32 v97, v97, v102
	v_mov_b32_e32 v86, 0x3f317218
	v_pk_mul_f32 v[86:87], v[96:97], v[86:87]
	v_ldexp_f32 v85, v85, 1
	v_fma_f32 v97, v96, s40, -v86
	v_fmamk_f32 v102, v96, 0xb102e308, v97
	v_pk_add_f32 v[96:97], v[86:87], v[102:103]
	v_mov_b32_e32 v112, v86
	v_sub_f32_e32 v103, v97, v103
	v_sub_f32_e32 v103, v87, v103
	v_add_f32_e32 v113, v85, v103
	v_pk_add_f32 v[86:87], v[96:97], v[86:87] neg_lo:[0,1] neg_hi:[0,1]
	v_pk_add_f32 v[114:115], v[96:97], v[112:113]
	v_mov_b32_e32 v103, v96
	v_mov_b32_e32 v87, v115
	v_pk_add_f32 v[116:117], v[102:103], v[86:87] neg_lo:[0,1] neg_hi:[0,1]
	v_pk_add_f32 v[86:87], v[102:103], v[86:87]
	v_mov_b32_e32 v112, v113
	v_mov_b32_e32 v102, v87
	v_pk_add_f32 v[118:119], v[102:103], v[96:97] neg_lo:[0,1] neg_hi:[0,1]
	v_mov_b32_e32 v86, v115
	v_mov_b32_e32 v85, v118
	v_pk_add_f32 v[128:129], v[114:115], v[84:85] neg_lo:[0,1] neg_hi:[0,1]
	v_mov_b32_e32 v114, v97
	v_mov_b32_e32 v115, v118
	;; [unrolled: 1-line block ×3, first 2 shown]
	v_pk_add_f32 v[86:87], v[86:87], v[114:115] neg_lo:[0,1] neg_hi:[0,1]
	v_mov_b32_e32 v113, v96
	v_pk_add_f32 v[86:87], v[112:113], v[86:87] neg_lo:[0,1] neg_hi:[0,1]
	v_mov_b32_e32 v128, v116
	v_pk_add_f32 v[96:97], v[128:129], v[86:87]
	v_cmp_eq_f32_e64 s[40:41], s45, v101
	v_mov_b32_e32 v112, v97
	v_pk_add_f32 v[112:113], v[96:97], v[112:113]
	s_mov_b32 s45, 0x33800000
	v_pk_add_f32 v[102:103], v[102:103], v[112:113]
	v_mov_b32_e32 v87, v112
	v_mov_b32_e32 v97, v102
	v_pk_add_f32 v[114:115], v[96:97], v[116:117] neg_lo:[0,1] neg_hi:[0,1]
	v_cmp_lt_f32_e64 s[46:47], |v101|, s45
	v_sub_f32_e32 v85, v96, v114
	v_pk_add_f32 v[86:87], v[86:87], v[114:115] neg_lo:[0,1] neg_hi:[0,1]
	v_sub_f32_e32 v85, v116, v85
	v_add_f32_e32 v85, v86, v85
	v_add_f32_e32 v85, v85, v87
	;; [unrolled: 1-line block ×3, first 2 shown]
	s_or_b64 s[40:41], s[40:41], s[46:47]
	v_cndmask_b32_e64 v85, v85, v101, s[40:41]
	v_add_f32_e32 v85, v84, v85
.LBB479_310:
	s_or_b64 exec, exec, s[42:43]
	v_bfe_u32 v84, v85, 16, 1
	v_add3_u32 v84, v85, v84, s44
	v_and_b32_e32 v84, 0xffff0000, v84
	v_cmp_o_f32_e64 s[40:41], v85, v85
	s_movk_i32 s46, 0x1f8
	s_nop 0
	v_cndmask_b32_e64 v86, v82, v84, s[40:41]
	v_mov_b32_e32 v82, 16
	v_lshlrev_b32_sdwa v17, v82, v17 dst_sel:DWORD dst_unused:UNUSED_PAD src0_sel:DWORD src1_sel:WORD_1
	v_max_f32_e32 v85, v86, v86
	v_max_f32_e32 v84, v17, v17
	v_min_f32_e32 v87, v85, v84
	v_cmp_u_f32_e64 s[42:43], v86, v86
	v_max_f32_e32 v85, v85, v84
	v_cmp_u_f32_e64 s[40:41], v17, v17
	v_cndmask_b32_e64 v87, v87, v86, s[42:43]
	v_cndmask_b32_e64 v85, v85, v86, s[42:43]
	;; [unrolled: 1-line block ×4, first 2 shown]
	v_cmp_neq_f32_e64 s[42:43], v87, v85
	v_cmp_class_f32_e64 s[44:45], v87, s46
	s_or_b64 s[42:43], s[42:43], s[44:45]
	s_and_saveexec_b64 s[44:45], s[42:43]
	s_cbranch_execz .LBB479_312
; %bb.311:
	v_sub_f32_e32 v86, v87, v85
	s_mov_b32 s42, 0x3fb8aa3b
	v_mul_f32_e32 v87, 0x3fb8aa3b, v86
	v_fma_f32 v96, v86, s42, -v87
	v_rndne_f32_e32 v97, v87
	v_fmamk_f32 v96, v86, 0x32a5705f, v96
	v_sub_f32_e32 v87, v87, v97
	v_add_f32_e32 v87, v87, v96
	v_exp_f32_e32 v87, v87
	v_cvt_i32_f32_e32 v96, v97
	s_mov_b32 s42, 0xc2ce8ed0
	v_cmp_ngt_f32_e64 s[42:43], s42, v86
	s_mov_b32 s47, 0x7f800000
	v_ldexp_f32 v87, v87, v96
	v_cndmask_b32_e64 v87, 0, v87, s[42:43]
	s_mov_b32 s42, 0x42b17218
	v_mov_b32_e32 v96, 0x7f800000
	v_cmp_nlt_f32_e64 s[42:43], s42, v86
	s_nop 1
	v_cndmask_b32_e64 v130, v96, v87, s[42:43]
	v_add_f32_e32 v96, 1.0, v130
	v_add_f32_e32 v86, -1.0, v96
	v_sub_f32_e32 v87, v86, v96
	v_add_f32_e32 v87, 1.0, v87
	v_sub_f32_e32 v86, v130, v86
	v_add_f32_e32 v97, v86, v87
	v_frexp_mant_f32_e32 v101, v96
	s_mov_b32 s42, 0x3f2aaaab
	v_cvt_f64_f32_e32 v[86:87], v96
	v_frexp_exp_i32_f64_e32 v86, v[86:87]
	v_cmp_gt_f32_e64 s[42:43], s42, v101
	s_nop 1
	v_subbrev_co_u32_e64 v101, s[42:43], 0, v86, s[42:43]
	v_sub_u32_e32 v86, 0, v101
	v_ldexp_f32 v87, v96, v86
	v_add_f32_e32 v96, -1.0, v87
	v_add_f32_e32 v102, 1.0, v87
	v_ldexp_f32 v86, v97, v86
	v_add_f32_e32 v97, 1.0, v96
	v_add_f32_e32 v103, -1.0, v102
	v_sub_f32_e32 v97, v87, v97
	v_sub_f32_e32 v87, v87, v103
	v_add_f32_e32 v97, v86, v97
	v_add_f32_e32 v86, v86, v87
	v_add_f32_e32 v114, v102, v86
	v_rcp_f32_e32 v116, v114
	v_sub_f32_e32 v87, v102, v114
	v_add_f32_e32 v115, v86, v87
	v_add_f32_e32 v87, v96, v97
	v_mul_f32_e32 v118, v87, v116
	v_sub_f32_e32 v86, v96, v87
	v_mul_f32_e32 v96, v114, v118
	v_fma_f32 v102, v118, v114, -v96
	v_fmac_f32_e32 v102, v118, v115
	v_add_f32_e32 v117, v97, v86
	v_add_f32_e32 v86, v96, v102
	v_sub_f32_e32 v97, v87, v86
	v_pk_add_f32 v[112:113], v[86:87], v[96:97] neg_lo:[0,1] neg_hi:[0,1]
	v_mov_b32_e32 v103, v86
	v_pk_add_f32 v[86:87], v[112:113], v[102:103] neg_lo:[0,1] neg_hi:[0,1]
	s_mov_b32 s42, 0x3f317218
	v_add_f32_e32 v87, v117, v87
	v_add_f32_e32 v86, v86, v87
	v_add_f32_e32 v87, v97, v86
	v_mul_f32_e32 v117, v116, v87
	v_mul_f32_e32 v96, v114, v117
	v_fma_f32 v102, v117, v114, -v96
	v_fmac_f32_e32 v102, v117, v115
	v_sub_f32_e32 v97, v97, v87
	v_add_f32_e32 v114, v86, v97
	v_add_f32_e32 v86, v96, v102
	v_sub_f32_e32 v97, v87, v86
	v_pk_add_f32 v[112:113], v[86:87], v[96:97] neg_lo:[0,1] neg_hi:[0,1]
	v_mov_b32_e32 v103, v86
	v_pk_add_f32 v[86:87], v[112:113], v[102:103] neg_lo:[0,1] neg_hi:[0,1]
	v_cvt_f32_i32_e32 v96, v101
	v_add_f32_e32 v87, v114, v87
	v_add_f32_e32 v86, v86, v87
	;; [unrolled: 1-line block ×4, first 2 shown]
	v_sub_f32_e32 v87, v97, v118
	v_mul_f32_e32 v86, v116, v86
	v_sub_f32_e32 v87, v117, v87
	v_add_f32_e32 v86, v87, v86
	v_add_f32_e32 v102, v97, v86
	v_mul_f32_e32 v112, v102, v102
	v_mov_b32_e32 v87, 0x3ecc95a3
	v_sub_f32_e32 v97, v102, v97
	v_fmac_f32_e32 v87, 0x3e9b6dac, v112
	v_sub_f32_e32 v86, v86, v97
	v_fmaak_f32 v87, v112, v87, 0x3f2aaada
	v_ldexp_f32 v101, v86, 1
	v_mul_f32_e32 v97, v102, v112
	v_mov_b32_e32 v86, 0x3f317218
	v_pk_mul_f32 v[86:87], v[96:97], v[86:87]
	v_ldexp_f32 v103, v102, 1
	v_fma_f32 v97, v96, s42, -v86
	v_fmamk_f32 v102, v96, 0xb102e308, v97
	v_pk_add_f32 v[96:97], v[86:87], v[102:103]
	v_mov_b32_e32 v112, v86
	v_sub_f32_e32 v103, v97, v103
	v_sub_f32_e32 v103, v87, v103
	v_add_f32_e32 v113, v101, v103
	v_pk_add_f32 v[86:87], v[96:97], v[86:87] neg_lo:[0,1] neg_hi:[0,1]
	v_pk_add_f32 v[114:115], v[96:97], v[112:113]
	v_mov_b32_e32 v103, v96
	v_mov_b32_e32 v87, v115
	v_pk_add_f32 v[116:117], v[102:103], v[86:87] neg_lo:[0,1] neg_hi:[0,1]
	v_pk_add_f32 v[86:87], v[102:103], v[86:87]
	v_mov_b32_e32 v112, v113
	v_mov_b32_e32 v102, v87
	v_pk_add_f32 v[118:119], v[102:103], v[96:97] neg_lo:[0,1] neg_hi:[0,1]
	v_mov_b32_e32 v86, v115
	v_mov_b32_e32 v101, v118
	v_pk_add_f32 v[128:129], v[114:115], v[100:101] neg_lo:[0,1] neg_hi:[0,1]
	v_mov_b32_e32 v114, v97
	v_mov_b32_e32 v115, v118
	;; [unrolled: 1-line block ×3, first 2 shown]
	v_pk_add_f32 v[86:87], v[86:87], v[114:115] neg_lo:[0,1] neg_hi:[0,1]
	v_mov_b32_e32 v113, v96
	v_pk_add_f32 v[86:87], v[112:113], v[86:87] neg_lo:[0,1] neg_hi:[0,1]
	v_mov_b32_e32 v128, v116
	v_pk_add_f32 v[96:97], v[128:129], v[86:87]
	v_cmp_eq_f32_e64 s[42:43], s47, v130
	v_mov_b32_e32 v112, v97
	v_pk_add_f32 v[112:113], v[96:97], v[112:113]
	s_mov_b32 s47, 0x33800000
	v_pk_add_f32 v[102:103], v[102:103], v[112:113]
	v_mov_b32_e32 v87, v112
	v_mov_b32_e32 v97, v102
	v_pk_add_f32 v[114:115], v[96:97], v[116:117] neg_lo:[0,1] neg_hi:[0,1]
	v_cmp_lt_f32_e64 s[48:49], |v130|, s47
	v_sub_f32_e32 v96, v96, v114
	v_pk_add_f32 v[86:87], v[86:87], v[114:115] neg_lo:[0,1] neg_hi:[0,1]
	v_sub_f32_e32 v96, v116, v96
	v_add_f32_e32 v86, v86, v96
	v_add_f32_e32 v86, v86, v87
	;; [unrolled: 1-line block ×3, first 2 shown]
	s_or_b64 s[42:43], s[42:43], s[48:49]
	v_cndmask_b32_e64 v86, v86, v130, s[42:43]
	v_add_f32_e32 v86, v85, v86
.LBB479_312:
	s_or_b64 exec, exec, s[44:45]
	v_bfe_u32 v85, v86, 16, 1
	s_movk_i32 s48, 0x7fff
	v_add3_u32 v85, v86, v85, s48
	v_and_b32_e32 v87, 0xffff0000, v85
	v_mov_b32_e32 v85, 0x7fc00000
	v_cmp_o_f32_e64 s[42:43], v86, v86
	v_lshlrev_b32_sdwa v82, v82, v18 dst_sel:DWORD dst_unused:UNUSED_PAD src0_sel:DWORD src1_sel:WORD_0
	v_max_f32_e32 v86, v82, v82
	v_cndmask_b32_e64 v96, v85, v87, s[42:43]
	v_max_f32_e32 v87, v96, v96
	v_min_f32_e32 v97, v87, v86
	v_cmp_u_f32_e64 s[44:45], v96, v96
	v_max_f32_e32 v87, v87, v86
	v_cmp_u_f32_e64 s[42:43], v82, v82
	v_cndmask_b32_e64 v97, v97, v96, s[44:45]
	v_cndmask_b32_e64 v87, v87, v96, s[44:45]
	v_cndmask_b32_e64 v97, v97, v82, s[42:43]
	v_cndmask_b32_e64 v87, v87, v82, s[42:43]
	v_cmp_neq_f32_e64 s[44:45], v97, v87
	v_cmp_class_f32_e64 s[46:47], v97, s46
	s_or_b64 s[44:45], s[44:45], s[46:47]
	s_and_saveexec_b64 s[46:47], s[44:45]
	s_cbranch_execz .LBB479_314
; %bb.313:
	v_sub_f32_e32 v96, v97, v87
	s_mov_b32 s44, 0x3fb8aa3b
	v_mul_f32_e32 v97, 0x3fb8aa3b, v96
	v_fma_f32 v101, v96, s44, -v97
	v_rndne_f32_e32 v102, v97
	v_fmamk_f32 v101, v96, 0x32a5705f, v101
	v_sub_f32_e32 v97, v97, v102
	v_add_f32_e32 v97, v97, v101
	v_exp_f32_e32 v97, v97
	v_cvt_i32_f32_e32 v101, v102
	s_mov_b32 s44, 0xc2ce8ed0
	v_cmp_ngt_f32_e64 s[44:45], s44, v96
	s_mov_b32 s49, 0x7f800000
	v_ldexp_f32 v97, v97, v101
	v_cndmask_b32_e64 v97, 0, v97, s[44:45]
	s_mov_b32 s44, 0x42b17218
	v_mov_b32_e32 v101, 0x7f800000
	v_cmp_nlt_f32_e64 s[44:45], s44, v96
	s_nop 1
	v_cndmask_b32_e64 v132, v101, v97, s[44:45]
	v_add_f32_e32 v101, 1.0, v132
	v_add_f32_e32 v96, -1.0, v101
	v_sub_f32_e32 v97, v96, v101
	v_add_f32_e32 v97, 1.0, v97
	v_sub_f32_e32 v96, v132, v96
	v_add_f32_e32 v102, v96, v97
	v_frexp_mant_f32_e32 v103, v101
	s_mov_b32 s44, 0x3f2aaaab
	v_cvt_f64_f32_e32 v[96:97], v101
	v_frexp_exp_i32_f64_e32 v96, v[96:97]
	v_cmp_gt_f32_e64 s[44:45], s44, v103
	s_nop 1
	v_subbrev_co_u32_e64 v116, s[44:45], 0, v96, s[44:45]
	v_sub_u32_e32 v96, 0, v116
	v_ldexp_f32 v97, v101, v96
	v_add_f32_e32 v101, -1.0, v97
	v_add_f32_e32 v103, 1.0, v97
	v_ldexp_f32 v96, v102, v96
	v_add_f32_e32 v102, 1.0, v101
	v_add_f32_e32 v112, -1.0, v103
	v_sub_f32_e32 v102, v97, v102
	v_sub_f32_e32 v97, v97, v112
	v_add_f32_e32 v102, v96, v102
	v_add_f32_e32 v96, v96, v97
	;; [unrolled: 1-line block ×3, first 2 shown]
	v_rcp_f32_e32 v119, v117
	v_sub_f32_e32 v97, v103, v117
	v_add_f32_e32 v118, v96, v97
	v_add_f32_e32 v97, v101, v102
	v_sub_f32_e32 v96, v101, v97
	v_mul_f32_e32 v128, v97, v119
	v_add_f32_e32 v101, v102, v96
	v_mul_f32_e32 v102, v117, v128
	v_fma_f32 v112, v128, v117, -v102
	v_fmac_f32_e32 v112, v128, v118
	v_add_f32_e32 v96, v102, v112
	v_sub_f32_e32 v103, v97, v96
	v_pk_add_f32 v[114:115], v[96:97], v[102:103] neg_lo:[0,1] neg_hi:[0,1]
	v_mov_b32_e32 v113, v96
	v_pk_add_f32 v[96:97], v[114:115], v[112:113] neg_lo:[0,1] neg_hi:[0,1]
	s_mov_b32 s44, 0x3f317218
	v_add_f32_e32 v97, v101, v97
	v_add_f32_e32 v96, v96, v97
	;; [unrolled: 1-line block ×3, first 2 shown]
	v_mul_f32_e32 v101, v119, v97
	v_mul_f32_e32 v102, v117, v101
	v_fma_f32 v112, v101, v117, -v102
	v_fmac_f32_e32 v112, v101, v118
	v_sub_f32_e32 v103, v103, v97
	v_add_f32_e32 v117, v96, v103
	v_add_f32_e32 v96, v102, v112
	v_sub_f32_e32 v103, v97, v96
	v_pk_add_f32 v[114:115], v[96:97], v[102:103] neg_lo:[0,1] neg_hi:[0,1]
	v_mov_b32_e32 v113, v96
	v_pk_add_f32 v[96:97], v[114:115], v[112:113] neg_lo:[0,1] neg_hi:[0,1]
	v_cvt_f32_i32_e32 v102, v116
	v_add_f32_e32 v97, v117, v97
	v_add_f32_e32 v96, v96, v97
	;; [unrolled: 1-line block ×4, first 2 shown]
	v_sub_f32_e32 v97, v103, v128
	v_mul_f32_e32 v96, v119, v96
	v_sub_f32_e32 v97, v101, v97
	v_add_f32_e32 v96, v97, v96
	v_add_f32_e32 v101, v103, v96
	v_mul_f32_e32 v112, v101, v101
	v_mov_b32_e32 v97, 0x3ecc95a3
	v_sub_f32_e32 v103, v101, v103
	v_fmac_f32_e32 v97, 0x3e9b6dac, v112
	v_sub_f32_e32 v96, v96, v103
	v_fmaak_f32 v97, v112, v97, 0x3f2aaada
	v_ldexp_f32 v114, v96, 1
	v_mul_f32_e32 v103, v101, v112
	v_mov_b32_e32 v96, 0x3f317218
	v_pk_mul_f32 v[96:97], v[102:103], v[96:97]
	v_ldexp_f32 v113, v101, 1
	v_fma_f32 v101, v102, s44, -v96
	v_fmamk_f32 v112, v102, 0xb102e308, v101
	v_pk_add_f32 v[102:103], v[96:97], v[112:113]
	v_cmp_eq_f32_e64 s[44:45], s49, v132
	v_sub_f32_e32 v101, v103, v113
	v_sub_f32_e32 v101, v97, v101
	v_add_f32_e32 v115, v114, v101
	v_mov_b32_e32 v114, v96
	v_pk_add_f32 v[96:97], v[102:103], v[96:97] neg_lo:[0,1] neg_hi:[0,1]
	v_pk_add_f32 v[116:117], v[102:103], v[114:115]
	v_mov_b32_e32 v113, v102
	v_mov_b32_e32 v97, v117
	v_pk_add_f32 v[118:119], v[112:113], v[96:97] neg_lo:[0,1] neg_hi:[0,1]
	v_pk_add_f32 v[96:97], v[112:113], v[96:97]
	v_mov_b32_e32 v114, v115
	v_mov_b32_e32 v112, v97
	v_pk_add_f32 v[128:129], v[112:113], v[102:103] neg_lo:[0,1] neg_hi:[0,1]
	v_mov_b32_e32 v96, v117
	v_mov_b32_e32 v101, v128
	v_pk_add_f32 v[130:131], v[116:117], v[100:101] neg_lo:[0,1] neg_hi:[0,1]
	v_mov_b32_e32 v116, v103
	v_mov_b32_e32 v117, v128
	;; [unrolled: 1-line block ×3, first 2 shown]
	v_pk_add_f32 v[96:97], v[96:97], v[116:117] neg_lo:[0,1] neg_hi:[0,1]
	v_mov_b32_e32 v115, v102
	v_pk_add_f32 v[96:97], v[114:115], v[96:97] neg_lo:[0,1] neg_hi:[0,1]
	v_mov_b32_e32 v130, v118
	v_pk_add_f32 v[102:103], v[130:131], v[96:97]
	s_mov_b32 s49, 0x33800000
	v_mov_b32_e32 v114, v103
	v_pk_add_f32 v[114:115], v[102:103], v[114:115]
	v_cmp_lt_f32_e64 s[52:53], |v132|, s49
	v_pk_add_f32 v[112:113], v[112:113], v[114:115]
	v_mov_b32_e32 v97, v114
	v_mov_b32_e32 v103, v112
	v_pk_add_f32 v[116:117], v[102:103], v[118:119] neg_lo:[0,1] neg_hi:[0,1]
	s_or_b64 s[44:45], s[44:45], s[52:53]
	v_sub_f32_e32 v101, v102, v116
	v_pk_add_f32 v[96:97], v[96:97], v[116:117] neg_lo:[0,1] neg_hi:[0,1]
	v_sub_f32_e32 v101, v118, v101
	v_add_f32_e32 v96, v96, v101
	v_add_f32_e32 v96, v96, v97
	;; [unrolled: 1-line block ×3, first 2 shown]
	v_cndmask_b32_e64 v96, v96, v132, s[44:45]
	v_add_f32_e32 v96, v87, v96
.LBB479_314:
	s_or_b64 exec, exec, s[46:47]
	v_bfe_u32 v87, v96, 16, 1
	v_add3_u32 v87, v96, v87, s48
	v_and_b32_e32 v87, 0xffff0000, v87
	v_cmp_o_f32_e64 s[44:45], v96, v96
	s_movk_i32 s52, 0x1f8
	s_nop 0
	v_cndmask_b32_e64 v101, v85, v87, s[44:45]
	v_mov_b32_e32 v85, 16
	v_lshlrev_b32_sdwa v18, v85, v18 dst_sel:DWORD dst_unused:UNUSED_PAD src0_sel:DWORD src1_sel:WORD_1
	v_max_f32_e32 v96, v101, v101
	v_max_f32_e32 v87, v18, v18
	v_min_f32_e32 v97, v96, v87
	v_cmp_u_f32_e64 s[46:47], v101, v101
	v_max_f32_e32 v96, v96, v87
	v_cmp_u_f32_e64 s[44:45], v18, v18
	v_cndmask_b32_e64 v97, v97, v101, s[46:47]
	v_cndmask_b32_e64 v96, v96, v101, s[46:47]
	;; [unrolled: 1-line block ×4, first 2 shown]
	v_cmp_neq_f32_e64 s[46:47], v97, v96
	v_cmp_class_f32_e64 s[48:49], v97, s52
	s_or_b64 s[46:47], s[46:47], s[48:49]
	s_and_saveexec_b64 s[48:49], s[46:47]
	s_cbranch_execz .LBB479_316
; %bb.315:
	v_sub_f32_e32 v97, v97, v96
	s_mov_b32 s46, 0x3fb8aa3b
	v_mul_f32_e32 v101, 0x3fb8aa3b, v97
	v_fma_f32 v102, v97, s46, -v101
	v_rndne_f32_e32 v103, v101
	v_fmamk_f32 v102, v97, 0x32a5705f, v102
	v_sub_f32_e32 v101, v101, v103
	v_add_f32_e32 v101, v101, v102
	v_exp_f32_e32 v101, v101
	v_cvt_i32_f32_e32 v102, v103
	s_mov_b32 s46, 0xc2ce8ed0
	v_cmp_ngt_f32_e64 s[46:47], s46, v97
	s_mov_b32 s53, 0x7f800000
	v_ldexp_f32 v101, v101, v102
	v_cndmask_b32_e64 v101, 0, v101, s[46:47]
	s_mov_b32 s46, 0x42b17218
	v_mov_b32_e32 v102, 0x7f800000
	v_cmp_nlt_f32_e64 s[46:47], s46, v97
	s_nop 1
	v_cndmask_b32_e64 v101, v102, v101, s[46:47]
	v_add_f32_e32 v97, 1.0, v101
	v_add_f32_e32 v102, -1.0, v97
	v_sub_f32_e32 v103, v102, v97
	v_add_f32_e32 v103, 1.0, v103
	v_sub_f32_e32 v102, v101, v102
	v_add_f32_e32 v112, v102, v103
	v_frexp_mant_f32_e32 v113, v97
	s_mov_b32 s46, 0x3f2aaaab
	v_cvt_f64_f32_e32 v[102:103], v97
	v_frexp_exp_i32_f64_e32 v102, v[102:103]
	v_cmp_gt_f32_e64 s[46:47], s46, v113
	s_nop 1
	v_subbrev_co_u32_e64 v118, s[46:47], 0, v102, s[46:47]
	v_sub_u32_e32 v102, 0, v118
	v_ldexp_f32 v97, v97, v102
	v_ldexp_f32 v102, v112, v102
	v_add_f32_e32 v112, -1.0, v97
	v_add_f32_e32 v103, 1.0, v112
	v_sub_f32_e32 v103, v97, v103
	v_add_f32_e32 v113, v102, v103
	v_add_f32_e32 v103, 1.0, v97
	v_add_f32_e32 v114, -1.0, v103
	v_sub_f32_e32 v97, v97, v114
	v_add_f32_e32 v97, v102, v97
	v_add_f32_e32 v119, v103, v97
	v_rcp_f32_e32 v128, v119
	v_sub_f32_e32 v102, v103, v119
	v_add_f32_e32 v103, v112, v113
	v_add_f32_e32 v97, v97, v102
	v_mul_f32_e32 v130, v103, v128
	v_sub_f32_e32 v102, v112, v103
	v_mul_f32_e32 v112, v119, v130
	v_fma_f32 v114, v130, v119, -v112
	v_fmac_f32_e32 v114, v130, v97
	v_add_f32_e32 v129, v113, v102
	v_add_f32_e32 v102, v112, v114
	v_sub_f32_e32 v113, v103, v102
	v_pk_add_f32 v[116:117], v[102:103], v[112:113] neg_lo:[0,1] neg_hi:[0,1]
	v_mov_b32_e32 v115, v102
	v_pk_add_f32 v[102:103], v[116:117], v[114:115] neg_lo:[0,1] neg_hi:[0,1]
	s_mov_b32 s46, 0x3f317218
	v_add_f32_e32 v103, v129, v103
	v_add_f32_e32 v102, v102, v103
	;; [unrolled: 1-line block ×3, first 2 shown]
	v_mul_f32_e32 v129, v128, v103
	v_mul_f32_e32 v112, v119, v129
	v_fma_f32 v114, v129, v119, -v112
	v_fmac_f32_e32 v114, v129, v97
	v_sub_f32_e32 v97, v113, v103
	v_add_f32_e32 v97, v102, v97
	v_add_f32_e32 v102, v112, v114
	v_sub_f32_e32 v113, v103, v102
	v_pk_add_f32 v[116:117], v[102:103], v[112:113] neg_lo:[0,1] neg_hi:[0,1]
	v_mov_b32_e32 v115, v102
	v_pk_add_f32 v[102:103], v[116:117], v[114:115] neg_lo:[0,1] neg_hi:[0,1]
	v_cvt_f32_i32_e32 v112, v118
	v_add_f32_e32 v97, v97, v103
	v_add_f32_e32 v97, v102, v97
	;; [unrolled: 1-line block ×4, first 2 shown]
	v_sub_f32_e32 v103, v102, v130
	v_mul_f32_e32 v97, v128, v97
	v_sub_f32_e32 v103, v129, v103
	v_add_f32_e32 v97, v103, v97
	v_add_f32_e32 v113, v102, v97
	v_mul_f32_e32 v114, v113, v113
	v_mov_b32_e32 v103, 0x3ecc95a3
	v_fmac_f32_e32 v103, 0x3e9b6dac, v114
	v_sub_f32_e32 v102, v113, v102
	v_fmaak_f32 v103, v114, v103, 0x3f2aaada
	v_sub_f32_e32 v97, v97, v102
	v_ldexp_f32 v115, v113, 1
	v_mul_f32_e32 v113, v113, v114
	v_mov_b32_e32 v102, 0x3f317218
	v_pk_mul_f32 v[102:103], v[112:113], v[102:103]
	v_ldexp_f32 v97, v97, 1
	v_fma_f32 v113, v112, s46, -v102
	v_fmamk_f32 v114, v112, 0xb102e308, v113
	v_pk_add_f32 v[112:113], v[102:103], v[114:115]
	v_mov_b32_e32 v116, v102
	v_sub_f32_e32 v115, v113, v115
	v_sub_f32_e32 v115, v103, v115
	v_add_f32_e32 v117, v97, v115
	v_pk_add_f32 v[102:103], v[112:113], v[102:103] neg_lo:[0,1] neg_hi:[0,1]
	v_pk_add_f32 v[118:119], v[112:113], v[116:117]
	v_mov_b32_e32 v115, v112
	v_mov_b32_e32 v103, v119
	v_pk_add_f32 v[128:129], v[114:115], v[102:103] neg_lo:[0,1] neg_hi:[0,1]
	v_pk_add_f32 v[102:103], v[114:115], v[102:103]
	v_mov_b32_e32 v116, v117
	v_mov_b32_e32 v114, v103
	v_pk_add_f32 v[130:131], v[114:115], v[112:113] neg_lo:[0,1] neg_hi:[0,1]
	v_mov_b32_e32 v102, v119
	v_mov_b32_e32 v97, v130
	v_pk_add_f32 v[132:133], v[118:119], v[96:97] neg_lo:[0,1] neg_hi:[0,1]
	v_mov_b32_e32 v118, v113
	v_mov_b32_e32 v119, v130
	;; [unrolled: 1-line block ×3, first 2 shown]
	v_pk_add_f32 v[102:103], v[102:103], v[118:119] neg_lo:[0,1] neg_hi:[0,1]
	v_mov_b32_e32 v117, v112
	v_pk_add_f32 v[102:103], v[116:117], v[102:103] neg_lo:[0,1] neg_hi:[0,1]
	v_mov_b32_e32 v132, v128
	v_pk_add_f32 v[112:113], v[132:133], v[102:103]
	v_cmp_eq_f32_e64 s[46:47], s53, v101
	v_mov_b32_e32 v116, v113
	v_pk_add_f32 v[116:117], v[112:113], v[116:117]
	s_mov_b32 s53, 0x33800000
	v_pk_add_f32 v[114:115], v[114:115], v[116:117]
	v_mov_b32_e32 v103, v116
	v_mov_b32_e32 v113, v114
	v_pk_add_f32 v[118:119], v[112:113], v[128:129] neg_lo:[0,1] neg_hi:[0,1]
	v_cmp_lt_f32_e64 s[54:55], |v101|, s53
	v_sub_f32_e32 v97, v112, v118
	v_pk_add_f32 v[102:103], v[102:103], v[118:119] neg_lo:[0,1] neg_hi:[0,1]
	v_sub_f32_e32 v97, v128, v97
	v_add_f32_e32 v97, v102, v97
	v_add_f32_e32 v97, v97, v103
	;; [unrolled: 1-line block ×3, first 2 shown]
	s_or_b64 s[46:47], s[46:47], s[54:55]
	v_cndmask_b32_e64 v97, v97, v101, s[46:47]
	v_add_f32_e32 v101, v96, v97
.LBB479_316:
	s_or_b64 exec, exec, s[48:49]
	v_bfe_u32 v96, v101, 16, 1
	s_movk_i32 s54, 0x7fff
	v_add3_u32 v96, v101, v96, s54
	v_and_b32_e32 v96, 0xffff0000, v96
	v_mov_b32_e32 v97, 0x7fc00000
	v_cmp_o_f32_e64 s[46:47], v101, v101
	v_lshlrev_b32_sdwa v85, v85, v19 dst_sel:DWORD dst_unused:UNUSED_PAD src0_sel:DWORD src1_sel:WORD_0
	s_nop 0
	v_cndmask_b32_e64 v102, v97, v96, s[46:47]
	v_max_f32_e32 v101, v102, v102
	v_max_f32_e32 v96, v85, v85
	v_min_f32_e32 v103, v101, v96
	v_cmp_u_f32_e64 s[48:49], v102, v102
	v_max_f32_e32 v101, v101, v96
	v_cmp_u_f32_e64 s[46:47], v85, v85
	v_cndmask_b32_e64 v103, v103, v102, s[48:49]
	v_cndmask_b32_e64 v101, v101, v102, s[48:49]
	;; [unrolled: 1-line block ×4, first 2 shown]
	v_cmp_neq_f32_e64 s[48:49], v103, v101
	v_cmp_class_f32_e64 s[52:53], v103, s52
	s_or_b64 s[48:49], s[48:49], s[52:53]
	s_and_saveexec_b64 s[52:53], s[48:49]
	s_cbranch_execz .LBB479_318
; %bb.317:
	v_sub_f32_e32 v102, v103, v101
	s_mov_b32 s48, 0x3fb8aa3b
	v_mul_f32_e32 v103, 0x3fb8aa3b, v102
	v_fma_f32 v112, v102, s48, -v103
	v_rndne_f32_e32 v113, v103
	v_fmamk_f32 v112, v102, 0x32a5705f, v112
	v_sub_f32_e32 v103, v103, v113
	v_add_f32_e32 v103, v103, v112
	v_exp_f32_e32 v103, v103
	v_cvt_i32_f32_e32 v112, v113
	s_mov_b32 s48, 0xc2ce8ed0
	v_cmp_ngt_f32_e64 s[48:49], s48, v102
	s_mov_b32 s55, 0x7f800000
	v_ldexp_f32 v103, v103, v112
	v_cndmask_b32_e64 v103, 0, v103, s[48:49]
	s_mov_b32 s48, 0x42b17218
	v_mov_b32_e32 v112, 0x7f800000
	v_cmp_nlt_f32_e64 s[48:49], s48, v102
	s_nop 1
	v_cndmask_b32_e64 v134, v112, v103, s[48:49]
	v_add_f32_e32 v112, 1.0, v134
	v_add_f32_e32 v102, -1.0, v112
	v_sub_f32_e32 v103, v102, v112
	v_add_f32_e32 v103, 1.0, v103
	v_sub_f32_e32 v102, v134, v102
	v_add_f32_e32 v113, v102, v103
	v_frexp_mant_f32_e32 v114, v112
	s_mov_b32 s48, 0x3f2aaaab
	v_cvt_f64_f32_e32 v[102:103], v112
	v_frexp_exp_i32_f64_e32 v102, v[102:103]
	v_cmp_gt_f32_e64 s[48:49], s48, v114
	s_nop 1
	v_subbrev_co_u32_e64 v118, s[48:49], 0, v102, s[48:49]
	v_sub_u32_e32 v102, 0, v118
	v_ldexp_f32 v103, v112, v102
	v_add_f32_e32 v112, -1.0, v103
	v_add_f32_e32 v114, 1.0, v103
	v_ldexp_f32 v102, v113, v102
	v_add_f32_e32 v113, 1.0, v112
	v_add_f32_e32 v115, -1.0, v114
	v_sub_f32_e32 v113, v103, v113
	v_sub_f32_e32 v103, v103, v115
	v_add_f32_e32 v113, v102, v113
	v_add_f32_e32 v102, v102, v103
	;; [unrolled: 1-line block ×3, first 2 shown]
	v_rcp_f32_e32 v129, v119
	v_sub_f32_e32 v103, v114, v119
	v_add_f32_e32 v128, v102, v103
	v_add_f32_e32 v103, v112, v113
	v_mul_f32_e32 v131, v103, v129
	v_sub_f32_e32 v102, v112, v103
	v_mul_f32_e32 v112, v119, v131
	v_fma_f32 v114, v131, v119, -v112
	v_fmac_f32_e32 v114, v131, v128
	v_add_f32_e32 v130, v113, v102
	v_add_f32_e32 v102, v112, v114
	v_sub_f32_e32 v113, v103, v102
	v_pk_add_f32 v[116:117], v[102:103], v[112:113] neg_lo:[0,1] neg_hi:[0,1]
	v_mov_b32_e32 v115, v102
	v_pk_add_f32 v[102:103], v[116:117], v[114:115] neg_lo:[0,1] neg_hi:[0,1]
	s_mov_b32 s48, 0x3f317218
	v_add_f32_e32 v103, v130, v103
	v_add_f32_e32 v102, v102, v103
	;; [unrolled: 1-line block ×3, first 2 shown]
	v_mul_f32_e32 v130, v129, v103
	v_mul_f32_e32 v112, v119, v130
	v_fma_f32 v114, v130, v119, -v112
	v_fmac_f32_e32 v114, v130, v128
	v_sub_f32_e32 v113, v113, v103
	v_add_f32_e32 v119, v102, v113
	v_add_f32_e32 v102, v112, v114
	v_sub_f32_e32 v113, v103, v102
	v_pk_add_f32 v[116:117], v[102:103], v[112:113] neg_lo:[0,1] neg_hi:[0,1]
	v_mov_b32_e32 v115, v102
	v_pk_add_f32 v[102:103], v[116:117], v[114:115] neg_lo:[0,1] neg_hi:[0,1]
	v_cvt_f32_i32_e32 v112, v118
	v_add_f32_e32 v103, v119, v103
	v_add_f32_e32 v102, v102, v103
	;; [unrolled: 1-line block ×4, first 2 shown]
	v_sub_f32_e32 v103, v113, v131
	v_mul_f32_e32 v102, v129, v102
	v_sub_f32_e32 v103, v130, v103
	v_add_f32_e32 v102, v103, v102
	v_add_f32_e32 v114, v113, v102
	v_mul_f32_e32 v116, v114, v114
	v_mov_b32_e32 v103, 0x3ecc95a3
	v_sub_f32_e32 v113, v114, v113
	v_fmac_f32_e32 v103, 0x3e9b6dac, v116
	v_sub_f32_e32 v102, v102, v113
	v_fmaak_f32 v103, v116, v103, 0x3f2aaada
	v_ldexp_f32 v117, v102, 1
	v_mul_f32_e32 v113, v114, v116
	v_mov_b32_e32 v102, 0x3f317218
	v_pk_mul_f32 v[102:103], v[112:113], v[102:103]
	v_ldexp_f32 v115, v114, 1
	v_fma_f32 v113, v112, s48, -v102
	v_fmamk_f32 v114, v112, 0xb102e308, v113
	v_pk_add_f32 v[112:113], v[102:103], v[114:115]
	v_mov_b32_e32 v116, v102
	v_sub_f32_e32 v115, v113, v115
	v_sub_f32_e32 v115, v103, v115
	v_add_f32_e32 v117, v117, v115
	v_pk_add_f32 v[102:103], v[112:113], v[102:103] neg_lo:[0,1] neg_hi:[0,1]
	v_pk_add_f32 v[118:119], v[112:113], v[116:117]
	v_mov_b32_e32 v115, v112
	v_mov_b32_e32 v103, v119
	v_pk_add_f32 v[128:129], v[114:115], v[102:103] neg_lo:[0,1] neg_hi:[0,1]
	v_pk_add_f32 v[102:103], v[114:115], v[102:103]
	v_mov_b32_e32 v116, v117
	v_mov_b32_e32 v114, v103
	v_pk_add_f32 v[130:131], v[114:115], v[112:113] neg_lo:[0,1] neg_hi:[0,1]
	v_mov_b32_e32 v102, v119
	v_mov_b32_e32 v115, v130
	v_pk_add_f32 v[132:133], v[118:119], v[114:115] neg_lo:[0,1] neg_hi:[0,1]
	v_mov_b32_e32 v118, v113
	v_mov_b32_e32 v119, v130
	;; [unrolled: 1-line block ×3, first 2 shown]
	v_pk_add_f32 v[102:103], v[102:103], v[118:119] neg_lo:[0,1] neg_hi:[0,1]
	v_mov_b32_e32 v117, v112
	v_pk_add_f32 v[102:103], v[116:117], v[102:103] neg_lo:[0,1] neg_hi:[0,1]
	v_mov_b32_e32 v132, v128
	v_pk_add_f32 v[112:113], v[132:133], v[102:103]
	v_cmp_eq_f32_e64 s[48:49], s55, v134
	v_mov_b32_e32 v116, v113
	v_pk_add_f32 v[116:117], v[112:113], v[116:117]
	s_mov_b32 s55, 0x33800000
	v_pk_add_f32 v[114:115], v[114:115], v[116:117]
	v_mov_b32_e32 v103, v116
	v_mov_b32_e32 v113, v114
	v_pk_add_f32 v[118:119], v[112:113], v[128:129] neg_lo:[0,1] neg_hi:[0,1]
	v_cmp_lt_f32_e64 s[56:57], |v134|, s55
	v_sub_f32_e32 v112, v112, v118
	v_pk_add_f32 v[102:103], v[102:103], v[118:119] neg_lo:[0,1] neg_hi:[0,1]
	v_sub_f32_e32 v112, v128, v112
	v_add_f32_e32 v102, v102, v112
	v_add_f32_e32 v102, v102, v103
	;; [unrolled: 1-line block ×3, first 2 shown]
	s_or_b64 s[48:49], s[48:49], s[56:57]
	v_cndmask_b32_e64 v102, v102, v134, s[48:49]
	v_add_f32_e32 v102, v101, v102
.LBB479_318:
	s_or_b64 exec, exec, s[52:53]
	v_bfe_u32 v101, v102, 16, 1
	v_add3_u32 v101, v102, v101, s54
	v_and_b32_e32 v101, 0xffff0000, v101
	v_cmp_o_f32_e64 s[48:49], v102, v102
	s_movk_i32 s54, 0x1f8
	s_nop 0
	v_cndmask_b32_e64 v102, v97, v101, s[48:49]
	v_mov_b32_e32 v97, 16
	v_lshlrev_b32_sdwa v19, v97, v19 dst_sel:DWORD dst_unused:UNUSED_PAD src0_sel:DWORD src1_sel:WORD_1
	v_max_f32_e32 v101, v102, v102
	v_max_f32_e32 v97, v19, v19
	v_min_f32_e32 v103, v101, v97
	v_cmp_u_f32_e64 s[52:53], v102, v102
	v_max_f32_e32 v101, v101, v97
	v_cmp_u_f32_e64 s[48:49], v19, v19
	v_cndmask_b32_e64 v103, v103, v102, s[52:53]
	v_cndmask_b32_e64 v101, v101, v102, s[52:53]
	;; [unrolled: 1-line block ×4, first 2 shown]
	v_cmp_neq_f32_e64 s[52:53], v103, v101
	v_cmp_class_f32_e64 s[54:55], v103, s54
	s_or_b64 s[52:53], s[52:53], s[54:55]
	s_and_saveexec_b64 s[54:55], s[52:53]
	s_cbranch_execz .LBB479_320
; %bb.319:
	v_sub_f32_e32 v102, v103, v101
	s_mov_b32 s52, 0x3fb8aa3b
	v_mul_f32_e32 v103, 0x3fb8aa3b, v102
	v_fma_f32 v112, v102, s52, -v103
	v_rndne_f32_e32 v113, v103
	v_fmamk_f32 v112, v102, 0x32a5705f, v112
	v_sub_f32_e32 v103, v103, v113
	v_add_f32_e32 v103, v103, v112
	v_exp_f32_e32 v103, v103
	v_cvt_i32_f32_e32 v112, v113
	s_mov_b32 s52, 0xc2ce8ed0
	v_cmp_ngt_f32_e64 s[52:53], s52, v102
	s_mov_b32 s56, 0x7f800000
	v_ldexp_f32 v103, v103, v112
	v_cndmask_b32_e64 v103, 0, v103, s[52:53]
	s_mov_b32 s52, 0x42b17218
	v_mov_b32_e32 v112, 0x7f800000
	v_cmp_nlt_f32_e64 s[52:53], s52, v102
	s_nop 1
	v_cndmask_b32_e64 v134, v112, v103, s[52:53]
	v_add_f32_e32 v112, 1.0, v134
	v_add_f32_e32 v102, -1.0, v112
	v_sub_f32_e32 v103, v102, v112
	v_add_f32_e32 v103, 1.0, v103
	v_sub_f32_e32 v102, v134, v102
	v_add_f32_e32 v113, v102, v103
	v_frexp_mant_f32_e32 v114, v112
	s_mov_b32 s52, 0x3f2aaaab
	v_cvt_f64_f32_e32 v[102:103], v112
	v_frexp_exp_i32_f64_e32 v102, v[102:103]
	v_cmp_gt_f32_e64 s[52:53], s52, v114
	s_nop 1
	v_subbrev_co_u32_e64 v118, s[52:53], 0, v102, s[52:53]
	v_sub_u32_e32 v102, 0, v118
	v_ldexp_f32 v103, v112, v102
	v_add_f32_e32 v112, -1.0, v103
	v_add_f32_e32 v114, 1.0, v103
	v_ldexp_f32 v102, v113, v102
	v_add_f32_e32 v113, 1.0, v112
	v_add_f32_e32 v115, -1.0, v114
	v_sub_f32_e32 v113, v103, v113
	v_sub_f32_e32 v103, v103, v115
	v_add_f32_e32 v113, v102, v113
	v_add_f32_e32 v102, v102, v103
	;; [unrolled: 1-line block ×3, first 2 shown]
	v_rcp_f32_e32 v129, v119
	v_sub_f32_e32 v103, v114, v119
	v_add_f32_e32 v128, v102, v103
	v_add_f32_e32 v103, v112, v113
	v_mul_f32_e32 v131, v103, v129
	v_sub_f32_e32 v102, v112, v103
	v_mul_f32_e32 v112, v119, v131
	v_fma_f32 v114, v131, v119, -v112
	v_fmac_f32_e32 v114, v131, v128
	v_add_f32_e32 v130, v113, v102
	v_add_f32_e32 v102, v112, v114
	v_sub_f32_e32 v113, v103, v102
	v_pk_add_f32 v[116:117], v[102:103], v[112:113] neg_lo:[0,1] neg_hi:[0,1]
	v_mov_b32_e32 v115, v102
	v_pk_add_f32 v[102:103], v[116:117], v[114:115] neg_lo:[0,1] neg_hi:[0,1]
	s_mov_b32 s52, 0x3f317218
	v_add_f32_e32 v103, v130, v103
	v_add_f32_e32 v102, v102, v103
	;; [unrolled: 1-line block ×3, first 2 shown]
	v_mul_f32_e32 v130, v129, v103
	v_mul_f32_e32 v112, v119, v130
	v_fma_f32 v114, v130, v119, -v112
	v_fmac_f32_e32 v114, v130, v128
	v_sub_f32_e32 v113, v113, v103
	v_add_f32_e32 v119, v102, v113
	v_add_f32_e32 v102, v112, v114
	v_sub_f32_e32 v113, v103, v102
	v_pk_add_f32 v[116:117], v[102:103], v[112:113] neg_lo:[0,1] neg_hi:[0,1]
	v_mov_b32_e32 v115, v102
	v_pk_add_f32 v[102:103], v[116:117], v[114:115] neg_lo:[0,1] neg_hi:[0,1]
	v_cvt_f32_i32_e32 v112, v118
	v_add_f32_e32 v103, v119, v103
	v_add_f32_e32 v102, v102, v103
	;; [unrolled: 1-line block ×4, first 2 shown]
	v_sub_f32_e32 v103, v113, v131
	v_mul_f32_e32 v102, v129, v102
	v_sub_f32_e32 v103, v130, v103
	v_add_f32_e32 v102, v103, v102
	v_add_f32_e32 v114, v113, v102
	v_mul_f32_e32 v116, v114, v114
	v_mov_b32_e32 v103, 0x3ecc95a3
	v_sub_f32_e32 v113, v114, v113
	v_fmac_f32_e32 v103, 0x3e9b6dac, v116
	v_sub_f32_e32 v102, v102, v113
	v_fmaak_f32 v103, v116, v103, 0x3f2aaada
	v_ldexp_f32 v117, v102, 1
	v_mul_f32_e32 v113, v114, v116
	v_mov_b32_e32 v102, 0x3f317218
	v_pk_mul_f32 v[102:103], v[112:113], v[102:103]
	v_ldexp_f32 v115, v114, 1
	v_fma_f32 v113, v112, s52, -v102
	v_fmamk_f32 v114, v112, 0xb102e308, v113
	v_pk_add_f32 v[112:113], v[102:103], v[114:115]
	v_mov_b32_e32 v116, v102
	v_sub_f32_e32 v115, v113, v115
	v_sub_f32_e32 v115, v103, v115
	v_add_f32_e32 v117, v117, v115
	v_pk_add_f32 v[102:103], v[112:113], v[102:103] neg_lo:[0,1] neg_hi:[0,1]
	v_pk_add_f32 v[118:119], v[112:113], v[116:117]
	v_mov_b32_e32 v115, v112
	v_mov_b32_e32 v103, v119
	v_pk_add_f32 v[128:129], v[114:115], v[102:103] neg_lo:[0,1] neg_hi:[0,1]
	v_pk_add_f32 v[102:103], v[114:115], v[102:103]
	v_mov_b32_e32 v116, v117
	v_mov_b32_e32 v114, v103
	v_pk_add_f32 v[130:131], v[114:115], v[112:113] neg_lo:[0,1] neg_hi:[0,1]
	v_mov_b32_e32 v102, v119
	v_mov_b32_e32 v115, v130
	v_pk_add_f32 v[132:133], v[118:119], v[114:115] neg_lo:[0,1] neg_hi:[0,1]
	v_mov_b32_e32 v118, v113
	v_mov_b32_e32 v119, v130
	;; [unrolled: 1-line block ×3, first 2 shown]
	v_pk_add_f32 v[102:103], v[102:103], v[118:119] neg_lo:[0,1] neg_hi:[0,1]
	v_mov_b32_e32 v117, v112
	v_pk_add_f32 v[102:103], v[116:117], v[102:103] neg_lo:[0,1] neg_hi:[0,1]
	v_mov_b32_e32 v132, v128
	v_pk_add_f32 v[112:113], v[132:133], v[102:103]
	v_cmp_eq_f32_e64 s[52:53], s56, v134
	v_mov_b32_e32 v116, v113
	v_pk_add_f32 v[116:117], v[112:113], v[116:117]
	s_mov_b32 s56, 0x33800000
	v_pk_add_f32 v[114:115], v[114:115], v[116:117]
	v_mov_b32_e32 v103, v116
	v_mov_b32_e32 v113, v114
	v_pk_add_f32 v[118:119], v[112:113], v[128:129] neg_lo:[0,1] neg_hi:[0,1]
	v_cmp_lt_f32_e64 s[56:57], |v134|, s56
	v_sub_f32_e32 v112, v112, v118
	v_pk_add_f32 v[102:103], v[102:103], v[118:119] neg_lo:[0,1] neg_hi:[0,1]
	v_sub_f32_e32 v112, v128, v112
	v_add_f32_e32 v102, v102, v112
	v_add_f32_e32 v102, v102, v103
	;; [unrolled: 1-line block ×3, first 2 shown]
	s_or_b64 s[52:53], s[52:53], s[56:57]
	v_cndmask_b32_e64 v102, v102, v134, s[52:53]
	v_add_f32_e32 v102, v101, v102
.LBB479_320:
	s_or_b64 exec, exec, s[54:55]
	v_bfe_u32 v101, v102, 16, 1
	s_movk_i32 s52, 0x7fff
	v_add3_u32 v101, v102, v101, s52
	v_lshrrev_b32_e32 v101, 16, v101
	v_mov_b32_e32 v103, 0x7fc0
	v_cmp_o_f32_e64 s[52:53], v102, v102
	s_nop 1
	v_cndmask_b32_e64 v103, v103, v101, s[52:53]
	v_mbcnt_lo_u32_b32 v101, -1, 0
	v_mbcnt_hi_u32_b32 v101, -1, v101
	v_and_b32_e32 v102, 15, v101
	v_and_b32_e32 v112, 0xffff, v103
	v_cmp_ne_u32_e64 s[52:53], 0, v102
	s_nop 0
	v_mov_b32_dpp v113, v112 row_shr:1 row_mask:0xf bank_mask:0xf
	s_and_saveexec_b64 s[56:57], s[52:53]
	s_cbranch_execz .LBB479_324
; %bb.321:
	v_lshlrev_b32_e32 v113, 16, v113
	v_lshlrev_b32_e32 v103, 16, v112
	v_max_f32_e32 v114, v103, v103
	v_max_f32_e32 v115, v113, v113
	v_min_f32_e32 v112, v115, v114
	v_cmp_u_f32_e64 s[52:53], v113, v113
	v_max_f32_e32 v114, v115, v114
	v_cmp_u_f32_e64 s[54:55], v103, v103
	v_cndmask_b32_e64 v112, v112, v113, s[52:53]
	v_cndmask_b32_e64 v114, v114, v113, s[52:53]
	v_cndmask_b32_e64 v112, v112, v103, s[54:55]
	v_cndmask_b32_e64 v103, v114, v103, s[54:55]
	s_movk_i32 s54, 0x1f8
	v_cmp_neq_f32_e64 s[52:53], v112, v103
	v_cmp_class_f32_e64 s[54:55], v112, s54
	s_or_b64 s[52:53], s[52:53], s[54:55]
	s_and_saveexec_b64 s[54:55], s[52:53]
	s_cbranch_execz .LBB479_323
; %bb.322:
	v_sub_f32_e32 v112, v112, v103
	s_mov_b32 s52, 0x3fb8aa3b
	v_mul_f32_e32 v113, 0x3fb8aa3b, v112
	v_fma_f32 v114, v112, s52, -v113
	v_rndne_f32_e32 v115, v113
	v_fmamk_f32 v114, v112, 0x32a5705f, v114
	v_sub_f32_e32 v113, v113, v115
	v_add_f32_e32 v113, v113, v114
	v_exp_f32_e32 v113, v113
	v_cvt_i32_f32_e32 v114, v115
	s_mov_b32 s52, 0xc2ce8ed0
	v_cmp_ngt_f32_e64 s[52:53], s52, v112
	s_mov_b32 s58, 0x7f800000
	v_ldexp_f32 v113, v113, v114
	v_cndmask_b32_e64 v113, 0, v113, s[52:53]
	s_mov_b32 s52, 0x42b17218
	v_mov_b32_e32 v114, 0x7f800000
	v_cmp_nlt_f32_e64 s[52:53], s52, v112
	s_nop 1
	v_cndmask_b32_e64 v144, v114, v113, s[52:53]
	v_add_f32_e32 v114, 1.0, v144
	v_add_f32_e32 v112, -1.0, v114
	v_sub_f32_e32 v113, v112, v114
	v_add_f32_e32 v113, 1.0, v113
	v_sub_f32_e32 v112, v144, v112
	v_add_f32_e32 v115, v112, v113
	v_frexp_mant_f32_e32 v116, v114
	s_mov_b32 s52, 0x3f2aaaab
	v_cvt_f64_f32_e32 v[112:113], v114
	v_frexp_exp_i32_f64_e32 v112, v[112:113]
	v_cmp_gt_f32_e64 s[52:53], s52, v116
	s_nop 1
	v_subbrev_co_u32_e64 v128, s[52:53], 0, v112, s[52:53]
	v_sub_u32_e32 v112, 0, v128
	v_ldexp_f32 v113, v114, v112
	v_add_f32_e32 v114, -1.0, v113
	v_add_f32_e32 v116, 1.0, v113
	v_ldexp_f32 v112, v115, v112
	v_add_f32_e32 v115, 1.0, v114
	v_add_f32_e32 v117, -1.0, v116
	v_sub_f32_e32 v115, v113, v115
	v_sub_f32_e32 v113, v113, v117
	v_add_f32_e32 v115, v112, v115
	v_add_f32_e32 v112, v112, v113
	;; [unrolled: 1-line block ×3, first 2 shown]
	v_rcp_f32_e32 v131, v129
	v_sub_f32_e32 v113, v116, v129
	v_add_f32_e32 v130, v112, v113
	v_add_f32_e32 v113, v114, v115
	v_mul_f32_e32 v133, v113, v131
	v_sub_f32_e32 v112, v114, v113
	v_mul_f32_e32 v114, v129, v133
	v_fma_f32 v116, v133, v129, -v114
	v_fmac_f32_e32 v116, v133, v130
	v_add_f32_e32 v132, v115, v112
	v_add_f32_e32 v112, v114, v116
	v_sub_f32_e32 v115, v113, v112
	v_pk_add_f32 v[118:119], v[112:113], v[114:115] neg_lo:[0,1] neg_hi:[0,1]
	v_mov_b32_e32 v117, v112
	v_pk_add_f32 v[112:113], v[118:119], v[116:117] neg_lo:[0,1] neg_hi:[0,1]
	s_mov_b32 s52, 0x3f317218
	v_add_f32_e32 v113, v132, v113
	v_add_f32_e32 v112, v112, v113
	;; [unrolled: 1-line block ×3, first 2 shown]
	v_mul_f32_e32 v132, v131, v113
	v_mul_f32_e32 v114, v129, v132
	v_fma_f32 v116, v132, v129, -v114
	v_fmac_f32_e32 v116, v132, v130
	v_sub_f32_e32 v115, v115, v113
	v_add_f32_e32 v129, v112, v115
	v_add_f32_e32 v112, v114, v116
	v_sub_f32_e32 v115, v113, v112
	v_pk_add_f32 v[118:119], v[112:113], v[114:115] neg_lo:[0,1] neg_hi:[0,1]
	v_mov_b32_e32 v117, v112
	v_pk_add_f32 v[112:113], v[118:119], v[116:117] neg_lo:[0,1] neg_hi:[0,1]
	v_cvt_f32_i32_e32 v114, v128
	v_add_f32_e32 v113, v129, v113
	v_add_f32_e32 v112, v112, v113
	;; [unrolled: 1-line block ×4, first 2 shown]
	v_sub_f32_e32 v113, v115, v133
	v_mul_f32_e32 v112, v131, v112
	v_sub_f32_e32 v113, v132, v113
	v_add_f32_e32 v112, v113, v112
	v_add_f32_e32 v116, v115, v112
	v_mul_f32_e32 v118, v116, v116
	v_mov_b32_e32 v113, 0x3ecc95a3
	v_sub_f32_e32 v115, v116, v115
	v_fmac_f32_e32 v113, 0x3e9b6dac, v118
	v_sub_f32_e32 v112, v112, v115
	v_fmaak_f32 v113, v118, v113, 0x3f2aaada
	v_ldexp_f32 v119, v112, 1
	v_mul_f32_e32 v115, v116, v118
	v_mov_b32_e32 v112, 0x3f317218
	v_pk_mul_f32 v[112:113], v[114:115], v[112:113]
	v_ldexp_f32 v117, v116, 1
	v_fma_f32 v115, v114, s52, -v112
	v_fmamk_f32 v116, v114, 0xb102e308, v115
	v_pk_add_f32 v[114:115], v[112:113], v[116:117]
	v_mov_b32_e32 v118, v112
	v_sub_f32_e32 v117, v115, v117
	v_sub_f32_e32 v117, v113, v117
	v_add_f32_e32 v119, v119, v117
	v_pk_add_f32 v[112:113], v[114:115], v[112:113] neg_lo:[0,1] neg_hi:[0,1]
	v_pk_add_f32 v[128:129], v[114:115], v[118:119]
	v_mov_b32_e32 v117, v114
	v_mov_b32_e32 v113, v129
	v_pk_add_f32 v[130:131], v[116:117], v[112:113] neg_lo:[0,1] neg_hi:[0,1]
	v_pk_add_f32 v[112:113], v[116:117], v[112:113]
	v_mov_b32_e32 v118, v119
	v_mov_b32_e32 v116, v113
	v_pk_add_f32 v[132:133], v[116:117], v[114:115] neg_lo:[0,1] neg_hi:[0,1]
	v_mov_b32_e32 v112, v129
	v_mov_b32_e32 v117, v132
	v_pk_add_f32 v[134:135], v[128:129], v[116:117] neg_lo:[0,1] neg_hi:[0,1]
	v_mov_b32_e32 v128, v115
	v_mov_b32_e32 v129, v132
	;; [unrolled: 1-line block ×3, first 2 shown]
	v_pk_add_f32 v[112:113], v[112:113], v[128:129] neg_lo:[0,1] neg_hi:[0,1]
	v_mov_b32_e32 v119, v114
	v_pk_add_f32 v[112:113], v[118:119], v[112:113] neg_lo:[0,1] neg_hi:[0,1]
	v_mov_b32_e32 v134, v130
	v_pk_add_f32 v[114:115], v[134:135], v[112:113]
	v_cmp_eq_f32_e64 s[52:53], s58, v144
	v_mov_b32_e32 v118, v115
	v_pk_add_f32 v[118:119], v[114:115], v[118:119]
	s_mov_b32 s58, 0x33800000
	v_pk_add_f32 v[116:117], v[116:117], v[118:119]
	v_mov_b32_e32 v113, v118
	v_mov_b32_e32 v115, v116
	v_pk_add_f32 v[128:129], v[114:115], v[130:131] neg_lo:[0,1] neg_hi:[0,1]
	v_cmp_lt_f32_e64 s[58:59], |v144|, s58
	v_sub_f32_e32 v114, v114, v128
	v_pk_add_f32 v[112:113], v[112:113], v[128:129] neg_lo:[0,1] neg_hi:[0,1]
	v_sub_f32_e32 v114, v130, v114
	v_add_f32_e32 v112, v112, v114
	v_add_f32_e32 v112, v112, v113
	;; [unrolled: 1-line block ×3, first 2 shown]
	s_or_b64 s[52:53], s[52:53], s[58:59]
	v_cndmask_b32_e64 v112, v112, v144, s[52:53]
	v_add_f32_e32 v113, v103, v112
.LBB479_323:
	s_or_b64 exec, exec, s[54:55]
	v_bfe_u32 v103, v113, 16, 1
	s_movk_i32 s52, 0x7fff
	v_add3_u32 v103, v113, v103, s52
	v_lshrrev_b32_e32 v103, 16, v103
	v_mov_b32_e32 v112, 0x7fc0
	v_cmp_o_f32_e64 s[52:53], v113, v113
	s_nop 1
	v_cndmask_b32_e64 v103, v112, v103, s[52:53]
	v_and_b32_e32 v112, 0xffff, v103
.LBB479_324:
	s_or_b64 exec, exec, s[56:57]
	s_nop 0
	v_mov_b32_dpp v113, v112 row_shr:2 row_mask:0xf bank_mask:0xf
	v_cmp_lt_u32_e64 s[52:53], 1, v102
	s_and_saveexec_b64 s[56:57], s[52:53]
	s_cbranch_execz .LBB479_328
; %bb.325:
	v_lshlrev_b32_e32 v113, 16, v113
	v_lshlrev_b32_e32 v103, 16, v112
	v_max_f32_e32 v114, v103, v103
	v_max_f32_e32 v115, v113, v113
	v_min_f32_e32 v112, v115, v114
	v_cmp_u_f32_e64 s[52:53], v113, v113
	v_max_f32_e32 v114, v115, v114
	v_cmp_u_f32_e64 s[54:55], v103, v103
	v_cndmask_b32_e64 v112, v112, v113, s[52:53]
	v_cndmask_b32_e64 v114, v114, v113, s[52:53]
	;; [unrolled: 1-line block ×4, first 2 shown]
	s_movk_i32 s54, 0x1f8
	v_cmp_neq_f32_e64 s[52:53], v112, v103
	v_cmp_class_f32_e64 s[54:55], v112, s54
	s_or_b64 s[52:53], s[52:53], s[54:55]
	s_and_saveexec_b64 s[54:55], s[52:53]
	s_cbranch_execz .LBB479_327
; %bb.326:
	v_sub_f32_e32 v112, v112, v103
	s_mov_b32 s52, 0x3fb8aa3b
	v_mul_f32_e32 v113, 0x3fb8aa3b, v112
	v_fma_f32 v114, v112, s52, -v113
	v_rndne_f32_e32 v115, v113
	v_fmamk_f32 v114, v112, 0x32a5705f, v114
	v_sub_f32_e32 v113, v113, v115
	v_add_f32_e32 v113, v113, v114
	v_exp_f32_e32 v113, v113
	v_cvt_i32_f32_e32 v114, v115
	s_mov_b32 s52, 0xc2ce8ed0
	v_cmp_ngt_f32_e64 s[52:53], s52, v112
	s_mov_b32 s58, 0x7f800000
	v_ldexp_f32 v113, v113, v114
	v_cndmask_b32_e64 v113, 0, v113, s[52:53]
	s_mov_b32 s52, 0x42b17218
	v_mov_b32_e32 v114, 0x7f800000
	v_cmp_nlt_f32_e64 s[52:53], s52, v112
	s_nop 1
	v_cndmask_b32_e64 v144, v114, v113, s[52:53]
	v_add_f32_e32 v114, 1.0, v144
	v_add_f32_e32 v112, -1.0, v114
	v_sub_f32_e32 v113, v112, v114
	v_add_f32_e32 v113, 1.0, v113
	v_sub_f32_e32 v112, v144, v112
	v_add_f32_e32 v115, v112, v113
	v_frexp_mant_f32_e32 v116, v114
	s_mov_b32 s52, 0x3f2aaaab
	v_cvt_f64_f32_e32 v[112:113], v114
	v_frexp_exp_i32_f64_e32 v112, v[112:113]
	v_cmp_gt_f32_e64 s[52:53], s52, v116
	s_nop 1
	v_subbrev_co_u32_e64 v128, s[52:53], 0, v112, s[52:53]
	v_sub_u32_e32 v112, 0, v128
	v_ldexp_f32 v113, v114, v112
	v_add_f32_e32 v114, -1.0, v113
	v_add_f32_e32 v116, 1.0, v113
	v_ldexp_f32 v112, v115, v112
	v_add_f32_e32 v115, 1.0, v114
	v_add_f32_e32 v117, -1.0, v116
	v_sub_f32_e32 v115, v113, v115
	v_sub_f32_e32 v113, v113, v117
	v_add_f32_e32 v115, v112, v115
	v_add_f32_e32 v112, v112, v113
	;; [unrolled: 1-line block ×3, first 2 shown]
	v_rcp_f32_e32 v131, v129
	v_sub_f32_e32 v113, v116, v129
	v_add_f32_e32 v130, v112, v113
	v_add_f32_e32 v113, v114, v115
	v_mul_f32_e32 v133, v113, v131
	v_sub_f32_e32 v112, v114, v113
	v_mul_f32_e32 v114, v129, v133
	v_fma_f32 v116, v133, v129, -v114
	v_fmac_f32_e32 v116, v133, v130
	v_add_f32_e32 v132, v115, v112
	v_add_f32_e32 v112, v114, v116
	v_sub_f32_e32 v115, v113, v112
	v_pk_add_f32 v[118:119], v[112:113], v[114:115] neg_lo:[0,1] neg_hi:[0,1]
	v_mov_b32_e32 v117, v112
	v_pk_add_f32 v[112:113], v[118:119], v[116:117] neg_lo:[0,1] neg_hi:[0,1]
	s_mov_b32 s52, 0x3f317218
	v_add_f32_e32 v113, v132, v113
	v_add_f32_e32 v112, v112, v113
	;; [unrolled: 1-line block ×3, first 2 shown]
	v_mul_f32_e32 v132, v131, v113
	v_mul_f32_e32 v114, v129, v132
	v_fma_f32 v116, v132, v129, -v114
	v_fmac_f32_e32 v116, v132, v130
	v_sub_f32_e32 v115, v115, v113
	v_add_f32_e32 v129, v112, v115
	v_add_f32_e32 v112, v114, v116
	v_sub_f32_e32 v115, v113, v112
	v_pk_add_f32 v[118:119], v[112:113], v[114:115] neg_lo:[0,1] neg_hi:[0,1]
	v_mov_b32_e32 v117, v112
	v_pk_add_f32 v[112:113], v[118:119], v[116:117] neg_lo:[0,1] neg_hi:[0,1]
	v_cvt_f32_i32_e32 v114, v128
	v_add_f32_e32 v113, v129, v113
	v_add_f32_e32 v112, v112, v113
	;; [unrolled: 1-line block ×4, first 2 shown]
	v_sub_f32_e32 v113, v115, v133
	v_mul_f32_e32 v112, v131, v112
	v_sub_f32_e32 v113, v132, v113
	v_add_f32_e32 v112, v113, v112
	v_add_f32_e32 v116, v115, v112
	v_mul_f32_e32 v118, v116, v116
	v_mov_b32_e32 v113, 0x3ecc95a3
	v_sub_f32_e32 v115, v116, v115
	v_fmac_f32_e32 v113, 0x3e9b6dac, v118
	v_sub_f32_e32 v112, v112, v115
	v_fmaak_f32 v113, v118, v113, 0x3f2aaada
	v_ldexp_f32 v119, v112, 1
	v_mul_f32_e32 v115, v116, v118
	v_mov_b32_e32 v112, 0x3f317218
	v_pk_mul_f32 v[112:113], v[114:115], v[112:113]
	v_ldexp_f32 v117, v116, 1
	v_fma_f32 v115, v114, s52, -v112
	v_fmamk_f32 v116, v114, 0xb102e308, v115
	v_pk_add_f32 v[114:115], v[112:113], v[116:117]
	v_mov_b32_e32 v118, v112
	v_sub_f32_e32 v117, v115, v117
	v_sub_f32_e32 v117, v113, v117
	v_add_f32_e32 v119, v119, v117
	v_pk_add_f32 v[112:113], v[114:115], v[112:113] neg_lo:[0,1] neg_hi:[0,1]
	v_pk_add_f32 v[128:129], v[114:115], v[118:119]
	v_mov_b32_e32 v117, v114
	v_mov_b32_e32 v113, v129
	v_pk_add_f32 v[130:131], v[116:117], v[112:113] neg_lo:[0,1] neg_hi:[0,1]
	v_pk_add_f32 v[112:113], v[116:117], v[112:113]
	v_mov_b32_e32 v118, v119
	v_mov_b32_e32 v116, v113
	v_pk_add_f32 v[132:133], v[116:117], v[114:115] neg_lo:[0,1] neg_hi:[0,1]
	v_mov_b32_e32 v112, v129
	v_mov_b32_e32 v117, v132
	v_pk_add_f32 v[134:135], v[128:129], v[116:117] neg_lo:[0,1] neg_hi:[0,1]
	v_mov_b32_e32 v128, v115
	v_mov_b32_e32 v129, v132
	;; [unrolled: 1-line block ×3, first 2 shown]
	v_pk_add_f32 v[112:113], v[112:113], v[128:129] neg_lo:[0,1] neg_hi:[0,1]
	v_mov_b32_e32 v119, v114
	v_pk_add_f32 v[112:113], v[118:119], v[112:113] neg_lo:[0,1] neg_hi:[0,1]
	v_mov_b32_e32 v134, v130
	v_pk_add_f32 v[114:115], v[134:135], v[112:113]
	v_cmp_eq_f32_e64 s[52:53], s58, v144
	v_mov_b32_e32 v118, v115
	v_pk_add_f32 v[118:119], v[114:115], v[118:119]
	s_mov_b32 s58, 0x33800000
	v_pk_add_f32 v[116:117], v[116:117], v[118:119]
	v_mov_b32_e32 v113, v118
	v_mov_b32_e32 v115, v116
	v_pk_add_f32 v[128:129], v[114:115], v[130:131] neg_lo:[0,1] neg_hi:[0,1]
	v_cmp_lt_f32_e64 s[58:59], |v144|, s58
	v_sub_f32_e32 v114, v114, v128
	v_pk_add_f32 v[112:113], v[112:113], v[128:129] neg_lo:[0,1] neg_hi:[0,1]
	v_sub_f32_e32 v114, v130, v114
	v_add_f32_e32 v112, v112, v114
	v_add_f32_e32 v112, v112, v113
	;; [unrolled: 1-line block ×3, first 2 shown]
	s_or_b64 s[52:53], s[52:53], s[58:59]
	v_cndmask_b32_e64 v112, v112, v144, s[52:53]
	v_add_f32_e32 v113, v103, v112
.LBB479_327:
	s_or_b64 exec, exec, s[54:55]
	v_bfe_u32 v103, v113, 16, 1
	s_movk_i32 s52, 0x7fff
	v_add3_u32 v103, v113, v103, s52
	v_lshrrev_b32_e32 v103, 16, v103
	v_mov_b32_e32 v112, 0x7fc0
	v_cmp_o_f32_e64 s[52:53], v113, v113
	s_nop 1
	v_cndmask_b32_e64 v103, v112, v103, s[52:53]
	v_and_b32_e32 v112, 0xffff, v103
.LBB479_328:
	s_or_b64 exec, exec, s[56:57]
	s_nop 0
	v_mov_b32_dpp v113, v112 row_shr:4 row_mask:0xf bank_mask:0xf
	v_cmp_lt_u32_e64 s[52:53], 3, v102
	s_and_saveexec_b64 s[56:57], s[52:53]
	s_cbranch_execz .LBB479_332
; %bb.329:
	v_lshlrev_b32_e32 v113, 16, v113
	v_lshlrev_b32_e32 v103, 16, v112
	v_max_f32_e32 v114, v103, v103
	v_max_f32_e32 v115, v113, v113
	v_min_f32_e32 v112, v115, v114
	v_cmp_u_f32_e64 s[52:53], v113, v113
	v_max_f32_e32 v114, v115, v114
	v_cmp_u_f32_e64 s[54:55], v103, v103
	v_cndmask_b32_e64 v112, v112, v113, s[52:53]
	v_cndmask_b32_e64 v114, v114, v113, s[52:53]
	;; [unrolled: 1-line block ×4, first 2 shown]
	s_movk_i32 s54, 0x1f8
	v_cmp_neq_f32_e64 s[52:53], v112, v103
	v_cmp_class_f32_e64 s[54:55], v112, s54
	s_or_b64 s[52:53], s[52:53], s[54:55]
	s_and_saveexec_b64 s[54:55], s[52:53]
	s_cbranch_execz .LBB479_331
; %bb.330:
	v_sub_f32_e32 v112, v112, v103
	s_mov_b32 s52, 0x3fb8aa3b
	v_mul_f32_e32 v113, 0x3fb8aa3b, v112
	v_fma_f32 v114, v112, s52, -v113
	v_rndne_f32_e32 v115, v113
	v_fmamk_f32 v114, v112, 0x32a5705f, v114
	v_sub_f32_e32 v113, v113, v115
	v_add_f32_e32 v113, v113, v114
	v_exp_f32_e32 v113, v113
	v_cvt_i32_f32_e32 v114, v115
	s_mov_b32 s52, 0xc2ce8ed0
	v_cmp_ngt_f32_e64 s[52:53], s52, v112
	s_mov_b32 s58, 0x7f800000
	v_ldexp_f32 v113, v113, v114
	v_cndmask_b32_e64 v113, 0, v113, s[52:53]
	s_mov_b32 s52, 0x42b17218
	v_mov_b32_e32 v114, 0x7f800000
	v_cmp_nlt_f32_e64 s[52:53], s52, v112
	s_nop 1
	v_cndmask_b32_e64 v144, v114, v113, s[52:53]
	v_add_f32_e32 v114, 1.0, v144
	v_add_f32_e32 v112, -1.0, v114
	v_sub_f32_e32 v113, v112, v114
	v_add_f32_e32 v113, 1.0, v113
	v_sub_f32_e32 v112, v144, v112
	v_add_f32_e32 v115, v112, v113
	v_frexp_mant_f32_e32 v116, v114
	s_mov_b32 s52, 0x3f2aaaab
	v_cvt_f64_f32_e32 v[112:113], v114
	v_frexp_exp_i32_f64_e32 v112, v[112:113]
	v_cmp_gt_f32_e64 s[52:53], s52, v116
	s_nop 1
	v_subbrev_co_u32_e64 v128, s[52:53], 0, v112, s[52:53]
	v_sub_u32_e32 v112, 0, v128
	v_ldexp_f32 v113, v114, v112
	v_add_f32_e32 v114, -1.0, v113
	v_add_f32_e32 v116, 1.0, v113
	v_ldexp_f32 v112, v115, v112
	v_add_f32_e32 v115, 1.0, v114
	v_add_f32_e32 v117, -1.0, v116
	v_sub_f32_e32 v115, v113, v115
	v_sub_f32_e32 v113, v113, v117
	v_add_f32_e32 v115, v112, v115
	v_add_f32_e32 v112, v112, v113
	;; [unrolled: 1-line block ×3, first 2 shown]
	v_rcp_f32_e32 v131, v129
	v_sub_f32_e32 v113, v116, v129
	v_add_f32_e32 v130, v112, v113
	v_add_f32_e32 v113, v114, v115
	v_mul_f32_e32 v133, v113, v131
	v_sub_f32_e32 v112, v114, v113
	v_mul_f32_e32 v114, v129, v133
	v_fma_f32 v116, v133, v129, -v114
	v_fmac_f32_e32 v116, v133, v130
	v_add_f32_e32 v132, v115, v112
	v_add_f32_e32 v112, v114, v116
	v_sub_f32_e32 v115, v113, v112
	v_pk_add_f32 v[118:119], v[112:113], v[114:115] neg_lo:[0,1] neg_hi:[0,1]
	v_mov_b32_e32 v117, v112
	v_pk_add_f32 v[112:113], v[118:119], v[116:117] neg_lo:[0,1] neg_hi:[0,1]
	s_mov_b32 s52, 0x3f317218
	v_add_f32_e32 v113, v132, v113
	v_add_f32_e32 v112, v112, v113
	;; [unrolled: 1-line block ×3, first 2 shown]
	v_mul_f32_e32 v132, v131, v113
	v_mul_f32_e32 v114, v129, v132
	v_fma_f32 v116, v132, v129, -v114
	v_fmac_f32_e32 v116, v132, v130
	v_sub_f32_e32 v115, v115, v113
	v_add_f32_e32 v129, v112, v115
	v_add_f32_e32 v112, v114, v116
	v_sub_f32_e32 v115, v113, v112
	v_pk_add_f32 v[118:119], v[112:113], v[114:115] neg_lo:[0,1] neg_hi:[0,1]
	v_mov_b32_e32 v117, v112
	v_pk_add_f32 v[112:113], v[118:119], v[116:117] neg_lo:[0,1] neg_hi:[0,1]
	v_cvt_f32_i32_e32 v114, v128
	v_add_f32_e32 v113, v129, v113
	v_add_f32_e32 v112, v112, v113
	;; [unrolled: 1-line block ×4, first 2 shown]
	v_sub_f32_e32 v113, v115, v133
	v_mul_f32_e32 v112, v131, v112
	v_sub_f32_e32 v113, v132, v113
	v_add_f32_e32 v112, v113, v112
	v_add_f32_e32 v116, v115, v112
	v_mul_f32_e32 v118, v116, v116
	v_mov_b32_e32 v113, 0x3ecc95a3
	v_sub_f32_e32 v115, v116, v115
	v_fmac_f32_e32 v113, 0x3e9b6dac, v118
	v_sub_f32_e32 v112, v112, v115
	v_fmaak_f32 v113, v118, v113, 0x3f2aaada
	v_ldexp_f32 v119, v112, 1
	v_mul_f32_e32 v115, v116, v118
	v_mov_b32_e32 v112, 0x3f317218
	v_pk_mul_f32 v[112:113], v[114:115], v[112:113]
	v_ldexp_f32 v117, v116, 1
	v_fma_f32 v115, v114, s52, -v112
	v_fmamk_f32 v116, v114, 0xb102e308, v115
	v_pk_add_f32 v[114:115], v[112:113], v[116:117]
	v_mov_b32_e32 v118, v112
	v_sub_f32_e32 v117, v115, v117
	v_sub_f32_e32 v117, v113, v117
	v_add_f32_e32 v119, v119, v117
	v_pk_add_f32 v[112:113], v[114:115], v[112:113] neg_lo:[0,1] neg_hi:[0,1]
	v_pk_add_f32 v[128:129], v[114:115], v[118:119]
	v_mov_b32_e32 v117, v114
	v_mov_b32_e32 v113, v129
	v_pk_add_f32 v[130:131], v[116:117], v[112:113] neg_lo:[0,1] neg_hi:[0,1]
	v_pk_add_f32 v[112:113], v[116:117], v[112:113]
	v_mov_b32_e32 v118, v119
	v_mov_b32_e32 v116, v113
	v_pk_add_f32 v[132:133], v[116:117], v[114:115] neg_lo:[0,1] neg_hi:[0,1]
	v_mov_b32_e32 v112, v129
	v_mov_b32_e32 v117, v132
	v_pk_add_f32 v[134:135], v[128:129], v[116:117] neg_lo:[0,1] neg_hi:[0,1]
	v_mov_b32_e32 v128, v115
	v_mov_b32_e32 v129, v132
	;; [unrolled: 1-line block ×3, first 2 shown]
	v_pk_add_f32 v[112:113], v[112:113], v[128:129] neg_lo:[0,1] neg_hi:[0,1]
	v_mov_b32_e32 v119, v114
	v_pk_add_f32 v[112:113], v[118:119], v[112:113] neg_lo:[0,1] neg_hi:[0,1]
	v_mov_b32_e32 v134, v130
	v_pk_add_f32 v[114:115], v[134:135], v[112:113]
	v_cmp_eq_f32_e64 s[52:53], s58, v144
	v_mov_b32_e32 v118, v115
	v_pk_add_f32 v[118:119], v[114:115], v[118:119]
	s_mov_b32 s58, 0x33800000
	v_pk_add_f32 v[116:117], v[116:117], v[118:119]
	v_mov_b32_e32 v113, v118
	v_mov_b32_e32 v115, v116
	v_pk_add_f32 v[128:129], v[114:115], v[130:131] neg_lo:[0,1] neg_hi:[0,1]
	v_cmp_lt_f32_e64 s[58:59], |v144|, s58
	v_sub_f32_e32 v114, v114, v128
	v_pk_add_f32 v[112:113], v[112:113], v[128:129] neg_lo:[0,1] neg_hi:[0,1]
	v_sub_f32_e32 v114, v130, v114
	v_add_f32_e32 v112, v112, v114
	v_add_f32_e32 v112, v112, v113
	;; [unrolled: 1-line block ×3, first 2 shown]
	s_or_b64 s[52:53], s[52:53], s[58:59]
	v_cndmask_b32_e64 v112, v112, v144, s[52:53]
	v_add_f32_e32 v113, v103, v112
.LBB479_331:
	s_or_b64 exec, exec, s[54:55]
	v_bfe_u32 v103, v113, 16, 1
	s_movk_i32 s52, 0x7fff
	v_add3_u32 v103, v113, v103, s52
	v_lshrrev_b32_e32 v103, 16, v103
	v_mov_b32_e32 v112, 0x7fc0
	v_cmp_o_f32_e64 s[52:53], v113, v113
	s_nop 1
	v_cndmask_b32_e64 v103, v112, v103, s[52:53]
	v_and_b32_e32 v112, 0xffff, v103
.LBB479_332:
	s_or_b64 exec, exec, s[56:57]
	s_nop 0
	v_mov_b32_dpp v113, v112 row_shr:8 row_mask:0xf bank_mask:0xf
	v_cmp_lt_u32_e64 s[52:53], 7, v102
	s_and_saveexec_b64 s[56:57], s[52:53]
	s_cbranch_execz .LBB479_336
; %bb.333:
	v_lshlrev_b32_e32 v103, 16, v113
	v_lshlrev_b32_e32 v102, 16, v112
	v_max_f32_e32 v113, v102, v102
	v_max_f32_e32 v114, v103, v103
	v_min_f32_e32 v112, v114, v113
	v_cmp_u_f32_e64 s[52:53], v103, v103
	v_max_f32_e32 v113, v114, v113
	v_cmp_u_f32_e64 s[54:55], v102, v102
	v_cndmask_b32_e64 v112, v112, v103, s[52:53]
	v_cndmask_b32_e64 v113, v113, v103, s[52:53]
	v_cndmask_b32_e64 v112, v112, v102, s[54:55]
	v_cndmask_b32_e64 v102, v113, v102, s[54:55]
	s_movk_i32 s54, 0x1f8
	v_cmp_neq_f32_e64 s[52:53], v112, v102
	v_cmp_class_f32_e64 s[54:55], v112, s54
	s_or_b64 s[52:53], s[52:53], s[54:55]
	s_and_saveexec_b64 s[54:55], s[52:53]
	s_cbranch_execz .LBB479_335
; %bb.334:
	v_sub_f32_e32 v103, v112, v102
	s_mov_b32 s52, 0x3fb8aa3b
	v_mul_f32_e32 v112, 0x3fb8aa3b, v103
	v_fma_f32 v113, v103, s52, -v112
	v_rndne_f32_e32 v114, v112
	v_fmamk_f32 v113, v103, 0x32a5705f, v113
	v_sub_f32_e32 v112, v112, v114
	v_add_f32_e32 v112, v112, v113
	v_exp_f32_e32 v112, v112
	v_cvt_i32_f32_e32 v113, v114
	s_mov_b32 s52, 0xc2ce8ed0
	v_cmp_ngt_f32_e64 s[52:53], s52, v103
	s_mov_b32 s58, 0x7f800000
	v_ldexp_f32 v112, v112, v113
	v_cndmask_b32_e64 v112, 0, v112, s[52:53]
	s_mov_b32 s52, 0x42b17218
	v_mov_b32_e32 v113, 0x7f800000
	v_cmp_nlt_f32_e64 s[52:53], s52, v103
	s_nop 1
	v_cndmask_b32_e64 v144, v113, v112, s[52:53]
	v_add_f32_e32 v103, 1.0, v144
	v_add_f32_e32 v112, -1.0, v103
	v_sub_f32_e32 v113, v112, v103
	v_add_f32_e32 v113, 1.0, v113
	v_sub_f32_e32 v112, v144, v112
	v_add_f32_e32 v114, v112, v113
	v_frexp_mant_f32_e32 v115, v103
	s_mov_b32 s52, 0x3f2aaaab
	v_cvt_f64_f32_e32 v[112:113], v103
	v_frexp_exp_i32_f64_e32 v112, v[112:113]
	v_cmp_gt_f32_e64 s[52:53], s52, v115
	s_nop 1
	v_subbrev_co_u32_e64 v128, s[52:53], 0, v112, s[52:53]
	v_sub_u32_e32 v112, 0, v128
	v_ldexp_f32 v103, v103, v112
	v_ldexp_f32 v112, v114, v112
	v_add_f32_e32 v114, -1.0, v103
	v_add_f32_e32 v113, 1.0, v114
	v_sub_f32_e32 v113, v103, v113
	v_add_f32_e32 v115, v112, v113
	v_add_f32_e32 v113, 1.0, v103
	v_add_f32_e32 v116, -1.0, v113
	v_sub_f32_e32 v103, v103, v116
	v_add_f32_e32 v103, v112, v103
	v_add_f32_e32 v129, v113, v103
	v_rcp_f32_e32 v130, v129
	v_sub_f32_e32 v112, v113, v129
	v_add_f32_e32 v113, v114, v115
	v_add_f32_e32 v103, v103, v112
	v_mul_f32_e32 v132, v113, v130
	v_sub_f32_e32 v112, v114, v113
	v_mul_f32_e32 v114, v129, v132
	v_fma_f32 v116, v132, v129, -v114
	v_fmac_f32_e32 v116, v132, v103
	v_add_f32_e32 v131, v115, v112
	v_add_f32_e32 v112, v114, v116
	v_sub_f32_e32 v115, v113, v112
	v_pk_add_f32 v[118:119], v[112:113], v[114:115] neg_lo:[0,1] neg_hi:[0,1]
	v_mov_b32_e32 v117, v112
	v_pk_add_f32 v[112:113], v[118:119], v[116:117] neg_lo:[0,1] neg_hi:[0,1]
	s_mov_b32 s52, 0x3f317218
	v_add_f32_e32 v113, v131, v113
	v_add_f32_e32 v112, v112, v113
	;; [unrolled: 1-line block ×3, first 2 shown]
	v_mul_f32_e32 v131, v130, v113
	v_mul_f32_e32 v114, v129, v131
	v_fma_f32 v116, v131, v129, -v114
	v_fmac_f32_e32 v116, v131, v103
	v_sub_f32_e32 v103, v115, v113
	v_add_f32_e32 v103, v112, v103
	v_add_f32_e32 v112, v114, v116
	v_sub_f32_e32 v115, v113, v112
	v_pk_add_f32 v[118:119], v[112:113], v[114:115] neg_lo:[0,1] neg_hi:[0,1]
	v_mov_b32_e32 v117, v112
	v_pk_add_f32 v[112:113], v[118:119], v[116:117] neg_lo:[0,1] neg_hi:[0,1]
	v_cvt_f32_i32_e32 v114, v128
	v_add_f32_e32 v103, v103, v113
	v_add_f32_e32 v103, v112, v103
	;; [unrolled: 1-line block ×4, first 2 shown]
	v_sub_f32_e32 v113, v112, v132
	v_mul_f32_e32 v103, v130, v103
	v_sub_f32_e32 v113, v131, v113
	v_add_f32_e32 v103, v113, v103
	v_add_f32_e32 v115, v112, v103
	v_mul_f32_e32 v116, v115, v115
	v_mov_b32_e32 v113, 0x3ecc95a3
	v_fmac_f32_e32 v113, 0x3e9b6dac, v116
	v_sub_f32_e32 v112, v115, v112
	v_fmaak_f32 v113, v116, v113, 0x3f2aaada
	v_sub_f32_e32 v103, v103, v112
	v_ldexp_f32 v117, v115, 1
	v_mul_f32_e32 v115, v115, v116
	v_mov_b32_e32 v112, 0x3f317218
	v_pk_mul_f32 v[112:113], v[114:115], v[112:113]
	v_ldexp_f32 v103, v103, 1
	v_fma_f32 v115, v114, s52, -v112
	v_fmamk_f32 v116, v114, 0xb102e308, v115
	v_pk_add_f32 v[114:115], v[112:113], v[116:117]
	v_mov_b32_e32 v118, v112
	v_sub_f32_e32 v117, v115, v117
	v_sub_f32_e32 v117, v113, v117
	v_add_f32_e32 v119, v103, v117
	v_pk_add_f32 v[112:113], v[114:115], v[112:113] neg_lo:[0,1] neg_hi:[0,1]
	v_pk_add_f32 v[128:129], v[114:115], v[118:119]
	v_mov_b32_e32 v117, v114
	v_mov_b32_e32 v113, v129
	v_pk_add_f32 v[130:131], v[116:117], v[112:113] neg_lo:[0,1] neg_hi:[0,1]
	v_pk_add_f32 v[112:113], v[116:117], v[112:113]
	v_mov_b32_e32 v118, v119
	v_mov_b32_e32 v116, v113
	v_pk_add_f32 v[132:133], v[116:117], v[114:115] neg_lo:[0,1] neg_hi:[0,1]
	v_mov_b32_e32 v112, v129
	v_mov_b32_e32 v103, v132
	v_pk_add_f32 v[134:135], v[128:129], v[102:103] neg_lo:[0,1] neg_hi:[0,1]
	v_mov_b32_e32 v128, v115
	v_mov_b32_e32 v129, v132
	;; [unrolled: 1-line block ×3, first 2 shown]
	v_pk_add_f32 v[112:113], v[112:113], v[128:129] neg_lo:[0,1] neg_hi:[0,1]
	v_mov_b32_e32 v119, v114
	v_pk_add_f32 v[112:113], v[118:119], v[112:113] neg_lo:[0,1] neg_hi:[0,1]
	v_mov_b32_e32 v134, v130
	v_pk_add_f32 v[114:115], v[134:135], v[112:113]
	v_cmp_eq_f32_e64 s[52:53], s58, v144
	v_mov_b32_e32 v118, v115
	v_pk_add_f32 v[118:119], v[114:115], v[118:119]
	s_mov_b32 s58, 0x33800000
	v_pk_add_f32 v[116:117], v[116:117], v[118:119]
	v_mov_b32_e32 v113, v118
	v_mov_b32_e32 v115, v116
	v_pk_add_f32 v[128:129], v[114:115], v[130:131] neg_lo:[0,1] neg_hi:[0,1]
	v_cmp_lt_f32_e64 s[58:59], |v144|, s58
	v_sub_f32_e32 v103, v114, v128
	v_pk_add_f32 v[112:113], v[112:113], v[128:129] neg_lo:[0,1] neg_hi:[0,1]
	v_sub_f32_e32 v103, v130, v103
	v_add_f32_e32 v103, v112, v103
	v_add_f32_e32 v103, v103, v113
	;; [unrolled: 1-line block ×3, first 2 shown]
	s_or_b64 s[52:53], s[52:53], s[58:59]
	v_cndmask_b32_e64 v103, v103, v144, s[52:53]
	v_add_f32_e32 v103, v102, v103
.LBB479_335:
	s_or_b64 exec, exec, s[54:55]
	v_bfe_u32 v102, v103, 16, 1
	s_movk_i32 s52, 0x7fff
	v_add3_u32 v102, v103, v102, s52
	v_lshrrev_b32_e32 v102, 16, v102
	v_mov_b32_e32 v112, 0x7fc0
	v_cmp_o_f32_e64 s[52:53], v103, v103
	s_nop 1
	v_cndmask_b32_e64 v103, v112, v102, s[52:53]
	v_and_b32_e32 v112, 0xffff, v103
.LBB479_336:
	s_or_b64 exec, exec, s[56:57]
	v_and_b32_e32 v113, 16, v101
	v_mov_b32_dpp v102, v112 row_bcast:15 row_mask:0xf bank_mask:0xf
	v_cmp_ne_u32_e64 s[52:53], 0, v113
	s_and_saveexec_b64 s[56:57], s[52:53]
	s_cbranch_execz .LBB479_340
; %bb.337:
	v_lshlrev_b32_e32 v103, 16, v102
	v_lshlrev_b32_e32 v102, 16, v112
	v_max_f32_e32 v113, v102, v102
	v_max_f32_e32 v114, v103, v103
	v_min_f32_e32 v112, v114, v113
	v_cmp_u_f32_e64 s[52:53], v103, v103
	v_max_f32_e32 v113, v114, v113
	v_cmp_u_f32_e64 s[54:55], v102, v102
	v_cndmask_b32_e64 v112, v112, v103, s[52:53]
	v_cndmask_b32_e64 v113, v113, v103, s[52:53]
	;; [unrolled: 1-line block ×4, first 2 shown]
	s_movk_i32 s54, 0x1f8
	v_cmp_neq_f32_e64 s[52:53], v112, v102
	v_cmp_class_f32_e64 s[54:55], v112, s54
	s_or_b64 s[52:53], s[52:53], s[54:55]
	s_and_saveexec_b64 s[54:55], s[52:53]
	s_cbranch_execz .LBB479_339
; %bb.338:
	v_sub_f32_e32 v103, v112, v102
	s_mov_b32 s52, 0x3fb8aa3b
	v_mul_f32_e32 v112, 0x3fb8aa3b, v103
	v_fma_f32 v113, v103, s52, -v112
	v_rndne_f32_e32 v114, v112
	v_fmamk_f32 v113, v103, 0x32a5705f, v113
	v_sub_f32_e32 v112, v112, v114
	v_add_f32_e32 v112, v112, v113
	v_exp_f32_e32 v112, v112
	v_cvt_i32_f32_e32 v113, v114
	s_mov_b32 s52, 0xc2ce8ed0
	v_cmp_ngt_f32_e64 s[52:53], s52, v103
	s_mov_b32 s58, 0x7f800000
	v_ldexp_f32 v112, v112, v113
	v_cndmask_b32_e64 v112, 0, v112, s[52:53]
	s_mov_b32 s52, 0x42b17218
	v_mov_b32_e32 v113, 0x7f800000
	v_cmp_nlt_f32_e64 s[52:53], s52, v103
	s_nop 1
	v_cndmask_b32_e64 v144, v113, v112, s[52:53]
	v_add_f32_e32 v103, 1.0, v144
	v_add_f32_e32 v112, -1.0, v103
	v_sub_f32_e32 v113, v112, v103
	v_add_f32_e32 v113, 1.0, v113
	v_sub_f32_e32 v112, v144, v112
	v_add_f32_e32 v114, v112, v113
	v_frexp_mant_f32_e32 v115, v103
	s_mov_b32 s52, 0x3f2aaaab
	v_cvt_f64_f32_e32 v[112:113], v103
	v_frexp_exp_i32_f64_e32 v112, v[112:113]
	v_cmp_gt_f32_e64 s[52:53], s52, v115
	s_nop 1
	v_subbrev_co_u32_e64 v128, s[52:53], 0, v112, s[52:53]
	v_sub_u32_e32 v112, 0, v128
	v_ldexp_f32 v103, v103, v112
	v_ldexp_f32 v112, v114, v112
	v_add_f32_e32 v114, -1.0, v103
	v_add_f32_e32 v113, 1.0, v114
	v_sub_f32_e32 v113, v103, v113
	v_add_f32_e32 v115, v112, v113
	v_add_f32_e32 v113, 1.0, v103
	v_add_f32_e32 v116, -1.0, v113
	v_sub_f32_e32 v103, v103, v116
	v_add_f32_e32 v103, v112, v103
	v_add_f32_e32 v129, v113, v103
	v_rcp_f32_e32 v130, v129
	v_sub_f32_e32 v112, v113, v129
	v_add_f32_e32 v113, v114, v115
	v_add_f32_e32 v103, v103, v112
	v_mul_f32_e32 v132, v113, v130
	v_sub_f32_e32 v112, v114, v113
	v_mul_f32_e32 v114, v129, v132
	v_fma_f32 v116, v132, v129, -v114
	v_fmac_f32_e32 v116, v132, v103
	v_add_f32_e32 v131, v115, v112
	v_add_f32_e32 v112, v114, v116
	v_sub_f32_e32 v115, v113, v112
	v_pk_add_f32 v[118:119], v[112:113], v[114:115] neg_lo:[0,1] neg_hi:[0,1]
	v_mov_b32_e32 v117, v112
	v_pk_add_f32 v[112:113], v[118:119], v[116:117] neg_lo:[0,1] neg_hi:[0,1]
	s_mov_b32 s52, 0x3f317218
	v_add_f32_e32 v113, v131, v113
	v_add_f32_e32 v112, v112, v113
	v_add_f32_e32 v113, v115, v112
	v_mul_f32_e32 v131, v130, v113
	v_mul_f32_e32 v114, v129, v131
	v_fma_f32 v116, v131, v129, -v114
	v_fmac_f32_e32 v116, v131, v103
	v_sub_f32_e32 v103, v115, v113
	v_add_f32_e32 v103, v112, v103
	v_add_f32_e32 v112, v114, v116
	v_sub_f32_e32 v115, v113, v112
	v_pk_add_f32 v[118:119], v[112:113], v[114:115] neg_lo:[0,1] neg_hi:[0,1]
	v_mov_b32_e32 v117, v112
	v_pk_add_f32 v[112:113], v[118:119], v[116:117] neg_lo:[0,1] neg_hi:[0,1]
	v_cvt_f32_i32_e32 v114, v128
	v_add_f32_e32 v103, v103, v113
	v_add_f32_e32 v103, v112, v103
	;; [unrolled: 1-line block ×4, first 2 shown]
	v_sub_f32_e32 v113, v112, v132
	v_mul_f32_e32 v103, v130, v103
	v_sub_f32_e32 v113, v131, v113
	v_add_f32_e32 v103, v113, v103
	v_add_f32_e32 v115, v112, v103
	v_mul_f32_e32 v116, v115, v115
	v_mov_b32_e32 v113, 0x3ecc95a3
	v_fmac_f32_e32 v113, 0x3e9b6dac, v116
	v_sub_f32_e32 v112, v115, v112
	v_fmaak_f32 v113, v116, v113, 0x3f2aaada
	v_sub_f32_e32 v103, v103, v112
	v_ldexp_f32 v117, v115, 1
	v_mul_f32_e32 v115, v115, v116
	v_mov_b32_e32 v112, 0x3f317218
	v_pk_mul_f32 v[112:113], v[114:115], v[112:113]
	v_ldexp_f32 v103, v103, 1
	v_fma_f32 v115, v114, s52, -v112
	v_fmamk_f32 v116, v114, 0xb102e308, v115
	v_pk_add_f32 v[114:115], v[112:113], v[116:117]
	v_mov_b32_e32 v118, v112
	v_sub_f32_e32 v117, v115, v117
	v_sub_f32_e32 v117, v113, v117
	v_add_f32_e32 v119, v103, v117
	v_pk_add_f32 v[112:113], v[114:115], v[112:113] neg_lo:[0,1] neg_hi:[0,1]
	v_pk_add_f32 v[128:129], v[114:115], v[118:119]
	v_mov_b32_e32 v117, v114
	v_mov_b32_e32 v113, v129
	v_pk_add_f32 v[130:131], v[116:117], v[112:113] neg_lo:[0,1] neg_hi:[0,1]
	v_pk_add_f32 v[112:113], v[116:117], v[112:113]
	v_mov_b32_e32 v118, v119
	v_mov_b32_e32 v116, v113
	v_pk_add_f32 v[132:133], v[116:117], v[114:115] neg_lo:[0,1] neg_hi:[0,1]
	v_mov_b32_e32 v112, v129
	v_mov_b32_e32 v103, v132
	v_pk_add_f32 v[134:135], v[128:129], v[102:103] neg_lo:[0,1] neg_hi:[0,1]
	v_mov_b32_e32 v128, v115
	v_mov_b32_e32 v129, v132
	;; [unrolled: 1-line block ×3, first 2 shown]
	v_pk_add_f32 v[112:113], v[112:113], v[128:129] neg_lo:[0,1] neg_hi:[0,1]
	v_mov_b32_e32 v119, v114
	v_pk_add_f32 v[112:113], v[118:119], v[112:113] neg_lo:[0,1] neg_hi:[0,1]
	v_mov_b32_e32 v134, v130
	v_pk_add_f32 v[114:115], v[134:135], v[112:113]
	v_cmp_eq_f32_e64 s[52:53], s58, v144
	v_mov_b32_e32 v118, v115
	v_pk_add_f32 v[118:119], v[114:115], v[118:119]
	s_mov_b32 s58, 0x33800000
	v_pk_add_f32 v[116:117], v[116:117], v[118:119]
	v_mov_b32_e32 v113, v118
	v_mov_b32_e32 v115, v116
	v_pk_add_f32 v[128:129], v[114:115], v[130:131] neg_lo:[0,1] neg_hi:[0,1]
	v_cmp_lt_f32_e64 s[58:59], |v144|, s58
	v_sub_f32_e32 v103, v114, v128
	v_pk_add_f32 v[112:113], v[112:113], v[128:129] neg_lo:[0,1] neg_hi:[0,1]
	v_sub_f32_e32 v103, v130, v103
	v_add_f32_e32 v103, v112, v103
	v_add_f32_e32 v103, v103, v113
	;; [unrolled: 1-line block ×3, first 2 shown]
	s_or_b64 s[52:53], s[52:53], s[58:59]
	v_cndmask_b32_e64 v103, v103, v144, s[52:53]
	v_add_f32_e32 v103, v102, v103
.LBB479_339:
	s_or_b64 exec, exec, s[54:55]
	v_bfe_u32 v102, v103, 16, 1
	s_movk_i32 s52, 0x7fff
	v_add3_u32 v102, v103, v102, s52
	v_lshrrev_b32_e32 v102, 16, v102
	v_mov_b32_e32 v112, 0x7fc0
	v_cmp_o_f32_e64 s[52:53], v103, v103
	s_nop 1
	v_cndmask_b32_e64 v103, v112, v102, s[52:53]
	v_and_b32_e32 v112, 0xffff, v103
.LBB479_340:
	s_or_b64 exec, exec, s[56:57]
	s_nop 0
	v_mov_b32_dpp v102, v112 row_bcast:31 row_mask:0xf bank_mask:0xf
	v_cmp_lt_u32_e64 s[52:53], 31, v101
	s_and_saveexec_b64 s[56:57], s[52:53]
	s_cbranch_execz .LBB479_344
; %bb.341:
	v_lshlrev_b32_e32 v103, 16, v102
	v_lshlrev_b32_e32 v102, 16, v112
	v_max_f32_e32 v113, v102, v102
	v_max_f32_e32 v114, v103, v103
	v_min_f32_e32 v112, v114, v113
	v_cmp_u_f32_e64 s[52:53], v103, v103
	v_max_f32_e32 v113, v114, v113
	v_cmp_u_f32_e64 s[54:55], v102, v102
	v_cndmask_b32_e64 v112, v112, v103, s[52:53]
	v_cndmask_b32_e64 v113, v113, v103, s[52:53]
	;; [unrolled: 1-line block ×4, first 2 shown]
	s_movk_i32 s54, 0x1f8
	v_cmp_neq_f32_e64 s[52:53], v112, v102
	v_cmp_class_f32_e64 s[54:55], v112, s54
	s_or_b64 s[52:53], s[52:53], s[54:55]
	s_and_saveexec_b64 s[54:55], s[52:53]
	s_cbranch_execz .LBB479_343
; %bb.342:
	v_sub_f32_e32 v103, v112, v102
	s_mov_b32 s52, 0x3fb8aa3b
	v_mul_f32_e32 v112, 0x3fb8aa3b, v103
	v_fma_f32 v113, v103, s52, -v112
	v_rndne_f32_e32 v114, v112
	v_fmamk_f32 v113, v103, 0x32a5705f, v113
	v_sub_f32_e32 v112, v112, v114
	v_add_f32_e32 v112, v112, v113
	v_exp_f32_e32 v112, v112
	v_cvt_i32_f32_e32 v113, v114
	s_mov_b32 s52, 0xc2ce8ed0
	v_cmp_ngt_f32_e64 s[52:53], s52, v103
	s_mov_b32 s58, 0x7f800000
	v_ldexp_f32 v112, v112, v113
	v_cndmask_b32_e64 v112, 0, v112, s[52:53]
	s_mov_b32 s52, 0x42b17218
	v_mov_b32_e32 v113, 0x7f800000
	v_cmp_nlt_f32_e64 s[52:53], s52, v103
	s_nop 1
	v_cndmask_b32_e64 v144, v113, v112, s[52:53]
	v_add_f32_e32 v103, 1.0, v144
	v_add_f32_e32 v112, -1.0, v103
	v_sub_f32_e32 v113, v112, v103
	v_add_f32_e32 v113, 1.0, v113
	v_sub_f32_e32 v112, v144, v112
	v_add_f32_e32 v114, v112, v113
	v_frexp_mant_f32_e32 v115, v103
	s_mov_b32 s52, 0x3f2aaaab
	v_cvt_f64_f32_e32 v[112:113], v103
	v_frexp_exp_i32_f64_e32 v112, v[112:113]
	v_cmp_gt_f32_e64 s[52:53], s52, v115
	s_nop 1
	v_subbrev_co_u32_e64 v128, s[52:53], 0, v112, s[52:53]
	v_sub_u32_e32 v112, 0, v128
	v_ldexp_f32 v103, v103, v112
	v_ldexp_f32 v112, v114, v112
	v_add_f32_e32 v114, -1.0, v103
	v_add_f32_e32 v113, 1.0, v114
	v_sub_f32_e32 v113, v103, v113
	v_add_f32_e32 v115, v112, v113
	v_add_f32_e32 v113, 1.0, v103
	v_add_f32_e32 v116, -1.0, v113
	v_sub_f32_e32 v103, v103, v116
	v_add_f32_e32 v103, v112, v103
	v_add_f32_e32 v129, v113, v103
	v_rcp_f32_e32 v130, v129
	v_sub_f32_e32 v112, v113, v129
	v_add_f32_e32 v113, v114, v115
	v_add_f32_e32 v103, v103, v112
	v_mul_f32_e32 v132, v113, v130
	v_sub_f32_e32 v112, v114, v113
	v_mul_f32_e32 v114, v129, v132
	v_fma_f32 v116, v132, v129, -v114
	v_fmac_f32_e32 v116, v132, v103
	v_add_f32_e32 v131, v115, v112
	v_add_f32_e32 v112, v114, v116
	v_sub_f32_e32 v115, v113, v112
	v_pk_add_f32 v[118:119], v[112:113], v[114:115] neg_lo:[0,1] neg_hi:[0,1]
	v_mov_b32_e32 v117, v112
	v_pk_add_f32 v[112:113], v[118:119], v[116:117] neg_lo:[0,1] neg_hi:[0,1]
	s_mov_b32 s52, 0x3f317218
	v_add_f32_e32 v113, v131, v113
	v_add_f32_e32 v112, v112, v113
	v_add_f32_e32 v113, v115, v112
	v_mul_f32_e32 v131, v130, v113
	v_mul_f32_e32 v114, v129, v131
	v_fma_f32 v116, v131, v129, -v114
	v_fmac_f32_e32 v116, v131, v103
	v_sub_f32_e32 v103, v115, v113
	v_add_f32_e32 v103, v112, v103
	v_add_f32_e32 v112, v114, v116
	v_sub_f32_e32 v115, v113, v112
	v_pk_add_f32 v[118:119], v[112:113], v[114:115] neg_lo:[0,1] neg_hi:[0,1]
	v_mov_b32_e32 v117, v112
	v_pk_add_f32 v[112:113], v[118:119], v[116:117] neg_lo:[0,1] neg_hi:[0,1]
	v_cvt_f32_i32_e32 v114, v128
	v_add_f32_e32 v103, v103, v113
	v_add_f32_e32 v103, v112, v103
	;; [unrolled: 1-line block ×4, first 2 shown]
	v_sub_f32_e32 v113, v112, v132
	v_mul_f32_e32 v103, v130, v103
	v_sub_f32_e32 v113, v131, v113
	v_add_f32_e32 v103, v113, v103
	v_add_f32_e32 v115, v112, v103
	v_mul_f32_e32 v116, v115, v115
	v_mov_b32_e32 v113, 0x3ecc95a3
	v_fmac_f32_e32 v113, 0x3e9b6dac, v116
	v_sub_f32_e32 v112, v115, v112
	v_fmaak_f32 v113, v116, v113, 0x3f2aaada
	v_sub_f32_e32 v103, v103, v112
	v_ldexp_f32 v117, v115, 1
	v_mul_f32_e32 v115, v115, v116
	v_mov_b32_e32 v112, 0x3f317218
	v_pk_mul_f32 v[112:113], v[114:115], v[112:113]
	v_ldexp_f32 v103, v103, 1
	v_fma_f32 v115, v114, s52, -v112
	v_fmamk_f32 v116, v114, 0xb102e308, v115
	v_pk_add_f32 v[114:115], v[112:113], v[116:117]
	v_mov_b32_e32 v118, v112
	v_sub_f32_e32 v117, v115, v117
	v_sub_f32_e32 v117, v113, v117
	v_add_f32_e32 v119, v103, v117
	v_pk_add_f32 v[112:113], v[114:115], v[112:113] neg_lo:[0,1] neg_hi:[0,1]
	v_pk_add_f32 v[128:129], v[114:115], v[118:119]
	v_mov_b32_e32 v117, v114
	v_mov_b32_e32 v113, v129
	v_pk_add_f32 v[130:131], v[116:117], v[112:113] neg_lo:[0,1] neg_hi:[0,1]
	v_pk_add_f32 v[112:113], v[116:117], v[112:113]
	v_mov_b32_e32 v118, v119
	v_mov_b32_e32 v116, v113
	v_pk_add_f32 v[132:133], v[116:117], v[114:115] neg_lo:[0,1] neg_hi:[0,1]
	v_mov_b32_e32 v112, v129
	v_mov_b32_e32 v103, v132
	v_pk_add_f32 v[134:135], v[128:129], v[102:103] neg_lo:[0,1] neg_hi:[0,1]
	v_mov_b32_e32 v128, v115
	v_mov_b32_e32 v129, v132
	;; [unrolled: 1-line block ×3, first 2 shown]
	v_pk_add_f32 v[112:113], v[112:113], v[128:129] neg_lo:[0,1] neg_hi:[0,1]
	v_mov_b32_e32 v119, v114
	v_pk_add_f32 v[112:113], v[118:119], v[112:113] neg_lo:[0,1] neg_hi:[0,1]
	v_mov_b32_e32 v134, v130
	v_pk_add_f32 v[114:115], v[134:135], v[112:113]
	v_cmp_eq_f32_e64 s[52:53], s58, v144
	v_mov_b32_e32 v118, v115
	v_pk_add_f32 v[118:119], v[114:115], v[118:119]
	s_mov_b32 s58, 0x33800000
	v_pk_add_f32 v[116:117], v[116:117], v[118:119]
	v_mov_b32_e32 v113, v118
	v_mov_b32_e32 v115, v116
	v_pk_add_f32 v[128:129], v[114:115], v[130:131] neg_lo:[0,1] neg_hi:[0,1]
	v_cmp_lt_f32_e64 s[58:59], |v144|, s58
	v_sub_f32_e32 v103, v114, v128
	v_pk_add_f32 v[112:113], v[112:113], v[128:129] neg_lo:[0,1] neg_hi:[0,1]
	v_sub_f32_e32 v103, v130, v103
	v_add_f32_e32 v103, v112, v103
	v_add_f32_e32 v103, v103, v113
	;; [unrolled: 1-line block ×3, first 2 shown]
	s_or_b64 s[52:53], s[52:53], s[58:59]
	v_cndmask_b32_e64 v103, v103, v144, s[52:53]
	v_add_f32_e32 v103, v102, v103
.LBB479_343:
	s_or_b64 exec, exec, s[54:55]
	v_bfe_u32 v102, v103, 16, 1
	s_movk_i32 s52, 0x7fff
	v_add3_u32 v102, v103, v102, s52
	v_lshrrev_b32_e32 v102, 16, v102
	v_mov_b32_e32 v112, 0x7fc0
	v_cmp_o_f32_e64 s[52:53], v103, v103
	s_nop 1
	v_cndmask_b32_e64 v103, v112, v102, s[52:53]
.LBB479_344:
	s_or_b64 exec, exec, s[56:57]
	v_and_b32_e32 v112, 0x3c0, v32
	v_min_u32_e32 v112, 0xc0, v112
	v_or_b32_e32 v112, 63, v112
	v_lshrrev_b32_e32 v102, 6, v32
	v_cmp_eq_u32_e64 s[52:53], v112, v32
	s_and_saveexec_b64 s[54:55], s[52:53]
	s_cbranch_execz .LBB479_346
; %bb.345:
	v_lshlrev_b32_e32 v112, 1, v102
	ds_write_b16 v112, v103
.LBB479_346:
	s_or_b64 exec, exec, s[54:55]
	v_cmp_gt_u32_e64 s[52:53], 4, v32
	s_waitcnt lgkmcnt(0)
	s_barrier
	s_and_saveexec_b64 s[56:57], s[52:53]
	s_cbranch_execz .LBB479_356
; %bb.347:
	ds_read_u16 v113, v0
	v_and_b32_e32 v112, 3, v101
	v_cmp_ne_u32_e64 s[52:53], 0, v112
	s_waitcnt lgkmcnt(0)
	v_and_b32_e32 v115, 0xffff, v113
	s_nop 1
	v_mov_b32_dpp v114, v115 row_shr:1 row_mask:0xf bank_mask:0xf
	s_and_saveexec_b64 s[58:59], s[52:53]
	s_cbranch_execz .LBB479_351
; %bb.348:
	v_lshlrev_b32_e32 v114, 16, v114
	v_lshlrev_b32_e32 v113, 16, v115
	v_max_f32_e32 v116, v113, v113
	v_max_f32_e32 v117, v114, v114
	v_min_f32_e32 v115, v117, v116
	v_cmp_u_f32_e64 s[52:53], v114, v114
	v_max_f32_e32 v116, v117, v116
	v_cmp_u_f32_e64 s[54:55], v113, v113
	v_cndmask_b32_e64 v115, v115, v114, s[52:53]
	v_cndmask_b32_e64 v116, v116, v114, s[52:53]
	;; [unrolled: 1-line block ×4, first 2 shown]
	s_movk_i32 s54, 0x1f8
	v_cmp_neq_f32_e64 s[52:53], v115, v113
	v_cmp_class_f32_e64 s[54:55], v115, s54
	s_or_b64 s[52:53], s[52:53], s[54:55]
	s_and_saveexec_b64 s[54:55], s[52:53]
	s_cbranch_execz .LBB479_350
; %bb.349:
	v_sub_f32_e32 v114, v115, v113
	s_mov_b32 s52, 0x3fb8aa3b
	v_mul_f32_e32 v115, 0x3fb8aa3b, v114
	v_fma_f32 v116, v114, s52, -v115
	v_rndne_f32_e32 v117, v115
	v_fmamk_f32 v116, v114, 0x32a5705f, v116
	v_sub_f32_e32 v115, v115, v117
	v_add_f32_e32 v115, v115, v116
	v_exp_f32_e32 v115, v115
	v_cvt_i32_f32_e32 v116, v117
	s_mov_b32 s52, 0xc2ce8ed0
	v_cmp_ngt_f32_e64 s[52:53], s52, v114
	s_mov_b32 s60, 0x7f800000
	v_ldexp_f32 v115, v115, v116
	v_cndmask_b32_e64 v115, 0, v115, s[52:53]
	s_mov_b32 s52, 0x42b17218
	v_mov_b32_e32 v116, 0x7f800000
	v_cmp_nlt_f32_e64 s[52:53], s52, v114
	s_nop 1
	v_cndmask_b32_e64 v146, v116, v115, s[52:53]
	v_add_f32_e32 v116, 1.0, v146
	v_add_f32_e32 v114, -1.0, v116
	v_sub_f32_e32 v115, v114, v116
	v_add_f32_e32 v115, 1.0, v115
	v_sub_f32_e32 v114, v146, v114
	v_add_f32_e32 v117, v114, v115
	v_frexp_mant_f32_e32 v118, v116
	s_mov_b32 s52, 0x3f2aaaab
	v_cvt_f64_f32_e32 v[114:115], v116
	v_frexp_exp_i32_f64_e32 v114, v[114:115]
	v_cmp_gt_f32_e64 s[52:53], s52, v118
	s_nop 1
	v_subbrev_co_u32_e64 v130, s[52:53], 0, v114, s[52:53]
	v_sub_u32_e32 v114, 0, v130
	v_ldexp_f32 v115, v116, v114
	v_add_f32_e32 v116, -1.0, v115
	v_add_f32_e32 v118, 1.0, v115
	v_ldexp_f32 v114, v117, v114
	v_add_f32_e32 v117, 1.0, v116
	v_add_f32_e32 v119, -1.0, v118
	v_sub_f32_e32 v117, v115, v117
	v_sub_f32_e32 v115, v115, v119
	v_add_f32_e32 v117, v114, v117
	v_add_f32_e32 v114, v114, v115
	;; [unrolled: 1-line block ×3, first 2 shown]
	v_rcp_f32_e32 v133, v131
	v_sub_f32_e32 v115, v118, v131
	v_add_f32_e32 v132, v114, v115
	v_add_f32_e32 v115, v116, v117
	v_mul_f32_e32 v135, v115, v133
	v_sub_f32_e32 v114, v116, v115
	v_mul_f32_e32 v116, v131, v135
	v_fma_f32 v118, v135, v131, -v116
	v_fmac_f32_e32 v118, v135, v132
	v_add_f32_e32 v134, v117, v114
	v_add_f32_e32 v114, v116, v118
	v_sub_f32_e32 v117, v115, v114
	v_pk_add_f32 v[128:129], v[114:115], v[116:117] neg_lo:[0,1] neg_hi:[0,1]
	v_mov_b32_e32 v119, v114
	v_pk_add_f32 v[114:115], v[128:129], v[118:119] neg_lo:[0,1] neg_hi:[0,1]
	s_mov_b32 s52, 0x3f317218
	v_add_f32_e32 v115, v134, v115
	v_add_f32_e32 v114, v114, v115
	;; [unrolled: 1-line block ×3, first 2 shown]
	v_mul_f32_e32 v134, v133, v115
	v_mul_f32_e32 v116, v131, v134
	v_fma_f32 v118, v134, v131, -v116
	v_fmac_f32_e32 v118, v134, v132
	v_sub_f32_e32 v117, v117, v115
	v_add_f32_e32 v131, v114, v117
	v_add_f32_e32 v114, v116, v118
	v_sub_f32_e32 v117, v115, v114
	v_pk_add_f32 v[128:129], v[114:115], v[116:117] neg_lo:[0,1] neg_hi:[0,1]
	v_mov_b32_e32 v119, v114
	v_pk_add_f32 v[114:115], v[128:129], v[118:119] neg_lo:[0,1] neg_hi:[0,1]
	v_cvt_f32_i32_e32 v116, v130
	v_add_f32_e32 v115, v131, v115
	v_add_f32_e32 v114, v114, v115
	;; [unrolled: 1-line block ×4, first 2 shown]
	v_sub_f32_e32 v115, v117, v135
	v_mul_f32_e32 v114, v133, v114
	v_sub_f32_e32 v115, v134, v115
	v_add_f32_e32 v114, v115, v114
	v_add_f32_e32 v118, v117, v114
	v_mul_f32_e32 v128, v118, v118
	v_mov_b32_e32 v115, 0x3ecc95a3
	v_sub_f32_e32 v117, v118, v117
	v_fmac_f32_e32 v115, 0x3e9b6dac, v128
	v_sub_f32_e32 v114, v114, v117
	v_fmaak_f32 v115, v128, v115, 0x3f2aaada
	v_ldexp_f32 v129, v114, 1
	v_mul_f32_e32 v117, v118, v128
	v_mov_b32_e32 v114, 0x3f317218
	v_pk_mul_f32 v[114:115], v[116:117], v[114:115]
	v_ldexp_f32 v119, v118, 1
	v_fma_f32 v117, v116, s52, -v114
	v_fmamk_f32 v118, v116, 0xb102e308, v117
	v_pk_add_f32 v[116:117], v[114:115], v[118:119]
	v_mov_b32_e32 v128, v114
	v_sub_f32_e32 v119, v117, v119
	v_sub_f32_e32 v119, v115, v119
	v_add_f32_e32 v129, v129, v119
	v_pk_add_f32 v[114:115], v[116:117], v[114:115] neg_lo:[0,1] neg_hi:[0,1]
	v_pk_add_f32 v[130:131], v[116:117], v[128:129]
	v_mov_b32_e32 v119, v116
	v_mov_b32_e32 v115, v131
	v_pk_add_f32 v[132:133], v[118:119], v[114:115] neg_lo:[0,1] neg_hi:[0,1]
	v_pk_add_f32 v[114:115], v[118:119], v[114:115]
	v_mov_b32_e32 v128, v129
	v_mov_b32_e32 v118, v115
	v_pk_add_f32 v[134:135], v[118:119], v[116:117] neg_lo:[0,1] neg_hi:[0,1]
	v_mov_b32_e32 v114, v131
	v_mov_b32_e32 v119, v134
	v_pk_add_f32 v[144:145], v[130:131], v[118:119] neg_lo:[0,1] neg_hi:[0,1]
	v_mov_b32_e32 v130, v117
	v_mov_b32_e32 v131, v134
	v_mov_b32_e32 v133, v115
	v_pk_add_f32 v[114:115], v[114:115], v[130:131] neg_lo:[0,1] neg_hi:[0,1]
	v_mov_b32_e32 v129, v116
	v_pk_add_f32 v[114:115], v[128:129], v[114:115] neg_lo:[0,1] neg_hi:[0,1]
	v_mov_b32_e32 v144, v132
	v_pk_add_f32 v[116:117], v[144:145], v[114:115]
	v_cmp_eq_f32_e64 s[52:53], s60, v146
	v_mov_b32_e32 v128, v117
	v_pk_add_f32 v[128:129], v[116:117], v[128:129]
	s_mov_b32 s60, 0x33800000
	v_pk_add_f32 v[118:119], v[118:119], v[128:129]
	v_mov_b32_e32 v115, v128
	v_mov_b32_e32 v117, v118
	v_pk_add_f32 v[130:131], v[116:117], v[132:133] neg_lo:[0,1] neg_hi:[0,1]
	v_cmp_lt_f32_e64 s[60:61], |v146|, s60
	v_sub_f32_e32 v116, v116, v130
	v_pk_add_f32 v[114:115], v[114:115], v[130:131] neg_lo:[0,1] neg_hi:[0,1]
	v_sub_f32_e32 v116, v132, v116
	v_add_f32_e32 v114, v114, v116
	v_add_f32_e32 v114, v114, v115
	;; [unrolled: 1-line block ×3, first 2 shown]
	s_or_b64 s[52:53], s[52:53], s[60:61]
	v_cndmask_b32_e64 v114, v114, v146, s[52:53]
	v_add_f32_e32 v114, v113, v114
.LBB479_350:
	s_or_b64 exec, exec, s[54:55]
	v_bfe_u32 v113, v114, 16, 1
	s_movk_i32 s52, 0x7fff
	v_add3_u32 v113, v114, v113, s52
	v_lshrrev_b32_e32 v113, 16, v113
	v_mov_b32_e32 v115, 0x7fc0
	v_cmp_o_f32_e64 s[52:53], v114, v114
	s_nop 1
	v_cndmask_b32_e64 v113, v115, v113, s[52:53]
	v_and_b32_e32 v115, 0xffff, v113
.LBB479_351:
	s_or_b64 exec, exec, s[58:59]
	s_nop 0
	v_mov_b32_dpp v114, v115 row_shr:2 row_mask:0xf bank_mask:0xf
	v_cmp_lt_u32_e64 s[52:53], 1, v112
	s_and_saveexec_b64 s[58:59], s[52:53]
	s_cbranch_execz .LBB479_355
; %bb.352:
	v_lshlrev_b32_e32 v113, 16, v114
	v_lshlrev_b32_e32 v112, 16, v115
	v_max_f32_e32 v115, v112, v112
	v_max_f32_e32 v116, v113, v113
	v_min_f32_e32 v114, v116, v115
	v_cmp_u_f32_e64 s[52:53], v113, v113
	v_max_f32_e32 v115, v116, v115
	v_cmp_u_f32_e64 s[54:55], v112, v112
	v_cndmask_b32_e64 v114, v114, v113, s[52:53]
	v_cndmask_b32_e64 v115, v115, v113, s[52:53]
	;; [unrolled: 1-line block ×4, first 2 shown]
	s_movk_i32 s54, 0x1f8
	v_cmp_neq_f32_e64 s[52:53], v114, v112
	v_cmp_class_f32_e64 s[54:55], v114, s54
	s_or_b64 s[52:53], s[52:53], s[54:55]
	s_and_saveexec_b64 s[54:55], s[52:53]
	s_cbranch_execz .LBB479_354
; %bb.353:
	v_sub_f32_e32 v113, v114, v112
	s_mov_b32 s52, 0x3fb8aa3b
	v_mul_f32_e32 v114, 0x3fb8aa3b, v113
	v_fma_f32 v115, v113, s52, -v114
	v_rndne_f32_e32 v116, v114
	v_fmamk_f32 v115, v113, 0x32a5705f, v115
	v_sub_f32_e32 v114, v114, v116
	v_add_f32_e32 v114, v114, v115
	v_exp_f32_e32 v114, v114
	v_cvt_i32_f32_e32 v115, v116
	s_mov_b32 s52, 0xc2ce8ed0
	v_cmp_ngt_f32_e64 s[52:53], s52, v113
	s_mov_b32 s60, 0x7f800000
	v_ldexp_f32 v114, v114, v115
	v_cndmask_b32_e64 v114, 0, v114, s[52:53]
	s_mov_b32 s52, 0x42b17218
	v_mov_b32_e32 v115, 0x7f800000
	v_cmp_nlt_f32_e64 s[52:53], s52, v113
	s_nop 1
	v_cndmask_b32_e64 v146, v115, v114, s[52:53]
	v_add_f32_e32 v113, 1.0, v146
	v_add_f32_e32 v114, -1.0, v113
	v_sub_f32_e32 v115, v114, v113
	v_add_f32_e32 v115, 1.0, v115
	v_sub_f32_e32 v114, v146, v114
	v_add_f32_e32 v116, v114, v115
	v_frexp_mant_f32_e32 v117, v113
	s_mov_b32 s52, 0x3f2aaaab
	v_cvt_f64_f32_e32 v[114:115], v113
	v_frexp_exp_i32_f64_e32 v114, v[114:115]
	v_cmp_gt_f32_e64 s[52:53], s52, v117
	s_nop 1
	v_subbrev_co_u32_e64 v130, s[52:53], 0, v114, s[52:53]
	v_sub_u32_e32 v114, 0, v130
	v_ldexp_f32 v113, v113, v114
	v_ldexp_f32 v114, v116, v114
	v_add_f32_e32 v116, -1.0, v113
	v_add_f32_e32 v115, 1.0, v116
	v_sub_f32_e32 v115, v113, v115
	v_add_f32_e32 v117, v114, v115
	v_add_f32_e32 v115, 1.0, v113
	v_add_f32_e32 v118, -1.0, v115
	v_sub_f32_e32 v113, v113, v118
	v_add_f32_e32 v113, v114, v113
	v_add_f32_e32 v131, v115, v113
	v_rcp_f32_e32 v132, v131
	v_sub_f32_e32 v114, v115, v131
	v_add_f32_e32 v115, v116, v117
	v_add_f32_e32 v113, v113, v114
	v_mul_f32_e32 v134, v115, v132
	v_sub_f32_e32 v114, v116, v115
	v_mul_f32_e32 v116, v131, v134
	v_fma_f32 v118, v134, v131, -v116
	v_fmac_f32_e32 v118, v134, v113
	v_add_f32_e32 v133, v117, v114
	v_add_f32_e32 v114, v116, v118
	v_sub_f32_e32 v117, v115, v114
	v_pk_add_f32 v[128:129], v[114:115], v[116:117] neg_lo:[0,1] neg_hi:[0,1]
	v_mov_b32_e32 v119, v114
	v_pk_add_f32 v[114:115], v[128:129], v[118:119] neg_lo:[0,1] neg_hi:[0,1]
	s_mov_b32 s52, 0x3f317218
	v_add_f32_e32 v115, v133, v115
	v_add_f32_e32 v114, v114, v115
	;; [unrolled: 1-line block ×3, first 2 shown]
	v_mul_f32_e32 v133, v132, v115
	v_mul_f32_e32 v116, v131, v133
	v_fma_f32 v118, v133, v131, -v116
	v_fmac_f32_e32 v118, v133, v113
	v_sub_f32_e32 v113, v117, v115
	v_add_f32_e32 v113, v114, v113
	v_add_f32_e32 v114, v116, v118
	v_sub_f32_e32 v117, v115, v114
	v_pk_add_f32 v[128:129], v[114:115], v[116:117] neg_lo:[0,1] neg_hi:[0,1]
	v_mov_b32_e32 v119, v114
	v_pk_add_f32 v[114:115], v[128:129], v[118:119] neg_lo:[0,1] neg_hi:[0,1]
	v_cvt_f32_i32_e32 v116, v130
	v_add_f32_e32 v113, v113, v115
	v_add_f32_e32 v113, v114, v113
	;; [unrolled: 1-line block ×4, first 2 shown]
	v_sub_f32_e32 v115, v114, v134
	v_mul_f32_e32 v113, v132, v113
	v_sub_f32_e32 v115, v133, v115
	v_add_f32_e32 v113, v115, v113
	v_add_f32_e32 v117, v114, v113
	v_mul_f32_e32 v118, v117, v117
	v_mov_b32_e32 v115, 0x3ecc95a3
	v_fmac_f32_e32 v115, 0x3e9b6dac, v118
	v_sub_f32_e32 v114, v117, v114
	v_fmaak_f32 v115, v118, v115, 0x3f2aaada
	v_sub_f32_e32 v113, v113, v114
	v_ldexp_f32 v119, v117, 1
	v_mul_f32_e32 v117, v117, v118
	v_mov_b32_e32 v114, 0x3f317218
	v_pk_mul_f32 v[114:115], v[116:117], v[114:115]
	v_ldexp_f32 v113, v113, 1
	v_fma_f32 v117, v116, s52, -v114
	v_fmamk_f32 v118, v116, 0xb102e308, v117
	v_pk_add_f32 v[116:117], v[114:115], v[118:119]
	v_mov_b32_e32 v128, v114
	v_sub_f32_e32 v119, v117, v119
	v_sub_f32_e32 v119, v115, v119
	v_add_f32_e32 v129, v113, v119
	v_pk_add_f32 v[114:115], v[116:117], v[114:115] neg_lo:[0,1] neg_hi:[0,1]
	v_pk_add_f32 v[130:131], v[116:117], v[128:129]
	v_mov_b32_e32 v119, v116
	v_mov_b32_e32 v115, v131
	v_pk_add_f32 v[132:133], v[118:119], v[114:115] neg_lo:[0,1] neg_hi:[0,1]
	v_pk_add_f32 v[114:115], v[118:119], v[114:115]
	v_mov_b32_e32 v128, v129
	v_mov_b32_e32 v118, v115
	v_pk_add_f32 v[134:135], v[118:119], v[116:117] neg_lo:[0,1] neg_hi:[0,1]
	v_mov_b32_e32 v114, v131
	v_mov_b32_e32 v113, v134
	v_pk_add_f32 v[144:145], v[130:131], v[112:113] neg_lo:[0,1] neg_hi:[0,1]
	v_mov_b32_e32 v130, v117
	v_mov_b32_e32 v131, v134
	;; [unrolled: 1-line block ×3, first 2 shown]
	v_pk_add_f32 v[114:115], v[114:115], v[130:131] neg_lo:[0,1] neg_hi:[0,1]
	v_mov_b32_e32 v129, v116
	v_pk_add_f32 v[114:115], v[128:129], v[114:115] neg_lo:[0,1] neg_hi:[0,1]
	v_mov_b32_e32 v144, v132
	v_pk_add_f32 v[116:117], v[144:145], v[114:115]
	v_cmp_eq_f32_e64 s[52:53], s60, v146
	v_mov_b32_e32 v128, v117
	v_pk_add_f32 v[128:129], v[116:117], v[128:129]
	s_mov_b32 s60, 0x33800000
	v_pk_add_f32 v[118:119], v[118:119], v[128:129]
	v_mov_b32_e32 v115, v128
	v_mov_b32_e32 v117, v118
	v_pk_add_f32 v[130:131], v[116:117], v[132:133] neg_lo:[0,1] neg_hi:[0,1]
	v_cmp_lt_f32_e64 s[60:61], |v146|, s60
	v_sub_f32_e32 v113, v116, v130
	v_pk_add_f32 v[114:115], v[114:115], v[130:131] neg_lo:[0,1] neg_hi:[0,1]
	v_sub_f32_e32 v113, v132, v113
	v_add_f32_e32 v113, v114, v113
	v_add_f32_e32 v113, v113, v115
	;; [unrolled: 1-line block ×3, first 2 shown]
	s_or_b64 s[52:53], s[52:53], s[60:61]
	v_cndmask_b32_e64 v113, v113, v146, s[52:53]
	v_add_f32_e32 v113, v112, v113
.LBB479_354:
	s_or_b64 exec, exec, s[54:55]
	v_bfe_u32 v112, v113, 16, 1
	s_movk_i32 s52, 0x7fff
	v_add3_u32 v112, v113, v112, s52
	v_lshrrev_b32_e32 v112, 16, v112
	v_mov_b32_e32 v114, 0x7fc0
	v_cmp_o_f32_e64 s[52:53], v113, v113
	s_nop 1
	v_cndmask_b32_e64 v113, v114, v112, s[52:53]
.LBB479_355:
	s_or_b64 exec, exec, s[58:59]
	ds_write_b16 v0, v113
.LBB479_356:
	s_or_b64 exec, exec, s[56:57]
	v_cmp_lt_u32_e64 s[52:53], 63, v32
	s_waitcnt lgkmcnt(0)
	s_barrier
	s_waitcnt lgkmcnt(0)
                                        ; implicit-def: $vgpr112
	s_and_saveexec_b64 s[56:57], s[52:53]
	s_cbranch_execz .LBB479_360
; %bb.357:
	v_lshl_add_u32 v102, v102, 1, -2
	ds_read_u16 v112, v102
	v_lshlrev_b32_e32 v102, 16, v103
	v_max_f32_e32 v114, v102, v102
	v_cmp_u_f32_e64 s[54:55], v102, v102
	s_waitcnt lgkmcnt(0)
	v_lshlrev_b32_e32 v103, 16, v112
	v_max_f32_e32 v115, v103, v103
	v_min_f32_e32 v113, v115, v114
	v_cmp_u_f32_e64 s[52:53], v103, v103
	v_max_f32_e32 v114, v115, v114
	s_nop 0
	v_cndmask_b32_e64 v113, v113, v103, s[52:53]
	v_cndmask_b32_e64 v114, v114, v103, s[52:53]
	;; [unrolled: 1-line block ×4, first 2 shown]
	s_movk_i32 s54, 0x1f8
	v_cmp_neq_f32_e64 s[52:53], v113, v102
	v_cmp_class_f32_e64 s[54:55], v113, s54
	s_or_b64 s[52:53], s[52:53], s[54:55]
	s_and_saveexec_b64 s[54:55], s[52:53]
	s_cbranch_execz .LBB479_359
; %bb.358:
	v_sub_f32_e32 v103, v113, v102
	s_mov_b32 s52, 0x3fb8aa3b
	v_mul_f32_e32 v113, 0x3fb8aa3b, v103
	v_fma_f32 v114, v103, s52, -v113
	v_rndne_f32_e32 v115, v113
	v_fmamk_f32 v114, v103, 0x32a5705f, v114
	v_sub_f32_e32 v113, v113, v115
	v_add_f32_e32 v113, v113, v114
	v_exp_f32_e32 v113, v113
	v_cvt_i32_f32_e32 v114, v115
	s_mov_b32 s52, 0xc2ce8ed0
	v_cmp_ngt_f32_e64 s[52:53], s52, v103
	s_mov_b32 s58, 0x7f800000
	v_ldexp_f32 v113, v113, v114
	v_cndmask_b32_e64 v113, 0, v113, s[52:53]
	s_mov_b32 s52, 0x42b17218
	v_mov_b32_e32 v114, 0x7f800000
	v_cmp_nlt_f32_e64 s[52:53], s52, v103
	s_nop 1
	v_cndmask_b32_e64 v113, v114, v113, s[52:53]
	v_add_f32_e32 v103, 1.0, v113
	v_add_f32_e32 v114, -1.0, v103
	v_sub_f32_e32 v115, v114, v103
	v_add_f32_e32 v115, 1.0, v115
	v_sub_f32_e32 v114, v113, v114
	v_add_f32_e32 v116, v114, v115
	v_frexp_mant_f32_e32 v117, v103
	s_mov_b32 s52, 0x3f2aaaab
	v_cvt_f64_f32_e32 v[114:115], v103
	v_frexp_exp_i32_f64_e32 v114, v[114:115]
	v_cmp_gt_f32_e64 s[52:53], s52, v117
	s_nop 1
	v_subbrev_co_u32_e64 v130, s[52:53], 0, v114, s[52:53]
	v_sub_u32_e32 v114, 0, v130
	v_ldexp_f32 v103, v103, v114
	v_ldexp_f32 v114, v116, v114
	v_add_f32_e32 v116, -1.0, v103
	v_add_f32_e32 v115, 1.0, v116
	v_sub_f32_e32 v115, v103, v115
	v_add_f32_e32 v117, v114, v115
	v_add_f32_e32 v115, 1.0, v103
	v_add_f32_e32 v118, -1.0, v115
	v_sub_f32_e32 v103, v103, v118
	v_add_f32_e32 v103, v114, v103
	v_add_f32_e32 v131, v115, v103
	v_rcp_f32_e32 v132, v131
	v_sub_f32_e32 v114, v115, v131
	v_add_f32_e32 v115, v116, v117
	v_add_f32_e32 v103, v103, v114
	v_mul_f32_e32 v134, v115, v132
	v_sub_f32_e32 v114, v116, v115
	v_mul_f32_e32 v116, v131, v134
	v_fma_f32 v118, v134, v131, -v116
	v_fmac_f32_e32 v118, v134, v103
	v_add_f32_e32 v133, v117, v114
	v_add_f32_e32 v114, v116, v118
	v_sub_f32_e32 v117, v115, v114
	v_pk_add_f32 v[128:129], v[114:115], v[116:117] neg_lo:[0,1] neg_hi:[0,1]
	v_mov_b32_e32 v119, v114
	v_pk_add_f32 v[114:115], v[128:129], v[118:119] neg_lo:[0,1] neg_hi:[0,1]
	s_mov_b32 s52, 0x3f317218
	v_add_f32_e32 v115, v133, v115
	v_add_f32_e32 v114, v114, v115
	;; [unrolled: 1-line block ×3, first 2 shown]
	v_mul_f32_e32 v133, v132, v115
	v_mul_f32_e32 v116, v131, v133
	v_fma_f32 v118, v133, v131, -v116
	v_fmac_f32_e32 v118, v133, v103
	v_sub_f32_e32 v103, v117, v115
	v_add_f32_e32 v103, v114, v103
	v_add_f32_e32 v114, v116, v118
	v_sub_f32_e32 v117, v115, v114
	v_pk_add_f32 v[128:129], v[114:115], v[116:117] neg_lo:[0,1] neg_hi:[0,1]
	v_mov_b32_e32 v119, v114
	v_pk_add_f32 v[114:115], v[128:129], v[118:119] neg_lo:[0,1] neg_hi:[0,1]
	v_cvt_f32_i32_e32 v116, v130
	v_add_f32_e32 v103, v103, v115
	v_add_f32_e32 v103, v114, v103
	;; [unrolled: 1-line block ×4, first 2 shown]
	v_sub_f32_e32 v115, v114, v134
	v_mul_f32_e32 v103, v132, v103
	v_sub_f32_e32 v115, v133, v115
	v_add_f32_e32 v103, v115, v103
	v_add_f32_e32 v117, v114, v103
	v_mul_f32_e32 v118, v117, v117
	v_mov_b32_e32 v115, 0x3ecc95a3
	v_fmac_f32_e32 v115, 0x3e9b6dac, v118
	v_sub_f32_e32 v114, v117, v114
	v_fmaak_f32 v115, v118, v115, 0x3f2aaada
	v_sub_f32_e32 v103, v103, v114
	v_ldexp_f32 v119, v117, 1
	v_mul_f32_e32 v117, v117, v118
	v_mov_b32_e32 v114, 0x3f317218
	v_pk_mul_f32 v[114:115], v[116:117], v[114:115]
	v_ldexp_f32 v103, v103, 1
	v_fma_f32 v117, v116, s52, -v114
	v_fmamk_f32 v118, v116, 0xb102e308, v117
	v_pk_add_f32 v[116:117], v[114:115], v[118:119]
	v_mov_b32_e32 v128, v114
	v_sub_f32_e32 v119, v117, v119
	v_sub_f32_e32 v119, v115, v119
	v_add_f32_e32 v129, v103, v119
	v_pk_add_f32 v[114:115], v[116:117], v[114:115] neg_lo:[0,1] neg_hi:[0,1]
	v_pk_add_f32 v[130:131], v[116:117], v[128:129]
	v_mov_b32_e32 v119, v116
	v_mov_b32_e32 v115, v131
	v_pk_add_f32 v[132:133], v[118:119], v[114:115] neg_lo:[0,1] neg_hi:[0,1]
	v_pk_add_f32 v[114:115], v[118:119], v[114:115]
	v_mov_b32_e32 v128, v129
	v_mov_b32_e32 v118, v115
	v_pk_add_f32 v[134:135], v[118:119], v[116:117] neg_lo:[0,1] neg_hi:[0,1]
	v_mov_b32_e32 v114, v131
	v_mov_b32_e32 v103, v134
	v_pk_add_f32 v[144:145], v[130:131], v[102:103] neg_lo:[0,1] neg_hi:[0,1]
	v_mov_b32_e32 v130, v117
	v_mov_b32_e32 v131, v134
	;; [unrolled: 1-line block ×3, first 2 shown]
	v_pk_add_f32 v[114:115], v[114:115], v[130:131] neg_lo:[0,1] neg_hi:[0,1]
	v_mov_b32_e32 v129, v116
	v_pk_add_f32 v[114:115], v[128:129], v[114:115] neg_lo:[0,1] neg_hi:[0,1]
	v_mov_b32_e32 v144, v132
	v_pk_add_f32 v[116:117], v[144:145], v[114:115]
	v_cmp_eq_f32_e64 s[52:53], s58, v113
	v_mov_b32_e32 v128, v117
	v_pk_add_f32 v[128:129], v[116:117], v[128:129]
	s_mov_b32 s58, 0x33800000
	v_pk_add_f32 v[118:119], v[118:119], v[128:129]
	v_mov_b32_e32 v115, v128
	v_mov_b32_e32 v117, v118
	v_pk_add_f32 v[130:131], v[116:117], v[132:133] neg_lo:[0,1] neg_hi:[0,1]
	v_cmp_lt_f32_e64 s[58:59], |v113|, s58
	v_sub_f32_e32 v103, v116, v130
	v_pk_add_f32 v[114:115], v[114:115], v[130:131] neg_lo:[0,1] neg_hi:[0,1]
	v_sub_f32_e32 v103, v132, v103
	v_add_f32_e32 v103, v114, v103
	v_add_f32_e32 v103, v103, v115
	;; [unrolled: 1-line block ×3, first 2 shown]
	s_or_b64 s[52:53], s[52:53], s[58:59]
	v_cndmask_b32_e64 v103, v103, v113, s[52:53]
	v_add_f32_e32 v103, v102, v103
.LBB479_359:
	s_or_b64 exec, exec, s[54:55]
	v_bfe_u32 v102, v103, 16, 1
	s_movk_i32 s52, 0x7fff
	v_add3_u32 v102, v103, v102, s52
	v_lshrrev_b32_e32 v102, 16, v102
	v_mov_b32_e32 v113, 0x7fc0
	v_cmp_o_f32_e64 s[52:53], v103, v103
	s_nop 1
	v_cndmask_b32_e64 v103, v113, v102, s[52:53]
.LBB479_360:
	s_or_b64 exec, exec, s[56:57]
	v_and_b32_e32 v102, 0xffff, v103
	v_add_u32_e32 v103, -1, v101
	v_and_b32_e32 v113, 64, v101
	v_cmp_lt_i32_e64 s[52:53], v103, v113
	s_nop 1
	v_cndmask_b32_e64 v103, v103, v101, s[52:53]
	v_lshlrev_b32_e32 v103, 2, v103
	ds_bpermute_b32 v102, v103, v102
	s_and_saveexec_b64 s[52:53], s[2:3]
	s_cbranch_execz .LBB479_364
; %bb.361:
	v_cmp_eq_u32_e64 s[2:3], 0, v101
	s_waitcnt lgkmcnt(0)
	s_nop 0
	v_cndmask_b32_e64 v30, v102, v112, s[2:3]
	v_lshlrev_b32_e32 v98, 16, v30
	v_max_f32_e32 v30, v98, v98
	v_min_f32_e32 v100, v30, v99
	v_cmp_u_f32_e64 s[2:3], v98, v98
	v_max_f32_e32 v30, v30, v99
	s_nop 0
	v_cndmask_b32_e64 v100, v100, v98, s[2:3]
	v_cndmask_b32_e64 v30, v30, v98, s[2:3]
	;; [unrolled: 1-line block ×4, first 2 shown]
	s_movk_i32 s50, 0x1f8
	v_cmp_neq_f32_e64 s[2:3], v100, v30
	v_cmp_class_f32_e64 s[50:51], v100, s50
	s_or_b64 s[2:3], s[2:3], s[50:51]
	s_and_saveexec_b64 s[50:51], s[2:3]
	s_cbranch_execz .LBB479_363
; %bb.362:
	v_sub_f32_e32 v33, v100, v30
	s_mov_b32 s2, 0x3fb8aa3b
	v_mul_f32_e32 v98, 0x3fb8aa3b, v33
	v_fma_f32 v99, v33, s2, -v98
	v_rndne_f32_e32 v100, v98
	v_fmamk_f32 v99, v33, 0x32a5705f, v99
	v_sub_f32_e32 v98, v98, v100
	v_add_f32_e32 v98, v98, v99
	v_exp_f32_e32 v98, v98
	v_cvt_i32_f32_e32 v99, v100
	s_mov_b32 s2, 0xc2ce8ed0
	v_cmp_ngt_f32_e64 s[2:3], s2, v33
	s_mov_b32 s54, 0x7f800000
	v_ldexp_f32 v98, v98, v99
	v_cndmask_b32_e64 v98, 0, v98, s[2:3]
	s_mov_b32 s2, 0x42b17218
	v_mov_b32_e32 v99, 0x7f800000
	v_cmp_nlt_f32_e64 s[2:3], s2, v33
	s_nop 1
	v_cndmask_b32_e64 v130, v99, v98, s[2:3]
	v_add_f32_e32 v33, 1.0, v130
	v_add_f32_e32 v98, -1.0, v33
	v_sub_f32_e32 v99, v98, v33
	v_add_f32_e32 v99, 1.0, v99
	v_sub_f32_e32 v98, v130, v98
	v_add_f32_e32 v100, v98, v99
	v_frexp_mant_f32_e32 v101, v33
	s_mov_b32 s2, 0x3f2aaaab
	v_cvt_f64_f32_e32 v[98:99], v33
	v_frexp_exp_i32_f64_e32 v98, v[98:99]
	v_cmp_gt_f32_e64 s[2:3], s2, v101
	s_nop 1
	v_subbrev_co_u32_e64 v114, s[2:3], 0, v98, s[2:3]
	v_sub_u32_e32 v98, 0, v114
	v_ldexp_f32 v33, v33, v98
	v_ldexp_f32 v98, v100, v98
	v_add_f32_e32 v100, -1.0, v33
	v_add_f32_e32 v99, 1.0, v100
	v_sub_f32_e32 v99, v33, v99
	v_add_f32_e32 v101, v98, v99
	v_add_f32_e32 v99, 1.0, v33
	v_add_f32_e32 v102, -1.0, v99
	v_sub_f32_e32 v33, v33, v102
	v_add_f32_e32 v33, v98, v33
	v_add_f32_e32 v115, v99, v33
	v_rcp_f32_e32 v116, v115
	v_sub_f32_e32 v98, v99, v115
	v_add_f32_e32 v99, v100, v101
	v_add_f32_e32 v33, v33, v98
	v_mul_f32_e32 v118, v99, v116
	v_sub_f32_e32 v98, v100, v99
	v_mul_f32_e32 v100, v115, v118
	v_fma_f32 v102, v118, v115, -v100
	v_fmac_f32_e32 v102, v118, v33
	v_add_f32_e32 v117, v101, v98
	v_add_f32_e32 v98, v100, v102
	v_sub_f32_e32 v101, v99, v98
	v_pk_add_f32 v[112:113], v[98:99], v[100:101] neg_lo:[0,1] neg_hi:[0,1]
	v_mov_b32_e32 v103, v98
	v_pk_add_f32 v[98:99], v[112:113], v[102:103] neg_lo:[0,1] neg_hi:[0,1]
	s_mov_b32 s2, 0x3f317218
	v_add_f32_e32 v99, v117, v99
	v_add_f32_e32 v98, v98, v99
	;; [unrolled: 1-line block ×3, first 2 shown]
	v_mul_f32_e32 v117, v116, v99
	v_mul_f32_e32 v100, v115, v117
	v_fma_f32 v102, v117, v115, -v100
	v_fmac_f32_e32 v102, v117, v33
	v_sub_f32_e32 v33, v101, v99
	v_add_f32_e32 v33, v98, v33
	v_add_f32_e32 v98, v100, v102
	v_sub_f32_e32 v101, v99, v98
	v_pk_add_f32 v[112:113], v[98:99], v[100:101] neg_lo:[0,1] neg_hi:[0,1]
	v_mov_b32_e32 v103, v98
	v_pk_add_f32 v[98:99], v[112:113], v[102:103] neg_lo:[0,1] neg_hi:[0,1]
	v_cvt_f32_i32_e32 v100, v114
	v_add_f32_e32 v33, v33, v99
	v_add_f32_e32 v33, v98, v33
	;; [unrolled: 1-line block ×4, first 2 shown]
	v_sub_f32_e32 v99, v98, v118
	v_mul_f32_e32 v33, v116, v33
	v_sub_f32_e32 v99, v117, v99
	v_add_f32_e32 v33, v99, v33
	v_add_f32_e32 v101, v98, v33
	v_mul_f32_e32 v102, v101, v101
	v_mov_b32_e32 v99, 0x3ecc95a3
	v_fmac_f32_e32 v99, 0x3e9b6dac, v102
	v_sub_f32_e32 v98, v101, v98
	v_fmaak_f32 v99, v102, v99, 0x3f2aaada
	v_sub_f32_e32 v33, v33, v98
	v_ldexp_f32 v103, v101, 1
	v_mul_f32_e32 v101, v101, v102
	v_mov_b32_e32 v98, 0x3f317218
	v_pk_mul_f32 v[98:99], v[100:101], v[98:99]
	v_ldexp_f32 v33, v33, 1
	v_fma_f32 v101, v100, s2, -v98
	v_fmamk_f32 v102, v100, 0xb102e308, v101
	v_pk_add_f32 v[100:101], v[98:99], v[102:103]
	v_mov_b32_e32 v112, v98
	v_sub_f32_e32 v103, v101, v103
	v_sub_f32_e32 v103, v99, v103
	v_add_f32_e32 v113, v33, v103
	v_pk_add_f32 v[98:99], v[100:101], v[98:99] neg_lo:[0,1] neg_hi:[0,1]
	v_pk_add_f32 v[114:115], v[100:101], v[112:113]
	v_mov_b32_e32 v103, v100
	v_mov_b32_e32 v99, v115
	v_pk_add_f32 v[116:117], v[102:103], v[98:99] neg_lo:[0,1] neg_hi:[0,1]
	v_pk_add_f32 v[98:99], v[102:103], v[98:99]
	v_mov_b32_e32 v112, v113
	v_mov_b32_e32 v102, v99
	v_pk_add_f32 v[118:119], v[102:103], v[100:101] neg_lo:[0,1] neg_hi:[0,1]
	v_mov_b32_e32 v98, v115
	v_mov_b32_e32 v33, v118
	v_pk_add_f32 v[128:129], v[114:115], v[32:33] neg_lo:[0,1] neg_hi:[0,1]
	v_mov_b32_e32 v114, v101
	v_mov_b32_e32 v115, v118
	;; [unrolled: 1-line block ×3, first 2 shown]
	v_pk_add_f32 v[98:99], v[98:99], v[114:115] neg_lo:[0,1] neg_hi:[0,1]
	v_mov_b32_e32 v113, v100
	v_pk_add_f32 v[98:99], v[112:113], v[98:99] neg_lo:[0,1] neg_hi:[0,1]
	v_mov_b32_e32 v128, v116
	v_pk_add_f32 v[100:101], v[128:129], v[98:99]
	v_cmp_eq_f32_e64 s[2:3], s54, v130
	v_mov_b32_e32 v112, v101
	v_pk_add_f32 v[112:113], v[100:101], v[112:113]
	s_mov_b32 s54, 0x33800000
	v_pk_add_f32 v[102:103], v[102:103], v[112:113]
	v_mov_b32_e32 v99, v112
	v_mov_b32_e32 v101, v102
	v_pk_add_f32 v[114:115], v[100:101], v[116:117] neg_lo:[0,1] neg_hi:[0,1]
	v_cmp_lt_f32_e64 s[54:55], |v130|, s54
	v_sub_f32_e32 v33, v100, v114
	v_pk_add_f32 v[98:99], v[98:99], v[114:115] neg_lo:[0,1] neg_hi:[0,1]
	v_sub_f32_e32 v33, v116, v33
	v_add_f32_e32 v33, v98, v33
	v_add_f32_e32 v33, v33, v99
	;; [unrolled: 1-line block ×3, first 2 shown]
	s_or_b64 s[2:3], s[2:3], s[54:55]
	v_cndmask_b32_e64 v33, v33, v130, s[2:3]
	v_add_f32_e32 v98, v30, v33
.LBB479_363:
	s_or_b64 exec, exec, s[50:51]
	v_bfe_u32 v30, v98, 16, 1
	s_movk_i32 s2, 0x7fff
	v_add3_u32 v30, v98, v30, s2
	v_lshrrev_b32_e32 v30, 16, v30
	v_mov_b32_e32 v33, 0x7fc0
	v_cmp_o_f32_e64 s[2:3], v98, v98
	;;#ASMSTART
	;;#ASMEND
	s_nop 1
	v_cndmask_b32_e64 v30, v33, v30, s[2:3]
	v_lshlrev_b32_e32 v33, 16, v30
	v_max_f32_e32 v99, v33, v33
	v_min_f32_e32 v98, v99, v31
	v_max_f32_e32 v100, v99, v31
.LBB479_364:
	s_or_b64 exec, exec, s[52:53]
	v_cmp_u_f32_e64 s[2:3], v33, v33
	s_movk_i32 s50, 0x1f8
	s_nop 0
	v_cndmask_b32_e64 v31, v98, v33, s[2:3]
	v_cndmask_b32_e64 v98, v100, v33, s[2:3]
	v_cndmask_b32_e32 v31, v31, v2, vcc
	v_cndmask_b32_e32 v2, v98, v2, vcc
	v_cmp_neq_f32_e32 vcc, v31, v2
	v_cmp_class_f32_e64 s[2:3], v31, s50
	s_or_b64 vcc, vcc, s[2:3]
	s_and_saveexec_b64 s[2:3], vcc
	s_cbranch_execz .LBB479_366
; %bb.365:
	v_sub_f32_e32 v31, v31, v2
	s_mov_b32 s51, 0x3fb8aa3b
	v_mul_f32_e32 v33, 0x3fb8aa3b, v31
	v_fma_f32 v98, v31, s51, -v33
	v_rndne_f32_e32 v99, v33
	v_fmamk_f32 v98, v31, 0x32a5705f, v98
	v_sub_f32_e32 v33, v33, v99
	v_add_f32_e32 v33, v33, v98
	v_exp_f32_e32 v33, v33
	v_cvt_i32_f32_e32 v98, v99
	s_mov_b32 s51, 0xc2ce8ed0
	v_cmp_ngt_f32_e32 vcc, s51, v31
	s_mov_b32 s51, 0x42b17218
	v_ldexp_f32 v33, v33, v98
	v_cndmask_b32_e32 v33, 0, v33, vcc
	v_mov_b32_e32 v98, 0x7f800000
	v_cmp_nlt_f32_e32 vcc, s51, v31
	s_mov_b32 s51, 0x3f2aaaab
	s_mov_b32 s52, 0x7f800000
	v_cndmask_b32_e32 v33, v98, v33, vcc
	v_add_f32_e32 v31, 1.0, v33
	v_add_f32_e32 v98, -1.0, v31
	v_sub_f32_e32 v99, v98, v31
	v_add_f32_e32 v99, 1.0, v99
	v_sub_f32_e32 v98, v33, v98
	v_add_f32_e32 v100, v98, v99
	v_frexp_mant_f32_e32 v101, v31
	v_cvt_f64_f32_e32 v[98:99], v31
	v_frexp_exp_i32_f64_e32 v98, v[98:99]
	v_cmp_gt_f32_e32 vcc, s51, v101
	s_mov_b32 s51, 0x3f317218
	s_nop 0
	v_subbrev_co_u32_e32 v114, vcc, 0, v98, vcc
	v_sub_u32_e32 v98, 0, v114
	v_ldexp_f32 v31, v31, v98
	v_ldexp_f32 v98, v100, v98
	v_add_f32_e32 v100, -1.0, v31
	v_add_f32_e32 v99, 1.0, v100
	v_sub_f32_e32 v99, v31, v99
	v_add_f32_e32 v101, v98, v99
	v_add_f32_e32 v99, 1.0, v31
	s_waitcnt lgkmcnt(0)
	v_add_f32_e32 v102, -1.0, v99
	v_sub_f32_e32 v31, v31, v102
	v_add_f32_e32 v31, v98, v31
	v_add_f32_e32 v115, v99, v31
	v_rcp_f32_e32 v116, v115
	v_sub_f32_e32 v98, v99, v115
	v_add_f32_e32 v99, v100, v101
	v_add_f32_e32 v31, v31, v98
	v_mul_f32_e32 v118, v99, v116
	v_sub_f32_e32 v98, v100, v99
	v_mul_f32_e32 v100, v115, v118
	v_fma_f32 v102, v118, v115, -v100
	v_fmac_f32_e32 v102, v118, v31
	v_add_f32_e32 v117, v101, v98
	v_add_f32_e32 v98, v100, v102
	v_sub_f32_e32 v101, v99, v98
	v_pk_add_f32 v[112:113], v[98:99], v[100:101] neg_lo:[0,1] neg_hi:[0,1]
	v_mov_b32_e32 v103, v98
	v_pk_add_f32 v[98:99], v[112:113], v[102:103] neg_lo:[0,1] neg_hi:[0,1]
	v_cmp_eq_f32_e32 vcc, s52, v33
	v_add_f32_e32 v99, v117, v99
	v_add_f32_e32 v98, v98, v99
	;; [unrolled: 1-line block ×3, first 2 shown]
	v_mul_f32_e32 v117, v116, v99
	v_mul_f32_e32 v100, v115, v117
	v_fma_f32 v102, v117, v115, -v100
	v_fmac_f32_e32 v102, v117, v31
	v_sub_f32_e32 v31, v101, v99
	v_add_f32_e32 v31, v98, v31
	v_add_f32_e32 v98, v100, v102
	v_sub_f32_e32 v101, v99, v98
	v_pk_add_f32 v[112:113], v[98:99], v[100:101] neg_lo:[0,1] neg_hi:[0,1]
	v_mov_b32_e32 v103, v98
	v_pk_add_f32 v[98:99], v[112:113], v[102:103] neg_lo:[0,1] neg_hi:[0,1]
	v_cvt_f32_i32_e32 v100, v114
	v_add_f32_e32 v31, v31, v99
	v_add_f32_e32 v31, v98, v31
	;; [unrolled: 1-line block ×4, first 2 shown]
	v_sub_f32_e32 v99, v98, v118
	v_mul_f32_e32 v31, v116, v31
	v_sub_f32_e32 v99, v117, v99
	v_add_f32_e32 v31, v99, v31
	v_add_f32_e32 v101, v98, v31
	v_mul_f32_e32 v102, v101, v101
	v_mov_b32_e32 v99, 0x3ecc95a3
	v_fmac_f32_e32 v99, 0x3e9b6dac, v102
	v_sub_f32_e32 v98, v101, v98
	v_fmaak_f32 v99, v102, v99, 0x3f2aaada
	v_sub_f32_e32 v31, v31, v98
	v_ldexp_f32 v103, v101, 1
	v_mul_f32_e32 v101, v101, v102
	v_mov_b32_e32 v98, 0x3f317218
	v_pk_mul_f32 v[98:99], v[100:101], v[98:99]
	v_ldexp_f32 v31, v31, 1
	v_fma_f32 v101, v100, s51, -v98
	v_fmamk_f32 v102, v100, 0xb102e308, v101
	v_pk_add_f32 v[100:101], v[98:99], v[102:103]
	v_mov_b32_e32 v112, v98
	v_sub_f32_e32 v103, v101, v103
	v_sub_f32_e32 v103, v99, v103
	v_add_f32_e32 v113, v31, v103
	v_pk_add_f32 v[98:99], v[100:101], v[98:99] neg_lo:[0,1] neg_hi:[0,1]
	v_pk_add_f32 v[114:115], v[100:101], v[112:113]
	v_mov_b32_e32 v103, v100
	v_mov_b32_e32 v99, v115
	v_pk_add_f32 v[116:117], v[102:103], v[98:99] neg_lo:[0,1] neg_hi:[0,1]
	v_pk_add_f32 v[98:99], v[102:103], v[98:99]
	v_mov_b32_e32 v112, v113
	v_mov_b32_e32 v102, v99
	v_pk_add_f32 v[118:119], v[102:103], v[100:101] neg_lo:[0,1] neg_hi:[0,1]
	v_mov_b32_e32 v98, v115
	v_mov_b32_e32 v31, v118
	v_pk_add_f32 v[128:129], v[114:115], v[30:31] neg_lo:[0,1] neg_hi:[0,1]
	v_mov_b32_e32 v114, v101
	v_mov_b32_e32 v115, v118
	;; [unrolled: 1-line block ×3, first 2 shown]
	v_pk_add_f32 v[98:99], v[98:99], v[114:115] neg_lo:[0,1] neg_hi:[0,1]
	v_mov_b32_e32 v113, v100
	v_pk_add_f32 v[98:99], v[112:113], v[98:99] neg_lo:[0,1] neg_hi:[0,1]
	v_mov_b32_e32 v128, v116
	v_pk_add_f32 v[100:101], v[128:129], v[98:99]
	s_mov_b32 s51, 0x33800000
	v_mov_b32_e32 v112, v101
	v_pk_add_f32 v[112:113], v[100:101], v[112:113]
	v_cmp_lt_f32_e64 s[52:53], |v33|, s51
	v_pk_add_f32 v[102:103], v[102:103], v[112:113]
	v_mov_b32_e32 v99, v112
	v_mov_b32_e32 v101, v102
	v_pk_add_f32 v[114:115], v[100:101], v[116:117] neg_lo:[0,1] neg_hi:[0,1]
	s_or_b64 vcc, vcc, s[52:53]
	v_sub_f32_e32 v31, v100, v114
	v_pk_add_f32 v[98:99], v[98:99], v[114:115] neg_lo:[0,1] neg_hi:[0,1]
	v_sub_f32_e32 v31, v116, v31
	v_add_f32_e32 v31, v98, v31
	v_add_f32_e32 v31, v31, v99
	;; [unrolled: 1-line block ×3, first 2 shown]
	v_cndmask_b32_e32 v31, v31, v33, vcc
	v_add_f32_e32 v33, v2, v31
.LBB479_366:
	s_or_b64 exec, exec, s[2:3]
	v_bfe_u32 v2, v33, 16, 1
	s_movk_i32 s51, 0x7fff
	v_add3_u32 v2, v33, v2, s51
	v_lshrrev_b32_e32 v31, 16, v2
	v_mov_b32_e32 v2, 0x7fc0
	v_cmp_o_f32_e32 vcc, v33, v33
	s_nop 1
	v_cndmask_b32_e32 v31, v2, v31, vcc
	v_lshlrev_b32_e32 v33, 16, v31
	v_max_f32_e32 v99, v33, v33
	v_min_f32_e32 v98, v99, v24
	v_cmp_u_f32_e32 vcc, v33, v33
	v_max_f32_e32 v24, v99, v24
	s_nop 0
	v_cndmask_b32_e32 v98, v98, v33, vcc
	v_cndmask_b32_e32 v24, v24, v33, vcc
	v_cndmask_b32_e64 v98, v98, v3, s[4:5]
	v_cndmask_b32_e64 v3, v24, v3, s[4:5]
	v_cmp_neq_f32_e32 vcc, v98, v3
	v_cmp_class_f32_e64 s[2:3], v98, s50
	s_or_b64 s[4:5], vcc, s[2:3]
	s_and_saveexec_b64 s[2:3], s[4:5]
	s_cbranch_execz .LBB479_368
; %bb.367:
	v_sub_f32_e32 v24, v98, v3
	s_mov_b32 s4, 0x3fb8aa3b
	v_mul_f32_e32 v33, 0x3fb8aa3b, v24
	v_fma_f32 v98, v24, s4, -v33
	v_rndne_f32_e32 v99, v33
	v_fmamk_f32 v98, v24, 0x32a5705f, v98
	v_sub_f32_e32 v33, v33, v99
	v_add_f32_e32 v33, v33, v98
	v_exp_f32_e32 v33, v33
	v_cvt_i32_f32_e32 v98, v99
	s_mov_b32 s4, 0xc2ce8ed0
	v_cmp_ngt_f32_e32 vcc, s4, v24
	s_mov_b32 s4, 0x42b17218
	v_ldexp_f32 v33, v33, v98
	v_cndmask_b32_e32 v33, 0, v33, vcc
	v_mov_b32_e32 v98, 0x7f800000
	v_cmp_nlt_f32_e32 vcc, s4, v24
	s_mov_b32 s4, 0x3f2aaaab
	s_mov_b32 s5, 0x7f800000
	v_cndmask_b32_e32 v128, v98, v33, vcc
	v_add_f32_e32 v24, 1.0, v128
	v_add_f32_e32 v33, -1.0, v24
	v_sub_f32_e32 v98, v33, v24
	v_add_f32_e32 v98, 1.0, v98
	v_sub_f32_e32 v33, v128, v33
	v_add_f32_e32 v33, v33, v98
	v_frexp_mant_f32_e32 v100, v24
	v_cvt_f64_f32_e32 v[98:99], v24
	v_frexp_exp_i32_f64_e32 v98, v[98:99]
	v_cmp_gt_f32_e32 vcc, s4, v100
	s_mov_b32 s4, 0x3f317218
	s_nop 0
	v_subbrev_co_u32_e32 v114, vcc, 0, v98, vcc
	v_sub_u32_e32 v98, 0, v114
	v_ldexp_f32 v24, v24, v98
	v_ldexp_f32 v33, v33, v98
	v_add_f32_e32 v98, -1.0, v24
	v_add_f32_e32 v99, 1.0, v98
	v_sub_f32_e32 v99, v24, v99
	v_add_f32_e32 v100, v33, v99
	v_add_f32_e32 v99, 1.0, v24
	v_add_f32_e32 v101, -1.0, v99
	v_sub_f32_e32 v24, v24, v101
	v_add_f32_e32 v24, v33, v24
	v_add_f32_e32 v33, v99, v24
	v_rcp_f32_e32 v115, v33
	v_sub_f32_e32 v99, v99, v33
	v_add_f32_e32 v24, v24, v99
	v_add_f32_e32 v99, v98, v100
	v_sub_f32_e32 v98, v98, v99
	v_mul_f32_e32 v117, v99, v115
	v_add_f32_e32 v116, v100, v98
	v_mul_f32_e32 v100, v33, v117
	s_waitcnt lgkmcnt(0)
	v_fma_f32 v102, v117, v33, -v100
	v_fmac_f32_e32 v102, v117, v24
	v_add_f32_e32 v98, v100, v102
	v_sub_f32_e32 v101, v99, v98
	v_pk_add_f32 v[112:113], v[98:99], v[100:101] neg_lo:[0,1] neg_hi:[0,1]
	v_mov_b32_e32 v103, v98
	v_pk_add_f32 v[98:99], v[112:113], v[102:103] neg_lo:[0,1] neg_hi:[0,1]
	v_cmp_eq_f32_e32 vcc, s5, v128
	v_add_f32_e32 v99, v116, v99
	v_add_f32_e32 v98, v98, v99
	;; [unrolled: 1-line block ×3, first 2 shown]
	v_mul_f32_e32 v116, v115, v99
	v_mul_f32_e32 v100, v33, v116
	v_fma_f32 v102, v116, v33, -v100
	v_fmac_f32_e32 v102, v116, v24
	v_sub_f32_e32 v24, v101, v99
	v_add_f32_e32 v24, v98, v24
	v_add_f32_e32 v98, v100, v102
	v_sub_f32_e32 v101, v99, v98
	v_pk_add_f32 v[112:113], v[98:99], v[100:101] neg_lo:[0,1] neg_hi:[0,1]
	v_mov_b32_e32 v103, v98
	v_pk_add_f32 v[98:99], v[112:113], v[102:103] neg_lo:[0,1] neg_hi:[0,1]
	v_add_f32_e32 v33, v117, v116
	v_add_f32_e32 v24, v24, v99
	;; [unrolled: 1-line block ×4, first 2 shown]
	v_sub_f32_e32 v98, v33, v117
	v_mul_f32_e32 v24, v115, v24
	v_sub_f32_e32 v98, v116, v98
	v_add_f32_e32 v24, v98, v24
	v_add_f32_e32 v98, v33, v24
	v_cvt_f32_i32_e32 v100, v114
	v_mul_f32_e32 v101, v98, v98
	v_mov_b32_e32 v99, 0x3ecc95a3
	v_fmac_f32_e32 v99, 0x3e9b6dac, v101
	v_fmaak_f32 v99, v101, v99, 0x3f2aaada
	v_sub_f32_e32 v33, v98, v33
	v_ldexp_f32 v103, v98, 1
	v_mul_f32_e32 v101, v98, v101
	v_mov_b32_e32 v98, 0x3f317218
	v_pk_mul_f32 v[98:99], v[100:101], v[98:99]
	v_sub_f32_e32 v24, v24, v33
	v_fma_f32 v33, v100, s4, -v98
	v_fmamk_f32 v102, v100, 0xb102e308, v33
	v_pk_add_f32 v[100:101], v[98:99], v[102:103]
	v_ldexp_f32 v24, v24, 1
	v_sub_f32_e32 v33, v101, v103
	v_sub_f32_e32 v33, v99, v33
	v_add_f32_e32 v113, v24, v33
	v_mov_b32_e32 v112, v98
	v_pk_add_f32 v[98:99], v[100:101], v[98:99] neg_lo:[0,1] neg_hi:[0,1]
	v_pk_add_f32 v[114:115], v[100:101], v[112:113]
	v_mov_b32_e32 v103, v100
	v_mov_b32_e32 v99, v115
	v_pk_add_f32 v[116:117], v[102:103], v[98:99] neg_lo:[0,1] neg_hi:[0,1]
	v_pk_add_f32 v[98:99], v[102:103], v[98:99]
	s_mov_b32 s4, 0x33800000
	v_mov_b32_e32 v24, v99
	v_pk_add_f32 v[102:103], v[24:25], v[100:101] neg_lo:[0,1] neg_hi:[0,1]
	v_mov_b32_e32 v98, v115
	v_mov_b32_e32 v33, v102
	v_pk_add_f32 v[118:119], v[114:115], v[32:33] neg_lo:[0,1] neg_hi:[0,1]
	v_mov_b32_e32 v114, v101
	v_mov_b32_e32 v115, v102
	;; [unrolled: 1-line block ×3, first 2 shown]
	v_pk_add_f32 v[98:99], v[98:99], v[114:115] neg_lo:[0,1] neg_hi:[0,1]
	v_mov_b32_e32 v102, v113
	v_mov_b32_e32 v103, v100
	v_pk_add_f32 v[98:99], v[102:103], v[98:99] neg_lo:[0,1] neg_hi:[0,1]
	v_mov_b32_e32 v118, v116
	v_pk_add_f32 v[100:101], v[118:119], v[98:99]
	v_cmp_lt_f32_e64 s[4:5], |v128|, s4
	v_mov_b32_e32 v102, v101
	v_pk_add_f32 v[102:103], v[100:101], v[102:103]
	s_or_b64 vcc, vcc, s[4:5]
	v_pk_add_f32 v[112:113], v[24:25], v[102:103]
	v_mov_b32_e32 v99, v102
	v_mov_b32_e32 v101, v112
	v_pk_add_f32 v[114:115], v[100:101], v[116:117] neg_lo:[0,1] neg_hi:[0,1]
	s_nop 0
	v_sub_f32_e32 v24, v100, v114
	v_pk_add_f32 v[98:99], v[98:99], v[114:115] neg_lo:[0,1] neg_hi:[0,1]
	v_sub_f32_e32 v24, v116, v24
	v_add_f32_e32 v24, v98, v24
	v_add_f32_e32 v24, v24, v99
	;; [unrolled: 1-line block ×3, first 2 shown]
	v_cndmask_b32_e32 v24, v24, v128, vcc
	v_add_f32_e32 v33, v3, v24
.LBB479_368:
	s_or_b64 exec, exec, s[2:3]
	v_bfe_u32 v3, v33, 16, 1
	v_add3_u32 v3, v33, v3, s51
	v_lshrrev_b32_e32 v3, 16, v3
	v_cmp_o_f32_e32 vcc, v33, v33
	s_movk_i32 s4, 0x1f8
	s_nop 0
	v_cndmask_b32_e32 v33, v2, v3, vcc
	v_lshlrev_b32_e32 v3, 16, v33
	v_max_f32_e32 v2, v3, v3
	v_min_f32_e32 v24, v2, v36
	v_cmp_u_f32_e32 vcc, v3, v3
	v_max_f32_e32 v2, v2, v36
	s_nop 0
	v_cndmask_b32_e32 v24, v24, v3, vcc
	v_cndmask_b32_e32 v2, v2, v3, vcc
	v_cndmask_b32_e64 v24, v24, v6, s[6:7]
	v_cndmask_b32_e64 v2, v2, v6, s[6:7]
	v_cmp_neq_f32_e32 vcc, v24, v2
	v_cmp_class_f32_e64 s[2:3], v24, s4
	s_or_b64 s[6:7], vcc, s[2:3]
	s_and_saveexec_b64 s[2:3], s[6:7]
	s_cbranch_execz .LBB479_370
; %bb.369:
	v_sub_f32_e32 v3, v24, v2
	s_mov_b32 s5, 0x3fb8aa3b
	v_mul_f32_e32 v6, 0x3fb8aa3b, v3
	v_fma_f32 v24, v3, s5, -v6
	v_rndne_f32_e32 v36, v6
	v_fmamk_f32 v24, v3, 0x32a5705f, v24
	v_sub_f32_e32 v6, v6, v36
	v_add_f32_e32 v6, v6, v24
	v_exp_f32_e32 v6, v6
	v_cvt_i32_f32_e32 v24, v36
	s_mov_b32 s5, 0xc2ce8ed0
	v_cmp_ngt_f32_e32 vcc, s5, v3
	s_mov_b32 s5, 0x42b17218
	v_ldexp_f32 v6, v6, v24
	v_cndmask_b32_e32 v6, 0, v6, vcc
	v_mov_b32_e32 v24, 0x7f800000
	v_cmp_nlt_f32_e32 vcc, s5, v3
	s_mov_b32 s5, 0x3f2aaaab
	s_mov_b32 s6, 0x7f800000
	v_cndmask_b32_e32 v36, v24, v6, vcc
	v_add_f32_e32 v3, 1.0, v36
	v_add_f32_e32 v6, -1.0, v3
	v_sub_f32_e32 v24, v6, v3
	v_add_f32_e32 v24, 1.0, v24
	v_sub_f32_e32 v6, v36, v6
	v_add_f32_e32 v6, v6, v24
	v_frexp_mant_f32_e32 v24, v3
	v_cvt_f64_f32_e32 v[98:99], v3
	v_frexp_exp_i32_f64_e32 v98, v[98:99]
	v_cmp_gt_f32_e32 vcc, s5, v24
	s_mov_b32 s5, 0x3f317218
	s_nop 0
	v_subbrev_co_u32_e32 v24, vcc, 0, v98, vcc
	v_sub_u32_e32 v98, 0, v24
	v_ldexp_f32 v3, v3, v98
	v_ldexp_f32 v6, v6, v98
	v_add_f32_e32 v98, -1.0, v3
	v_add_f32_e32 v99, 1.0, v98
	v_sub_f32_e32 v99, v3, v99
	v_add_f32_e32 v100, v6, v99
	v_add_f32_e32 v99, 1.0, v3
	v_add_f32_e32 v101, -1.0, v99
	v_sub_f32_e32 v3, v3, v101
	v_add_f32_e32 v3, v6, v3
	v_add_f32_e32 v6, v99, v3
	v_rcp_f32_e32 v114, v6
	v_sub_f32_e32 v99, v99, v6
	v_add_f32_e32 v3, v3, v99
	v_add_f32_e32 v99, v98, v100
	v_sub_f32_e32 v98, v98, v99
	v_mul_f32_e32 v116, v99, v114
	v_add_f32_e32 v115, v100, v98
	v_mul_f32_e32 v100, v6, v116
	s_waitcnt lgkmcnt(0)
	v_fma_f32 v102, v116, v6, -v100
	v_fmac_f32_e32 v102, v116, v3
	v_add_f32_e32 v98, v100, v102
	v_sub_f32_e32 v101, v99, v98
	v_pk_add_f32 v[112:113], v[98:99], v[100:101] neg_lo:[0,1] neg_hi:[0,1]
	v_mov_b32_e32 v103, v98
	v_pk_add_f32 v[98:99], v[112:113], v[102:103] neg_lo:[0,1] neg_hi:[0,1]
	v_cmp_eq_f32_e32 vcc, s6, v36
	v_add_f32_e32 v99, v115, v99
	v_add_f32_e32 v98, v98, v99
	;; [unrolled: 1-line block ×3, first 2 shown]
	v_mul_f32_e32 v115, v114, v99
	v_mul_f32_e32 v100, v6, v115
	v_fma_f32 v102, v115, v6, -v100
	v_fmac_f32_e32 v102, v115, v3
	v_sub_f32_e32 v3, v101, v99
	v_add_f32_e32 v3, v98, v3
	v_add_f32_e32 v98, v100, v102
	v_sub_f32_e32 v101, v99, v98
	v_pk_add_f32 v[112:113], v[98:99], v[100:101] neg_lo:[0,1] neg_hi:[0,1]
	v_mov_b32_e32 v103, v98
	v_pk_add_f32 v[98:99], v[112:113], v[102:103] neg_lo:[0,1] neg_hi:[0,1]
	v_add_f32_e32 v6, v116, v115
	v_add_f32_e32 v3, v3, v99
	;; [unrolled: 1-line block ×4, first 2 shown]
	v_sub_f32_e32 v98, v6, v116
	v_mul_f32_e32 v3, v114, v3
	v_sub_f32_e32 v98, v115, v98
	v_add_f32_e32 v3, v98, v3
	v_add_f32_e32 v98, v6, v3
	v_cvt_f32_i32_e32 v100, v24
	v_mul_f32_e32 v101, v98, v98
	v_mov_b32_e32 v99, 0x3ecc95a3
	v_fmac_f32_e32 v99, 0x3e9b6dac, v101
	v_fmaak_f32 v99, v101, v99, 0x3f2aaada
	v_sub_f32_e32 v6, v98, v6
	v_ldexp_f32 v103, v98, 1
	v_mul_f32_e32 v101, v98, v101
	v_mov_b32_e32 v98, 0x3f317218
	v_pk_mul_f32 v[98:99], v[100:101], v[98:99]
	v_sub_f32_e32 v3, v3, v6
	v_fma_f32 v6, v100, s5, -v98
	v_fmamk_f32 v102, v100, 0xb102e308, v6
	v_pk_add_f32 v[100:101], v[98:99], v[102:103]
	v_ldexp_f32 v3, v3, 1
	v_sub_f32_e32 v6, v101, v103
	v_sub_f32_e32 v6, v99, v6
	v_add_f32_e32 v113, v3, v6
	v_mov_b32_e32 v112, v98
	v_pk_add_f32 v[98:99], v[100:101], v[98:99] neg_lo:[0,1] neg_hi:[0,1]
	v_pk_add_f32 v[114:115], v[100:101], v[112:113]
	v_mov_b32_e32 v103, v100
	v_mov_b32_e32 v99, v115
	v_pk_add_f32 v[116:117], v[102:103], v[98:99] neg_lo:[0,1] neg_hi:[0,1]
	v_pk_add_f32 v[98:99], v[102:103], v[98:99]
	s_mov_b32 s5, 0x33800000
	v_mov_b32_e32 v6, v99
	v_pk_add_f32 v[102:103], v[6:7], v[100:101] neg_lo:[0,1] neg_hi:[0,1]
	v_mov_b32_e32 v98, v115
	v_mov_b32_e32 v3, v102
	v_pk_add_f32 v[118:119], v[114:115], v[2:3] neg_lo:[0,1] neg_hi:[0,1]
	v_mov_b32_e32 v114, v101
	v_mov_b32_e32 v115, v102
	;; [unrolled: 1-line block ×3, first 2 shown]
	v_pk_add_f32 v[98:99], v[98:99], v[114:115] neg_lo:[0,1] neg_hi:[0,1]
	v_mov_b32_e32 v102, v113
	v_mov_b32_e32 v103, v100
	v_pk_add_f32 v[98:99], v[102:103], v[98:99] neg_lo:[0,1] neg_hi:[0,1]
	v_mov_b32_e32 v118, v116
	v_pk_add_f32 v[100:101], v[118:119], v[98:99]
	v_cmp_lt_f32_e64 s[6:7], |v36|, s5
	v_mov_b32_e32 v24, v101
	v_pk_add_f32 v[102:103], v[100:101], v[24:25]
	s_or_b64 vcc, vcc, s[6:7]
	v_pk_add_f32 v[112:113], v[6:7], v[102:103]
	v_mov_b32_e32 v99, v102
	v_mov_b32_e32 v101, v112
	v_pk_add_f32 v[114:115], v[100:101], v[116:117] neg_lo:[0,1] neg_hi:[0,1]
	s_nop 0
	v_sub_f32_e32 v3, v100, v114
	v_pk_add_f32 v[98:99], v[98:99], v[114:115] neg_lo:[0,1] neg_hi:[0,1]
	v_sub_f32_e32 v3, v116, v3
	v_add_f32_e32 v3, v98, v3
	v_add_f32_e32 v3, v3, v99
	;; [unrolled: 1-line block ×3, first 2 shown]
	v_cndmask_b32_e32 v3, v3, v36, vcc
	v_add_f32_e32 v3, v2, v3
.LBB479_370:
	s_or_b64 exec, exec, s[2:3]
	v_bfe_u32 v2, v3, 16, 1
	s_movk_i32 s5, 0x7fff
	v_add3_u32 v2, v3, v2, s5
	v_lshrrev_b32_e32 v6, 16, v2
	v_mov_b32_e32 v2, 0x7fc0
	v_cmp_o_f32_e32 vcc, v3, v3
	s_nop 1
	v_cndmask_b32_e32 v36, v2, v6, vcc
	v_lshlrev_b32_e32 v6, 16, v36
	v_max_f32_e32 v3, v6, v6
	v_min_f32_e32 v24, v3, v37
	v_cmp_u_f32_e32 vcc, v6, v6
	v_max_f32_e32 v3, v3, v37
	s_nop 0
	v_cndmask_b32_e32 v24, v24, v6, vcc
	v_cndmask_b32_e32 v3, v3, v6, vcc
	v_cndmask_b32_e64 v24, v24, v7, s[8:9]
	v_cndmask_b32_e64 v3, v3, v7, s[8:9]
	v_cmp_neq_f32_e32 vcc, v24, v3
	v_cmp_class_f32_e64 s[2:3], v24, s4
	s_or_b64 s[6:7], vcc, s[2:3]
	s_and_saveexec_b64 s[2:3], s[6:7]
	s_cbranch_execz .LBB479_372
; %bb.371:
	v_sub_f32_e32 v6, v24, v3
	s_mov_b32 s4, 0x3fb8aa3b
	v_mul_f32_e32 v7, 0x3fb8aa3b, v6
	v_fma_f32 v24, v6, s4, -v7
	v_rndne_f32_e32 v37, v7
	v_fmamk_f32 v24, v6, 0x32a5705f, v24
	v_sub_f32_e32 v7, v7, v37
	v_add_f32_e32 v7, v7, v24
	v_exp_f32_e32 v7, v7
	v_cvt_i32_f32_e32 v24, v37
	s_mov_b32 s4, 0xc2ce8ed0
	v_cmp_ngt_f32_e32 vcc, s4, v6
	s_mov_b32 s4, 0x42b17218
	v_ldexp_f32 v7, v7, v24
	v_cndmask_b32_e32 v7, 0, v7, vcc
	v_mov_b32_e32 v24, 0x7f800000
	v_cmp_nlt_f32_e32 vcc, s4, v6
	s_mov_b32 s4, 0x3f2aaaab
	s_mov_b32 s6, 0x7f800000
	v_cndmask_b32_e32 v118, v24, v7, vcc
	v_add_f32_e32 v24, 1.0, v118
	v_add_f32_e32 v6, -1.0, v24
	v_sub_f32_e32 v7, v6, v24
	v_add_f32_e32 v7, 1.0, v7
	v_sub_f32_e32 v6, v118, v6
	v_add_f32_e32 v37, v6, v7
	v_frexp_mant_f32_e32 v98, v24
	v_cvt_f64_f32_e32 v[6:7], v24
	v_frexp_exp_i32_f64_e32 v6, v[6:7]
	v_cmp_gt_f32_e32 vcc, s4, v98
	s_mov_b32 s4, 0x3f317218
	s_nop 0
	v_subbrev_co_u32_e32 v112, vcc, 0, v6, vcc
	v_sub_u32_e32 v6, 0, v112
	v_ldexp_f32 v7, v24, v6
	v_add_f32_e32 v24, -1.0, v7
	v_add_f32_e32 v98, 1.0, v7
	v_ldexp_f32 v6, v37, v6
	v_add_f32_e32 v37, 1.0, v24
	v_add_f32_e32 v99, -1.0, v98
	v_sub_f32_e32 v37, v7, v37
	v_sub_f32_e32 v7, v7, v99
	v_add_f32_e32 v37, v6, v37
	v_add_f32_e32 v6, v6, v7
	;; [unrolled: 1-line block ×3, first 2 shown]
	v_rcp_f32_e32 v115, v113
	v_sub_f32_e32 v7, v98, v113
	v_add_f32_e32 v114, v6, v7
	v_add_f32_e32 v7, v24, v37
	v_sub_f32_e32 v6, v24, v7
	v_add_f32_e32 v24, v37, v6
	v_mul_f32_e32 v37, v7, v115
	v_mul_f32_e32 v98, v113, v37
	v_fma_f32 v100, v37, v113, -v98
	v_fmac_f32_e32 v100, v37, v114
	v_add_f32_e32 v6, v98, v100
	v_sub_f32_e32 v99, v7, v6
	s_waitcnt lgkmcnt(0)
	v_pk_add_f32 v[102:103], v[6:7], v[98:99] neg_lo:[0,1] neg_hi:[0,1]
	v_mov_b32_e32 v101, v6
	v_pk_add_f32 v[6:7], v[102:103], v[100:101] neg_lo:[0,1] neg_hi:[0,1]
	v_cmp_eq_f32_e32 vcc, s6, v118
	v_add_f32_e32 v7, v24, v7
	v_add_f32_e32 v6, v6, v7
	;; [unrolled: 1-line block ×3, first 2 shown]
	v_mul_f32_e32 v24, v115, v7
	v_mul_f32_e32 v98, v113, v24
	v_fma_f32 v100, v24, v113, -v98
	v_fmac_f32_e32 v100, v24, v114
	v_sub_f32_e32 v99, v99, v7
	v_add_f32_e32 v113, v6, v99
	v_add_f32_e32 v6, v98, v100
	v_sub_f32_e32 v99, v7, v6
	v_pk_add_f32 v[102:103], v[6:7], v[98:99] neg_lo:[0,1] neg_hi:[0,1]
	v_mov_b32_e32 v101, v6
	v_pk_add_f32 v[6:7], v[102:103], v[100:101] neg_lo:[0,1] neg_hi:[0,1]
	v_cvt_f32_i32_e32 v98, v112
	v_add_f32_e32 v7, v113, v7
	v_add_f32_e32 v6, v6, v7
	;; [unrolled: 1-line block ×4, first 2 shown]
	v_sub_f32_e32 v7, v99, v37
	v_mul_f32_e32 v6, v115, v6
	v_sub_f32_e32 v7, v24, v7
	v_add_f32_e32 v6, v7, v6
	v_add_f32_e32 v24, v99, v6
	v_mul_f32_e32 v37, v24, v24
	v_mov_b32_e32 v7, 0x3ecc95a3
	v_sub_f32_e32 v99, v24, v99
	v_fmac_f32_e32 v7, 0x3e9b6dac, v37
	v_sub_f32_e32 v6, v6, v99
	v_fmaak_f32 v7, v37, v7, 0x3f2aaada
	v_ldexp_f32 v102, v6, 1
	v_mul_f32_e32 v99, v24, v37
	v_mov_b32_e32 v6, 0x3f317218
	v_pk_mul_f32 v[6:7], v[98:99], v[6:7]
	v_ldexp_f32 v101, v24, 1
	v_fma_f32 v24, v98, s4, -v6
	v_fmamk_f32 v100, v98, 0xb102e308, v24
	v_pk_add_f32 v[98:99], v[6:7], v[100:101]
	s_mov_b32 s4, 0x33800000
	v_sub_f32_e32 v24, v99, v101
	v_sub_f32_e32 v24, v7, v24
	v_add_f32_e32 v103, v102, v24
	v_mov_b32_e32 v102, v6
	v_pk_add_f32 v[6:7], v[98:99], v[6:7] neg_lo:[0,1] neg_hi:[0,1]
	v_pk_add_f32 v[112:113], v[98:99], v[102:103]
	v_mov_b32_e32 v101, v98
	v_mov_b32_e32 v7, v113
	v_pk_add_f32 v[114:115], v[100:101], v[6:7] neg_lo:[0,1] neg_hi:[0,1]
	v_pk_add_f32 v[6:7], v[100:101], v[6:7]
	v_cmp_lt_f32_e64 s[6:7], |v118|, s4
	v_mov_b32_e32 v24, v7
	v_pk_add_f32 v[100:101], v[24:25], v[98:99] neg_lo:[0,1] neg_hi:[0,1]
	v_mov_b32_e32 v6, v113
	v_mov_b32_e32 v37, v100
	v_pk_add_f32 v[116:117], v[112:113], v[36:37] neg_lo:[0,1] neg_hi:[0,1]
	v_mov_b32_e32 v112, v99
	v_mov_b32_e32 v113, v100
	;; [unrolled: 1-line block ×3, first 2 shown]
	v_pk_add_f32 v[6:7], v[6:7], v[112:113] neg_lo:[0,1] neg_hi:[0,1]
	v_mov_b32_e32 v100, v103
	v_mov_b32_e32 v101, v98
	v_pk_add_f32 v[6:7], v[100:101], v[6:7] neg_lo:[0,1] neg_hi:[0,1]
	v_mov_b32_e32 v116, v114
	v_pk_add_f32 v[98:99], v[116:117], v[6:7]
	s_or_b64 vcc, vcc, s[6:7]
	v_mov_b32_e32 v100, v99
	v_pk_add_f32 v[100:101], v[98:99], v[100:101]
	s_nop 0
	v_pk_add_f32 v[102:103], v[24:25], v[100:101]
	v_mov_b32_e32 v7, v100
	v_mov_b32_e32 v99, v102
	v_pk_add_f32 v[112:113], v[98:99], v[114:115] neg_lo:[0,1] neg_hi:[0,1]
	s_nop 0
	v_sub_f32_e32 v24, v98, v112
	v_pk_add_f32 v[6:7], v[6:7], v[112:113] neg_lo:[0,1] neg_hi:[0,1]
	v_sub_f32_e32 v24, v114, v24
	v_add_f32_e32 v6, v6, v24
	v_add_f32_e32 v6, v6, v7
	v_add_f32_e32 v6, v102, v6
	v_cndmask_b32_e32 v6, v6, v118, vcc
	v_add_f32_e32 v6, v3, v6
.LBB479_372:
	s_or_b64 exec, exec, s[2:3]
	v_bfe_u32 v3, v6, 16, 1
	v_add3_u32 v3, v6, v3, s5
	v_lshrrev_b32_e32 v3, 16, v3
	v_cmp_o_f32_e32 vcc, v6, v6
	s_movk_i32 s4, 0x1f8
	s_nop 0
	v_cndmask_b32_e32 v37, v2, v3, vcc
	v_lshlrev_b32_e32 v3, 16, v37
	v_max_f32_e32 v2, v3, v3
	v_min_f32_e32 v6, v2, v38
	v_cmp_u_f32_e32 vcc, v3, v3
	v_max_f32_e32 v2, v2, v38
	s_nop 0
	v_cndmask_b32_e32 v6, v6, v3, vcc
	v_cndmask_b32_e32 v2, v2, v3, vcc
	v_cndmask_b32_e64 v6, v6, v25, s[10:11]
	v_cndmask_b32_e64 v2, v2, v25, s[10:11]
	v_cmp_neq_f32_e32 vcc, v6, v2
	v_cmp_class_f32_e64 s[2:3], v6, s4
	s_or_b64 s[6:7], vcc, s[2:3]
	s_and_saveexec_b64 s[2:3], s[6:7]
	s_cbranch_execz .LBB479_374
; %bb.373:
	v_sub_f32_e32 v3, v6, v2
	s_mov_b32 s5, 0x3fb8aa3b
	v_mul_f32_e32 v6, 0x3fb8aa3b, v3
	v_fma_f32 v7, v3, s5, -v6
	v_rndne_f32_e32 v24, v6
	v_fmamk_f32 v7, v3, 0x32a5705f, v7
	v_sub_f32_e32 v6, v6, v24
	v_add_f32_e32 v6, v6, v7
	v_exp_f32_e32 v6, v6
	v_cvt_i32_f32_e32 v7, v24
	s_mov_b32 s5, 0xc2ce8ed0
	v_cmp_ngt_f32_e32 vcc, s5, v3
	s_mov_b32 s5, 0x42b17218
	v_ldexp_f32 v6, v6, v7
	v_cndmask_b32_e32 v6, 0, v6, vcc
	v_mov_b32_e32 v7, 0x7f800000
	v_cmp_nlt_f32_e32 vcc, s5, v3
	s_mov_b32 s5, 0x3f2aaaab
	s_mov_b32 s6, 0x7f800000
	v_cndmask_b32_e32 v116, v7, v6, vcc
	v_add_f32_e32 v3, 1.0, v116
	v_add_f32_e32 v6, -1.0, v3
	v_sub_f32_e32 v7, v6, v3
	v_add_f32_e32 v7, 1.0, v7
	v_sub_f32_e32 v6, v116, v6
	v_add_f32_e32 v24, v6, v7
	v_frexp_mant_f32_e32 v25, v3
	v_cvt_f64_f32_e32 v[6:7], v3
	v_frexp_exp_i32_f64_e32 v6, v[6:7]
	v_cmp_gt_f32_e32 vcc, s5, v25
	s_mov_b32 s5, 0x3f317218
	s_nop 0
	v_subbrev_co_u32_e32 v38, vcc, 0, v6, vcc
	v_sub_u32_e32 v6, 0, v38
	v_ldexp_f32 v3, v3, v6
	v_ldexp_f32 v6, v24, v6
	v_add_f32_e32 v24, -1.0, v3
	v_add_f32_e32 v7, 1.0, v24
	v_sub_f32_e32 v7, v3, v7
	v_add_f32_e32 v25, v6, v7
	v_add_f32_e32 v7, 1.0, v3
	v_add_f32_e32 v98, -1.0, v7
	v_sub_f32_e32 v3, v3, v98
	v_add_f32_e32 v3, v6, v3
	s_waitcnt lgkmcnt(0)
	v_add_f32_e32 v102, v7, v3
	v_rcp_f32_e32 v103, v102
	v_sub_f32_e32 v6, v7, v102
	v_add_f32_e32 v7, v24, v25
	v_add_f32_e32 v3, v3, v6
	v_mul_f32_e32 v113, v7, v103
	v_sub_f32_e32 v6, v24, v7
	v_mul_f32_e32 v24, v102, v113
	v_fma_f32 v98, v113, v102, -v24
	v_fmac_f32_e32 v98, v113, v3
	v_add_f32_e32 v112, v25, v6
	v_add_f32_e32 v6, v24, v98
	v_sub_f32_e32 v25, v7, v6
	v_pk_add_f32 v[100:101], v[6:7], v[24:25] neg_lo:[0,1] neg_hi:[0,1]
	v_mov_b32_e32 v99, v6
	v_pk_add_f32 v[6:7], v[100:101], v[98:99] neg_lo:[0,1] neg_hi:[0,1]
	v_cmp_eq_f32_e32 vcc, s6, v116
	v_add_f32_e32 v7, v112, v7
	v_add_f32_e32 v6, v6, v7
	;; [unrolled: 1-line block ×3, first 2 shown]
	v_mul_f32_e32 v112, v103, v7
	v_mul_f32_e32 v24, v102, v112
	v_fma_f32 v98, v112, v102, -v24
	v_fmac_f32_e32 v98, v112, v3
	v_sub_f32_e32 v3, v25, v7
	v_add_f32_e32 v3, v6, v3
	v_add_f32_e32 v6, v24, v98
	v_sub_f32_e32 v25, v7, v6
	v_pk_add_f32 v[100:101], v[6:7], v[24:25] neg_lo:[0,1] neg_hi:[0,1]
	v_mov_b32_e32 v99, v6
	v_pk_add_f32 v[6:7], v[100:101], v[98:99] neg_lo:[0,1] neg_hi:[0,1]
	v_cvt_f32_i32_e32 v24, v38
	v_add_f32_e32 v3, v3, v7
	v_add_f32_e32 v3, v6, v3
	;; [unrolled: 1-line block ×4, first 2 shown]
	v_sub_f32_e32 v7, v6, v113
	v_mul_f32_e32 v3, v103, v3
	v_sub_f32_e32 v7, v112, v7
	v_add_f32_e32 v3, v7, v3
	v_add_f32_e32 v25, v6, v3
	v_mul_f32_e32 v98, v25, v25
	v_mov_b32_e32 v7, 0x3ecc95a3
	v_fmac_f32_e32 v7, 0x3e9b6dac, v98
	v_sub_f32_e32 v6, v25, v6
	v_fmaak_f32 v7, v98, v7, 0x3f2aaada
	v_sub_f32_e32 v3, v3, v6
	v_ldexp_f32 v99, v25, 1
	v_mul_f32_e32 v25, v25, v98
	v_mov_b32_e32 v6, 0x3f317218
	v_pk_mul_f32 v[6:7], v[24:25], v[6:7]
	v_ldexp_f32 v3, v3, 1
	v_fma_f32 v25, v24, s5, -v6
	v_fmamk_f32 v98, v24, 0xb102e308, v25
	v_pk_add_f32 v[24:25], v[6:7], v[98:99]
	v_mov_b32_e32 v100, v6
	v_sub_f32_e32 v38, v25, v99
	v_sub_f32_e32 v38, v7, v38
	v_add_f32_e32 v101, v3, v38
	v_pk_add_f32 v[6:7], v[24:25], v[6:7] neg_lo:[0,1] neg_hi:[0,1]
	v_pk_add_f32 v[102:103], v[24:25], v[100:101]
	v_mov_b32_e32 v99, v24
	v_mov_b32_e32 v7, v103
	v_pk_add_f32 v[112:113], v[98:99], v[6:7] neg_lo:[0,1] neg_hi:[0,1]
	v_pk_add_f32 v[6:7], v[98:99], v[6:7]
	s_mov_b32 s5, 0x33800000
	v_mov_b32_e32 v38, v7
	v_pk_add_f32 v[98:99], v[38:39], v[24:25] neg_lo:[0,1] neg_hi:[0,1]
	v_mov_b32_e32 v6, v103
	v_mov_b32_e32 v3, v98
	v_pk_add_f32 v[114:115], v[102:103], v[2:3] neg_lo:[0,1] neg_hi:[0,1]
	v_mov_b32_e32 v102, v25
	v_mov_b32_e32 v103, v98
	;; [unrolled: 1-line block ×3, first 2 shown]
	v_pk_add_f32 v[6:7], v[6:7], v[102:103] neg_lo:[0,1] neg_hi:[0,1]
	v_mov_b32_e32 v98, v101
	v_mov_b32_e32 v99, v24
	v_pk_add_f32 v[6:7], v[98:99], v[6:7] neg_lo:[0,1] neg_hi:[0,1]
	v_mov_b32_e32 v114, v112
	v_pk_add_f32 v[24:25], v[114:115], v[6:7]
	v_cmp_lt_f32_e64 s[6:7], |v116|, s5
	v_mov_b32_e32 v98, v25
	v_pk_add_f32 v[98:99], v[24:25], v[98:99]
	s_or_b64 vcc, vcc, s[6:7]
	v_pk_add_f32 v[100:101], v[38:39], v[98:99]
	v_mov_b32_e32 v7, v98
	v_mov_b32_e32 v25, v100
	v_pk_add_f32 v[102:103], v[24:25], v[112:113] neg_lo:[0,1] neg_hi:[0,1]
	s_nop 0
	v_sub_f32_e32 v3, v24, v102
	v_pk_add_f32 v[6:7], v[6:7], v[102:103] neg_lo:[0,1] neg_hi:[0,1]
	v_sub_f32_e32 v3, v112, v3
	v_add_f32_e32 v3, v6, v3
	v_add_f32_e32 v3, v3, v7
	;; [unrolled: 1-line block ×3, first 2 shown]
	v_cndmask_b32_e32 v3, v3, v116, vcc
	v_add_f32_e32 v3, v2, v3
.LBB479_374:
	s_or_b64 exec, exec, s[2:3]
	v_bfe_u32 v2, v3, 16, 1
	s_movk_i32 s5, 0x7fff
	v_add3_u32 v2, v3, v2, s5
	v_lshrrev_b32_e32 v6, 16, v2
	v_mov_b32_e32 v2, 0x7fc0
	v_cmp_o_f32_e32 vcc, v3, v3
	s_nop 1
	v_cndmask_b32_e32 v38, v2, v6, vcc
	v_lshlrev_b32_e32 v6, 16, v38
	v_max_f32_e32 v3, v6, v6
	v_min_f32_e32 v7, v3, v39
	v_cmp_u_f32_e32 vcc, v6, v6
	v_max_f32_e32 v3, v3, v39
	s_nop 0
	v_cndmask_b32_e32 v7, v7, v6, vcc
	v_cndmask_b32_e32 v3, v3, v6, vcc
	v_cndmask_b32_e64 v7, v7, v26, s[12:13]
	v_cndmask_b32_e64 v3, v3, v26, s[12:13]
	v_cmp_neq_f32_e32 vcc, v7, v3
	v_cmp_class_f32_e64 s[2:3], v7, s4
	s_or_b64 s[6:7], vcc, s[2:3]
	s_and_saveexec_b64 s[2:3], s[6:7]
	s_cbranch_execz .LBB479_376
; %bb.375:
	v_sub_f32_e32 v6, v7, v3
	s_mov_b32 s4, 0x3fb8aa3b
	v_mul_f32_e32 v7, 0x3fb8aa3b, v6
	v_fma_f32 v24, v6, s4, -v7
	v_rndne_f32_e32 v25, v7
	v_fmamk_f32 v24, v6, 0x32a5705f, v24
	v_sub_f32_e32 v7, v7, v25
	v_add_f32_e32 v7, v7, v24
	v_exp_f32_e32 v7, v7
	v_cvt_i32_f32_e32 v24, v25
	s_mov_b32 s4, 0xc2ce8ed0
	v_cmp_ngt_f32_e32 vcc, s4, v6
	s_mov_b32 s4, 0x42b17218
	v_ldexp_f32 v7, v7, v24
	v_cndmask_b32_e32 v7, 0, v7, vcc
	v_mov_b32_e32 v24, 0x7f800000
	v_cmp_nlt_f32_e32 vcc, s4, v6
	s_mov_b32 s4, 0x3f2aaaab
	s_mov_b32 s6, 0x7f800000
	v_cndmask_b32_e32 v116, v24, v7, vcc
	v_add_f32_e32 v24, 1.0, v116
	v_add_f32_e32 v6, -1.0, v24
	v_sub_f32_e32 v7, v6, v24
	v_add_f32_e32 v7, 1.0, v7
	v_sub_f32_e32 v6, v116, v6
	v_add_f32_e32 v25, v6, v7
	v_frexp_mant_f32_e32 v26, v24
	v_cvt_f64_f32_e32 v[6:7], v24
	v_frexp_exp_i32_f64_e32 v6, v[6:7]
	v_cmp_gt_f32_e32 vcc, s4, v26
	s_mov_b32 s4, 0x3f317218
	s_nop 0
	v_subbrev_co_u32_e32 v26, vcc, 0, v6, vcc
	v_sub_u32_e32 v6, 0, v26
	v_ldexp_f32 v7, v24, v6
	v_add_f32_e32 v24, -1.0, v7
	v_add_f32_e32 v39, 1.0, v7
	v_ldexp_f32 v6, v25, v6
	v_add_f32_e32 v25, 1.0, v24
	v_add_f32_e32 v98, -1.0, v39
	v_sub_f32_e32 v25, v7, v25
	v_sub_f32_e32 v7, v7, v98
	v_add_f32_e32 v25, v6, v25
	v_add_f32_e32 v6, v6, v7
	s_waitcnt lgkmcnt(0)
	v_add_f32_e32 v102, v39, v6
	v_rcp_f32_e32 v103, v102
	v_sub_f32_e32 v7, v39, v102
	v_add_f32_e32 v39, v6, v7
	v_add_f32_e32 v7, v24, v25
	v_mul_f32_e32 v113, v7, v103
	v_sub_f32_e32 v6, v24, v7
	v_mul_f32_e32 v24, v102, v113
	v_fma_f32 v98, v113, v102, -v24
	v_fmac_f32_e32 v98, v113, v39
	v_add_f32_e32 v112, v25, v6
	v_add_f32_e32 v6, v24, v98
	v_sub_f32_e32 v25, v7, v6
	v_pk_add_f32 v[100:101], v[6:7], v[24:25] neg_lo:[0,1] neg_hi:[0,1]
	v_mov_b32_e32 v99, v6
	v_pk_add_f32 v[6:7], v[100:101], v[98:99] neg_lo:[0,1] neg_hi:[0,1]
	v_cmp_eq_f32_e32 vcc, s6, v116
	v_add_f32_e32 v7, v112, v7
	v_add_f32_e32 v6, v6, v7
	v_add_f32_e32 v7, v25, v6
	v_mul_f32_e32 v112, v103, v7
	v_mul_f32_e32 v24, v102, v112
	v_fma_f32 v98, v112, v102, -v24
	v_fmac_f32_e32 v98, v112, v39
	v_sub_f32_e32 v25, v25, v7
	v_add_f32_e32 v39, v6, v25
	v_add_f32_e32 v6, v24, v98
	v_sub_f32_e32 v25, v7, v6
	v_pk_add_f32 v[100:101], v[6:7], v[24:25] neg_lo:[0,1] neg_hi:[0,1]
	v_mov_b32_e32 v99, v6
	v_pk_add_f32 v[6:7], v[100:101], v[98:99] neg_lo:[0,1] neg_hi:[0,1]
	v_cvt_f32_i32_e32 v24, v26
	v_add_f32_e32 v7, v39, v7
	v_add_f32_e32 v6, v6, v7
	;; [unrolled: 1-line block ×4, first 2 shown]
	v_sub_f32_e32 v7, v25, v113
	v_mul_f32_e32 v6, v103, v6
	v_sub_f32_e32 v7, v112, v7
	v_add_f32_e32 v6, v7, v6
	v_add_f32_e32 v39, v25, v6
	v_mul_f32_e32 v98, v39, v39
	v_mov_b32_e32 v7, 0x3ecc95a3
	v_sub_f32_e32 v25, v39, v25
	v_fmac_f32_e32 v7, 0x3e9b6dac, v98
	v_sub_f32_e32 v6, v6, v25
	v_fmaak_f32 v7, v98, v7, 0x3f2aaada
	v_ldexp_f32 v26, v6, 1
	v_mul_f32_e32 v25, v39, v98
	v_mov_b32_e32 v6, 0x3f317218
	v_pk_mul_f32 v[6:7], v[24:25], v[6:7]
	v_ldexp_f32 v99, v39, 1
	v_fma_f32 v25, v24, s4, -v6
	v_fmamk_f32 v98, v24, 0xb102e308, v25
	v_pk_add_f32 v[24:25], v[6:7], v[98:99]
	v_mov_b32_e32 v100, v6
	v_sub_f32_e32 v39, v25, v99
	v_sub_f32_e32 v39, v7, v39
	v_add_f32_e32 v101, v26, v39
	v_pk_add_f32 v[6:7], v[24:25], v[6:7] neg_lo:[0,1] neg_hi:[0,1]
	v_pk_add_f32 v[102:103], v[24:25], v[100:101]
	v_mov_b32_e32 v99, v24
	v_mov_b32_e32 v7, v103
	v_pk_add_f32 v[112:113], v[98:99], v[6:7] neg_lo:[0,1] neg_hi:[0,1]
	v_pk_add_f32 v[6:7], v[98:99], v[6:7]
	s_mov_b32 s4, 0x33800000
	v_mov_b32_e32 v26, v7
	v_pk_add_f32 v[98:99], v[26:27], v[24:25] neg_lo:[0,1] neg_hi:[0,1]
	v_mov_b32_e32 v6, v103
	v_mov_b32_e32 v39, v98
	v_pk_add_f32 v[114:115], v[102:103], v[38:39] neg_lo:[0,1] neg_hi:[0,1]
	v_mov_b32_e32 v102, v25
	v_mov_b32_e32 v103, v98
	;; [unrolled: 1-line block ×3, first 2 shown]
	v_pk_add_f32 v[6:7], v[6:7], v[102:103] neg_lo:[0,1] neg_hi:[0,1]
	v_mov_b32_e32 v98, v101
	v_mov_b32_e32 v99, v24
	v_pk_add_f32 v[6:7], v[98:99], v[6:7] neg_lo:[0,1] neg_hi:[0,1]
	v_mov_b32_e32 v114, v112
	v_pk_add_f32 v[24:25], v[114:115], v[6:7]
	v_cmp_lt_f32_e64 s[6:7], |v116|, s4
	v_mov_b32_e32 v98, v25
	v_pk_add_f32 v[98:99], v[24:25], v[98:99]
	s_or_b64 vcc, vcc, s[6:7]
	v_pk_add_f32 v[100:101], v[26:27], v[98:99]
	v_mov_b32_e32 v7, v98
	v_mov_b32_e32 v25, v100
	v_pk_add_f32 v[102:103], v[24:25], v[112:113] neg_lo:[0,1] neg_hi:[0,1]
	s_nop 0
	v_sub_f32_e32 v24, v24, v102
	v_pk_add_f32 v[6:7], v[6:7], v[102:103] neg_lo:[0,1] neg_hi:[0,1]
	v_sub_f32_e32 v24, v112, v24
	v_add_f32_e32 v6, v6, v24
	v_add_f32_e32 v6, v6, v7
	;; [unrolled: 1-line block ×3, first 2 shown]
	v_cndmask_b32_e32 v6, v6, v116, vcc
	v_add_f32_e32 v6, v3, v6
.LBB479_376:
	s_or_b64 exec, exec, s[2:3]
	v_bfe_u32 v3, v6, 16, 1
	v_add3_u32 v3, v6, v3, s5
	v_lshrrev_b32_e32 v3, 16, v3
	v_cmp_o_f32_e32 vcc, v6, v6
	s_movk_i32 s4, 0x1f8
	s_nop 0
	v_cndmask_b32_e32 v39, v2, v3, vcc
	v_lshlrev_b32_e32 v3, 16, v39
	v_max_f32_e32 v2, v3, v3
	v_min_f32_e32 v6, v2, v49
	v_cmp_u_f32_e32 vcc, v3, v3
	v_max_f32_e32 v2, v2, v49
	s_nop 0
	v_cndmask_b32_e32 v6, v6, v3, vcc
	v_cndmask_b32_e32 v2, v2, v3, vcc
	v_cndmask_b32_e64 v6, v6, v27, s[14:15]
	v_cndmask_b32_e64 v2, v2, v27, s[14:15]
	v_cmp_neq_f32_e32 vcc, v6, v2
	v_cmp_class_f32_e64 s[2:3], v6, s4
	s_or_b64 s[6:7], vcc, s[2:3]
	s_and_saveexec_b64 s[2:3], s[6:7]
	s_cbranch_execz .LBB479_378
; %bb.377:
	v_sub_f32_e32 v3, v6, v2
	s_mov_b32 s5, 0x3fb8aa3b
	v_mul_f32_e32 v6, 0x3fb8aa3b, v3
	v_fma_f32 v7, v3, s5, -v6
	v_rndne_f32_e32 v24, v6
	v_fmamk_f32 v7, v3, 0x32a5705f, v7
	v_sub_f32_e32 v6, v6, v24
	v_add_f32_e32 v6, v6, v7
	v_exp_f32_e32 v6, v6
	v_cvt_i32_f32_e32 v7, v24
	s_mov_b32 s5, 0xc2ce8ed0
	v_cmp_ngt_f32_e32 vcc, s5, v3
	s_mov_b32 s5, 0x42b17218
	v_ldexp_f32 v6, v6, v7
	v_cndmask_b32_e32 v6, 0, v6, vcc
	v_mov_b32_e32 v7, 0x7f800000
	v_cmp_nlt_f32_e32 vcc, s5, v3
	s_mov_b32 s5, 0x3f2aaaab
	s_mov_b32 s6, 0x7f800000
	v_cndmask_b32_e32 v49, v7, v6, vcc
	v_add_f32_e32 v3, 1.0, v49
	v_add_f32_e32 v6, -1.0, v3
	v_sub_f32_e32 v7, v6, v3
	v_add_f32_e32 v7, 1.0, v7
	v_sub_f32_e32 v6, v49, v6
	v_add_f32_e32 v24, v6, v7
	v_frexp_mant_f32_e32 v25, v3
	v_cvt_f64_f32_e32 v[6:7], v3
	v_frexp_exp_i32_f64_e32 v6, v[6:7]
	v_cmp_gt_f32_e32 vcc, s5, v25
	s_mov_b32 s5, 0x3f317218
	s_nop 0
	v_subbrev_co_u32_e32 v100, vcc, 0, v6, vcc
	v_sub_u32_e32 v6, 0, v100
	v_ldexp_f32 v3, v3, v6
	v_ldexp_f32 v6, v24, v6
	v_add_f32_e32 v24, -1.0, v3
	v_add_f32_e32 v7, 1.0, v24
	v_sub_f32_e32 v7, v3, v7
	v_add_f32_e32 v25, v6, v7
	v_add_f32_e32 v7, 1.0, v3
	v_add_f32_e32 v26, -1.0, v7
	v_sub_f32_e32 v3, v3, v26
	v_add_f32_e32 v3, v6, v3
	v_add_f32_e32 v101, v7, v3
	s_waitcnt lgkmcnt(0)
	v_rcp_f32_e32 v102, v101
	v_sub_f32_e32 v6, v7, v101
	v_add_f32_e32 v7, v24, v25
	v_add_f32_e32 v3, v3, v6
	v_mul_f32_e32 v112, v7, v102
	v_sub_f32_e32 v6, v24, v7
	v_mul_f32_e32 v24, v101, v112
	v_fma_f32 v26, v112, v101, -v24
	v_fmac_f32_e32 v26, v112, v3
	v_add_f32_e32 v103, v25, v6
	v_add_f32_e32 v6, v24, v26
	v_sub_f32_e32 v25, v7, v6
	v_pk_add_f32 v[98:99], v[6:7], v[24:25] neg_lo:[0,1] neg_hi:[0,1]
	v_mov_b32_e32 v27, v6
	v_pk_add_f32 v[6:7], v[98:99], v[26:27] neg_lo:[0,1] neg_hi:[0,1]
	v_cmp_eq_f32_e32 vcc, s6, v49
	v_add_f32_e32 v7, v103, v7
	v_add_f32_e32 v6, v6, v7
	;; [unrolled: 1-line block ×3, first 2 shown]
	v_mul_f32_e32 v103, v102, v7
	v_mul_f32_e32 v24, v101, v103
	v_fma_f32 v26, v103, v101, -v24
	v_fmac_f32_e32 v26, v103, v3
	v_sub_f32_e32 v3, v25, v7
	v_add_f32_e32 v3, v6, v3
	v_add_f32_e32 v6, v24, v26
	v_sub_f32_e32 v25, v7, v6
	v_pk_add_f32 v[98:99], v[6:7], v[24:25] neg_lo:[0,1] neg_hi:[0,1]
	v_mov_b32_e32 v27, v6
	v_pk_add_f32 v[6:7], v[98:99], v[26:27] neg_lo:[0,1] neg_hi:[0,1]
	v_cvt_f32_i32_e32 v24, v100
	v_add_f32_e32 v3, v3, v7
	v_add_f32_e32 v3, v6, v3
	;; [unrolled: 1-line block ×4, first 2 shown]
	v_sub_f32_e32 v7, v6, v112
	v_mul_f32_e32 v3, v102, v3
	v_sub_f32_e32 v7, v103, v7
	v_add_f32_e32 v3, v7, v3
	v_add_f32_e32 v25, v6, v3
	v_mul_f32_e32 v26, v25, v25
	v_mov_b32_e32 v7, 0x3ecc95a3
	v_fmac_f32_e32 v7, 0x3e9b6dac, v26
	v_sub_f32_e32 v6, v25, v6
	v_fmaak_f32 v7, v26, v7, 0x3f2aaada
	v_sub_f32_e32 v3, v3, v6
	v_ldexp_f32 v27, v25, 1
	v_mul_f32_e32 v25, v25, v26
	v_mov_b32_e32 v6, 0x3f317218
	v_pk_mul_f32 v[6:7], v[24:25], v[6:7]
	v_ldexp_f32 v3, v3, 1
	v_fma_f32 v25, v24, s5, -v6
	v_fmamk_f32 v26, v24, 0xb102e308, v25
	v_pk_add_f32 v[24:25], v[6:7], v[26:27]
	v_mov_b32_e32 v98, v6
	v_sub_f32_e32 v27, v25, v27
	v_sub_f32_e32 v27, v7, v27
	v_add_f32_e32 v99, v3, v27
	v_pk_add_f32 v[6:7], v[24:25], v[6:7] neg_lo:[0,1] neg_hi:[0,1]
	v_pk_add_f32 v[100:101], v[24:25], v[98:99]
	v_mov_b32_e32 v27, v24
	v_mov_b32_e32 v7, v101
	v_pk_add_f32 v[102:103], v[26:27], v[6:7] neg_lo:[0,1] neg_hi:[0,1]
	v_pk_add_f32 v[6:7], v[26:27], v[6:7]
	v_mov_b32_e32 v98, v99
	v_mov_b32_e32 v26, v7
	v_pk_add_f32 v[112:113], v[26:27], v[24:25] neg_lo:[0,1] neg_hi:[0,1]
	v_mov_b32_e32 v6, v101
	v_mov_b32_e32 v3, v112
	v_pk_add_f32 v[114:115], v[100:101], v[2:3] neg_lo:[0,1] neg_hi:[0,1]
	v_mov_b32_e32 v100, v25
	v_mov_b32_e32 v101, v112
	;; [unrolled: 1-line block ×3, first 2 shown]
	v_pk_add_f32 v[6:7], v[6:7], v[100:101] neg_lo:[0,1] neg_hi:[0,1]
	v_mov_b32_e32 v99, v24
	v_pk_add_f32 v[6:7], v[98:99], v[6:7] neg_lo:[0,1] neg_hi:[0,1]
	v_mov_b32_e32 v114, v102
	v_pk_add_f32 v[24:25], v[114:115], v[6:7]
	s_mov_b32 s5, 0x33800000
	v_mov_b32_e32 v98, v25
	v_pk_add_f32 v[98:99], v[24:25], v[98:99]
	v_cmp_lt_f32_e64 s[6:7], |v49|, s5
	v_pk_add_f32 v[26:27], v[26:27], v[98:99]
	v_mov_b32_e32 v7, v98
	v_mov_b32_e32 v25, v26
	v_pk_add_f32 v[100:101], v[24:25], v[102:103] neg_lo:[0,1] neg_hi:[0,1]
	s_or_b64 vcc, vcc, s[6:7]
	v_sub_f32_e32 v3, v24, v100
	v_pk_add_f32 v[6:7], v[6:7], v[100:101] neg_lo:[0,1] neg_hi:[0,1]
	v_sub_f32_e32 v3, v102, v3
	v_add_f32_e32 v3, v6, v3
	v_add_f32_e32 v3, v3, v7
	;; [unrolled: 1-line block ×3, first 2 shown]
	v_cndmask_b32_e32 v3, v3, v49, vcc
	v_add_f32_e32 v3, v2, v3
.LBB479_378:
	s_or_b64 exec, exec, s[2:3]
	v_bfe_u32 v2, v3, 16, 1
	s_movk_i32 s5, 0x7fff
	v_add3_u32 v2, v3, v2, s5
	v_lshrrev_b32_e32 v6, 16, v2
	v_mov_b32_e32 v2, 0x7fc0
	v_cmp_o_f32_e32 vcc, v3, v3
	s_nop 1
	v_cndmask_b32_e32 v49, v2, v6, vcc
	v_lshlrev_b32_e32 v6, 16, v49
	v_max_f32_e32 v3, v6, v6
	v_min_f32_e32 v7, v3, v51
	v_cmp_u_f32_e32 vcc, v6, v6
	v_max_f32_e32 v3, v3, v51
	s_nop 0
	v_cndmask_b32_e32 v7, v7, v6, vcc
	v_cndmask_b32_e32 v3, v3, v6, vcc
	v_cndmask_b32_e64 v7, v7, v48, s[16:17]
	v_cndmask_b32_e64 v3, v3, v48, s[16:17]
	v_cmp_neq_f32_e32 vcc, v7, v3
	v_cmp_class_f32_e64 s[2:3], v7, s4
	s_or_b64 s[6:7], vcc, s[2:3]
	s_and_saveexec_b64 s[2:3], s[6:7]
	s_cbranch_execz .LBB479_380
; %bb.379:
	v_sub_f32_e32 v6, v7, v3
	s_mov_b32 s4, 0x3fb8aa3b
	v_mul_f32_e32 v7, 0x3fb8aa3b, v6
	v_fma_f32 v24, v6, s4, -v7
	v_rndne_f32_e32 v25, v7
	v_fmamk_f32 v24, v6, 0x32a5705f, v24
	v_sub_f32_e32 v7, v7, v25
	v_add_f32_e32 v7, v7, v24
	v_exp_f32_e32 v7, v7
	v_cvt_i32_f32_e32 v24, v25
	s_mov_b32 s4, 0xc2ce8ed0
	v_cmp_ngt_f32_e32 vcc, s4, v6
	s_mov_b32 s4, 0x42b17218
	v_ldexp_f32 v7, v7, v24
	v_cndmask_b32_e32 v7, 0, v7, vcc
	v_mov_b32_e32 v24, 0x7f800000
	v_cmp_nlt_f32_e32 vcc, s4, v6
	s_mov_b32 s4, 0x3f2aaaab
	s_mov_b32 s6, 0x7f800000
	v_cndmask_b32_e32 v51, v24, v7, vcc
	v_add_f32_e32 v24, 1.0, v51
	v_add_f32_e32 v6, -1.0, v24
	v_sub_f32_e32 v7, v6, v24
	v_add_f32_e32 v7, 1.0, v7
	v_sub_f32_e32 v6, v51, v6
	v_add_f32_e32 v25, v6, v7
	v_frexp_mant_f32_e32 v26, v24
	v_cvt_f64_f32_e32 v[6:7], v24
	v_frexp_exp_i32_f64_e32 v6, v[6:7]
	v_cmp_gt_f32_e32 vcc, s4, v26
	s_mov_b32 s4, 0x3f317218
	s_nop 0
	v_subbrev_co_u32_e32 v48, vcc, 0, v6, vcc
	v_sub_u32_e32 v6, 0, v48
	v_ldexp_f32 v7, v24, v6
	v_add_f32_e32 v24, -1.0, v7
	v_add_f32_e32 v26, 1.0, v7
	v_ldexp_f32 v6, v25, v6
	v_add_f32_e32 v25, 1.0, v24
	v_add_f32_e32 v27, -1.0, v26
	v_sub_f32_e32 v25, v7, v25
	v_sub_f32_e32 v7, v7, v27
	v_add_f32_e32 v25, v6, v25
	v_add_f32_e32 v6, v6, v7
	;; [unrolled: 1-line block ×3, first 2 shown]
	s_waitcnt lgkmcnt(0)
	v_rcp_f32_e32 v102, v100
	v_sub_f32_e32 v7, v26, v100
	v_add_f32_e32 v101, v6, v7
	v_add_f32_e32 v7, v24, v25
	v_mul_f32_e32 v112, v7, v102
	v_sub_f32_e32 v6, v24, v7
	v_mul_f32_e32 v24, v100, v112
	v_fma_f32 v26, v112, v100, -v24
	v_fmac_f32_e32 v26, v112, v101
	v_add_f32_e32 v103, v25, v6
	v_add_f32_e32 v6, v24, v26
	v_sub_f32_e32 v25, v7, v6
	v_pk_add_f32 v[98:99], v[6:7], v[24:25] neg_lo:[0,1] neg_hi:[0,1]
	v_mov_b32_e32 v27, v6
	v_pk_add_f32 v[6:7], v[98:99], v[26:27] neg_lo:[0,1] neg_hi:[0,1]
	v_cmp_eq_f32_e32 vcc, s6, v51
	v_add_f32_e32 v7, v103, v7
	v_add_f32_e32 v6, v6, v7
	;; [unrolled: 1-line block ×3, first 2 shown]
	v_mul_f32_e32 v103, v102, v7
	v_mul_f32_e32 v24, v100, v103
	v_fma_f32 v26, v103, v100, -v24
	v_fmac_f32_e32 v26, v103, v101
	v_sub_f32_e32 v25, v25, v7
	v_add_f32_e32 v100, v6, v25
	v_add_f32_e32 v6, v24, v26
	v_sub_f32_e32 v25, v7, v6
	v_pk_add_f32 v[98:99], v[6:7], v[24:25] neg_lo:[0,1] neg_hi:[0,1]
	v_mov_b32_e32 v27, v6
	v_pk_add_f32 v[6:7], v[98:99], v[26:27] neg_lo:[0,1] neg_hi:[0,1]
	v_cvt_f32_i32_e32 v24, v48
	v_add_f32_e32 v7, v100, v7
	v_add_f32_e32 v6, v6, v7
	;; [unrolled: 1-line block ×4, first 2 shown]
	v_sub_f32_e32 v7, v25, v112
	v_mul_f32_e32 v6, v102, v6
	v_sub_f32_e32 v7, v103, v7
	v_add_f32_e32 v6, v7, v6
	v_add_f32_e32 v26, v25, v6
	v_mul_f32_e32 v98, v26, v26
	v_mov_b32_e32 v7, 0x3ecc95a3
	v_sub_f32_e32 v25, v26, v25
	v_fmac_f32_e32 v7, 0x3e9b6dac, v98
	v_sub_f32_e32 v6, v6, v25
	v_fmaak_f32 v7, v98, v7, 0x3f2aaada
	v_ldexp_f32 v48, v6, 1
	v_mul_f32_e32 v25, v26, v98
	v_mov_b32_e32 v6, 0x3f317218
	v_pk_mul_f32 v[6:7], v[24:25], v[6:7]
	v_ldexp_f32 v27, v26, 1
	v_fma_f32 v25, v24, s4, -v6
	v_fmamk_f32 v26, v24, 0xb102e308, v25
	v_pk_add_f32 v[24:25], v[6:7], v[26:27]
	v_mov_b32_e32 v98, v6
	v_sub_f32_e32 v27, v25, v27
	v_sub_f32_e32 v27, v7, v27
	v_add_f32_e32 v99, v48, v27
	v_pk_add_f32 v[6:7], v[24:25], v[6:7] neg_lo:[0,1] neg_hi:[0,1]
	v_pk_add_f32 v[100:101], v[24:25], v[98:99]
	v_mov_b32_e32 v27, v24
	v_mov_b32_e32 v7, v101
	v_pk_add_f32 v[102:103], v[26:27], v[6:7] neg_lo:[0,1] neg_hi:[0,1]
	v_pk_add_f32 v[6:7], v[26:27], v[6:7]
	v_mov_b32_e32 v98, v99
	v_mov_b32_e32 v26, v7
	v_pk_add_f32 v[112:113], v[26:27], v[24:25] neg_lo:[0,1] neg_hi:[0,1]
	v_mov_b32_e32 v6, v101
	v_mov_b32_e32 v27, v112
	v_pk_add_f32 v[114:115], v[100:101], v[26:27] neg_lo:[0,1] neg_hi:[0,1]
	v_mov_b32_e32 v100, v25
	v_mov_b32_e32 v101, v112
	;; [unrolled: 1-line block ×3, first 2 shown]
	v_pk_add_f32 v[6:7], v[6:7], v[100:101] neg_lo:[0,1] neg_hi:[0,1]
	v_mov_b32_e32 v99, v24
	v_pk_add_f32 v[6:7], v[98:99], v[6:7] neg_lo:[0,1] neg_hi:[0,1]
	v_mov_b32_e32 v114, v102
	v_pk_add_f32 v[24:25], v[114:115], v[6:7]
	s_mov_b32 s4, 0x33800000
	v_mov_b32_e32 v48, v25
	v_pk_add_f32 v[98:99], v[24:25], v[48:49]
	v_cmp_lt_f32_e64 s[6:7], |v51|, s4
	v_pk_add_f32 v[26:27], v[26:27], v[98:99]
	v_mov_b32_e32 v7, v98
	v_mov_b32_e32 v25, v26
	v_pk_add_f32 v[100:101], v[24:25], v[102:103] neg_lo:[0,1] neg_hi:[0,1]
	s_or_b64 vcc, vcc, s[6:7]
	v_sub_f32_e32 v24, v24, v100
	v_pk_add_f32 v[6:7], v[6:7], v[100:101] neg_lo:[0,1] neg_hi:[0,1]
	v_sub_f32_e32 v24, v102, v24
	v_add_f32_e32 v6, v6, v24
	v_add_f32_e32 v6, v6, v7
	;; [unrolled: 1-line block ×3, first 2 shown]
	v_cndmask_b32_e32 v6, v6, v51, vcc
	v_add_f32_e32 v6, v3, v6
.LBB479_380:
	s_or_b64 exec, exec, s[2:3]
	v_bfe_u32 v3, v6, 16, 1
	v_add3_u32 v3, v6, v3, s5
	v_lshrrev_b32_e32 v3, 16, v3
	v_cmp_o_f32_e32 vcc, v6, v6
	s_movk_i32 s4, 0x1f8
	s_nop 0
	v_cndmask_b32_e32 v48, v2, v3, vcc
	v_lshlrev_b32_e32 v3, 16, v48
	v_max_f32_e32 v2, v3, v3
	v_min_f32_e32 v6, v2, v53
	v_cmp_u_f32_e32 vcc, v3, v3
	v_max_f32_e32 v2, v2, v53
	s_nop 0
	v_cndmask_b32_e32 v6, v6, v3, vcc
	v_cndmask_b32_e32 v2, v2, v3, vcc
	v_cndmask_b32_e64 v6, v6, v20, s[18:19]
	v_cndmask_b32_e64 v2, v2, v20, s[18:19]
	v_cmp_neq_f32_e32 vcc, v6, v2
	v_cmp_class_f32_e64 s[2:3], v6, s4
	s_or_b64 s[6:7], vcc, s[2:3]
	s_and_saveexec_b64 s[2:3], s[6:7]
	s_cbranch_execz .LBB479_382
; %bb.381:
	v_sub_f32_e32 v3, v6, v2
	s_mov_b32 s5, 0x3fb8aa3b
	v_mul_f32_e32 v6, 0x3fb8aa3b, v3
	v_fma_f32 v7, v3, s5, -v6
	v_rndne_f32_e32 v20, v6
	v_fmamk_f32 v7, v3, 0x32a5705f, v7
	v_sub_f32_e32 v6, v6, v20
	v_add_f32_e32 v6, v6, v7
	v_exp_f32_e32 v6, v6
	v_cvt_i32_f32_e32 v7, v20
	s_mov_b32 s5, 0xc2ce8ed0
	v_cmp_ngt_f32_e32 vcc, s5, v3
	s_mov_b32 s5, 0x42b17218
	v_ldexp_f32 v6, v6, v7
	v_cndmask_b32_e32 v6, 0, v6, vcc
	v_mov_b32_e32 v7, 0x7f800000
	v_cmp_nlt_f32_e32 vcc, s5, v3
	s_mov_b32 s5, 0x3f2aaaab
	s_mov_b32 s6, 0x7f800000
	v_cndmask_b32_e32 v51, v7, v6, vcc
	v_add_f32_e32 v3, 1.0, v51
	v_add_f32_e32 v6, -1.0, v3
	v_sub_f32_e32 v7, v6, v3
	v_add_f32_e32 v7, 1.0, v7
	v_sub_f32_e32 v6, v51, v6
	v_add_f32_e32 v20, v6, v7
	v_frexp_mant_f32_e32 v24, v3
	v_cvt_f64_f32_e32 v[6:7], v3
	v_frexp_exp_i32_f64_e32 v6, v[6:7]
	v_cmp_gt_f32_e32 vcc, s5, v24
	s_mov_b32 s5, 0x3f317218
	s_nop 0
	v_subbrev_co_u32_e32 v53, vcc, 0, v6, vcc
	v_sub_u32_e32 v6, 0, v53
	v_ldexp_f32 v3, v3, v6
	v_ldexp_f32 v6, v20, v6
	v_add_f32_e32 v20, -1.0, v3
	v_add_f32_e32 v7, 1.0, v20
	v_sub_f32_e32 v7, v3, v7
	v_add_f32_e32 v24, v6, v7
	v_add_f32_e32 v7, 1.0, v3
	v_add_f32_e32 v25, -1.0, v7
	v_sub_f32_e32 v3, v3, v25
	v_add_f32_e32 v3, v6, v3
	v_add_f32_e32 v100, v7, v3
	v_rcp_f32_e32 v101, v100
	v_sub_f32_e32 v6, v7, v100
	v_add_f32_e32 v7, v20, v24
	v_add_f32_e32 v3, v3, v6
	v_sub_f32_e32 v6, v20, v7
	s_waitcnt lgkmcnt(0)
	v_mul_f32_e32 v102, v7, v101
	v_add_f32_e32 v20, v24, v6
	v_mul_f32_e32 v24, v100, v102
	v_fma_f32 v26, v102, v100, -v24
	v_fmac_f32_e32 v26, v102, v3
	v_add_f32_e32 v6, v24, v26
	v_sub_f32_e32 v25, v7, v6
	v_pk_add_f32 v[98:99], v[6:7], v[24:25] neg_lo:[0,1] neg_hi:[0,1]
	v_mov_b32_e32 v27, v6
	v_pk_add_f32 v[6:7], v[98:99], v[26:27] neg_lo:[0,1] neg_hi:[0,1]
	v_cmp_eq_f32_e32 vcc, s6, v51
	v_add_f32_e32 v7, v20, v7
	v_add_f32_e32 v6, v6, v7
	;; [unrolled: 1-line block ×3, first 2 shown]
	v_mul_f32_e32 v20, v101, v7
	v_mul_f32_e32 v24, v100, v20
	v_fma_f32 v26, v20, v100, -v24
	v_fmac_f32_e32 v26, v20, v3
	v_sub_f32_e32 v3, v25, v7
	v_add_f32_e32 v3, v6, v3
	v_add_f32_e32 v6, v24, v26
	v_sub_f32_e32 v25, v7, v6
	v_pk_add_f32 v[98:99], v[6:7], v[24:25] neg_lo:[0,1] neg_hi:[0,1]
	v_mov_b32_e32 v27, v6
	v_pk_add_f32 v[6:7], v[98:99], v[26:27] neg_lo:[0,1] neg_hi:[0,1]
	v_cvt_f32_i32_e32 v24, v53
	v_add_f32_e32 v3, v3, v7
	v_add_f32_e32 v3, v6, v3
	;; [unrolled: 1-line block ×4, first 2 shown]
	v_sub_f32_e32 v7, v6, v102
	v_mul_f32_e32 v3, v101, v3
	v_sub_f32_e32 v7, v20, v7
	v_add_f32_e32 v3, v7, v3
	v_add_f32_e32 v20, v6, v3
	v_mul_f32_e32 v25, v20, v20
	v_mov_b32_e32 v7, 0x3ecc95a3
	v_fmac_f32_e32 v7, 0x3e9b6dac, v25
	v_sub_f32_e32 v6, v20, v6
	v_fmaak_f32 v7, v25, v7, 0x3f2aaada
	v_sub_f32_e32 v3, v3, v6
	v_mul_f32_e32 v25, v20, v25
	v_mov_b32_e32 v6, 0x3f317218
	v_pk_mul_f32 v[6:7], v[24:25], v[6:7]
	v_ldexp_f32 v27, v20, 1
	v_fma_f32 v20, v24, s5, -v6
	v_fmamk_f32 v26, v24, 0xb102e308, v20
	v_pk_add_f32 v[24:25], v[6:7], v[26:27]
	v_ldexp_f32 v3, v3, 1
	v_sub_f32_e32 v20, v25, v27
	v_sub_f32_e32 v20, v7, v20
	v_add_f32_e32 v99, v3, v20
	v_mov_b32_e32 v98, v6
	v_pk_add_f32 v[6:7], v[24:25], v[6:7] neg_lo:[0,1] neg_hi:[0,1]
	v_pk_add_f32 v[100:101], v[24:25], v[98:99]
	v_mov_b32_e32 v27, v24
	v_mov_b32_e32 v7, v101
	v_pk_add_f32 v[102:103], v[26:27], v[6:7] neg_lo:[0,1] neg_hi:[0,1]
	v_pk_add_f32 v[6:7], v[26:27], v[6:7]
	s_mov_b32 s5, 0x33800000
	v_mov_b32_e32 v20, v7
	v_pk_add_f32 v[26:27], v[20:21], v[24:25] neg_lo:[0,1] neg_hi:[0,1]
	v_mov_b32_e32 v6, v101
	v_mov_b32_e32 v3, v26
	v_pk_add_f32 v[112:113], v[100:101], v[2:3] neg_lo:[0,1] neg_hi:[0,1]
	v_mov_b32_e32 v100, v25
	v_mov_b32_e32 v101, v26
	;; [unrolled: 1-line block ×3, first 2 shown]
	v_pk_add_f32 v[6:7], v[6:7], v[100:101] neg_lo:[0,1] neg_hi:[0,1]
	v_mov_b32_e32 v26, v99
	v_mov_b32_e32 v27, v24
	v_pk_add_f32 v[6:7], v[26:27], v[6:7] neg_lo:[0,1] neg_hi:[0,1]
	v_mov_b32_e32 v112, v102
	v_pk_add_f32 v[24:25], v[112:113], v[6:7]
	v_cmp_lt_f32_e64 s[6:7], |v51|, s5
	v_mov_b32_e32 v26, v25
	v_pk_add_f32 v[26:27], v[24:25], v[26:27]
	s_or_b64 vcc, vcc, s[6:7]
	v_pk_add_f32 v[98:99], v[20:21], v[26:27]
	v_mov_b32_e32 v7, v26
	v_mov_b32_e32 v25, v98
	v_pk_add_f32 v[100:101], v[24:25], v[102:103] neg_lo:[0,1] neg_hi:[0,1]
	s_nop 0
	v_sub_f32_e32 v3, v24, v100
	v_pk_add_f32 v[6:7], v[6:7], v[100:101] neg_lo:[0,1] neg_hi:[0,1]
	v_sub_f32_e32 v3, v102, v3
	v_add_f32_e32 v3, v6, v3
	v_add_f32_e32 v3, v3, v7
	;; [unrolled: 1-line block ×3, first 2 shown]
	v_cndmask_b32_e32 v3, v3, v51, vcc
	v_add_f32_e32 v3, v2, v3
.LBB479_382:
	s_or_b64 exec, exec, s[2:3]
	v_bfe_u32 v2, v3, 16, 1
	s_movk_i32 s5, 0x7fff
	v_add3_u32 v2, v3, v2, s5
	v_lshrrev_b32_e32 v6, 16, v2
	v_mov_b32_e32 v2, 0x7fc0
	v_cmp_o_f32_e32 vcc, v3, v3
	s_nop 1
	v_cndmask_b32_e32 v51, v2, v6, vcc
	v_lshlrev_b32_e32 v6, 16, v51
	v_max_f32_e32 v3, v6, v6
	v_min_f32_e32 v7, v3, v55
	v_cmp_u_f32_e32 vcc, v6, v6
	v_max_f32_e32 v3, v3, v55
	s_nop 0
	v_cndmask_b32_e32 v7, v7, v6, vcc
	v_cndmask_b32_e32 v3, v3, v6, vcc
	v_cndmask_b32_e64 v7, v7, v50, s[20:21]
	v_cndmask_b32_e64 v3, v3, v50, s[20:21]
	v_cmp_neq_f32_e32 vcc, v7, v3
	v_cmp_class_f32_e64 s[2:3], v7, s4
	s_or_b64 s[6:7], vcc, s[2:3]
	s_and_saveexec_b64 s[2:3], s[6:7]
	s_cbranch_execz .LBB479_384
; %bb.383:
	v_sub_f32_e32 v6, v7, v3
	s_mov_b32 s4, 0x3fb8aa3b
	v_mul_f32_e32 v7, 0x3fb8aa3b, v6
	v_fma_f32 v20, v6, s4, -v7
	v_rndne_f32_e32 v24, v7
	v_fmamk_f32 v20, v6, 0x32a5705f, v20
	v_sub_f32_e32 v7, v7, v24
	v_add_f32_e32 v7, v7, v20
	v_exp_f32_e32 v7, v7
	v_cvt_i32_f32_e32 v20, v24
	s_mov_b32 s4, 0xc2ce8ed0
	v_cmp_ngt_f32_e32 vcc, s4, v6
	s_mov_b32 s4, 0x42b17218
	v_ldexp_f32 v7, v7, v20
	v_cndmask_b32_e32 v7, 0, v7, vcc
	v_mov_b32_e32 v20, 0x7f800000
	v_cmp_nlt_f32_e32 vcc, s4, v6
	s_mov_b32 s4, 0x3f2aaaab
	s_mov_b32 s6, 0x7f800000
	v_cndmask_b32_e32 v50, v20, v7, vcc
	v_add_f32_e32 v20, 1.0, v50
	v_add_f32_e32 v6, -1.0, v20
	v_sub_f32_e32 v7, v6, v20
	v_add_f32_e32 v7, 1.0, v7
	v_sub_f32_e32 v6, v50, v6
	v_add_f32_e32 v24, v6, v7
	v_frexp_mant_f32_e32 v25, v20
	v_cvt_f64_f32_e32 v[6:7], v20
	v_frexp_exp_i32_f64_e32 v6, v[6:7]
	v_cmp_gt_f32_e32 vcc, s4, v25
	s_mov_b32 s4, 0x3f317218
	s_nop 0
	v_subbrev_co_u32_e32 v53, vcc, 0, v6, vcc
	v_sub_u32_e32 v6, 0, v53
	v_ldexp_f32 v7, v20, v6
	v_add_f32_e32 v20, -1.0, v7
	v_add_f32_e32 v25, 1.0, v7
	v_ldexp_f32 v6, v24, v6
	v_add_f32_e32 v24, 1.0, v20
	v_add_f32_e32 v26, -1.0, v25
	v_sub_f32_e32 v24, v7, v24
	v_sub_f32_e32 v7, v7, v26
	v_add_f32_e32 v24, v6, v24
	v_add_f32_e32 v6, v6, v7
	v_add_f32_e32 v55, v25, v6
	v_rcp_f32_e32 v101, v55
	v_sub_f32_e32 v7, v25, v55
	v_add_f32_e32 v100, v6, v7
	v_add_f32_e32 v7, v20, v24
	v_sub_f32_e32 v6, v20, v7
	s_waitcnt lgkmcnt(0)
	v_mul_f32_e32 v102, v7, v101
	v_add_f32_e32 v20, v24, v6
	v_mul_f32_e32 v24, v55, v102
	v_fma_f32 v26, v102, v55, -v24
	v_fmac_f32_e32 v26, v102, v100
	v_add_f32_e32 v6, v24, v26
	v_sub_f32_e32 v25, v7, v6
	v_pk_add_f32 v[98:99], v[6:7], v[24:25] neg_lo:[0,1] neg_hi:[0,1]
	v_mov_b32_e32 v27, v6
	v_pk_add_f32 v[6:7], v[98:99], v[26:27] neg_lo:[0,1] neg_hi:[0,1]
	v_cmp_eq_f32_e32 vcc, s6, v50
	v_add_f32_e32 v7, v20, v7
	v_add_f32_e32 v6, v6, v7
	;; [unrolled: 1-line block ×3, first 2 shown]
	v_mul_f32_e32 v20, v101, v7
	v_mul_f32_e32 v24, v55, v20
	v_fma_f32 v26, v20, v55, -v24
	v_fmac_f32_e32 v26, v20, v100
	v_sub_f32_e32 v25, v25, v7
	v_add_f32_e32 v55, v6, v25
	v_add_f32_e32 v6, v24, v26
	v_sub_f32_e32 v25, v7, v6
	v_pk_add_f32 v[98:99], v[6:7], v[24:25] neg_lo:[0,1] neg_hi:[0,1]
	v_mov_b32_e32 v27, v6
	v_pk_add_f32 v[6:7], v[98:99], v[26:27] neg_lo:[0,1] neg_hi:[0,1]
	v_cvt_f32_i32_e32 v24, v53
	v_add_f32_e32 v7, v55, v7
	v_add_f32_e32 v6, v6, v7
	v_add_f32_e32 v6, v25, v6
	v_add_f32_e32 v25, v102, v20
	v_sub_f32_e32 v7, v25, v102
	v_mul_f32_e32 v6, v101, v6
	v_sub_f32_e32 v7, v20, v7
	v_add_f32_e32 v6, v7, v6
	v_add_f32_e32 v20, v25, v6
	v_mul_f32_e32 v26, v20, v20
	v_mov_b32_e32 v7, 0x3ecc95a3
	v_sub_f32_e32 v25, v20, v25
	v_fmac_f32_e32 v7, 0x3e9b6dac, v26
	v_sub_f32_e32 v6, v6, v25
	v_fmaak_f32 v7, v26, v7, 0x3f2aaada
	v_ldexp_f32 v53, v6, 1
	v_mul_f32_e32 v25, v20, v26
	v_mov_b32_e32 v6, 0x3f317218
	v_pk_mul_f32 v[6:7], v[24:25], v[6:7]
	v_ldexp_f32 v27, v20, 1
	v_fma_f32 v20, v24, s4, -v6
	v_fmamk_f32 v26, v24, 0xb102e308, v20
	v_pk_add_f32 v[24:25], v[6:7], v[26:27]
	v_mov_b32_e32 v98, v6
	v_sub_f32_e32 v20, v25, v27
	v_sub_f32_e32 v20, v7, v20
	v_add_f32_e32 v99, v53, v20
	v_pk_add_f32 v[6:7], v[24:25], v[6:7] neg_lo:[0,1] neg_hi:[0,1]
	v_pk_add_f32 v[100:101], v[24:25], v[98:99]
	v_mov_b32_e32 v27, v24
	v_mov_b32_e32 v7, v101
	v_pk_add_f32 v[102:103], v[26:27], v[6:7] neg_lo:[0,1] neg_hi:[0,1]
	v_pk_add_f32 v[6:7], v[26:27], v[6:7]
	s_mov_b32 s4, 0x33800000
	v_mov_b32_e32 v20, v7
	v_pk_add_f32 v[26:27], v[20:21], v[24:25] neg_lo:[0,1] neg_hi:[0,1]
	v_mov_b32_e32 v6, v101
	v_mov_b32_e32 v27, v26
	v_pk_add_f32 v[112:113], v[100:101], v[26:27] neg_lo:[0,1] neg_hi:[0,1]
	v_mov_b32_e32 v100, v25
	v_mov_b32_e32 v101, v26
	;; [unrolled: 1-line block ×3, first 2 shown]
	v_pk_add_f32 v[6:7], v[6:7], v[100:101] neg_lo:[0,1] neg_hi:[0,1]
	v_mov_b32_e32 v26, v99
	v_mov_b32_e32 v27, v24
	v_pk_add_f32 v[6:7], v[26:27], v[6:7] neg_lo:[0,1] neg_hi:[0,1]
	v_mov_b32_e32 v112, v102
	v_pk_add_f32 v[24:25], v[112:113], v[6:7]
	v_cmp_lt_f32_e64 s[6:7], |v50|, s4
	v_mov_b32_e32 v26, v25
	v_pk_add_f32 v[26:27], v[24:25], v[26:27]
	s_or_b64 vcc, vcc, s[6:7]
	v_pk_add_f32 v[98:99], v[20:21], v[26:27]
	v_mov_b32_e32 v7, v26
	v_mov_b32_e32 v25, v98
	v_pk_add_f32 v[100:101], v[24:25], v[102:103] neg_lo:[0,1] neg_hi:[0,1]
	s_nop 0
	v_sub_f32_e32 v20, v24, v100
	v_pk_add_f32 v[6:7], v[6:7], v[100:101] neg_lo:[0,1] neg_hi:[0,1]
	v_sub_f32_e32 v20, v102, v20
	v_add_f32_e32 v6, v6, v20
	v_add_f32_e32 v6, v6, v7
	;; [unrolled: 1-line block ×3, first 2 shown]
	v_cndmask_b32_e32 v6, v6, v50, vcc
	v_add_f32_e32 v6, v3, v6
.LBB479_384:
	s_or_b64 exec, exec, s[2:3]
	v_bfe_u32 v3, v6, 16, 1
	v_add3_u32 v3, v6, v3, s5
	v_lshrrev_b32_e32 v3, 16, v3
	v_cmp_o_f32_e32 vcc, v6, v6
	s_movk_i32 s4, 0x1f8
	s_nop 0
	v_cndmask_b32_e32 v50, v2, v3, vcc
	v_lshlrev_b32_e32 v3, 16, v50
	v_max_f32_e32 v2, v3, v3
	v_min_f32_e32 v6, v2, v64
	v_cmp_u_f32_e32 vcc, v3, v3
	v_max_f32_e32 v2, v2, v64
	s_nop 0
	v_cndmask_b32_e32 v6, v6, v3, vcc
	v_cndmask_b32_e32 v2, v2, v3, vcc
	v_cndmask_b32_e64 v6, v6, v21, s[22:23]
	v_cndmask_b32_e64 v2, v2, v21, s[22:23]
	v_cmp_neq_f32_e32 vcc, v6, v2
	v_cmp_class_f32_e64 s[2:3], v6, s4
	s_or_b64 s[6:7], vcc, s[2:3]
	s_and_saveexec_b64 s[2:3], s[6:7]
	s_cbranch_execz .LBB479_386
; %bb.385:
	v_sub_f32_e32 v3, v6, v2
	s_mov_b32 s5, 0x3fb8aa3b
	v_mul_f32_e32 v6, 0x3fb8aa3b, v3
	v_fma_f32 v7, v3, s5, -v6
	v_rndne_f32_e32 v20, v6
	v_fmamk_f32 v7, v3, 0x32a5705f, v7
	v_sub_f32_e32 v6, v6, v20
	v_add_f32_e32 v6, v6, v7
	v_exp_f32_e32 v6, v6
	v_cvt_i32_f32_e32 v7, v20
	s_mov_b32 s5, 0xc2ce8ed0
	v_cmp_ngt_f32_e32 vcc, s5, v3
	s_mov_b32 s5, 0x42b17218
	v_ldexp_f32 v6, v6, v7
	v_cndmask_b32_e32 v6, 0, v6, vcc
	v_mov_b32_e32 v7, 0x7f800000
	v_cmp_nlt_f32_e32 vcc, s5, v3
	s_mov_b32 s5, 0x3f2aaaab
	s_mov_b32 s6, 0x7f800000
	v_cndmask_b32_e32 v53, v7, v6, vcc
	v_add_f32_e32 v3, 1.0, v53
	v_add_f32_e32 v6, -1.0, v3
	v_sub_f32_e32 v7, v6, v3
	v_add_f32_e32 v7, 1.0, v7
	v_sub_f32_e32 v6, v53, v6
	v_add_f32_e32 v20, v6, v7
	v_frexp_mant_f32_e32 v21, v3
	v_cvt_f64_f32_e32 v[6:7], v3
	v_frexp_exp_i32_f64_e32 v6, v[6:7]
	v_cmp_gt_f32_e32 vcc, s5, v21
	s_mov_b32 s5, 0x3f317218
	s_nop 0
	v_subbrev_co_u32_e32 v55, vcc, 0, v6, vcc
	v_sub_u32_e32 v6, 0, v55
	v_ldexp_f32 v3, v3, v6
	v_ldexp_f32 v6, v20, v6
	v_add_f32_e32 v20, -1.0, v3
	v_add_f32_e32 v7, 1.0, v20
	v_sub_f32_e32 v7, v3, v7
	v_add_f32_e32 v21, v6, v7
	v_add_f32_e32 v7, 1.0, v3
	v_add_f32_e32 v24, -1.0, v7
	v_sub_f32_e32 v3, v3, v24
	v_add_f32_e32 v3, v6, v3
	v_add_f32_e32 v64, v7, v3
	v_rcp_f32_e32 v98, v64
	v_sub_f32_e32 v6, v7, v64
	v_add_f32_e32 v7, v20, v21
	v_add_f32_e32 v3, v3, v6
	v_mul_f32_e32 v100, v7, v98
	v_sub_f32_e32 v6, v20, v7
	v_mul_f32_e32 v20, v64, v100
	v_fma_f32 v24, v100, v64, -v20
	v_fmac_f32_e32 v24, v100, v3
	v_add_f32_e32 v99, v21, v6
	v_add_f32_e32 v6, v20, v24
	v_sub_f32_e32 v21, v7, v6
	v_pk_add_f32 v[26:27], v[6:7], v[20:21] neg_lo:[0,1] neg_hi:[0,1]
	v_mov_b32_e32 v25, v6
	v_pk_add_f32 v[6:7], v[26:27], v[24:25] neg_lo:[0,1] neg_hi:[0,1]
	v_cmp_eq_f32_e32 vcc, s6, v53
	v_add_f32_e32 v7, v99, v7
	v_add_f32_e32 v6, v6, v7
	;; [unrolled: 1-line block ×3, first 2 shown]
	v_mul_f32_e32 v99, v98, v7
	v_mul_f32_e32 v20, v64, v99
	v_fma_f32 v24, v99, v64, -v20
	v_fmac_f32_e32 v24, v99, v3
	v_sub_f32_e32 v3, v21, v7
	v_add_f32_e32 v3, v6, v3
	v_add_f32_e32 v6, v20, v24
	v_sub_f32_e32 v21, v7, v6
	v_pk_add_f32 v[26:27], v[6:7], v[20:21] neg_lo:[0,1] neg_hi:[0,1]
	v_mov_b32_e32 v25, v6
	v_pk_add_f32 v[6:7], v[26:27], v[24:25] neg_lo:[0,1] neg_hi:[0,1]
	v_cvt_f32_i32_e32 v20, v55
	v_add_f32_e32 v3, v3, v7
	v_add_f32_e32 v3, v6, v3
	;; [unrolled: 1-line block ×4, first 2 shown]
	v_sub_f32_e32 v7, v6, v100
	v_mul_f32_e32 v3, v98, v3
	v_sub_f32_e32 v7, v99, v7
	v_add_f32_e32 v3, v7, v3
	v_add_f32_e32 v21, v6, v3
	v_mul_f32_e32 v24, v21, v21
	v_mov_b32_e32 v7, 0x3ecc95a3
	v_fmac_f32_e32 v7, 0x3e9b6dac, v24
	v_sub_f32_e32 v6, v21, v6
	v_fmaak_f32 v7, v24, v7, 0x3f2aaada
	v_sub_f32_e32 v3, v3, v6
	v_ldexp_f32 v25, v21, 1
	v_mul_f32_e32 v21, v21, v24
	v_mov_b32_e32 v6, 0x3f317218
	v_pk_mul_f32 v[6:7], v[20:21], v[6:7]
	v_ldexp_f32 v3, v3, 1
	v_fma_f32 v21, v20, s5, -v6
	v_fmamk_f32 v24, v20, 0xb102e308, v21
	v_pk_add_f32 v[20:21], v[6:7], v[24:25]
	v_mov_b32_e32 v26, v6
	v_sub_f32_e32 v25, v21, v25
	v_sub_f32_e32 v25, v7, v25
	v_add_f32_e32 v27, v3, v25
	v_pk_add_f32 v[6:7], v[20:21], v[6:7] neg_lo:[0,1] neg_hi:[0,1]
	v_pk_add_f32 v[98:99], v[20:21], v[26:27]
	v_mov_b32_e32 v25, v20
	v_mov_b32_e32 v7, v99
	v_pk_add_f32 v[100:101], v[24:25], v[6:7] neg_lo:[0,1] neg_hi:[0,1]
	v_pk_add_f32 v[6:7], v[24:25], v[6:7]
	v_mov_b32_e32 v26, v27
	v_mov_b32_e32 v24, v7
	s_waitcnt lgkmcnt(0)
	v_pk_add_f32 v[102:103], v[24:25], v[20:21] neg_lo:[0,1] neg_hi:[0,1]
	v_mov_b32_e32 v6, v99
	v_mov_b32_e32 v3, v102
	v_pk_add_f32 v[112:113], v[98:99], v[2:3] neg_lo:[0,1] neg_hi:[0,1]
	v_mov_b32_e32 v98, v21
	v_mov_b32_e32 v99, v102
	;; [unrolled: 1-line block ×3, first 2 shown]
	v_pk_add_f32 v[6:7], v[6:7], v[98:99] neg_lo:[0,1] neg_hi:[0,1]
	v_mov_b32_e32 v27, v20
	v_pk_add_f32 v[6:7], v[26:27], v[6:7] neg_lo:[0,1] neg_hi:[0,1]
	v_mov_b32_e32 v112, v100
	v_pk_add_f32 v[20:21], v[112:113], v[6:7]
	s_mov_b32 s5, 0x33800000
	v_mov_b32_e32 v26, v21
	v_pk_add_f32 v[26:27], v[20:21], v[26:27]
	v_cmp_lt_f32_e64 s[6:7], |v53|, s5
	v_pk_add_f32 v[24:25], v[24:25], v[26:27]
	v_mov_b32_e32 v7, v26
	v_mov_b32_e32 v21, v24
	v_pk_add_f32 v[98:99], v[20:21], v[100:101] neg_lo:[0,1] neg_hi:[0,1]
	s_or_b64 vcc, vcc, s[6:7]
	v_sub_f32_e32 v3, v20, v98
	v_pk_add_f32 v[6:7], v[6:7], v[98:99] neg_lo:[0,1] neg_hi:[0,1]
	v_sub_f32_e32 v3, v100, v3
	v_add_f32_e32 v3, v6, v3
	v_add_f32_e32 v3, v3, v7
	;; [unrolled: 1-line block ×3, first 2 shown]
	v_cndmask_b32_e32 v3, v3, v53, vcc
	v_add_f32_e32 v3, v2, v3
.LBB479_386:
	s_or_b64 exec, exec, s[2:3]
	v_bfe_u32 v2, v3, 16, 1
	s_movk_i32 s5, 0x7fff
	v_add3_u32 v2, v3, v2, s5
	v_lshrrev_b32_e32 v6, 16, v2
	v_mov_b32_e32 v2, 0x7fc0
	v_cmp_o_f32_e32 vcc, v3, v3
	s_nop 1
	v_cndmask_b32_e32 v53, v2, v6, vcc
	v_lshlrev_b32_e32 v6, 16, v53
	v_max_f32_e32 v3, v6, v6
	v_min_f32_e32 v7, v3, v66
	v_cmp_u_f32_e32 vcc, v6, v6
	v_max_f32_e32 v3, v3, v66
	s_nop 0
	v_cndmask_b32_e32 v7, v7, v6, vcc
	v_cndmask_b32_e32 v3, v3, v6, vcc
	v_cndmask_b32_e64 v7, v7, v54, s[24:25]
	v_cndmask_b32_e64 v3, v3, v54, s[24:25]
	v_cmp_neq_f32_e32 vcc, v7, v3
	v_cmp_class_f32_e64 s[2:3], v7, s4
	s_or_b64 s[6:7], vcc, s[2:3]
	s_and_saveexec_b64 s[2:3], s[6:7]
	s_cbranch_execz .LBB479_388
; %bb.387:
	v_sub_f32_e32 v6, v7, v3
	s_mov_b32 s4, 0x3fb8aa3b
	v_mul_f32_e32 v7, 0x3fb8aa3b, v6
	v_fma_f32 v20, v6, s4, -v7
	v_rndne_f32_e32 v21, v7
	v_fmamk_f32 v20, v6, 0x32a5705f, v20
	v_sub_f32_e32 v7, v7, v21
	v_add_f32_e32 v7, v7, v20
	v_exp_f32_e32 v7, v7
	v_cvt_i32_f32_e32 v20, v21
	s_mov_b32 s4, 0xc2ce8ed0
	v_cmp_ngt_f32_e32 vcc, s4, v6
	s_mov_b32 s4, 0x42b17218
	v_ldexp_f32 v7, v7, v20
	v_cndmask_b32_e32 v7, 0, v7, vcc
	v_mov_b32_e32 v20, 0x7f800000
	v_cmp_nlt_f32_e32 vcc, s4, v6
	s_mov_b32 s4, 0x3f2aaaab
	s_mov_b32 s6, 0x7f800000
	v_cndmask_b32_e32 v64, v20, v7, vcc
	v_add_f32_e32 v20, 1.0, v64
	v_add_f32_e32 v6, -1.0, v20
	v_sub_f32_e32 v7, v6, v20
	v_add_f32_e32 v7, 1.0, v7
	v_sub_f32_e32 v6, v64, v6
	v_add_f32_e32 v21, v6, v7
	v_frexp_mant_f32_e32 v24, v20
	v_cvt_f64_f32_e32 v[6:7], v20
	v_frexp_exp_i32_f64_e32 v6, v[6:7]
	v_cmp_gt_f32_e32 vcc, s4, v24
	s_mov_b32 s4, 0x3f317218
	s_nop 0
	v_subbrev_co_u32_e32 v54, vcc, 0, v6, vcc
	v_sub_u32_e32 v6, 0, v54
	v_ldexp_f32 v7, v20, v6
	v_add_f32_e32 v20, -1.0, v7
	v_add_f32_e32 v24, 1.0, v7
	v_ldexp_f32 v6, v21, v6
	v_add_f32_e32 v21, 1.0, v20
	v_add_f32_e32 v25, -1.0, v24
	v_sub_f32_e32 v21, v7, v21
	v_sub_f32_e32 v7, v7, v25
	v_add_f32_e32 v21, v6, v21
	v_add_f32_e32 v6, v6, v7
	;; [unrolled: 1-line block ×3, first 2 shown]
	v_rcp_f32_e32 v98, v55
	v_sub_f32_e32 v7, v24, v55
	v_add_f32_e32 v66, v6, v7
	v_add_f32_e32 v7, v20, v21
	v_mul_f32_e32 v100, v7, v98
	v_sub_f32_e32 v6, v20, v7
	v_mul_f32_e32 v20, v55, v100
	v_fma_f32 v24, v100, v55, -v20
	v_fmac_f32_e32 v24, v100, v66
	v_add_f32_e32 v99, v21, v6
	v_add_f32_e32 v6, v20, v24
	v_sub_f32_e32 v21, v7, v6
	v_pk_add_f32 v[26:27], v[6:7], v[20:21] neg_lo:[0,1] neg_hi:[0,1]
	v_mov_b32_e32 v25, v6
	v_pk_add_f32 v[6:7], v[26:27], v[24:25] neg_lo:[0,1] neg_hi:[0,1]
	v_cmp_eq_f32_e32 vcc, s6, v64
	v_add_f32_e32 v7, v99, v7
	v_add_f32_e32 v6, v6, v7
	;; [unrolled: 1-line block ×3, first 2 shown]
	v_mul_f32_e32 v99, v98, v7
	v_mul_f32_e32 v20, v55, v99
	v_fma_f32 v24, v99, v55, -v20
	v_fmac_f32_e32 v24, v99, v66
	v_sub_f32_e32 v21, v21, v7
	v_add_f32_e32 v55, v6, v21
	v_add_f32_e32 v6, v20, v24
	v_sub_f32_e32 v21, v7, v6
	v_pk_add_f32 v[26:27], v[6:7], v[20:21] neg_lo:[0,1] neg_hi:[0,1]
	v_mov_b32_e32 v25, v6
	v_pk_add_f32 v[6:7], v[26:27], v[24:25] neg_lo:[0,1] neg_hi:[0,1]
	v_cvt_f32_i32_e32 v20, v54
	v_add_f32_e32 v7, v55, v7
	v_add_f32_e32 v6, v6, v7
	;; [unrolled: 1-line block ×4, first 2 shown]
	v_sub_f32_e32 v7, v21, v100
	v_mul_f32_e32 v6, v98, v6
	v_sub_f32_e32 v7, v99, v7
	v_add_f32_e32 v6, v7, v6
	v_add_f32_e32 v24, v21, v6
	v_mul_f32_e32 v26, v24, v24
	v_mov_b32_e32 v7, 0x3ecc95a3
	v_sub_f32_e32 v21, v24, v21
	v_fmac_f32_e32 v7, 0x3e9b6dac, v26
	v_sub_f32_e32 v6, v6, v21
	v_fmaak_f32 v7, v26, v7, 0x3f2aaada
	v_ldexp_f32 v27, v6, 1
	v_mul_f32_e32 v21, v24, v26
	v_mov_b32_e32 v6, 0x3f317218
	v_pk_mul_f32 v[6:7], v[20:21], v[6:7]
	v_ldexp_f32 v25, v24, 1
	v_fma_f32 v21, v20, s4, -v6
	v_fmamk_f32 v24, v20, 0xb102e308, v21
	v_pk_add_f32 v[20:21], v[6:7], v[24:25]
	v_mov_b32_e32 v26, v6
	v_sub_f32_e32 v25, v21, v25
	v_sub_f32_e32 v25, v7, v25
	v_add_f32_e32 v27, v27, v25
	v_pk_add_f32 v[6:7], v[20:21], v[6:7] neg_lo:[0,1] neg_hi:[0,1]
	v_pk_add_f32 v[54:55], v[20:21], v[26:27]
	v_mov_b32_e32 v25, v20
	v_mov_b32_e32 v7, v55
	v_pk_add_f32 v[98:99], v[24:25], v[6:7] neg_lo:[0,1] neg_hi:[0,1]
	v_pk_add_f32 v[6:7], v[24:25], v[6:7]
	v_mov_b32_e32 v26, v27
	v_mov_b32_e32 v24, v7
	v_pk_add_f32 v[100:101], v[24:25], v[20:21] neg_lo:[0,1] neg_hi:[0,1]
	v_mov_b32_e32 v6, v55
	v_mov_b32_e32 v25, v100
	s_waitcnt lgkmcnt(0)
	v_pk_add_f32 v[102:103], v[54:55], v[24:25] neg_lo:[0,1] neg_hi:[0,1]
	v_mov_b32_e32 v54, v21
	v_mov_b32_e32 v55, v100
	;; [unrolled: 1-line block ×3, first 2 shown]
	v_pk_add_f32 v[6:7], v[6:7], v[54:55] neg_lo:[0,1] neg_hi:[0,1]
	v_mov_b32_e32 v27, v20
	v_pk_add_f32 v[6:7], v[26:27], v[6:7] neg_lo:[0,1] neg_hi:[0,1]
	v_mov_b32_e32 v102, v98
	v_pk_add_f32 v[20:21], v[102:103], v[6:7]
	s_mov_b32 s4, 0x33800000
	v_mov_b32_e32 v26, v21
	v_pk_add_f32 v[26:27], v[20:21], v[26:27]
	v_cmp_lt_f32_e64 s[6:7], |v64|, s4
	v_pk_add_f32 v[24:25], v[24:25], v[26:27]
	v_mov_b32_e32 v7, v26
	v_mov_b32_e32 v21, v24
	v_pk_add_f32 v[54:55], v[20:21], v[98:99] neg_lo:[0,1] neg_hi:[0,1]
	s_or_b64 vcc, vcc, s[6:7]
	v_sub_f32_e32 v20, v20, v54
	v_pk_add_f32 v[6:7], v[6:7], v[54:55] neg_lo:[0,1] neg_hi:[0,1]
	v_sub_f32_e32 v20, v98, v20
	v_add_f32_e32 v6, v6, v20
	v_add_f32_e32 v6, v6, v7
	;; [unrolled: 1-line block ×3, first 2 shown]
	v_cndmask_b32_e32 v6, v6, v64, vcc
	v_add_f32_e32 v6, v3, v6
.LBB479_388:
	s_or_b64 exec, exec, s[2:3]
	v_bfe_u32 v3, v6, 16, 1
	v_add3_u32 v3, v6, v3, s5
	v_lshrrev_b32_e32 v3, 16, v3
	v_cmp_o_f32_e32 vcc, v6, v6
	s_movk_i32 s4, 0x1f8
	s_nop 0
	v_cndmask_b32_e32 v54, v2, v3, vcc
	v_lshlrev_b32_e32 v3, 16, v54
	v_max_f32_e32 v2, v3, v3
	v_min_f32_e32 v6, v2, v67
	v_cmp_u_f32_e32 vcc, v3, v3
	v_max_f32_e32 v2, v2, v67
	s_nop 0
	v_cndmask_b32_e32 v6, v6, v3, vcc
	v_cndmask_b32_e32 v2, v2, v3, vcc
	v_cndmask_b32_e64 v6, v6, v22, s[26:27]
	v_cndmask_b32_e64 v2, v2, v22, s[26:27]
	v_cmp_neq_f32_e32 vcc, v6, v2
	v_cmp_class_f32_e64 s[2:3], v6, s4
	s_or_b64 s[6:7], vcc, s[2:3]
	s_and_saveexec_b64 s[2:3], s[6:7]
	s_cbranch_execz .LBB479_390
; %bb.389:
	v_sub_f32_e32 v3, v6, v2
	s_mov_b32 s5, 0x3fb8aa3b
	v_mul_f32_e32 v6, 0x3fb8aa3b, v3
	v_fma_f32 v7, v3, s5, -v6
	v_rndne_f32_e32 v20, v6
	v_fmamk_f32 v7, v3, 0x32a5705f, v7
	v_sub_f32_e32 v6, v6, v20
	v_add_f32_e32 v6, v6, v7
	v_exp_f32_e32 v6, v6
	v_cvt_i32_f32_e32 v7, v20
	s_mov_b32 s5, 0xc2ce8ed0
	v_cmp_ngt_f32_e32 vcc, s5, v3
	s_mov_b32 s5, 0x42b17218
	v_ldexp_f32 v6, v6, v7
	v_cndmask_b32_e32 v6, 0, v6, vcc
	v_mov_b32_e32 v7, 0x7f800000
	v_cmp_nlt_f32_e32 vcc, s5, v3
	s_mov_b32 s5, 0x3f2aaaab
	s_mov_b32 s6, 0x7f800000
	v_cndmask_b32_e32 v55, v7, v6, vcc
	v_add_f32_e32 v3, 1.0, v55
	v_add_f32_e32 v6, -1.0, v3
	v_sub_f32_e32 v7, v6, v3
	v_add_f32_e32 v7, 1.0, v7
	v_sub_f32_e32 v6, v55, v6
	v_add_f32_e32 v20, v6, v7
	v_frexp_mant_f32_e32 v21, v3
	v_cvt_f64_f32_e32 v[6:7], v3
	v_frexp_exp_i32_f64_e32 v6, v[6:7]
	v_cmp_gt_f32_e32 vcc, s5, v21
	s_mov_b32 s5, 0x3f317218
	s_nop 0
	v_subbrev_co_u32_e32 v22, vcc, 0, v6, vcc
	v_sub_u32_e32 v6, 0, v22
	v_ldexp_f32 v3, v3, v6
	v_ldexp_f32 v6, v20, v6
	v_add_f32_e32 v20, -1.0, v3
	v_add_f32_e32 v7, 1.0, v20
	v_sub_f32_e32 v7, v3, v7
	v_add_f32_e32 v21, v6, v7
	v_add_f32_e32 v7, 1.0, v3
	v_add_f32_e32 v24, -1.0, v7
	v_sub_f32_e32 v3, v3, v24
	v_add_f32_e32 v3, v6, v3
	v_add_f32_e32 v64, v7, v3
	v_rcp_f32_e32 v66, v64
	v_sub_f32_e32 v6, v7, v64
	v_add_f32_e32 v7, v20, v21
	v_add_f32_e32 v3, v3, v6
	v_mul_f32_e32 v98, v7, v66
	v_sub_f32_e32 v6, v20, v7
	v_mul_f32_e32 v20, v64, v98
	v_fma_f32 v24, v98, v64, -v20
	v_fmac_f32_e32 v24, v98, v3
	v_add_f32_e32 v67, v21, v6
	v_add_f32_e32 v6, v20, v24
	v_sub_f32_e32 v21, v7, v6
	v_pk_add_f32 v[26:27], v[6:7], v[20:21] neg_lo:[0,1] neg_hi:[0,1]
	v_mov_b32_e32 v25, v6
	v_pk_add_f32 v[6:7], v[26:27], v[24:25] neg_lo:[0,1] neg_hi:[0,1]
	v_cmp_eq_f32_e32 vcc, s6, v55
	v_add_f32_e32 v7, v67, v7
	v_add_f32_e32 v6, v6, v7
	;; [unrolled: 1-line block ×3, first 2 shown]
	v_mul_f32_e32 v67, v66, v7
	v_mul_f32_e32 v20, v64, v67
	v_fma_f32 v24, v67, v64, -v20
	v_fmac_f32_e32 v24, v67, v3
	v_sub_f32_e32 v3, v21, v7
	v_add_f32_e32 v3, v6, v3
	v_add_f32_e32 v6, v20, v24
	v_sub_f32_e32 v21, v7, v6
	v_pk_add_f32 v[26:27], v[6:7], v[20:21] neg_lo:[0,1] neg_hi:[0,1]
	v_mov_b32_e32 v25, v6
	v_pk_add_f32 v[6:7], v[26:27], v[24:25] neg_lo:[0,1] neg_hi:[0,1]
	v_cvt_f32_i32_e32 v20, v22
	v_add_f32_e32 v3, v3, v7
	v_add_f32_e32 v3, v6, v3
	;; [unrolled: 1-line block ×4, first 2 shown]
	v_sub_f32_e32 v7, v6, v98
	v_mul_f32_e32 v3, v66, v3
	v_sub_f32_e32 v7, v67, v7
	v_add_f32_e32 v3, v7, v3
	v_add_f32_e32 v21, v6, v3
	v_mul_f32_e32 v24, v21, v21
	v_mov_b32_e32 v7, 0x3ecc95a3
	v_fmac_f32_e32 v7, 0x3e9b6dac, v24
	v_sub_f32_e32 v6, v21, v6
	v_fmaak_f32 v7, v24, v7, 0x3f2aaada
	v_sub_f32_e32 v3, v3, v6
	v_ldexp_f32 v25, v21, 1
	v_mul_f32_e32 v21, v21, v24
	v_mov_b32_e32 v6, 0x3f317218
	v_pk_mul_f32 v[6:7], v[20:21], v[6:7]
	v_ldexp_f32 v3, v3, 1
	v_fma_f32 v21, v20, s5, -v6
	v_fmamk_f32 v24, v20, 0xb102e308, v21
	v_pk_add_f32 v[20:21], v[6:7], v[24:25]
	v_mov_b32_e32 v26, v6
	v_sub_f32_e32 v22, v21, v25
	v_sub_f32_e32 v22, v7, v22
	v_add_f32_e32 v27, v3, v22
	v_pk_add_f32 v[6:7], v[20:21], v[6:7] neg_lo:[0,1] neg_hi:[0,1]
	v_pk_add_f32 v[66:67], v[20:21], v[26:27]
	v_mov_b32_e32 v25, v20
	v_mov_b32_e32 v7, v67
	v_pk_add_f32 v[98:99], v[24:25], v[6:7] neg_lo:[0,1] neg_hi:[0,1]
	v_pk_add_f32 v[6:7], v[24:25], v[6:7]
	s_mov_b32 s5, 0x33800000
	v_mov_b32_e32 v22, v7
	v_pk_add_f32 v[24:25], v[22:23], v[20:21] neg_lo:[0,1] neg_hi:[0,1]
	v_mov_b32_e32 v6, v67
	v_mov_b32_e32 v3, v24
	v_pk_add_f32 v[100:101], v[66:67], v[2:3] neg_lo:[0,1] neg_hi:[0,1]
	v_mov_b32_e32 v66, v21
	v_mov_b32_e32 v67, v24
	;; [unrolled: 1-line block ×3, first 2 shown]
	v_pk_add_f32 v[6:7], v[6:7], v[66:67] neg_lo:[0,1] neg_hi:[0,1]
	v_mov_b32_e32 v24, v27
	v_mov_b32_e32 v25, v20
	v_pk_add_f32 v[6:7], v[24:25], v[6:7] neg_lo:[0,1] neg_hi:[0,1]
	v_mov_b32_e32 v100, v98
	v_pk_add_f32 v[20:21], v[100:101], v[6:7]
	v_cmp_lt_f32_e64 s[6:7], |v55|, s5
	v_mov_b32_e32 v24, v21
	v_pk_add_f32 v[24:25], v[20:21], v[24:25]
	s_or_b64 vcc, vcc, s[6:7]
	v_pk_add_f32 v[26:27], v[22:23], v[24:25]
	v_mov_b32_e32 v7, v24
	v_mov_b32_e32 v21, v26
	v_pk_add_f32 v[66:67], v[20:21], v[98:99] neg_lo:[0,1] neg_hi:[0,1]
	s_nop 0
	v_sub_f32_e32 v3, v20, v66
	v_pk_add_f32 v[6:7], v[6:7], v[66:67] neg_lo:[0,1] neg_hi:[0,1]
	v_sub_f32_e32 v3, v98, v3
	v_add_f32_e32 v3, v6, v3
	v_add_f32_e32 v3, v3, v7
	v_add_f32_e32 v3, v26, v3
	v_cndmask_b32_e32 v3, v3, v55, vcc
	v_add_f32_e32 v3, v2, v3
.LBB479_390:
	s_or_b64 exec, exec, s[2:3]
	v_bfe_u32 v2, v3, 16, 1
	s_movk_i32 s5, 0x7fff
	v_add3_u32 v2, v3, v2, s5
	v_lshrrev_b32_e32 v6, 16, v2
	v_mov_b32_e32 v2, 0x7fc0
	v_cmp_o_f32_e32 vcc, v3, v3
	s_nop 1
	v_cndmask_b32_e32 v55, v2, v6, vcc
	v_lshlrev_b32_e32 v6, 16, v55
	v_max_f32_e32 v3, v6, v6
	v_min_f32_e32 v7, v3, v69
	v_cmp_u_f32_e32 vcc, v6, v6
	v_max_f32_e32 v3, v3, v69
	s_nop 0
	v_cndmask_b32_e32 v7, v7, v6, vcc
	v_cndmask_b32_e32 v3, v3, v6, vcc
	v_cndmask_b32_e64 v7, v7, v65, s[28:29]
	v_cndmask_b32_e64 v3, v3, v65, s[28:29]
	v_cmp_neq_f32_e32 vcc, v7, v3
	v_cmp_class_f32_e64 s[2:3], v7, s4
	s_or_b64 s[6:7], vcc, s[2:3]
	s_and_saveexec_b64 s[2:3], s[6:7]
	s_cbranch_execz .LBB479_392
; %bb.391:
	v_sub_f32_e32 v6, v7, v3
	s_mov_b32 s4, 0x3fb8aa3b
	v_mul_f32_e32 v7, 0x3fb8aa3b, v6
	v_fma_f32 v20, v6, s4, -v7
	v_rndne_f32_e32 v21, v7
	v_fmamk_f32 v20, v6, 0x32a5705f, v20
	v_sub_f32_e32 v7, v7, v21
	v_add_f32_e32 v7, v7, v20
	v_exp_f32_e32 v7, v7
	v_cvt_i32_f32_e32 v20, v21
	s_mov_b32 s4, 0xc2ce8ed0
	v_cmp_ngt_f32_e32 vcc, s4, v6
	s_mov_b32 s4, 0x42b17218
	v_ldexp_f32 v7, v7, v20
	v_cndmask_b32_e32 v7, 0, v7, vcc
	v_mov_b32_e32 v20, 0x7f800000
	v_cmp_nlt_f32_e32 vcc, s4, v6
	s_mov_b32 s4, 0x3f2aaaab
	s_mov_b32 s6, 0x7f800000
	v_cndmask_b32_e32 v69, v20, v7, vcc
	v_add_f32_e32 v20, 1.0, v69
	v_add_f32_e32 v6, -1.0, v20
	v_sub_f32_e32 v7, v6, v20
	v_add_f32_e32 v7, 1.0, v7
	v_sub_f32_e32 v6, v69, v6
	v_add_f32_e32 v21, v6, v7
	v_frexp_mant_f32_e32 v22, v20
	v_cvt_f64_f32_e32 v[6:7], v20
	v_frexp_exp_i32_f64_e32 v6, v[6:7]
	v_cmp_gt_f32_e32 vcc, s4, v22
	s_mov_b32 s4, 0x3f317218
	s_nop 0
	v_subbrev_co_u32_e32 v22, vcc, 0, v6, vcc
	v_sub_u32_e32 v6, 0, v22
	v_ldexp_f32 v7, v20, v6
	v_add_f32_e32 v20, -1.0, v7
	v_add_f32_e32 v24, 1.0, v7
	v_ldexp_f32 v6, v21, v6
	v_add_f32_e32 v21, 1.0, v20
	v_add_f32_e32 v25, -1.0, v24
	v_sub_f32_e32 v21, v7, v21
	v_sub_f32_e32 v7, v7, v25
	v_add_f32_e32 v21, v6, v21
	v_add_f32_e32 v6, v6, v7
	;; [unrolled: 1-line block ×3, first 2 shown]
	v_rcp_f32_e32 v66, v64
	v_sub_f32_e32 v7, v24, v64
	v_add_f32_e32 v65, v6, v7
	v_add_f32_e32 v7, v20, v21
	v_mul_f32_e32 v98, v7, v66
	v_sub_f32_e32 v6, v20, v7
	v_mul_f32_e32 v20, v64, v98
	v_fma_f32 v24, v98, v64, -v20
	v_fmac_f32_e32 v24, v98, v65
	v_add_f32_e32 v67, v21, v6
	v_add_f32_e32 v6, v20, v24
	v_sub_f32_e32 v21, v7, v6
	v_pk_add_f32 v[26:27], v[6:7], v[20:21] neg_lo:[0,1] neg_hi:[0,1]
	v_mov_b32_e32 v25, v6
	v_pk_add_f32 v[6:7], v[26:27], v[24:25] neg_lo:[0,1] neg_hi:[0,1]
	v_cmp_eq_f32_e32 vcc, s6, v69
	v_add_f32_e32 v7, v67, v7
	v_add_f32_e32 v6, v6, v7
	;; [unrolled: 1-line block ×3, first 2 shown]
	v_mul_f32_e32 v67, v66, v7
	v_mul_f32_e32 v20, v64, v67
	v_fma_f32 v24, v67, v64, -v20
	v_fmac_f32_e32 v24, v67, v65
	v_sub_f32_e32 v21, v21, v7
	v_add_f32_e32 v64, v6, v21
	v_add_f32_e32 v6, v20, v24
	v_sub_f32_e32 v21, v7, v6
	v_pk_add_f32 v[26:27], v[6:7], v[20:21] neg_lo:[0,1] neg_hi:[0,1]
	v_mov_b32_e32 v25, v6
	v_pk_add_f32 v[6:7], v[26:27], v[24:25] neg_lo:[0,1] neg_hi:[0,1]
	v_cvt_f32_i32_e32 v20, v22
	v_add_f32_e32 v7, v64, v7
	v_add_f32_e32 v6, v6, v7
	v_add_f32_e32 v6, v21, v6
	v_add_f32_e32 v21, v98, v67
	v_sub_f32_e32 v7, v21, v98
	v_mul_f32_e32 v6, v66, v6
	v_sub_f32_e32 v7, v67, v7
	v_add_f32_e32 v6, v7, v6
	v_add_f32_e32 v24, v21, v6
	v_mul_f32_e32 v26, v24, v24
	v_mov_b32_e32 v7, 0x3ecc95a3
	v_sub_f32_e32 v21, v24, v21
	v_fmac_f32_e32 v7, 0x3e9b6dac, v26
	v_sub_f32_e32 v6, v6, v21
	v_fmaak_f32 v7, v26, v7, 0x3f2aaada
	v_ldexp_f32 v22, v6, 1
	v_mul_f32_e32 v21, v24, v26
	v_mov_b32_e32 v6, 0x3f317218
	v_pk_mul_f32 v[6:7], v[20:21], v[6:7]
	v_ldexp_f32 v25, v24, 1
	v_fma_f32 v21, v20, s4, -v6
	v_fmamk_f32 v24, v20, 0xb102e308, v21
	v_pk_add_f32 v[20:21], v[6:7], v[24:25]
	v_mov_b32_e32 v26, v6
	v_sub_f32_e32 v25, v21, v25
	v_sub_f32_e32 v25, v7, v25
	v_add_f32_e32 v27, v22, v25
	v_pk_add_f32 v[6:7], v[20:21], v[6:7] neg_lo:[0,1] neg_hi:[0,1]
	v_pk_add_f32 v[64:65], v[20:21], v[26:27]
	v_mov_b32_e32 v25, v20
	v_mov_b32_e32 v7, v65
	v_pk_add_f32 v[66:67], v[24:25], v[6:7] neg_lo:[0,1] neg_hi:[0,1]
	v_pk_add_f32 v[6:7], v[24:25], v[6:7]
	s_mov_b32 s4, 0x33800000
	v_mov_b32_e32 v22, v7
	v_pk_add_f32 v[24:25], v[22:23], v[20:21] neg_lo:[0,1] neg_hi:[0,1]
	v_mov_b32_e32 v6, v65
	v_mov_b32_e32 v25, v24
	v_pk_add_f32 v[98:99], v[64:65], v[24:25] neg_lo:[0,1] neg_hi:[0,1]
	v_mov_b32_e32 v64, v21
	v_mov_b32_e32 v65, v24
	v_mov_b32_e32 v67, v7
	v_pk_add_f32 v[6:7], v[6:7], v[64:65] neg_lo:[0,1] neg_hi:[0,1]
	v_mov_b32_e32 v24, v27
	v_mov_b32_e32 v25, v20
	v_pk_add_f32 v[6:7], v[24:25], v[6:7] neg_lo:[0,1] neg_hi:[0,1]
	v_mov_b32_e32 v98, v66
	v_pk_add_f32 v[20:21], v[98:99], v[6:7]
	v_cmp_lt_f32_e64 s[6:7], |v69|, s4
	v_mov_b32_e32 v24, v21
	v_pk_add_f32 v[24:25], v[20:21], v[24:25]
	s_or_b64 vcc, vcc, s[6:7]
	v_pk_add_f32 v[26:27], v[22:23], v[24:25]
	v_mov_b32_e32 v7, v24
	v_mov_b32_e32 v21, v26
	v_pk_add_f32 v[64:65], v[20:21], v[66:67] neg_lo:[0,1] neg_hi:[0,1]
	s_nop 0
	v_sub_f32_e32 v20, v20, v64
	v_pk_add_f32 v[6:7], v[6:7], v[64:65] neg_lo:[0,1] neg_hi:[0,1]
	v_sub_f32_e32 v20, v66, v20
	v_add_f32_e32 v6, v6, v20
	v_add_f32_e32 v6, v6, v7
	v_add_f32_e32 v6, v26, v6
	v_cndmask_b32_e32 v6, v6, v69, vcc
	v_add_f32_e32 v6, v3, v6
.LBB479_392:
	s_or_b64 exec, exec, s[2:3]
	v_bfe_u32 v3, v6, 16, 1
	v_add3_u32 v3, v6, v3, s5
	v_lshrrev_b32_e32 v3, 16, v3
	v_cmp_o_f32_e32 vcc, v6, v6
	s_movk_i32 s4, 0x1f8
	s_nop 0
	v_cndmask_b32_e32 v64, v2, v3, vcc
	v_lshlrev_b32_e32 v3, 16, v64
	v_max_f32_e32 v2, v3, v3
	v_min_f32_e32 v6, v2, v70
	v_cmp_u_f32_e32 vcc, v3, v3
	v_max_f32_e32 v2, v2, v70
	s_nop 0
	v_cndmask_b32_e32 v6, v6, v3, vcc
	v_cndmask_b32_e32 v2, v2, v3, vcc
	v_cndmask_b32_e64 v6, v6, v23, s[30:31]
	v_cndmask_b32_e64 v2, v2, v23, s[30:31]
	v_cmp_neq_f32_e32 vcc, v6, v2
	v_cmp_class_f32_e64 s[2:3], v6, s4
	s_or_b64 s[6:7], vcc, s[2:3]
	s_and_saveexec_b64 s[2:3], s[6:7]
	s_cbranch_execz .LBB479_394
; %bb.393:
	v_sub_f32_e32 v3, v6, v2
	s_mov_b32 s5, 0x3fb8aa3b
	v_mul_f32_e32 v6, 0x3fb8aa3b, v3
	v_fma_f32 v7, v3, s5, -v6
	v_rndne_f32_e32 v20, v6
	v_fmamk_f32 v7, v3, 0x32a5705f, v7
	v_sub_f32_e32 v6, v6, v20
	v_add_f32_e32 v6, v6, v7
	v_exp_f32_e32 v6, v6
	v_cvt_i32_f32_e32 v7, v20
	s_mov_b32 s5, 0xc2ce8ed0
	v_cmp_ngt_f32_e32 vcc, s5, v3
	s_mov_b32 s5, 0x42b17218
	v_ldexp_f32 v6, v6, v7
	v_cndmask_b32_e32 v6, 0, v6, vcc
	v_mov_b32_e32 v7, 0x7f800000
	v_cmp_nlt_f32_e32 vcc, s5, v3
	s_mov_b32 s5, 0x3f2aaaab
	s_mov_b32 s6, 0x7f800000
	v_cndmask_b32_e32 v65, v7, v6, vcc
	v_add_f32_e32 v3, 1.0, v65
	v_add_f32_e32 v6, -1.0, v3
	v_sub_f32_e32 v7, v6, v3
	v_add_f32_e32 v7, 1.0, v7
	v_sub_f32_e32 v6, v65, v6
	v_add_f32_e32 v20, v6, v7
	v_frexp_mant_f32_e32 v21, v3
	v_cvt_f64_f32_e32 v[6:7], v3
	v_frexp_exp_i32_f64_e32 v6, v[6:7]
	v_cmp_gt_f32_e32 vcc, s5, v21
	s_mov_b32 s5, 0x3f317218
	s_nop 0
	v_subbrev_co_u32_e32 v26, vcc, 0, v6, vcc
	v_sub_u32_e32 v6, 0, v26
	v_ldexp_f32 v3, v3, v6
	v_ldexp_f32 v6, v20, v6
	v_add_f32_e32 v20, -1.0, v3
	v_add_f32_e32 v7, 1.0, v20
	v_sub_f32_e32 v7, v3, v7
	v_add_f32_e32 v21, v6, v7
	v_add_f32_e32 v7, 1.0, v3
	v_add_f32_e32 v22, -1.0, v7
	v_sub_f32_e32 v3, v3, v22
	v_add_f32_e32 v3, v6, v3
	v_add_f32_e32 v27, v7, v3
	v_rcp_f32_e32 v66, v27
	v_sub_f32_e32 v6, v7, v27
	v_add_f32_e32 v7, v20, v21
	v_add_f32_e32 v3, v3, v6
	v_mul_f32_e32 v69, v7, v66
	v_sub_f32_e32 v6, v20, v7
	v_mul_f32_e32 v20, v27, v69
	v_fma_f32 v22, v69, v27, -v20
	v_fmac_f32_e32 v22, v69, v3
	v_add_f32_e32 v67, v21, v6
	v_add_f32_e32 v6, v20, v22
	v_sub_f32_e32 v21, v7, v6
	v_pk_add_f32 v[24:25], v[6:7], v[20:21] neg_lo:[0,1] neg_hi:[0,1]
	v_mov_b32_e32 v23, v6
	v_pk_add_f32 v[6:7], v[24:25], v[22:23] neg_lo:[0,1] neg_hi:[0,1]
	v_cmp_eq_f32_e32 vcc, s6, v65
	v_add_f32_e32 v7, v67, v7
	v_add_f32_e32 v6, v6, v7
	;; [unrolled: 1-line block ×3, first 2 shown]
	v_mul_f32_e32 v67, v66, v7
	v_mul_f32_e32 v20, v27, v67
	v_fma_f32 v22, v67, v27, -v20
	v_fmac_f32_e32 v22, v67, v3
	v_sub_f32_e32 v3, v21, v7
	v_add_f32_e32 v3, v6, v3
	v_add_f32_e32 v6, v20, v22
	v_sub_f32_e32 v21, v7, v6
	v_pk_add_f32 v[24:25], v[6:7], v[20:21] neg_lo:[0,1] neg_hi:[0,1]
	v_mov_b32_e32 v23, v6
	v_pk_add_f32 v[6:7], v[24:25], v[22:23] neg_lo:[0,1] neg_hi:[0,1]
	v_cvt_f32_i32_e32 v20, v26
	v_add_f32_e32 v3, v3, v7
	v_add_f32_e32 v3, v6, v3
	v_add_f32_e32 v6, v69, v67
	v_add_f32_e32 v3, v21, v3
	v_sub_f32_e32 v7, v6, v69
	v_mul_f32_e32 v3, v66, v3
	v_sub_f32_e32 v7, v67, v7
	v_add_f32_e32 v3, v7, v3
	v_add_f32_e32 v21, v6, v3
	v_mul_f32_e32 v22, v21, v21
	v_mov_b32_e32 v7, 0x3ecc95a3
	v_fmac_f32_e32 v7, 0x3e9b6dac, v22
	v_sub_f32_e32 v6, v21, v6
	v_fmaak_f32 v7, v22, v7, 0x3f2aaada
	v_sub_f32_e32 v3, v3, v6
	v_ldexp_f32 v23, v21, 1
	v_mul_f32_e32 v21, v21, v22
	v_mov_b32_e32 v6, 0x3f317218
	v_pk_mul_f32 v[6:7], v[20:21], v[6:7]
	v_ldexp_f32 v3, v3, 1
	v_fma_f32 v21, v20, s5, -v6
	v_fmamk_f32 v22, v20, 0xb102e308, v21
	v_pk_add_f32 v[20:21], v[6:7], v[22:23]
	v_mov_b32_e32 v24, v6
	v_sub_f32_e32 v23, v21, v23
	v_sub_f32_e32 v23, v7, v23
	v_add_f32_e32 v25, v3, v23
	v_pk_add_f32 v[6:7], v[20:21], v[6:7] neg_lo:[0,1] neg_hi:[0,1]
	v_pk_add_f32 v[26:27], v[20:21], v[24:25]
	v_mov_b32_e32 v23, v20
	v_mov_b32_e32 v7, v27
	v_pk_add_f32 v[66:67], v[22:23], v[6:7] neg_lo:[0,1] neg_hi:[0,1]
	v_pk_add_f32 v[6:7], v[22:23], v[6:7]
	v_mov_b32_e32 v24, v25
	v_mov_b32_e32 v22, v7
	v_pk_add_f32 v[98:99], v[22:23], v[20:21] neg_lo:[0,1] neg_hi:[0,1]
	v_mov_b32_e32 v6, v27
	v_mov_b32_e32 v3, v98
	v_pk_add_f32 v[100:101], v[26:27], v[2:3] neg_lo:[0,1] neg_hi:[0,1]
	v_mov_b32_e32 v26, v21
	v_mov_b32_e32 v27, v98
	;; [unrolled: 1-line block ×3, first 2 shown]
	v_pk_add_f32 v[6:7], v[6:7], v[26:27] neg_lo:[0,1] neg_hi:[0,1]
	v_mov_b32_e32 v25, v20
	v_pk_add_f32 v[6:7], v[24:25], v[6:7] neg_lo:[0,1] neg_hi:[0,1]
	v_mov_b32_e32 v100, v66
	v_pk_add_f32 v[20:21], v[100:101], v[6:7]
	s_mov_b32 s5, 0x33800000
	v_mov_b32_e32 v24, v21
	v_pk_add_f32 v[24:25], v[20:21], v[24:25]
	v_cmp_lt_f32_e64 s[6:7], |v65|, s5
	v_pk_add_f32 v[22:23], v[22:23], v[24:25]
	v_mov_b32_e32 v7, v24
	v_mov_b32_e32 v21, v22
	v_pk_add_f32 v[26:27], v[20:21], v[66:67] neg_lo:[0,1] neg_hi:[0,1]
	s_or_b64 vcc, vcc, s[6:7]
	v_sub_f32_e32 v3, v20, v26
	v_pk_add_f32 v[6:7], v[6:7], v[26:27] neg_lo:[0,1] neg_hi:[0,1]
	v_sub_f32_e32 v3, v66, v3
	v_add_f32_e32 v3, v6, v3
	v_add_f32_e32 v3, v3, v7
	;; [unrolled: 1-line block ×3, first 2 shown]
	v_cndmask_b32_e32 v3, v3, v65, vcc
	v_add_f32_e32 v3, v2, v3
.LBB479_394:
	s_or_b64 exec, exec, s[2:3]
	v_bfe_u32 v2, v3, 16, 1
	s_movk_i32 s5, 0x7fff
	v_add3_u32 v2, v3, v2, s5
	v_lshrrev_b32_e32 v6, 16, v2
	v_mov_b32_e32 v2, 0x7fc0
	v_cmp_o_f32_e32 vcc, v3, v3
	s_nop 1
	v_cndmask_b32_e32 v65, v2, v6, vcc
	v_lshlrev_b32_e32 v6, 16, v65
	v_max_f32_e32 v3, v6, v6
	v_min_f32_e32 v7, v3, v80
	v_cmp_u_f32_e32 vcc, v6, v6
	v_max_f32_e32 v3, v3, v80
	s_nop 0
	v_cndmask_b32_e32 v7, v7, v6, vcc
	v_cndmask_b32_e32 v3, v3, v6, vcc
	v_cndmask_b32_e64 v7, v7, v68, s[34:35]
	v_cndmask_b32_e64 v3, v3, v68, s[34:35]
	v_cmp_neq_f32_e32 vcc, v7, v3
	v_cmp_class_f32_e64 s[2:3], v7, s4
	s_or_b64 s[6:7], vcc, s[2:3]
	s_and_saveexec_b64 s[2:3], s[6:7]
	s_cbranch_execz .LBB479_396
; %bb.395:
	v_sub_f32_e32 v6, v7, v3
	s_mov_b32 s4, 0x3fb8aa3b
	v_mul_f32_e32 v7, 0x3fb8aa3b, v6
	v_fma_f32 v20, v6, s4, -v7
	v_rndne_f32_e32 v21, v7
	v_fmamk_f32 v20, v6, 0x32a5705f, v20
	v_sub_f32_e32 v7, v7, v21
	v_add_f32_e32 v7, v7, v20
	v_exp_f32_e32 v7, v7
	v_cvt_i32_f32_e32 v20, v21
	s_mov_b32 s4, 0xc2ce8ed0
	v_cmp_ngt_f32_e32 vcc, s4, v6
	s_mov_b32 s4, 0x42b17218
	v_ldexp_f32 v7, v7, v20
	v_cndmask_b32_e32 v7, 0, v7, vcc
	v_mov_b32_e32 v20, 0x7f800000
	v_cmp_nlt_f32_e32 vcc, s4, v6
	s_mov_b32 s4, 0x3f2aaaab
	s_mov_b32 s6, 0x7f800000
	v_cndmask_b32_e32 v70, v20, v7, vcc
	v_add_f32_e32 v20, 1.0, v70
	v_add_f32_e32 v6, -1.0, v20
	v_sub_f32_e32 v7, v6, v20
	v_add_f32_e32 v7, 1.0, v7
	v_sub_f32_e32 v6, v70, v6
	v_add_f32_e32 v21, v6, v7
	v_frexp_mant_f32_e32 v22, v20
	v_cvt_f64_f32_e32 v[6:7], v20
	v_frexp_exp_i32_f64_e32 v6, v[6:7]
	v_cmp_gt_f32_e32 vcc, s4, v22
	s_mov_b32 s4, 0x3f317218
	s_nop 0
	v_subbrev_co_u32_e32 v26, vcc, 0, v6, vcc
	v_sub_u32_e32 v6, 0, v26
	v_ldexp_f32 v7, v20, v6
	v_add_f32_e32 v20, -1.0, v7
	v_add_f32_e32 v22, 1.0, v7
	v_ldexp_f32 v6, v21, v6
	v_add_f32_e32 v21, 1.0, v20
	v_add_f32_e32 v23, -1.0, v22
	v_sub_f32_e32 v21, v7, v21
	v_sub_f32_e32 v7, v7, v23
	v_add_f32_e32 v21, v6, v21
	v_add_f32_e32 v6, v6, v7
	;; [unrolled: 1-line block ×3, first 2 shown]
	v_rcp_f32_e32 v67, v27
	v_sub_f32_e32 v7, v22, v27
	v_add_f32_e32 v66, v6, v7
	v_add_f32_e32 v7, v20, v21
	v_mul_f32_e32 v69, v7, v67
	v_sub_f32_e32 v6, v20, v7
	v_mul_f32_e32 v20, v27, v69
	v_fma_f32 v22, v69, v27, -v20
	v_fmac_f32_e32 v22, v69, v66
	v_add_f32_e32 v68, v21, v6
	v_add_f32_e32 v6, v20, v22
	v_sub_f32_e32 v21, v7, v6
	v_pk_add_f32 v[24:25], v[6:7], v[20:21] neg_lo:[0,1] neg_hi:[0,1]
	v_mov_b32_e32 v23, v6
	v_pk_add_f32 v[6:7], v[24:25], v[22:23] neg_lo:[0,1] neg_hi:[0,1]
	v_cmp_eq_f32_e32 vcc, s6, v70
	v_add_f32_e32 v7, v68, v7
	v_add_f32_e32 v6, v6, v7
	;; [unrolled: 1-line block ×3, first 2 shown]
	v_mul_f32_e32 v68, v67, v7
	v_mul_f32_e32 v20, v27, v68
	v_fma_f32 v22, v68, v27, -v20
	v_fmac_f32_e32 v22, v68, v66
	v_sub_f32_e32 v21, v21, v7
	v_add_f32_e32 v27, v6, v21
	v_add_f32_e32 v6, v20, v22
	v_sub_f32_e32 v21, v7, v6
	v_pk_add_f32 v[24:25], v[6:7], v[20:21] neg_lo:[0,1] neg_hi:[0,1]
	v_mov_b32_e32 v23, v6
	v_pk_add_f32 v[6:7], v[24:25], v[22:23] neg_lo:[0,1] neg_hi:[0,1]
	v_cvt_f32_i32_e32 v20, v26
	v_add_f32_e32 v7, v27, v7
	v_add_f32_e32 v6, v6, v7
	;; [unrolled: 1-line block ×4, first 2 shown]
	v_sub_f32_e32 v7, v21, v69
	v_mul_f32_e32 v6, v67, v6
	v_sub_f32_e32 v7, v68, v7
	v_add_f32_e32 v6, v7, v6
	v_add_f32_e32 v22, v21, v6
	v_mul_f32_e32 v24, v22, v22
	v_mov_b32_e32 v7, 0x3ecc95a3
	v_sub_f32_e32 v21, v22, v21
	v_fmac_f32_e32 v7, 0x3e9b6dac, v24
	v_sub_f32_e32 v6, v6, v21
	v_fmaak_f32 v7, v24, v7, 0x3f2aaada
	v_ldexp_f32 v25, v6, 1
	v_mul_f32_e32 v21, v22, v24
	v_mov_b32_e32 v6, 0x3f317218
	v_pk_mul_f32 v[6:7], v[20:21], v[6:7]
	v_ldexp_f32 v23, v22, 1
	v_fma_f32 v21, v20, s4, -v6
	v_fmamk_f32 v22, v20, 0xb102e308, v21
	v_pk_add_f32 v[20:21], v[6:7], v[22:23]
	v_mov_b32_e32 v24, v6
	v_sub_f32_e32 v23, v21, v23
	v_sub_f32_e32 v23, v7, v23
	v_add_f32_e32 v25, v25, v23
	v_pk_add_f32 v[6:7], v[20:21], v[6:7] neg_lo:[0,1] neg_hi:[0,1]
	v_pk_add_f32 v[26:27], v[20:21], v[24:25]
	v_mov_b32_e32 v23, v20
	v_mov_b32_e32 v7, v27
	v_pk_add_f32 v[66:67], v[22:23], v[6:7] neg_lo:[0,1] neg_hi:[0,1]
	v_pk_add_f32 v[6:7], v[22:23], v[6:7]
	v_mov_b32_e32 v24, v25
	v_mov_b32_e32 v22, v7
	v_pk_add_f32 v[68:69], v[22:23], v[20:21] neg_lo:[0,1] neg_hi:[0,1]
	v_mov_b32_e32 v6, v27
	v_mov_b32_e32 v23, v68
	v_pk_add_f32 v[98:99], v[26:27], v[22:23] neg_lo:[0,1] neg_hi:[0,1]
	v_mov_b32_e32 v26, v21
	v_mov_b32_e32 v27, v68
	;; [unrolled: 1-line block ×3, first 2 shown]
	v_pk_add_f32 v[6:7], v[6:7], v[26:27] neg_lo:[0,1] neg_hi:[0,1]
	v_mov_b32_e32 v25, v20
	v_pk_add_f32 v[6:7], v[24:25], v[6:7] neg_lo:[0,1] neg_hi:[0,1]
	v_mov_b32_e32 v98, v66
	v_pk_add_f32 v[20:21], v[98:99], v[6:7]
	s_mov_b32 s4, 0x33800000
	v_mov_b32_e32 v24, v21
	v_pk_add_f32 v[24:25], v[20:21], v[24:25]
	v_cmp_lt_f32_e64 s[6:7], |v70|, s4
	v_pk_add_f32 v[22:23], v[22:23], v[24:25]
	v_mov_b32_e32 v7, v24
	v_mov_b32_e32 v21, v22
	v_pk_add_f32 v[26:27], v[20:21], v[66:67] neg_lo:[0,1] neg_hi:[0,1]
	s_or_b64 vcc, vcc, s[6:7]
	v_sub_f32_e32 v20, v20, v26
	v_pk_add_f32 v[6:7], v[6:7], v[26:27] neg_lo:[0,1] neg_hi:[0,1]
	v_sub_f32_e32 v20, v66, v20
	v_add_f32_e32 v6, v6, v20
	v_add_f32_e32 v6, v6, v7
	;; [unrolled: 1-line block ×3, first 2 shown]
	v_cndmask_b32_e32 v6, v6, v70, vcc
	v_add_f32_e32 v6, v3, v6
.LBB479_396:
	s_or_b64 exec, exec, s[2:3]
	v_bfe_u32 v3, v6, 16, 1
	v_add3_u32 v3, v6, v3, s5
	v_lshrrev_b32_e32 v3, 16, v3
	v_cmp_o_f32_e32 vcc, v6, v6
	s_movk_i32 s4, 0x1f8
	s_nop 0
	v_cndmask_b32_e32 v66, v2, v3, vcc
	v_lshlrev_b32_e32 v3, 16, v66
	v_max_f32_e32 v2, v3, v3
	v_min_f32_e32 v6, v2, v81
	v_cmp_u_f32_e32 vcc, v3, v3
	v_max_f32_e32 v2, v2, v81
	s_nop 0
	v_cndmask_b32_e32 v6, v6, v3, vcc
	v_cndmask_b32_e32 v2, v2, v3, vcc
	v_cndmask_b32_e64 v6, v6, v16, s[36:37]
	v_cndmask_b32_e64 v2, v2, v16, s[36:37]
	v_cmp_neq_f32_e32 vcc, v6, v2
	v_cmp_class_f32_e64 s[2:3], v6, s4
	s_or_b64 s[6:7], vcc, s[2:3]
	s_and_saveexec_b64 s[2:3], s[6:7]
	s_cbranch_execz .LBB479_398
; %bb.397:
	v_sub_f32_e32 v3, v6, v2
	s_mov_b32 s5, 0x3fb8aa3b
	v_mul_f32_e32 v6, 0x3fb8aa3b, v3
	v_fma_f32 v7, v3, s5, -v6
	v_rndne_f32_e32 v16, v6
	v_fmamk_f32 v7, v3, 0x32a5705f, v7
	v_sub_f32_e32 v6, v6, v16
	v_add_f32_e32 v6, v6, v7
	v_exp_f32_e32 v6, v6
	v_cvt_i32_f32_e32 v7, v16
	s_mov_b32 s5, 0xc2ce8ed0
	v_cmp_ngt_f32_e32 vcc, s5, v3
	s_mov_b32 s5, 0x42b17218
	v_ldexp_f32 v6, v6, v7
	v_cndmask_b32_e32 v6, 0, v6, vcc
	v_mov_b32_e32 v7, 0x7f800000
	v_cmp_nlt_f32_e32 vcc, s5, v3
	s_mov_b32 s5, 0x3f2aaaab
	s_mov_b32 s6, 0x7f800000
	v_cndmask_b32_e32 v67, v7, v6, vcc
	v_add_f32_e32 v3, 1.0, v67
	v_add_f32_e32 v6, -1.0, v3
	v_sub_f32_e32 v7, v6, v3
	v_add_f32_e32 v7, 1.0, v7
	v_sub_f32_e32 v6, v67, v6
	v_add_f32_e32 v16, v6, v7
	v_frexp_mant_f32_e32 v20, v3
	v_cvt_f64_f32_e32 v[6:7], v3
	v_frexp_exp_i32_f64_e32 v6, v[6:7]
	v_cmp_gt_f32_e32 vcc, s5, v20
	s_mov_b32 s5, 0x3f317218
	s_nop 0
	v_subbrev_co_u32_e32 v26, vcc, 0, v6, vcc
	v_sub_u32_e32 v6, 0, v26
	v_ldexp_f32 v3, v3, v6
	v_ldexp_f32 v6, v16, v6
	v_add_f32_e32 v16, -1.0, v3
	v_add_f32_e32 v7, 1.0, v16
	v_sub_f32_e32 v7, v3, v7
	v_add_f32_e32 v20, v6, v7
	v_add_f32_e32 v7, 1.0, v3
	v_add_f32_e32 v21, -1.0, v7
	v_sub_f32_e32 v3, v3, v21
	v_add_f32_e32 v3, v6, v3
	v_add_f32_e32 v27, v7, v3
	v_rcp_f32_e32 v68, v27
	v_sub_f32_e32 v6, v7, v27
	v_add_f32_e32 v7, v16, v20
	v_add_f32_e32 v3, v3, v6
	v_sub_f32_e32 v6, v16, v7
	v_mul_f32_e32 v69, v7, v68
	v_add_f32_e32 v16, v20, v6
	v_mul_f32_e32 v20, v27, v69
	v_fma_f32 v22, v69, v27, -v20
	v_fmac_f32_e32 v22, v69, v3
	v_add_f32_e32 v6, v20, v22
	v_sub_f32_e32 v21, v7, v6
	v_pk_add_f32 v[24:25], v[6:7], v[20:21] neg_lo:[0,1] neg_hi:[0,1]
	v_mov_b32_e32 v23, v6
	v_pk_add_f32 v[6:7], v[24:25], v[22:23] neg_lo:[0,1] neg_hi:[0,1]
	v_cmp_eq_f32_e32 vcc, s6, v67
	v_add_f32_e32 v7, v16, v7
	v_add_f32_e32 v6, v6, v7
	;; [unrolled: 1-line block ×3, first 2 shown]
	v_mul_f32_e32 v16, v68, v7
	v_mul_f32_e32 v20, v27, v16
	v_fma_f32 v22, v16, v27, -v20
	v_fmac_f32_e32 v22, v16, v3
	v_sub_f32_e32 v3, v21, v7
	v_add_f32_e32 v3, v6, v3
	v_add_f32_e32 v6, v20, v22
	v_sub_f32_e32 v21, v7, v6
	v_pk_add_f32 v[24:25], v[6:7], v[20:21] neg_lo:[0,1] neg_hi:[0,1]
	v_mov_b32_e32 v23, v6
	v_pk_add_f32 v[6:7], v[24:25], v[22:23] neg_lo:[0,1] neg_hi:[0,1]
	v_cvt_f32_i32_e32 v20, v26
	v_add_f32_e32 v3, v3, v7
	v_add_f32_e32 v3, v6, v3
	;; [unrolled: 1-line block ×4, first 2 shown]
	v_sub_f32_e32 v7, v6, v69
	v_mul_f32_e32 v3, v68, v3
	v_sub_f32_e32 v7, v16, v7
	v_add_f32_e32 v3, v7, v3
	v_add_f32_e32 v16, v6, v3
	v_mul_f32_e32 v21, v16, v16
	v_mov_b32_e32 v7, 0x3ecc95a3
	v_fmac_f32_e32 v7, 0x3e9b6dac, v21
	v_sub_f32_e32 v6, v16, v6
	v_fmaak_f32 v7, v21, v7, 0x3f2aaada
	v_sub_f32_e32 v3, v3, v6
	v_mul_f32_e32 v21, v16, v21
	v_mov_b32_e32 v6, 0x3f317218
	v_pk_mul_f32 v[6:7], v[20:21], v[6:7]
	v_ldexp_f32 v23, v16, 1
	v_fma_f32 v16, v20, s5, -v6
	v_fmamk_f32 v22, v20, 0xb102e308, v16
	v_pk_add_f32 v[20:21], v[6:7], v[22:23]
	v_ldexp_f32 v3, v3, 1
	v_sub_f32_e32 v16, v21, v23
	v_sub_f32_e32 v16, v7, v16
	v_add_f32_e32 v25, v3, v16
	v_mov_b32_e32 v24, v6
	v_pk_add_f32 v[6:7], v[20:21], v[6:7] neg_lo:[0,1] neg_hi:[0,1]
	v_pk_add_f32 v[26:27], v[20:21], v[24:25]
	v_mov_b32_e32 v23, v20
	v_mov_b32_e32 v7, v27
	v_pk_add_f32 v[68:69], v[22:23], v[6:7] neg_lo:[0,1] neg_hi:[0,1]
	v_pk_add_f32 v[6:7], v[22:23], v[6:7]
	s_mov_b32 s5, 0x33800000
	v_mov_b32_e32 v16, v7
	v_pk_add_f32 v[22:23], v[16:17], v[20:21] neg_lo:[0,1] neg_hi:[0,1]
	v_mov_b32_e32 v6, v27
	v_mov_b32_e32 v3, v22
	v_pk_add_f32 v[80:81], v[26:27], v[2:3] neg_lo:[0,1] neg_hi:[0,1]
	v_mov_b32_e32 v26, v21
	v_mov_b32_e32 v27, v22
	;; [unrolled: 1-line block ×3, first 2 shown]
	v_pk_add_f32 v[6:7], v[6:7], v[26:27] neg_lo:[0,1] neg_hi:[0,1]
	v_mov_b32_e32 v22, v25
	v_mov_b32_e32 v23, v20
	v_pk_add_f32 v[6:7], v[22:23], v[6:7] neg_lo:[0,1] neg_hi:[0,1]
	v_mov_b32_e32 v80, v68
	v_pk_add_f32 v[20:21], v[80:81], v[6:7]
	v_cmp_lt_f32_e64 s[6:7], |v67|, s5
	v_mov_b32_e32 v22, v21
	v_pk_add_f32 v[22:23], v[20:21], v[22:23]
	s_or_b64 vcc, vcc, s[6:7]
	v_pk_add_f32 v[24:25], v[16:17], v[22:23]
	v_mov_b32_e32 v7, v22
	v_mov_b32_e32 v21, v24
	v_pk_add_f32 v[26:27], v[20:21], v[68:69] neg_lo:[0,1] neg_hi:[0,1]
	s_nop 0
	v_sub_f32_e32 v3, v20, v26
	v_pk_add_f32 v[6:7], v[6:7], v[26:27] neg_lo:[0,1] neg_hi:[0,1]
	v_sub_f32_e32 v3, v68, v3
	v_add_f32_e32 v3, v6, v3
	v_add_f32_e32 v3, v3, v7
	;; [unrolled: 1-line block ×3, first 2 shown]
	v_cndmask_b32_e32 v3, v3, v67, vcc
	v_add_f32_e32 v3, v2, v3
.LBB479_398:
	s_or_b64 exec, exec, s[2:3]
	v_bfe_u32 v2, v3, 16, 1
	s_movk_i32 s5, 0x7fff
	v_add3_u32 v2, v3, v2, s5
	v_lshrrev_b32_e32 v6, 16, v2
	v_mov_b32_e32 v2, 0x7fc0
	v_cmp_o_f32_e32 vcc, v3, v3
	s_nop 1
	v_cndmask_b32_e32 v67, v2, v6, vcc
	v_lshlrev_b32_e32 v6, 16, v67
	v_max_f32_e32 v3, v6, v6
	v_min_f32_e32 v7, v3, v83
	v_cmp_u_f32_e32 vcc, v6, v6
	v_max_f32_e32 v3, v3, v83
	s_nop 0
	v_cndmask_b32_e32 v7, v7, v6, vcc
	v_cndmask_b32_e32 v3, v3, v6, vcc
	v_cndmask_b32_e64 v7, v7, v71, s[38:39]
	v_cndmask_b32_e64 v3, v3, v71, s[38:39]
	v_cmp_neq_f32_e32 vcc, v7, v3
	v_cmp_class_f32_e64 s[2:3], v7, s4
	s_or_b64 s[6:7], vcc, s[2:3]
	s_and_saveexec_b64 s[2:3], s[6:7]
	s_cbranch_execz .LBB479_400
; %bb.399:
	v_sub_f32_e32 v6, v7, v3
	s_mov_b32 s4, 0x3fb8aa3b
	v_mul_f32_e32 v7, 0x3fb8aa3b, v6
	v_fma_f32 v16, v6, s4, -v7
	v_rndne_f32_e32 v20, v7
	v_fmamk_f32 v16, v6, 0x32a5705f, v16
	v_sub_f32_e32 v7, v7, v20
	v_add_f32_e32 v7, v7, v16
	v_exp_f32_e32 v7, v7
	v_cvt_i32_f32_e32 v16, v20
	s_mov_b32 s4, 0xc2ce8ed0
	v_cmp_ngt_f32_e32 vcc, s4, v6
	s_mov_b32 s4, 0x42b17218
	v_ldexp_f32 v7, v7, v16
	v_cndmask_b32_e32 v7, 0, v7, vcc
	v_mov_b32_e32 v16, 0x7f800000
	v_cmp_nlt_f32_e32 vcc, s4, v6
	s_mov_b32 s4, 0x3f2aaaab
	s_mov_b32 s6, 0x7f800000
	v_cndmask_b32_e32 v80, v16, v7, vcc
	v_add_f32_e32 v16, 1.0, v80
	v_add_f32_e32 v6, -1.0, v16
	v_sub_f32_e32 v7, v6, v16
	v_add_f32_e32 v7, 1.0, v7
	v_sub_f32_e32 v6, v80, v6
	v_add_f32_e32 v20, v6, v7
	v_frexp_mant_f32_e32 v21, v16
	v_cvt_f64_f32_e32 v[6:7], v16
	v_frexp_exp_i32_f64_e32 v6, v[6:7]
	v_cmp_gt_f32_e32 vcc, s4, v21
	s_mov_b32 s4, 0x3f317218
	s_nop 0
	v_subbrev_co_u32_e32 v26, vcc, 0, v6, vcc
	v_sub_u32_e32 v6, 0, v26
	v_ldexp_f32 v7, v16, v6
	v_add_f32_e32 v16, -1.0, v7
	v_add_f32_e32 v21, 1.0, v7
	v_ldexp_f32 v6, v20, v6
	v_add_f32_e32 v20, 1.0, v16
	v_add_f32_e32 v22, -1.0, v21
	v_sub_f32_e32 v20, v7, v20
	v_sub_f32_e32 v7, v7, v22
	v_add_f32_e32 v20, v6, v20
	v_add_f32_e32 v6, v6, v7
	;; [unrolled: 1-line block ×3, first 2 shown]
	v_rcp_f32_e32 v69, v27
	v_sub_f32_e32 v7, v21, v27
	v_add_f32_e32 v68, v6, v7
	v_add_f32_e32 v7, v16, v20
	v_sub_f32_e32 v6, v16, v7
	v_mul_f32_e32 v70, v7, v69
	v_add_f32_e32 v16, v20, v6
	v_mul_f32_e32 v20, v27, v70
	v_fma_f32 v22, v70, v27, -v20
	v_fmac_f32_e32 v22, v70, v68
	v_add_f32_e32 v6, v20, v22
	v_sub_f32_e32 v21, v7, v6
	v_pk_add_f32 v[24:25], v[6:7], v[20:21] neg_lo:[0,1] neg_hi:[0,1]
	v_mov_b32_e32 v23, v6
	v_pk_add_f32 v[6:7], v[24:25], v[22:23] neg_lo:[0,1] neg_hi:[0,1]
	v_cmp_eq_f32_e32 vcc, s6, v80
	v_add_f32_e32 v7, v16, v7
	v_add_f32_e32 v6, v6, v7
	;; [unrolled: 1-line block ×3, first 2 shown]
	v_mul_f32_e32 v16, v69, v7
	v_mul_f32_e32 v20, v27, v16
	v_fma_f32 v22, v16, v27, -v20
	v_fmac_f32_e32 v22, v16, v68
	v_sub_f32_e32 v21, v21, v7
	v_add_f32_e32 v27, v6, v21
	v_add_f32_e32 v6, v20, v22
	v_sub_f32_e32 v21, v7, v6
	v_pk_add_f32 v[24:25], v[6:7], v[20:21] neg_lo:[0,1] neg_hi:[0,1]
	v_mov_b32_e32 v23, v6
	v_pk_add_f32 v[6:7], v[24:25], v[22:23] neg_lo:[0,1] neg_hi:[0,1]
	v_cvt_f32_i32_e32 v20, v26
	v_add_f32_e32 v7, v27, v7
	v_add_f32_e32 v6, v6, v7
	;; [unrolled: 1-line block ×4, first 2 shown]
	v_sub_f32_e32 v7, v21, v70
	v_mul_f32_e32 v6, v69, v6
	v_sub_f32_e32 v7, v16, v7
	v_add_f32_e32 v6, v7, v6
	v_add_f32_e32 v16, v21, v6
	v_mul_f32_e32 v22, v16, v16
	v_mov_b32_e32 v7, 0x3ecc95a3
	v_sub_f32_e32 v21, v16, v21
	v_fmac_f32_e32 v7, 0x3e9b6dac, v22
	v_sub_f32_e32 v6, v6, v21
	v_fmaak_f32 v7, v22, v7, 0x3f2aaada
	v_ldexp_f32 v24, v6, 1
	v_mul_f32_e32 v21, v16, v22
	v_mov_b32_e32 v6, 0x3f317218
	v_pk_mul_f32 v[6:7], v[20:21], v[6:7]
	v_ldexp_f32 v23, v16, 1
	v_fma_f32 v16, v20, s4, -v6
	v_fmamk_f32 v22, v20, 0xb102e308, v16
	v_pk_add_f32 v[20:21], v[6:7], v[22:23]
	s_mov_b32 s4, 0x33800000
	v_sub_f32_e32 v16, v21, v23
	v_sub_f32_e32 v16, v7, v16
	v_add_f32_e32 v25, v24, v16
	v_mov_b32_e32 v24, v6
	v_pk_add_f32 v[6:7], v[20:21], v[6:7] neg_lo:[0,1] neg_hi:[0,1]
	v_pk_add_f32 v[26:27], v[20:21], v[24:25]
	v_mov_b32_e32 v23, v20
	v_mov_b32_e32 v7, v27
	v_pk_add_f32 v[68:69], v[22:23], v[6:7] neg_lo:[0,1] neg_hi:[0,1]
	v_pk_add_f32 v[6:7], v[22:23], v[6:7]
	v_cmp_lt_f32_e64 s[6:7], |v80|, s4
	v_mov_b32_e32 v16, v7
	v_pk_add_f32 v[22:23], v[16:17], v[20:21] neg_lo:[0,1] neg_hi:[0,1]
	v_mov_b32_e32 v6, v27
	v_mov_b32_e32 v23, v22
	v_pk_add_f32 v[70:71], v[26:27], v[22:23] neg_lo:[0,1] neg_hi:[0,1]
	v_mov_b32_e32 v26, v21
	v_mov_b32_e32 v27, v22
	;; [unrolled: 1-line block ×3, first 2 shown]
	v_pk_add_f32 v[6:7], v[6:7], v[26:27] neg_lo:[0,1] neg_hi:[0,1]
	v_mov_b32_e32 v22, v25
	v_mov_b32_e32 v23, v20
	v_pk_add_f32 v[6:7], v[22:23], v[6:7] neg_lo:[0,1] neg_hi:[0,1]
	v_mov_b32_e32 v70, v68
	v_pk_add_f32 v[20:21], v[70:71], v[6:7]
	s_or_b64 vcc, vcc, s[6:7]
	v_mov_b32_e32 v22, v21
	v_pk_add_f32 v[22:23], v[20:21], v[22:23]
	s_nop 0
	v_pk_add_f32 v[24:25], v[16:17], v[22:23]
	v_mov_b32_e32 v7, v22
	v_mov_b32_e32 v21, v24
	v_pk_add_f32 v[26:27], v[20:21], v[68:69] neg_lo:[0,1] neg_hi:[0,1]
	s_nop 0
	v_sub_f32_e32 v16, v20, v26
	v_pk_add_f32 v[6:7], v[6:7], v[26:27] neg_lo:[0,1] neg_hi:[0,1]
	v_sub_f32_e32 v16, v68, v16
	v_add_f32_e32 v6, v6, v16
	v_add_f32_e32 v6, v6, v7
	;; [unrolled: 1-line block ×3, first 2 shown]
	v_cndmask_b32_e32 v6, v6, v80, vcc
	v_add_f32_e32 v6, v3, v6
.LBB479_400:
	s_or_b64 exec, exec, s[2:3]
	v_bfe_u32 v3, v6, 16, 1
	v_add3_u32 v3, v6, v3, s5
	v_lshrrev_b32_e32 v3, 16, v3
	v_cmp_o_f32_e32 vcc, v6, v6
	s_movk_i32 s4, 0x1f8
	s_nop 0
	v_cndmask_b32_e32 v68, v2, v3, vcc
	v_lshlrev_b32_e32 v3, 16, v68
	v_max_f32_e32 v2, v3, v3
	v_min_f32_e32 v6, v2, v84
	v_cmp_u_f32_e32 vcc, v3, v3
	v_max_f32_e32 v2, v2, v84
	s_nop 0
	v_cndmask_b32_e32 v6, v6, v3, vcc
	v_cndmask_b32_e32 v2, v2, v3, vcc
	v_cndmask_b32_e64 v6, v6, v17, s[40:41]
	v_cndmask_b32_e64 v2, v2, v17, s[40:41]
	v_cmp_neq_f32_e32 vcc, v6, v2
	v_cmp_class_f32_e64 s[2:3], v6, s4
	s_or_b64 s[6:7], vcc, s[2:3]
	s_and_saveexec_b64 s[2:3], s[6:7]
	s_cbranch_execz .LBB479_402
; %bb.401:
	v_sub_f32_e32 v3, v6, v2
	s_mov_b32 s5, 0x3fb8aa3b
	v_mul_f32_e32 v6, 0x3fb8aa3b, v3
	v_fma_f32 v7, v3, s5, -v6
	v_rndne_f32_e32 v16, v6
	v_fmamk_f32 v7, v3, 0x32a5705f, v7
	v_sub_f32_e32 v6, v6, v16
	v_add_f32_e32 v6, v6, v7
	v_exp_f32_e32 v6, v6
	v_cvt_i32_f32_e32 v7, v16
	s_mov_b32 s5, 0xc2ce8ed0
	v_cmp_ngt_f32_e32 vcc, s5, v3
	s_mov_b32 s5, 0x42b17218
	v_ldexp_f32 v6, v6, v7
	v_cndmask_b32_e32 v6, 0, v6, vcc
	v_mov_b32_e32 v7, 0x7f800000
	v_cmp_nlt_f32_e32 vcc, s5, v3
	s_mov_b32 s5, 0x3f2aaaab
	s_mov_b32 s6, 0x7f800000
	v_cndmask_b32_e32 v69, v7, v6, vcc
	v_add_f32_e32 v3, 1.0, v69
	v_add_f32_e32 v6, -1.0, v3
	v_sub_f32_e32 v7, v6, v3
	v_add_f32_e32 v7, 1.0, v7
	v_sub_f32_e32 v6, v69, v6
	v_add_f32_e32 v16, v6, v7
	v_frexp_mant_f32_e32 v17, v3
	v_cvt_f64_f32_e32 v[6:7], v3
	v_frexp_exp_i32_f64_e32 v6, v[6:7]
	v_cmp_gt_f32_e32 vcc, s5, v17
	s_mov_b32 s5, 0x3f317218
	s_nop 0
	v_subbrev_co_u32_e32 v24, vcc, 0, v6, vcc
	v_sub_u32_e32 v6, 0, v24
	v_ldexp_f32 v3, v3, v6
	v_ldexp_f32 v6, v16, v6
	v_add_f32_e32 v16, -1.0, v3
	v_add_f32_e32 v7, 1.0, v16
	v_sub_f32_e32 v7, v3, v7
	v_add_f32_e32 v17, v6, v7
	v_add_f32_e32 v7, 1.0, v3
	v_add_f32_e32 v20, -1.0, v7
	v_sub_f32_e32 v3, v3, v20
	v_add_f32_e32 v3, v6, v3
	v_add_f32_e32 v25, v7, v3
	v_rcp_f32_e32 v26, v25
	v_sub_f32_e32 v6, v7, v25
	v_add_f32_e32 v7, v16, v17
	v_add_f32_e32 v3, v3, v6
	v_mul_f32_e32 v70, v7, v26
	v_sub_f32_e32 v6, v16, v7
	v_mul_f32_e32 v16, v25, v70
	v_fma_f32 v20, v70, v25, -v16
	v_fmac_f32_e32 v20, v70, v3
	v_add_f32_e32 v27, v17, v6
	v_add_f32_e32 v6, v16, v20
	v_sub_f32_e32 v17, v7, v6
	v_pk_add_f32 v[22:23], v[6:7], v[16:17] neg_lo:[0,1] neg_hi:[0,1]
	v_mov_b32_e32 v21, v6
	v_pk_add_f32 v[6:7], v[22:23], v[20:21] neg_lo:[0,1] neg_hi:[0,1]
	v_cmp_eq_f32_e32 vcc, s6, v69
	v_add_f32_e32 v7, v27, v7
	v_add_f32_e32 v6, v6, v7
	;; [unrolled: 1-line block ×3, first 2 shown]
	v_mul_f32_e32 v27, v26, v7
	v_mul_f32_e32 v16, v25, v27
	v_fma_f32 v20, v27, v25, -v16
	v_fmac_f32_e32 v20, v27, v3
	v_sub_f32_e32 v3, v17, v7
	v_add_f32_e32 v3, v6, v3
	v_add_f32_e32 v6, v16, v20
	v_sub_f32_e32 v17, v7, v6
	v_pk_add_f32 v[22:23], v[6:7], v[16:17] neg_lo:[0,1] neg_hi:[0,1]
	v_mov_b32_e32 v21, v6
	v_pk_add_f32 v[6:7], v[22:23], v[20:21] neg_lo:[0,1] neg_hi:[0,1]
	v_cvt_f32_i32_e32 v16, v24
	v_add_f32_e32 v3, v3, v7
	v_add_f32_e32 v3, v6, v3
	v_add_f32_e32 v6, v70, v27
	v_add_f32_e32 v3, v17, v3
	v_sub_f32_e32 v7, v6, v70
	v_mul_f32_e32 v3, v26, v3
	v_sub_f32_e32 v7, v27, v7
	v_add_f32_e32 v3, v7, v3
	v_add_f32_e32 v17, v6, v3
	v_mul_f32_e32 v20, v17, v17
	v_mov_b32_e32 v7, 0x3ecc95a3
	v_fmac_f32_e32 v7, 0x3e9b6dac, v20
	v_sub_f32_e32 v6, v17, v6
	v_fmaak_f32 v7, v20, v7, 0x3f2aaada
	v_sub_f32_e32 v3, v3, v6
	v_ldexp_f32 v21, v17, 1
	v_mul_f32_e32 v17, v17, v20
	v_mov_b32_e32 v6, 0x3f317218
	v_pk_mul_f32 v[6:7], v[16:17], v[6:7]
	v_ldexp_f32 v3, v3, 1
	v_fma_f32 v17, v16, s5, -v6
	v_fmamk_f32 v20, v16, 0xb102e308, v17
	v_pk_add_f32 v[16:17], v[6:7], v[20:21]
	v_mov_b32_e32 v22, v6
	v_sub_f32_e32 v21, v17, v21
	v_sub_f32_e32 v21, v7, v21
	v_add_f32_e32 v23, v3, v21
	v_pk_add_f32 v[6:7], v[16:17], v[6:7] neg_lo:[0,1] neg_hi:[0,1]
	v_pk_add_f32 v[24:25], v[16:17], v[22:23]
	v_mov_b32_e32 v21, v16
	v_mov_b32_e32 v7, v25
	v_pk_add_f32 v[26:27], v[20:21], v[6:7] neg_lo:[0,1] neg_hi:[0,1]
	v_pk_add_f32 v[6:7], v[20:21], v[6:7]
	v_mov_b32_e32 v22, v23
	v_mov_b32_e32 v20, v7
	v_pk_add_f32 v[70:71], v[20:21], v[16:17] neg_lo:[0,1] neg_hi:[0,1]
	v_mov_b32_e32 v6, v25
	v_mov_b32_e32 v3, v70
	v_pk_add_f32 v[80:81], v[24:25], v[2:3] neg_lo:[0,1] neg_hi:[0,1]
	v_mov_b32_e32 v24, v17
	v_mov_b32_e32 v25, v70
	;; [unrolled: 1-line block ×3, first 2 shown]
	v_pk_add_f32 v[6:7], v[6:7], v[24:25] neg_lo:[0,1] neg_hi:[0,1]
	v_mov_b32_e32 v23, v16
	v_pk_add_f32 v[6:7], v[22:23], v[6:7] neg_lo:[0,1] neg_hi:[0,1]
	v_mov_b32_e32 v80, v26
	v_pk_add_f32 v[16:17], v[80:81], v[6:7]
	s_mov_b32 s5, 0x33800000
	v_mov_b32_e32 v22, v17
	v_pk_add_f32 v[22:23], v[16:17], v[22:23]
	v_cmp_lt_f32_e64 s[6:7], |v69|, s5
	v_pk_add_f32 v[20:21], v[20:21], v[22:23]
	v_mov_b32_e32 v7, v22
	v_mov_b32_e32 v17, v20
	v_pk_add_f32 v[24:25], v[16:17], v[26:27] neg_lo:[0,1] neg_hi:[0,1]
	s_or_b64 vcc, vcc, s[6:7]
	v_sub_f32_e32 v3, v16, v24
	v_pk_add_f32 v[6:7], v[6:7], v[24:25] neg_lo:[0,1] neg_hi:[0,1]
	v_sub_f32_e32 v3, v26, v3
	v_add_f32_e32 v3, v6, v3
	v_add_f32_e32 v3, v3, v7
	;; [unrolled: 1-line block ×3, first 2 shown]
	v_cndmask_b32_e32 v3, v3, v69, vcc
	v_add_f32_e32 v3, v2, v3
.LBB479_402:
	s_or_b64 exec, exec, s[2:3]
	v_bfe_u32 v2, v3, 16, 1
	s_movk_i32 s5, 0x7fff
	v_add3_u32 v2, v3, v2, s5
	v_lshrrev_b32_e32 v6, 16, v2
	v_mov_b32_e32 v2, 0x7fc0
	v_cmp_o_f32_e32 vcc, v3, v3
	s_nop 1
	v_cndmask_b32_e32 v69, v2, v6, vcc
	v_lshlrev_b32_e32 v6, 16, v69
	v_max_f32_e32 v3, v6, v6
	v_min_f32_e32 v7, v3, v86
	v_cmp_u_f32_e32 vcc, v6, v6
	v_max_f32_e32 v3, v3, v86
	s_nop 0
	v_cndmask_b32_e32 v7, v7, v6, vcc
	v_cndmask_b32_e32 v3, v3, v6, vcc
	v_cndmask_b32_e64 v7, v7, v82, s[42:43]
	v_cndmask_b32_e64 v3, v3, v82, s[42:43]
	v_cmp_neq_f32_e32 vcc, v7, v3
	v_cmp_class_f32_e64 s[2:3], v7, s4
	s_or_b64 s[6:7], vcc, s[2:3]
	s_and_saveexec_b64 s[2:3], s[6:7]
	s_cbranch_execz .LBB479_404
; %bb.403:
	v_sub_f32_e32 v6, v7, v3
	s_mov_b32 s4, 0x3fb8aa3b
	v_mul_f32_e32 v7, 0x3fb8aa3b, v6
	v_fma_f32 v16, v6, s4, -v7
	v_rndne_f32_e32 v17, v7
	v_fmamk_f32 v16, v6, 0x32a5705f, v16
	v_sub_f32_e32 v7, v7, v17
	v_add_f32_e32 v7, v7, v16
	v_exp_f32_e32 v7, v7
	v_cvt_i32_f32_e32 v16, v17
	s_mov_b32 s4, 0xc2ce8ed0
	v_cmp_ngt_f32_e32 vcc, s4, v6
	s_mov_b32 s4, 0x42b17218
	v_ldexp_f32 v7, v7, v16
	v_cndmask_b32_e32 v7, 0, v7, vcc
	v_mov_b32_e32 v16, 0x7f800000
	v_cmp_nlt_f32_e32 vcc, s4, v6
	s_mov_b32 s4, 0x3f2aaaab
	s_mov_b32 s6, 0x7f800000
	v_cndmask_b32_e32 v82, v16, v7, vcc
	v_add_f32_e32 v16, 1.0, v82
	v_add_f32_e32 v6, -1.0, v16
	v_sub_f32_e32 v7, v6, v16
	v_add_f32_e32 v7, 1.0, v7
	v_sub_f32_e32 v6, v82, v6
	v_add_f32_e32 v17, v6, v7
	v_frexp_mant_f32_e32 v20, v16
	v_cvt_f64_f32_e32 v[6:7], v16
	v_frexp_exp_i32_f64_e32 v6, v[6:7]
	v_cmp_gt_f32_e32 vcc, s4, v20
	s_mov_b32 s4, 0x3f317218
	s_nop 0
	v_subbrev_co_u32_e32 v24, vcc, 0, v6, vcc
	v_sub_u32_e32 v6, 0, v24
	v_ldexp_f32 v7, v16, v6
	v_add_f32_e32 v16, -1.0, v7
	v_add_f32_e32 v20, 1.0, v7
	v_ldexp_f32 v6, v17, v6
	v_add_f32_e32 v17, 1.0, v16
	v_add_f32_e32 v21, -1.0, v20
	v_sub_f32_e32 v17, v7, v17
	v_sub_f32_e32 v7, v7, v21
	v_add_f32_e32 v17, v6, v17
	v_add_f32_e32 v6, v6, v7
	;; [unrolled: 1-line block ×3, first 2 shown]
	v_rcp_f32_e32 v27, v25
	v_sub_f32_e32 v7, v20, v25
	v_add_f32_e32 v26, v6, v7
	v_add_f32_e32 v7, v16, v17
	v_mul_f32_e32 v71, v7, v27
	v_sub_f32_e32 v6, v16, v7
	v_mul_f32_e32 v16, v25, v71
	v_fma_f32 v20, v71, v25, -v16
	v_fmac_f32_e32 v20, v71, v26
	v_add_f32_e32 v70, v17, v6
	v_add_f32_e32 v6, v16, v20
	v_sub_f32_e32 v17, v7, v6
	v_pk_add_f32 v[22:23], v[6:7], v[16:17] neg_lo:[0,1] neg_hi:[0,1]
	v_mov_b32_e32 v21, v6
	v_pk_add_f32 v[6:7], v[22:23], v[20:21] neg_lo:[0,1] neg_hi:[0,1]
	v_cmp_eq_f32_e32 vcc, s6, v82
	v_add_f32_e32 v7, v70, v7
	v_add_f32_e32 v6, v6, v7
	;; [unrolled: 1-line block ×3, first 2 shown]
	v_mul_f32_e32 v70, v27, v7
	v_mul_f32_e32 v16, v25, v70
	v_fma_f32 v20, v70, v25, -v16
	v_fmac_f32_e32 v20, v70, v26
	v_sub_f32_e32 v17, v17, v7
	v_add_f32_e32 v25, v6, v17
	v_add_f32_e32 v6, v16, v20
	v_sub_f32_e32 v17, v7, v6
	v_pk_add_f32 v[22:23], v[6:7], v[16:17] neg_lo:[0,1] neg_hi:[0,1]
	v_mov_b32_e32 v21, v6
	v_pk_add_f32 v[6:7], v[22:23], v[20:21] neg_lo:[0,1] neg_hi:[0,1]
	v_cvt_f32_i32_e32 v16, v24
	v_add_f32_e32 v7, v25, v7
	v_add_f32_e32 v6, v6, v7
	;; [unrolled: 1-line block ×4, first 2 shown]
	v_sub_f32_e32 v7, v17, v71
	v_mul_f32_e32 v6, v27, v6
	v_sub_f32_e32 v7, v70, v7
	v_add_f32_e32 v6, v7, v6
	v_add_f32_e32 v20, v17, v6
	v_mul_f32_e32 v22, v20, v20
	v_mov_b32_e32 v7, 0x3ecc95a3
	v_sub_f32_e32 v17, v20, v17
	v_fmac_f32_e32 v7, 0x3e9b6dac, v22
	v_sub_f32_e32 v6, v6, v17
	v_fmaak_f32 v7, v22, v7, 0x3f2aaada
	v_ldexp_f32 v23, v6, 1
	v_mul_f32_e32 v17, v20, v22
	v_mov_b32_e32 v6, 0x3f317218
	v_pk_mul_f32 v[6:7], v[16:17], v[6:7]
	v_ldexp_f32 v21, v20, 1
	v_fma_f32 v17, v16, s4, -v6
	v_fmamk_f32 v20, v16, 0xb102e308, v17
	v_pk_add_f32 v[16:17], v[6:7], v[20:21]
	v_mov_b32_e32 v22, v6
	v_sub_f32_e32 v21, v17, v21
	v_sub_f32_e32 v21, v7, v21
	v_add_f32_e32 v23, v23, v21
	v_pk_add_f32 v[6:7], v[16:17], v[6:7] neg_lo:[0,1] neg_hi:[0,1]
	v_pk_add_f32 v[24:25], v[16:17], v[22:23]
	v_mov_b32_e32 v21, v16
	v_mov_b32_e32 v7, v25
	v_pk_add_f32 v[26:27], v[20:21], v[6:7] neg_lo:[0,1] neg_hi:[0,1]
	v_pk_add_f32 v[6:7], v[20:21], v[6:7]
	v_mov_b32_e32 v22, v23
	v_mov_b32_e32 v20, v7
	v_pk_add_f32 v[70:71], v[20:21], v[16:17] neg_lo:[0,1] neg_hi:[0,1]
	v_mov_b32_e32 v6, v25
	v_mov_b32_e32 v21, v70
	v_pk_add_f32 v[80:81], v[24:25], v[20:21] neg_lo:[0,1] neg_hi:[0,1]
	v_mov_b32_e32 v24, v17
	v_mov_b32_e32 v25, v70
	;; [unrolled: 1-line block ×3, first 2 shown]
	v_pk_add_f32 v[6:7], v[6:7], v[24:25] neg_lo:[0,1] neg_hi:[0,1]
	v_mov_b32_e32 v23, v16
	v_pk_add_f32 v[6:7], v[22:23], v[6:7] neg_lo:[0,1] neg_hi:[0,1]
	v_mov_b32_e32 v80, v26
	v_pk_add_f32 v[16:17], v[80:81], v[6:7]
	s_mov_b32 s4, 0x33800000
	v_mov_b32_e32 v22, v17
	v_pk_add_f32 v[22:23], v[16:17], v[22:23]
	v_cmp_lt_f32_e64 s[6:7], |v82|, s4
	v_pk_add_f32 v[20:21], v[20:21], v[22:23]
	v_mov_b32_e32 v7, v22
	v_mov_b32_e32 v17, v20
	v_pk_add_f32 v[24:25], v[16:17], v[26:27] neg_lo:[0,1] neg_hi:[0,1]
	s_or_b64 vcc, vcc, s[6:7]
	v_sub_f32_e32 v16, v16, v24
	v_pk_add_f32 v[6:7], v[6:7], v[24:25] neg_lo:[0,1] neg_hi:[0,1]
	v_sub_f32_e32 v16, v26, v16
	v_add_f32_e32 v6, v6, v16
	v_add_f32_e32 v6, v6, v7
	;; [unrolled: 1-line block ×3, first 2 shown]
	v_cndmask_b32_e32 v6, v6, v82, vcc
	v_add_f32_e32 v6, v3, v6
.LBB479_404:
	s_or_b64 exec, exec, s[2:3]
	v_bfe_u32 v3, v6, 16, 1
	v_add3_u32 v3, v6, v3, s5
	v_lshrrev_b32_e32 v3, 16, v3
	v_cmp_o_f32_e32 vcc, v6, v6
	s_movk_i32 s4, 0x1f8
	s_nop 0
	v_cndmask_b32_e32 v70, v2, v3, vcc
	v_lshlrev_b32_e32 v3, 16, v70
	v_max_f32_e32 v2, v3, v3
	v_min_f32_e32 v6, v2, v87
	v_cmp_u_f32_e32 vcc, v3, v3
	v_max_f32_e32 v2, v2, v87
	s_nop 0
	v_cndmask_b32_e32 v6, v6, v3, vcc
	v_cndmask_b32_e32 v2, v2, v3, vcc
	v_cndmask_b32_e64 v6, v6, v18, s[44:45]
	v_cndmask_b32_e64 v2, v2, v18, s[44:45]
	v_cmp_neq_f32_e32 vcc, v6, v2
	v_cmp_class_f32_e64 s[2:3], v6, s4
	s_or_b64 s[6:7], vcc, s[2:3]
	s_and_saveexec_b64 s[2:3], s[6:7]
	s_cbranch_execz .LBB479_406
; %bb.405:
	v_sub_f32_e32 v3, v6, v2
	s_mov_b32 s5, 0x3fb8aa3b
	v_mul_f32_e32 v6, 0x3fb8aa3b, v3
	v_fma_f32 v7, v3, s5, -v6
	v_rndne_f32_e32 v16, v6
	v_fmamk_f32 v7, v3, 0x32a5705f, v7
	v_sub_f32_e32 v6, v6, v16
	v_add_f32_e32 v6, v6, v7
	v_exp_f32_e32 v6, v6
	v_cvt_i32_f32_e32 v7, v16
	s_mov_b32 s5, 0xc2ce8ed0
	v_cmp_ngt_f32_e32 vcc, s5, v3
	s_mov_b32 s5, 0x42b17218
	v_ldexp_f32 v6, v6, v7
	v_cndmask_b32_e32 v6, 0, v6, vcc
	v_mov_b32_e32 v7, 0x7f800000
	v_cmp_nlt_f32_e32 vcc, s5, v3
	s_mov_b32 s5, 0x3f2aaaab
	s_mov_b32 s6, 0x7f800000
	v_cndmask_b32_e32 v71, v7, v6, vcc
	v_add_f32_e32 v3, 1.0, v71
	v_add_f32_e32 v6, -1.0, v3
	v_sub_f32_e32 v7, v6, v3
	v_add_f32_e32 v7, 1.0, v7
	v_sub_f32_e32 v6, v71, v6
	v_add_f32_e32 v16, v6, v7
	v_frexp_mant_f32_e32 v17, v3
	v_cvt_f64_f32_e32 v[6:7], v3
	v_frexp_exp_i32_f64_e32 v6, v[6:7]
	v_cmp_gt_f32_e32 vcc, s5, v17
	s_mov_b32 s5, 0x3f317218
	s_nop 0
	v_subbrev_co_u32_e32 v18, vcc, 0, v6, vcc
	v_sub_u32_e32 v6, 0, v18
	v_ldexp_f32 v3, v3, v6
	v_ldexp_f32 v6, v16, v6
	v_add_f32_e32 v16, -1.0, v3
	v_add_f32_e32 v7, 1.0, v16
	v_sub_f32_e32 v7, v3, v7
	v_add_f32_e32 v17, v6, v7
	v_add_f32_e32 v7, 1.0, v3
	v_add_f32_e32 v20, -1.0, v7
	v_sub_f32_e32 v3, v3, v20
	v_add_f32_e32 v3, v6, v3
	v_add_f32_e32 v24, v7, v3
	v_rcp_f32_e32 v25, v24
	v_sub_f32_e32 v6, v7, v24
	v_add_f32_e32 v7, v16, v17
	v_add_f32_e32 v3, v3, v6
	v_mul_f32_e32 v27, v7, v25
	v_sub_f32_e32 v6, v16, v7
	v_mul_f32_e32 v16, v24, v27
	v_fma_f32 v20, v27, v24, -v16
	v_fmac_f32_e32 v20, v27, v3
	v_add_f32_e32 v26, v17, v6
	v_add_f32_e32 v6, v16, v20
	v_sub_f32_e32 v17, v7, v6
	v_pk_add_f32 v[22:23], v[6:7], v[16:17] neg_lo:[0,1] neg_hi:[0,1]
	v_mov_b32_e32 v21, v6
	v_pk_add_f32 v[6:7], v[22:23], v[20:21] neg_lo:[0,1] neg_hi:[0,1]
	v_cmp_eq_f32_e32 vcc, s6, v71
	v_add_f32_e32 v7, v26, v7
	v_add_f32_e32 v6, v6, v7
	;; [unrolled: 1-line block ×3, first 2 shown]
	v_mul_f32_e32 v26, v25, v7
	v_mul_f32_e32 v16, v24, v26
	v_fma_f32 v20, v26, v24, -v16
	v_fmac_f32_e32 v20, v26, v3
	v_sub_f32_e32 v3, v17, v7
	v_add_f32_e32 v3, v6, v3
	v_add_f32_e32 v6, v16, v20
	v_sub_f32_e32 v17, v7, v6
	v_pk_add_f32 v[22:23], v[6:7], v[16:17] neg_lo:[0,1] neg_hi:[0,1]
	v_mov_b32_e32 v21, v6
	v_pk_add_f32 v[6:7], v[22:23], v[20:21] neg_lo:[0,1] neg_hi:[0,1]
	v_cvt_f32_i32_e32 v16, v18
	v_add_f32_e32 v3, v3, v7
	v_add_f32_e32 v3, v6, v3
	;; [unrolled: 1-line block ×4, first 2 shown]
	v_sub_f32_e32 v7, v6, v27
	v_mul_f32_e32 v3, v25, v3
	v_sub_f32_e32 v7, v26, v7
	v_add_f32_e32 v3, v7, v3
	v_add_f32_e32 v17, v6, v3
	v_mul_f32_e32 v20, v17, v17
	v_mov_b32_e32 v7, 0x3ecc95a3
	v_fmac_f32_e32 v7, 0x3e9b6dac, v20
	v_sub_f32_e32 v6, v17, v6
	v_fmaak_f32 v7, v20, v7, 0x3f2aaada
	v_sub_f32_e32 v3, v3, v6
	v_ldexp_f32 v21, v17, 1
	v_mul_f32_e32 v17, v17, v20
	v_mov_b32_e32 v6, 0x3f317218
	v_pk_mul_f32 v[6:7], v[16:17], v[6:7]
	v_ldexp_f32 v3, v3, 1
	v_fma_f32 v17, v16, s5, -v6
	v_fmamk_f32 v20, v16, 0xb102e308, v17
	v_pk_add_f32 v[16:17], v[6:7], v[20:21]
	v_mov_b32_e32 v22, v6
	v_sub_f32_e32 v18, v17, v21
	v_sub_f32_e32 v18, v7, v18
	v_add_f32_e32 v23, v3, v18
	v_pk_add_f32 v[6:7], v[16:17], v[6:7] neg_lo:[0,1] neg_hi:[0,1]
	v_pk_add_f32 v[24:25], v[16:17], v[22:23]
	v_mov_b32_e32 v21, v16
	v_mov_b32_e32 v7, v25
	v_pk_add_f32 v[26:27], v[20:21], v[6:7] neg_lo:[0,1] neg_hi:[0,1]
	v_pk_add_f32 v[6:7], v[20:21], v[6:7]
	s_mov_b32 s5, 0x33800000
	v_mov_b32_e32 v18, v7
	v_pk_add_f32 v[20:21], v[18:19], v[16:17] neg_lo:[0,1] neg_hi:[0,1]
	v_mov_b32_e32 v6, v25
	v_mov_b32_e32 v3, v20
	v_pk_add_f32 v[80:81], v[24:25], v[2:3] neg_lo:[0,1] neg_hi:[0,1]
	v_mov_b32_e32 v24, v17
	v_mov_b32_e32 v25, v20
	;; [unrolled: 1-line block ×3, first 2 shown]
	v_pk_add_f32 v[6:7], v[6:7], v[24:25] neg_lo:[0,1] neg_hi:[0,1]
	v_mov_b32_e32 v20, v23
	v_mov_b32_e32 v21, v16
	v_pk_add_f32 v[6:7], v[20:21], v[6:7] neg_lo:[0,1] neg_hi:[0,1]
	v_mov_b32_e32 v80, v26
	v_pk_add_f32 v[16:17], v[80:81], v[6:7]
	v_cmp_lt_f32_e64 s[6:7], |v71|, s5
	v_mov_b32_e32 v20, v17
	v_pk_add_f32 v[20:21], v[16:17], v[20:21]
	s_or_b64 vcc, vcc, s[6:7]
	v_pk_add_f32 v[22:23], v[18:19], v[20:21]
	v_mov_b32_e32 v7, v20
	v_mov_b32_e32 v17, v22
	v_pk_add_f32 v[24:25], v[16:17], v[26:27] neg_lo:[0,1] neg_hi:[0,1]
	s_nop 0
	v_sub_f32_e32 v3, v16, v24
	v_pk_add_f32 v[6:7], v[6:7], v[24:25] neg_lo:[0,1] neg_hi:[0,1]
	v_sub_f32_e32 v3, v26, v3
	v_add_f32_e32 v3, v6, v3
	v_add_f32_e32 v3, v3, v7
	;; [unrolled: 1-line block ×3, first 2 shown]
	v_cndmask_b32_e32 v3, v3, v71, vcc
	v_add_f32_e32 v3, v2, v3
.LBB479_406:
	s_or_b64 exec, exec, s[2:3]
	v_bfe_u32 v2, v3, 16, 1
	s_movk_i32 s5, 0x7fff
	v_add3_u32 v2, v3, v2, s5
	v_lshrrev_b32_e32 v6, 16, v2
	v_mov_b32_e32 v2, 0x7fc0
	v_cmp_o_f32_e32 vcc, v3, v3
	s_nop 1
	v_cndmask_b32_e32 v71, v2, v6, vcc
	v_lshlrev_b32_e32 v6, 16, v71
	v_max_f32_e32 v3, v6, v6
	v_min_f32_e32 v7, v3, v96
	v_cmp_u_f32_e32 vcc, v6, v6
	v_max_f32_e32 v3, v3, v96
	s_nop 0
	v_cndmask_b32_e32 v7, v7, v6, vcc
	v_cndmask_b32_e32 v3, v3, v6, vcc
	v_cndmask_b32_e64 v7, v7, v85, s[46:47]
	v_cndmask_b32_e64 v3, v3, v85, s[46:47]
	v_cmp_neq_f32_e32 vcc, v7, v3
	v_cmp_class_f32_e64 s[2:3], v7, s4
	s_or_b64 s[6:7], vcc, s[2:3]
	s_and_saveexec_b64 s[2:3], s[6:7]
	s_cbranch_execz .LBB479_408
; %bb.407:
	v_sub_f32_e32 v6, v7, v3
	s_mov_b32 s4, 0x3fb8aa3b
	v_mul_f32_e32 v7, 0x3fb8aa3b, v6
	v_fma_f32 v16, v6, s4, -v7
	v_rndne_f32_e32 v17, v7
	v_fmamk_f32 v16, v6, 0x32a5705f, v16
	v_sub_f32_e32 v7, v7, v17
	v_add_f32_e32 v7, v7, v16
	v_exp_f32_e32 v7, v7
	v_cvt_i32_f32_e32 v16, v17
	s_mov_b32 s4, 0xc2ce8ed0
	v_cmp_ngt_f32_e32 vcc, s4, v6
	s_mov_b32 s4, 0x42b17218
	v_ldexp_f32 v7, v7, v16
	v_cndmask_b32_e32 v7, 0, v7, vcc
	v_mov_b32_e32 v16, 0x7f800000
	v_cmp_nlt_f32_e32 vcc, s4, v6
	s_mov_b32 s4, 0x3f2aaaab
	s_mov_b32 s6, 0x7f800000
	v_cndmask_b32_e32 v82, v16, v7, vcc
	v_add_f32_e32 v16, 1.0, v82
	v_add_f32_e32 v6, -1.0, v16
	v_sub_f32_e32 v7, v6, v16
	v_add_f32_e32 v7, 1.0, v7
	v_sub_f32_e32 v6, v82, v6
	v_add_f32_e32 v17, v6, v7
	v_frexp_mant_f32_e32 v18, v16
	v_cvt_f64_f32_e32 v[6:7], v16
	v_frexp_exp_i32_f64_e32 v6, v[6:7]
	v_cmp_gt_f32_e32 vcc, s4, v18
	s_mov_b32 s4, 0x3f317218
	s_nop 0
	v_subbrev_co_u32_e32 v18, vcc, 0, v6, vcc
	v_sub_u32_e32 v6, 0, v18
	v_ldexp_f32 v7, v16, v6
	v_add_f32_e32 v16, -1.0, v7
	v_add_f32_e32 v20, 1.0, v7
	v_ldexp_f32 v6, v17, v6
	v_add_f32_e32 v17, 1.0, v16
	v_add_f32_e32 v21, -1.0, v20
	v_sub_f32_e32 v17, v7, v17
	v_sub_f32_e32 v7, v7, v21
	v_add_f32_e32 v17, v6, v17
	v_add_f32_e32 v6, v6, v7
	;; [unrolled: 1-line block ×3, first 2 shown]
	v_rcp_f32_e32 v26, v24
	v_sub_f32_e32 v7, v20, v24
	v_add_f32_e32 v25, v6, v7
	v_add_f32_e32 v7, v16, v17
	v_mul_f32_e32 v80, v7, v26
	v_sub_f32_e32 v6, v16, v7
	v_mul_f32_e32 v16, v24, v80
	v_fma_f32 v20, v80, v24, -v16
	v_fmac_f32_e32 v20, v80, v25
	v_add_f32_e32 v27, v17, v6
	v_add_f32_e32 v6, v16, v20
	v_sub_f32_e32 v17, v7, v6
	v_pk_add_f32 v[22:23], v[6:7], v[16:17] neg_lo:[0,1] neg_hi:[0,1]
	v_mov_b32_e32 v21, v6
	v_pk_add_f32 v[6:7], v[22:23], v[20:21] neg_lo:[0,1] neg_hi:[0,1]
	v_cmp_eq_f32_e32 vcc, s6, v82
	v_add_f32_e32 v7, v27, v7
	v_add_f32_e32 v6, v6, v7
	;; [unrolled: 1-line block ×3, first 2 shown]
	v_mul_f32_e32 v27, v26, v7
	v_mul_f32_e32 v16, v24, v27
	v_fma_f32 v20, v27, v24, -v16
	v_fmac_f32_e32 v20, v27, v25
	v_sub_f32_e32 v17, v17, v7
	v_add_f32_e32 v24, v6, v17
	v_add_f32_e32 v6, v16, v20
	v_sub_f32_e32 v17, v7, v6
	v_pk_add_f32 v[22:23], v[6:7], v[16:17] neg_lo:[0,1] neg_hi:[0,1]
	v_mov_b32_e32 v21, v6
	v_pk_add_f32 v[6:7], v[22:23], v[20:21] neg_lo:[0,1] neg_hi:[0,1]
	v_cvt_f32_i32_e32 v16, v18
	v_add_f32_e32 v7, v24, v7
	v_add_f32_e32 v6, v6, v7
	;; [unrolled: 1-line block ×4, first 2 shown]
	v_sub_f32_e32 v7, v17, v80
	v_mul_f32_e32 v6, v26, v6
	v_sub_f32_e32 v7, v27, v7
	v_add_f32_e32 v6, v7, v6
	v_add_f32_e32 v20, v17, v6
	v_mul_f32_e32 v22, v20, v20
	v_mov_b32_e32 v7, 0x3ecc95a3
	v_sub_f32_e32 v17, v20, v17
	v_fmac_f32_e32 v7, 0x3e9b6dac, v22
	v_sub_f32_e32 v6, v6, v17
	v_fmaak_f32 v7, v22, v7, 0x3f2aaada
	v_ldexp_f32 v18, v6, 1
	v_mul_f32_e32 v17, v20, v22
	v_mov_b32_e32 v6, 0x3f317218
	v_pk_mul_f32 v[6:7], v[16:17], v[6:7]
	v_ldexp_f32 v21, v20, 1
	v_fma_f32 v17, v16, s4, -v6
	v_fmamk_f32 v20, v16, 0xb102e308, v17
	v_pk_add_f32 v[16:17], v[6:7], v[20:21]
	v_mov_b32_e32 v22, v6
	v_sub_f32_e32 v21, v17, v21
	v_sub_f32_e32 v21, v7, v21
	v_add_f32_e32 v23, v18, v21
	v_pk_add_f32 v[6:7], v[16:17], v[6:7] neg_lo:[0,1] neg_hi:[0,1]
	v_pk_add_f32 v[24:25], v[16:17], v[22:23]
	v_mov_b32_e32 v21, v16
	v_mov_b32_e32 v7, v25
	v_pk_add_f32 v[26:27], v[20:21], v[6:7] neg_lo:[0,1] neg_hi:[0,1]
	v_pk_add_f32 v[6:7], v[20:21], v[6:7]
	s_mov_b32 s4, 0x33800000
	v_mov_b32_e32 v18, v7
	v_pk_add_f32 v[20:21], v[18:19], v[16:17] neg_lo:[0,1] neg_hi:[0,1]
	v_mov_b32_e32 v6, v25
	v_mov_b32_e32 v21, v20
	v_pk_add_f32 v[80:81], v[24:25], v[20:21] neg_lo:[0,1] neg_hi:[0,1]
	v_mov_b32_e32 v24, v17
	v_mov_b32_e32 v25, v20
	;; [unrolled: 1-line block ×3, first 2 shown]
	v_pk_add_f32 v[6:7], v[6:7], v[24:25] neg_lo:[0,1] neg_hi:[0,1]
	v_mov_b32_e32 v20, v23
	v_mov_b32_e32 v21, v16
	v_pk_add_f32 v[6:7], v[20:21], v[6:7] neg_lo:[0,1] neg_hi:[0,1]
	v_mov_b32_e32 v80, v26
	v_pk_add_f32 v[16:17], v[80:81], v[6:7]
	v_cmp_lt_f32_e64 s[6:7], |v82|, s4
	v_mov_b32_e32 v20, v17
	v_pk_add_f32 v[20:21], v[16:17], v[20:21]
	s_or_b64 vcc, vcc, s[6:7]
	v_pk_add_f32 v[22:23], v[18:19], v[20:21]
	v_mov_b32_e32 v7, v20
	v_mov_b32_e32 v17, v22
	v_pk_add_f32 v[24:25], v[16:17], v[26:27] neg_lo:[0,1] neg_hi:[0,1]
	s_nop 0
	v_sub_f32_e32 v16, v16, v24
	v_pk_add_f32 v[6:7], v[6:7], v[24:25] neg_lo:[0,1] neg_hi:[0,1]
	v_sub_f32_e32 v16, v26, v16
	v_add_f32_e32 v6, v6, v16
	v_add_f32_e32 v6, v6, v7
	;; [unrolled: 1-line block ×3, first 2 shown]
	v_cndmask_b32_e32 v6, v6, v82, vcc
	v_add_f32_e32 v6, v3, v6
.LBB479_408:
	s_or_b64 exec, exec, s[2:3]
	v_bfe_u32 v3, v6, 16, 1
	v_add3_u32 v3, v6, v3, s5
	v_lshrrev_b32_e32 v3, 16, v3
	v_cmp_o_f32_e32 vcc, v6, v6
	s_movk_i32 s2, 0x1f8
	s_nop 0
	v_cndmask_b32_e32 v80, v2, v3, vcc
	v_lshlrev_b32_e32 v3, 16, v80
	v_max_f32_e32 v2, v3, v3
	v_min_f32_e32 v6, v2, v97
	v_cmp_u_f32_e32 vcc, v3, v3
	v_max_f32_e32 v2, v2, v97
	s_nop 0
	v_cndmask_b32_e32 v6, v6, v3, vcc
	v_cndmask_b32_e32 v2, v2, v3, vcc
	v_cndmask_b32_e64 v6, v6, v19, s[48:49]
	v_cndmask_b32_e64 v2, v2, v19, s[48:49]
	v_cmp_neq_f32_e32 vcc, v6, v2
	v_cmp_class_f32_e64 s[2:3], v6, s2
	s_or_b64 s[4:5], vcc, s[2:3]
	s_and_saveexec_b64 s[2:3], s[4:5]
	s_cbranch_execz .LBB479_410
; %bb.409:
	v_sub_f32_e32 v3, v6, v2
	s_mov_b32 s4, 0x3fb8aa3b
	v_mul_f32_e32 v6, 0x3fb8aa3b, v3
	v_fma_f32 v7, v3, s4, -v6
	v_rndne_f32_e32 v16, v6
	v_fmamk_f32 v7, v3, 0x32a5705f, v7
	v_sub_f32_e32 v6, v6, v16
	v_add_f32_e32 v6, v6, v7
	v_exp_f32_e32 v6, v6
	v_cvt_i32_f32_e32 v7, v16
	s_mov_b32 s4, 0xc2ce8ed0
	v_cmp_ngt_f32_e32 vcc, s4, v3
	s_mov_b32 s4, 0x42b17218
	v_ldexp_f32 v6, v6, v7
	v_cndmask_b32_e32 v6, 0, v6, vcc
	v_mov_b32_e32 v7, 0x7f800000
	v_cmp_nlt_f32_e32 vcc, s4, v3
	s_mov_b32 s4, 0x3f2aaaab
	s_mov_b32 s5, 0x7f800000
	v_cndmask_b32_e32 v81, v7, v6, vcc
	v_add_f32_e32 v3, 1.0, v81
	v_add_f32_e32 v6, -1.0, v3
	v_sub_f32_e32 v7, v6, v3
	v_add_f32_e32 v7, 1.0, v7
	v_sub_f32_e32 v6, v81, v6
	v_add_f32_e32 v16, v6, v7
	v_frexp_mant_f32_e32 v17, v3
	v_cvt_f64_f32_e32 v[6:7], v3
	v_frexp_exp_i32_f64_e32 v6, v[6:7]
	v_cmp_gt_f32_e32 vcc, s4, v17
	s_mov_b32 s4, 0x3f317218
	s_nop 0
	v_subbrev_co_u32_e32 v22, vcc, 0, v6, vcc
	v_sub_u32_e32 v6, 0, v22
	v_ldexp_f32 v3, v3, v6
	v_ldexp_f32 v6, v16, v6
	v_add_f32_e32 v16, -1.0, v3
	v_add_f32_e32 v7, 1.0, v16
	v_sub_f32_e32 v7, v3, v7
	v_add_f32_e32 v17, v6, v7
	v_add_f32_e32 v7, 1.0, v3
	v_add_f32_e32 v18, -1.0, v7
	v_sub_f32_e32 v3, v3, v18
	v_add_f32_e32 v3, v6, v3
	v_add_f32_e32 v23, v7, v3
	v_rcp_f32_e32 v24, v23
	v_sub_f32_e32 v6, v7, v23
	v_add_f32_e32 v7, v16, v17
	v_add_f32_e32 v3, v3, v6
	v_mul_f32_e32 v26, v7, v24
	v_sub_f32_e32 v6, v16, v7
	v_mul_f32_e32 v16, v23, v26
	v_fma_f32 v18, v26, v23, -v16
	v_fmac_f32_e32 v18, v26, v3
	v_add_f32_e32 v25, v17, v6
	v_add_f32_e32 v6, v16, v18
	v_sub_f32_e32 v17, v7, v6
	v_pk_add_f32 v[20:21], v[6:7], v[16:17] neg_lo:[0,1] neg_hi:[0,1]
	v_mov_b32_e32 v19, v6
	v_pk_add_f32 v[6:7], v[20:21], v[18:19] neg_lo:[0,1] neg_hi:[0,1]
	v_cmp_eq_f32_e32 vcc, s5, v81
	v_add_f32_e32 v7, v25, v7
	v_add_f32_e32 v6, v6, v7
	;; [unrolled: 1-line block ×3, first 2 shown]
	v_mul_f32_e32 v25, v24, v7
	v_mul_f32_e32 v16, v23, v25
	v_fma_f32 v18, v25, v23, -v16
	v_fmac_f32_e32 v18, v25, v3
	v_sub_f32_e32 v3, v17, v7
	v_add_f32_e32 v3, v6, v3
	v_add_f32_e32 v6, v16, v18
	v_sub_f32_e32 v17, v7, v6
	v_pk_add_f32 v[20:21], v[6:7], v[16:17] neg_lo:[0,1] neg_hi:[0,1]
	v_mov_b32_e32 v19, v6
	v_pk_add_f32 v[6:7], v[20:21], v[18:19] neg_lo:[0,1] neg_hi:[0,1]
	v_cvt_f32_i32_e32 v16, v22
	v_add_f32_e32 v3, v3, v7
	v_add_f32_e32 v3, v6, v3
	;; [unrolled: 1-line block ×4, first 2 shown]
	v_sub_f32_e32 v7, v6, v26
	v_mul_f32_e32 v3, v24, v3
	v_sub_f32_e32 v7, v25, v7
	v_add_f32_e32 v3, v7, v3
	v_add_f32_e32 v17, v6, v3
	v_mul_f32_e32 v18, v17, v17
	v_mov_b32_e32 v7, 0x3ecc95a3
	v_fmac_f32_e32 v7, 0x3e9b6dac, v18
	v_sub_f32_e32 v6, v17, v6
	v_fmaak_f32 v7, v18, v7, 0x3f2aaada
	v_sub_f32_e32 v3, v3, v6
	v_ldexp_f32 v19, v17, 1
	v_mul_f32_e32 v17, v17, v18
	v_mov_b32_e32 v6, 0x3f317218
	v_pk_mul_f32 v[6:7], v[16:17], v[6:7]
	v_ldexp_f32 v3, v3, 1
	v_fma_f32 v17, v16, s4, -v6
	v_fmamk_f32 v18, v16, 0xb102e308, v17
	v_pk_add_f32 v[16:17], v[6:7], v[18:19]
	v_mov_b32_e32 v20, v6
	v_sub_f32_e32 v19, v17, v19
	v_sub_f32_e32 v19, v7, v19
	v_add_f32_e32 v21, v3, v19
	v_pk_add_f32 v[6:7], v[16:17], v[6:7] neg_lo:[0,1] neg_hi:[0,1]
	v_pk_add_f32 v[22:23], v[16:17], v[20:21]
	v_mov_b32_e32 v19, v16
	v_mov_b32_e32 v7, v23
	v_pk_add_f32 v[24:25], v[18:19], v[6:7] neg_lo:[0,1] neg_hi:[0,1]
	v_pk_add_f32 v[6:7], v[18:19], v[6:7]
	v_mov_b32_e32 v20, v21
	v_mov_b32_e32 v18, v7
	v_pk_add_f32 v[26:27], v[18:19], v[16:17] neg_lo:[0,1] neg_hi:[0,1]
	v_mov_b32_e32 v6, v23
	v_mov_b32_e32 v3, v26
	v_pk_add_f32 v[82:83], v[22:23], v[2:3] neg_lo:[0,1] neg_hi:[0,1]
	v_mov_b32_e32 v22, v17
	v_mov_b32_e32 v23, v26
	v_mov_b32_e32 v25, v7
	v_pk_add_f32 v[6:7], v[6:7], v[22:23] neg_lo:[0,1] neg_hi:[0,1]
	v_mov_b32_e32 v21, v16
	v_pk_add_f32 v[6:7], v[20:21], v[6:7] neg_lo:[0,1] neg_hi:[0,1]
	v_mov_b32_e32 v82, v24
	v_pk_add_f32 v[16:17], v[82:83], v[6:7]
	s_mov_b32 s4, 0x33800000
	v_mov_b32_e32 v20, v17
	v_pk_add_f32 v[20:21], v[16:17], v[20:21]
	v_cmp_lt_f32_e64 s[4:5], |v81|, s4
	v_pk_add_f32 v[18:19], v[18:19], v[20:21]
	v_mov_b32_e32 v7, v20
	v_mov_b32_e32 v17, v18
	v_pk_add_f32 v[22:23], v[16:17], v[24:25] neg_lo:[0,1] neg_hi:[0,1]
	s_or_b64 vcc, vcc, s[4:5]
	v_sub_f32_e32 v3, v16, v22
	v_pk_add_f32 v[6:7], v[6:7], v[22:23] neg_lo:[0,1] neg_hi:[0,1]
	v_sub_f32_e32 v3, v24, v3
	v_add_f32_e32 v3, v6, v3
	v_add_f32_e32 v3, v3, v7
	;; [unrolled: 1-line block ×3, first 2 shown]
	v_cndmask_b32_e32 v3, v3, v81, vcc
	v_add_f32_e32 v3, v2, v3
.LBB479_410:
	s_or_b64 exec, exec, s[2:3]
	v_bfe_u32 v2, v3, 16, 1
	s_movk_i32 s2, 0x7fff
	v_add3_u32 v2, v3, v2, s2
	v_lshrrev_b32_e32 v2, 16, v2
	v_mov_b32_e32 v6, 0x7fc0
	v_cmp_o_f32_e32 vcc, v3, v3
	s_movk_i32 s2, 0xff
	s_nop 0
	v_cndmask_b32_e32 v81, v6, v2, vcc
	v_cmp_eq_u32_e32 vcc, s2, v32
	s_and_saveexec_b64 s[2:3], vcc
	s_cbranch_execz .LBB479_412
; %bb.411:
	s_mov_b32 s4, 0x20000
	v_or_b32_sdwa v2, v81, s4 dst_sel:DWORD dst_unused:UNUSED_PAD src0_sel:WORD_0 src1_sel:DWORD
	flat_store_dword v[28:29], v2 offset:256 sc1
.LBB479_412:
	s_or_b64 exec, exec, s[2:3]
.LBB479_413:
	v_lshl_add_u64 v[2:3], v[12:13], 1, v[14:15]
	v_lshl_add_u64 v[2:3], v[34:35], 1, v[2:3]
	s_waitcnt lgkmcnt(0)
	s_barrier
	s_and_saveexec_b64 s[2:3], s[0:1]
	s_xor_b64 s[0:1], exec, s[2:3]
	s_cbranch_execz .LBB479_415
; %bb.414:
	s_mov_b32 s2, 0x5040100
	v_perm_b32 v7, v49, v39, s2
	v_perm_b32 v6, v38, v37, s2
	;; [unrolled: 1-line block ×4, first 2 shown]
	ds_write_b128 v1, v[4:7]
	v_perm_b32 v7, v65, v64, s2
	v_perm_b32 v6, v55, v54, s2
	;; [unrolled: 1-line block ×4, first 2 shown]
	ds_write_b128 v1, v[4:7] offset:16
	v_perm_b32 v7, v81, v80, s2
	v_perm_b32 v6, v71, v70, s2
	;; [unrolled: 1-line block ×4, first 2 shown]
	ds_write_b128 v1, v[4:7] offset:32
	v_mov_b32_e32 v1, 0
	s_waitcnt lgkmcnt(0)
	s_barrier
	ds_read_u16 v4, v0
	ds_read_u16 v5, v0 offset:512
	ds_read_u16 v6, v0 offset:1024
	;; [unrolled: 1-line block ×23, first 2 shown]
	v_lshl_add_u64 v[0:1], v[2:3], 0, v[0:1]
	s_movk_i32 s2, 0x1000
	v_add_co_u32_e32 v2, vcc, s2, v0
	s_waitcnt lgkmcnt(0)
	flat_store_short v[0:1], v4
	flat_store_short v[0:1], v5 offset:512
	flat_store_short v[0:1], v6 offset:1024
	;; [unrolled: 1-line block ×7, first 2 shown]
	v_addc_co_u32_e32 v3, vcc, 0, v1, vcc
	v_add_co_u32_e32 v0, vcc, 0x2000, v0
	flat_store_short v[2:3], v12
	flat_store_short v[2:3], v13 offset:512
	flat_store_short v[2:3], v14 offset:1024
	;; [unrolled: 1-line block ×7, first 2 shown]
	v_addc_co_u32_e32 v1, vcc, 0, v1, vcc
                                        ; implicit-def: $vgpr2_vgpr3_vgpr4_vgpr5
	flat_store_short v[0:1], v20
	flat_store_short v[0:1], v21 offset:512
	flat_store_short v[0:1], v22 offset:1024
	flat_store_short v[0:1], v23 offset:1536
	flat_store_short v[0:1], v24 offset:2048
	flat_store_short v[0:1], v25 offset:2560
	flat_store_short v[0:1], v26 offset:3072
	flat_store_short v[0:1], v27 offset:3584
                                        ; implicit-def: $vgpr6_vgpr7_vgpr8_vgpr9
                                        ; implicit-def: $vgpr32
                                        ; implicit-def: $vgpr10_vgpr11
                                        ; implicit-def: $vgpr1
                                        ; implicit-def: $vgpr30
                                        ; implicit-def: $vgpr31
                                        ; implicit-def: $vgpr33
                                        ; implicit-def: $vgpr36
                                        ; implicit-def: $vgpr37
                                        ; implicit-def: $vgpr38
                                        ; implicit-def: $vgpr39
                                        ; implicit-def: $vgpr49
                                        ; implicit-def: $vgpr48
                                        ; implicit-def: $vgpr51
                                        ; implicit-def: $vgpr50
                                        ; implicit-def: $vgpr53
                                        ; implicit-def: $vgpr54
                                        ; implicit-def: $vgpr55
                                        ; implicit-def: $vgpr64
                                        ; implicit-def: $vgpr65
                                        ; implicit-def: $vgpr66
                                        ; implicit-def: $vgpr67
                                        ; implicit-def: $vgpr68
                                        ; implicit-def: $vgpr69
                                        ; implicit-def: $vgpr70
                                        ; implicit-def: $vgpr71
                                        ; implicit-def: $vgpr80
                                        ; implicit-def: $vgpr81
                                        ; implicit-def: $vgpr2_vgpr3
                                        ; implicit-def: $vgpr52
                                        ; implicit-def: $vgpr0
.LBB479_415:
	s_andn2_saveexec_b64 s[2:3], s[0:1]
	s_cbranch_execz .LBB479_556
; %bb.416:
	s_mov_b32 s0, 0x5040100
	v_perm_b32 v15, v49, v39, s0
	v_perm_b32 v14, v38, v37, s0
	;; [unrolled: 1-line block ×4, first 2 shown]
	ds_write_b128 v1, v[12:15]
	v_perm_b32 v15, v65, v64, s0
	v_perm_b32 v14, v55, v54, s0
	;; [unrolled: 1-line block ×4, first 2 shown]
	ds_write_b128 v1, v[12:15] offset:16
	v_perm_b32 v15, v81, v80, s0
	v_perm_b32 v14, v71, v70, s0
	;; [unrolled: 1-line block ×4, first 2 shown]
	ds_write_b128 v1, v[12:15] offset:32
	s_waitcnt lgkmcnt(0)
	s_barrier
	ds_read_u16 v7, v0
	ds_read_u16 v6, v0 offset:512
	ds_read_u16 v13, v0 offset:1024
	;; [unrolled: 1-line block ×23, first 2 shown]
	v_mov_b32_e32 v1, 0
	v_lshl_add_u64 v[2:3], v[2:3], 0, v[0:1]
	v_cmp_lt_u32_e32 vcc, v32, v10
	s_and_saveexec_b64 s[0:1], vcc
	s_cbranch_execz .LBB479_418
; %bb.417:
	s_waitcnt lgkmcnt(0)
	flat_store_short v[2:3], v7
.LBB479_418:
	s_or_b64 exec, exec, s[0:1]
	v_add_u32_e32 v0, 0x100, v32
	v_cmp_lt_u32_e32 vcc, v0, v10
	s_and_saveexec_b64 s[0:1], vcc
	s_cbranch_execz .LBB479_420
; %bb.419:
	s_waitcnt lgkmcnt(0)
	flat_store_short v[2:3], v6 offset:512
.LBB479_420:
	s_or_b64 exec, exec, s[0:1]
	v_add_u32_e32 v0, 0x200, v32
	v_cmp_lt_u32_e32 vcc, v0, v10
	s_and_saveexec_b64 s[0:1], vcc
	s_cbranch_execz .LBB479_422
; %bb.421:
	s_waitcnt lgkmcnt(0)
	flat_store_short v[2:3], v13 offset:1024
.LBB479_422:
	s_or_b64 exec, exec, s[0:1]
	v_add_u32_e32 v0, 0x300, v32
	v_cmp_lt_u32_e32 vcc, v0, v10
	s_and_saveexec_b64 s[0:1], vcc
	s_cbranch_execz .LBB479_424
; %bb.423:
	s_waitcnt lgkmcnt(0)
	flat_store_short v[2:3], v14 offset:1536
.LBB479_424:
	s_or_b64 exec, exec, s[0:1]
	v_or_b32_e32 v0, 0x400, v32
	v_cmp_lt_u32_e32 vcc, v0, v10
	s_and_saveexec_b64 s[0:1], vcc
	s_cbranch_execz .LBB479_426
; %bb.425:
	s_waitcnt lgkmcnt(0)
	flat_store_short v[2:3], v12 offset:2048
.LBB479_426:
	s_or_b64 exec, exec, s[0:1]
	v_add_u32_e32 v0, 0x500, v32
	v_cmp_lt_u32_e32 vcc, v0, v10
	s_and_saveexec_b64 s[0:1], vcc
	s_cbranch_execz .LBB479_428
; %bb.427:
	s_waitcnt lgkmcnt(0)
	flat_store_short v[2:3], v15 offset:2560
.LBB479_428:
	s_or_b64 exec, exec, s[0:1]
	v_add_u32_e32 v0, 0x600, v32
	;; [unrolled: 9-line block ×3, first 2 shown]
	v_cmp_lt_u32_e32 vcc, v0, v10
	s_and_saveexec_b64 s[0:1], vcc
	s_cbranch_execz .LBB479_432
; %bb.431:
	s_waitcnt lgkmcnt(0)
	flat_store_short v[2:3], v21 offset:3584
.LBB479_432:
	s_or_b64 exec, exec, s[0:1]
	v_or_b32_e32 v0, 0x800, v32
	v_cmp_lt_u32_e32 vcc, v0, v10
	s_and_saveexec_b64 s[0:1], vcc
	s_cbranch_execz .LBB479_434
; %bb.433:
	v_add_co_u32_e32 v36, vcc, 0x1000, v2
	s_nop 1
	v_addc_co_u32_e32 v37, vcc, 0, v3, vcc
	s_waitcnt lgkmcnt(0)
	flat_store_short v[36:37], v22
.LBB479_434:
	s_or_b64 exec, exec, s[0:1]
	v_add_u32_e32 v0, 0x900, v32
	v_cmp_lt_u32_e32 vcc, v0, v10
	s_and_saveexec_b64 s[0:1], vcc
	s_cbranch_execz .LBB479_436
; %bb.435:
	v_add_co_u32_e32 v36, vcc, 0x1000, v2
	s_nop 1
	v_addc_co_u32_e32 v37, vcc, 0, v3, vcc
	s_waitcnt lgkmcnt(0)
	flat_store_short v[36:37], v29 offset:512
.LBB479_436:
	s_or_b64 exec, exec, s[0:1]
	v_add_u32_e32 v0, 0xa00, v32
	v_cmp_lt_u32_e32 vcc, v0, v10
	s_and_saveexec_b64 s[0:1], vcc
	s_cbranch_execz .LBB479_438
; %bb.437:
	v_add_co_u32_e32 v36, vcc, 0x1000, v2
	s_nop 1
	v_addc_co_u32_e32 v37, vcc, 0, v3, vcc
	s_waitcnt lgkmcnt(0)
	flat_store_short v[36:37], v26 offset:1024
.LBB479_438:
	;; [unrolled: 12-line block ×3, first 2 shown]
	s_or_b64 exec, exec, s[0:1]
	v_or_b32_e32 v0, 0xc00, v32
	v_cmp_lt_u32_e32 vcc, v0, v10
	s_and_saveexec_b64 s[0:1], vcc
	s_cbranch_execz .LBB479_442
; %bb.441:
	v_add_co_u32_e32 v36, vcc, 0x1000, v2
	s_nop 1
	v_addc_co_u32_e32 v37, vcc, 0, v3, vcc
	s_waitcnt lgkmcnt(0)
	flat_store_short v[36:37], v24 offset:2048
.LBB479_442:
	s_or_b64 exec, exec, s[0:1]
	v_add_u32_e32 v0, 0xd00, v32
	v_cmp_lt_u32_e32 vcc, v0, v10
	s_and_saveexec_b64 s[0:1], vcc
	s_cbranch_execz .LBB479_444
; %bb.443:
	v_add_co_u32_e32 v36, vcc, 0x1000, v2
	s_nop 1
	v_addc_co_u32_e32 v37, vcc, 0, v3, vcc
	s_waitcnt lgkmcnt(0)
	flat_store_short v[36:37], v19 offset:2560
.LBB479_444:
	s_or_b64 exec, exec, s[0:1]
	v_add_u32_e32 v0, 0xe00, v32
	;; [unrolled: 12-line block ×3, first 2 shown]
	v_cmp_lt_u32_e32 vcc, v0, v10
	s_and_saveexec_b64 s[0:1], vcc
	s_cbranch_execz .LBB479_448
; %bb.447:
	v_add_co_u32_e32 v36, vcc, 0x1000, v2
	s_nop 1
	v_addc_co_u32_e32 v37, vcc, 0, v3, vcc
	s_waitcnt lgkmcnt(0)
	flat_store_short v[36:37], v16 offset:3584
.LBB479_448:
	s_or_b64 exec, exec, s[0:1]
	v_or_b32_e32 v0, 0x1000, v32
	v_cmp_lt_u32_e32 vcc, v0, v10
	s_and_saveexec_b64 s[0:1], vcc
	s_cbranch_execz .LBB479_450
; %bb.449:
	v_add_co_u32_e32 v36, vcc, 0x2000, v2
	s_nop 1
	v_addc_co_u32_e32 v37, vcc, 0, v3, vcc
	s_waitcnt lgkmcnt(0)
	flat_store_short v[36:37], v28
.LBB479_450:
	s_or_b64 exec, exec, s[0:1]
	v_add_u32_e32 v0, 0x1100, v32
	v_cmp_lt_u32_e32 vcc, v0, v10
	s_and_saveexec_b64 s[0:1], vcc
	s_cbranch_execz .LBB479_452
; %bb.451:
	v_add_co_u32_e32 v36, vcc, 0x2000, v2
	s_nop 1
	v_addc_co_u32_e32 v37, vcc, 0, v3, vcc
	s_waitcnt lgkmcnt(0)
	flat_store_short v[36:37], v34 offset:512
.LBB479_452:
	s_or_b64 exec, exec, s[0:1]
	v_add_u32_e32 v0, 0x1200, v32
	v_cmp_lt_u32_e32 vcc, v0, v10
	s_and_saveexec_b64 s[0:1], vcc
	s_cbranch_execz .LBB479_454
; %bb.453:
	v_add_co_u32_e32 v36, vcc, 0x2000, v2
	s_nop 1
	v_addc_co_u32_e32 v37, vcc, 0, v3, vcc
	s_waitcnt lgkmcnt(0)
	flat_store_short v[36:37], v30 offset:1024
.LBB479_454:
	;; [unrolled: 12-line block ×3, first 2 shown]
	s_or_b64 exec, exec, s[0:1]
	v_or_b32_e32 v0, 0x1400, v32
	v_cmp_lt_u32_e32 vcc, v0, v10
	s_and_saveexec_b64 s[0:1], vcc
	s_cbranch_execz .LBB479_458
; %bb.457:
	v_add_co_u32_e32 v36, vcc, 0x2000, v2
	s_nop 1
	v_addc_co_u32_e32 v37, vcc, 0, v3, vcc
	s_waitcnt lgkmcnt(0)
	flat_store_short v[36:37], v18 offset:2048
.LBB479_458:
	s_or_b64 exec, exec, s[0:1]
	v_add_u32_e32 v0, 0x1500, v32
	v_cmp_lt_u32_e32 vcc, v0, v10
	s_and_saveexec_b64 s[0:1], vcc
	s_cbranch_execz .LBB479_460
; %bb.459:
	v_add_co_u32_e32 v36, vcc, 0x2000, v2
	s_nop 1
	v_addc_co_u32_e32 v37, vcc, 0, v3, vcc
	s_waitcnt lgkmcnt(0)
	flat_store_short v[36:37], v17 offset:2560
.LBB479_460:
	s_or_b64 exec, exec, s[0:1]
	v_add_u32_e32 v0, 0x1600, v32
	;; [unrolled: 12-line block ×3, first 2 shown]
	v_cmp_lt_u32_e32 vcc, v0, v10
	s_and_saveexec_b64 s[0:1], vcc
	s_cbranch_execz .LBB479_464
; %bb.463:
	v_add_co_u32_e32 v2, vcc, 0x2000, v2
	s_nop 1
	v_addc_co_u32_e32 v3, vcc, 0, v3, vcc
	s_waitcnt lgkmcnt(0)
	flat_store_short v[2:3], v35 offset:3584
.LBB479_464:
	s_or_b64 exec, exec, s[0:1]
	v_cmp_lt_u64_e32 vcc, 1, v[8:9]
	s_and_saveexec_b64 s[4:5], vcc
	s_cbranch_execz .LBB479_555
; %bb.465:
	s_add_u32 s0, 0, 0xaaaa0000
	s_addc_u32 s1, 0, 42
	s_add_i32 s1, s1, 0xaaaaa80
	s_mul_hi_u32 s9, s0, 0xffffffe8
	s_sub_i32 s9, s9, s0
	s_mul_i32 s10, s1, 0xffffffe8
	s_mul_i32 s6, s0, 0xffffffe8
	s_add_i32 s9, s9, s10
	s_mul_hi_u32 s7, s1, s6
	s_mul_i32 s8, s1, s6
	s_mul_i32 s11, s0, s9
	s_mul_hi_u32 s6, s0, s6
	s_mul_hi_u32 s10, s0, s9
	s_add_u32 s6, s6, s11
	s_addc_u32 s10, 0, s10
	s_add_u32 s6, s6, s8
	s_mul_hi_u32 s11, s1, s9
	s_addc_u32 s6, s10, s7
	s_addc_u32 s7, s11, 0
	s_mul_i32 s8, s1, s9
	s_add_u32 s6, s6, s8
	v_mov_b32_e32 v2, s6
	s_addc_u32 s7, 0, s7
	v_add_co_u32_e32 v36, vcc, s0, v2
	s_cmp_lg_u64 vcc, 0
	v_mov_b32_e32 v33, v1
	v_lshl_add_u64 v[0:1], v[10:11], 0, -1
	s_addc_u32 s6, s1, s7
	v_mad_u64_u32 v[2:3], s[0:1], v0, s6, 0
	v_mul_hi_u32 v8, v0, v36
	v_mov_b32_e32 v9, 0
	v_lshl_add_u64 v[2:3], v[8:9], 0, v[2:3]
	v_mad_u64_u32 v[36:37], s[0:1], v1, v36, 0
	v_add_co_u32_e32 v2, vcc, v2, v36
	v_mad_u64_u32 v[10:11], s[0:1], v1, s6, 0
	s_nop 0
	v_addc_co_u32_e32 v8, vcc, v3, v37, vcc
	s_nop 1
	v_addc_co_u32_e32 v11, vcc, 0, v11, vcc
	v_lshl_add_u64 v[2:3], v[8:9], 0, v[10:11]
	v_mad_u64_u32 v[8:9], s[0:1], v2, 24, 0
	v_mov_b32_e32 v10, v9
	v_mad_u64_u32 v[10:11], s[0:1], v3, 24, v[10:11]
	v_sub_co_u32_e32 v36, vcc, v0, v8
	v_cmp_lt_u32_e64 s[0:1], 23, v36
	s_nop 0
	v_subb_co_u32_e32 v37, vcc, v1, v10, vcc
	v_subrev_co_u32_e32 v8, vcc, 24, v36
	v_lshl_add_u64 v[10:11], v[2:3], 0, 1
	s_nop 0
	v_subbrev_co_u32_e32 v9, vcc, 0, v37, vcc
	v_cmp_lt_u32_e32 vcc, 23, v8
	s_nop 1
	v_cndmask_b32_e64 v8, 0, -1, vcc
	v_cmp_eq_u32_e32 vcc, 0, v9
	s_nop 1
	v_cndmask_b32_e32 v38, -1, v8, vcc
	v_lshl_add_u64 v[8:9], v[2:3], 0, 2
	v_cmp_ne_u32_e32 vcc, 0, v38
	s_nop 1
	v_cndmask_b32_e32 v9, v11, v9, vcc
	v_cndmask_b32_e64 v11, 0, -1, s[0:1]
	v_cmp_eq_u32_e64 s[0:1], 0, v37
	v_cndmask_b32_e32 v8, v10, v8, vcc
	s_nop 0
	v_cndmask_b32_e64 v11, -1, v11, s[0:1]
	v_cmp_ne_u32_e64 s[0:1], 0, v11
	s_nop 1
	v_cndmask_b32_e64 v3, v3, v9, s[0:1]
	v_cndmask_b32_e64 v2, v2, v8, s[0:1]
	v_cmp_eq_u64_e32 vcc, v[2:3], v[32:33]
	s_and_b64 exec, exec, vcc
	s_cbranch_execz .LBB479_555
; %bb.466:
	v_mul_hi_u32_u24_e32 v2, 24, v32
	v_sub_co_u32_e32 v0, vcc, v0, v52
	s_mov_b64 s[0:1], 0
	s_nop 0
	v_subb_co_u32_e32 v1, vcc, v1, v2, vcc
	v_cmp_lt_i64_e32 vcc, 11, v[0:1]
	s_mov_b64 s[12:13], 0
	s_mov_b64 s[10:11], 0
	;; [unrolled: 1-line block ×3, first 2 shown]
	s_and_saveexec_b64 s[6:7], vcc
	s_xor_b64 s[6:7], exec, s[6:7]
	s_cbranch_execnz .LBB479_472
; %bb.467:
	s_andn2_saveexec_b64 s[6:7], s[6:7]
	s_cbranch_execnz .LBB479_517
.LBB479_468:
	s_or_b64 exec, exec, s[6:7]
	s_and_saveexec_b64 s[6:7], s[12:13]
	s_cbranch_execnz .LBB479_534
.LBB479_469:
	s_or_b64 exec, exec, s[6:7]
	s_and_saveexec_b64 s[6:7], s[10:11]
	s_cbranch_execnz .LBB479_535
.LBB479_470:
	s_or_b64 exec, exec, s[6:7]
	s_and_saveexec_b64 s[6:7], s[8:9]
	s_xor_b64 s[6:7], exec, s[6:7]
	s_cbranch_execnz .LBB479_536
.LBB479_471:
	s_or_b64 exec, exec, s[6:7]
	s_and_b64 exec, exec, s[0:1]
	s_cbranch_execnz .LBB479_537
	s_branch .LBB479_555
.LBB479_472:
	v_cmp_lt_i64_e32 vcc, 17, v[0:1]
	s_and_saveexec_b64 s[14:15], vcc
	s_xor_b64 s[14:15], exec, s[14:15]
	s_cbranch_execz .LBB479_494
; %bb.473:
	v_cmp_lt_i64_e32 vcc, 20, v[0:1]
                                        ; implicit-def: $vgpr16
	s_and_saveexec_b64 s[16:17], vcc
	s_xor_b64 s[16:17], exec, s[16:17]
	s_cbranch_execz .LBB479_483
; %bb.474:
	v_cmp_lt_i64_e32 vcc, 21, v[0:1]
	s_mov_b64 s[18:19], 0
                                        ; implicit-def: $vgpr16
	s_and_saveexec_b64 s[8:9], vcc
	s_xor_b64 s[8:9], exec, s[8:9]
	s_cbranch_execz .LBB479_480
; %bb.475:
	v_cmp_lt_i64_e32 vcc, 22, v[0:1]
	s_and_saveexec_b64 s[18:19], vcc
	s_xor_b64 s[18:19], exec, s[18:19]
	s_cbranch_execz .LBB479_477
; %bb.476:
	s_waitcnt lgkmcnt(0)
	flat_store_short v[4:5], v35
                                        ; implicit-def: $vgpr31
.LBB479_477:
	s_or_saveexec_b64 s[18:19], s[18:19]
	s_mov_b64 s[20:21], 0
	s_xor_b64 exec, exec, s[18:19]
; %bb.478:
	s_mov_b64 s[20:21], exec
; %bb.479:
	s_or_b64 exec, exec, s[18:19]
	s_and_b64 s[18:19], s[20:21], exec
	s_waitcnt lgkmcnt(0)
	v_mov_b32_e32 v16, v31
                                        ; implicit-def: $vgpr17
.LBB479_480:
	s_andn2_saveexec_b64 s[8:9], s[8:9]
; %bb.481:
	s_mov_b64 s[10:11], exec
                                        ; implicit-def: $vgpr16
; %bb.482:
	s_or_b64 exec, exec, s[8:9]
	s_and_b64 s[8:9], s[18:19], exec
	s_and_b64 s[10:11], s[10:11], exec
                                        ; implicit-def: $vgpr30
                                        ; implicit-def: $vgpr18
                                        ; implicit-def: $vgpr27
.LBB479_483:
	s_andn2_saveexec_b64 s[16:17], s[16:17]
	s_cbranch_execz .LBB479_493
; %bb.484:
	v_cmp_lt_i64_e32 vcc, 18, v[0:1]
	s_mov_b64 s[18:19], 0
	s_and_saveexec_b64 s[12:13], vcc
	s_xor_b64 s[12:13], exec, s[12:13]
	s_cbranch_execz .LBB479_490
; %bb.485:
	v_cmp_lt_i64_e32 vcc, 19, v[0:1]
	s_and_saveexec_b64 s[20:21], vcc
	s_xor_b64 s[20:21], exec, s[20:21]
; %bb.486:
	s_mov_b64 s[18:19], exec
                                        ; implicit-def: $vgpr27
; %bb.487:
	s_andn2_saveexec_b64 s[20:21], s[20:21]
	s_cbranch_execz .LBB479_489
; %bb.488:
	s_waitcnt lgkmcnt(0)
	flat_store_short v[4:5], v27
                                        ; implicit-def: $vgpr18
.LBB479_489:
	s_or_b64 exec, exec, s[20:21]
	s_and_b64 s[18:19], s[18:19], exec
                                        ; implicit-def: $vgpr30
.LBB479_490:
	s_andn2_saveexec_b64 s[12:13], s[12:13]
	s_cbranch_execz .LBB479_492
; %bb.491:
	s_waitcnt lgkmcnt(0)
	flat_store_short v[4:5], v30
                                        ; implicit-def: $vgpr18
.LBB479_492:
	s_or_b64 exec, exec, s[12:13]
	s_and_b64 s[12:13], s[18:19], exec
                                        ; implicit-def: $vgpr16
                                        ; implicit-def: $vgpr17
.LBB479_493:
	s_or_b64 exec, exec, s[16:17]
	s_and_b64 s[8:9], s[8:9], exec
	s_and_b64 s[10:11], s[10:11], exec
	;; [unrolled: 1-line block ×3, first 2 shown]
                                        ; implicit-def: $vgpr24
                                        ; implicit-def: $vgpr19
                                        ; implicit-def: $vgpr20
                                        ; implicit-def: $vgpr28
                                        ; implicit-def: $vgpr34
.LBB479_494:
	s_andn2_saveexec_b64 s[14:15], s[14:15]
	s_cbranch_execz .LBB479_516
; %bb.495:
	v_cmp_lt_i64_e32 vcc, 14, v[0:1]
	s_mov_b64 s[16:17], s[8:9]
	s_and_saveexec_b64 s[18:19], vcc
	s_xor_b64 s[18:19], exec, s[18:19]
	s_cbranch_execz .LBB479_505
; %bb.496:
	v_cmp_lt_i64_e32 vcc, 15, v[0:1]
	s_and_saveexec_b64 s[16:17], vcc
	s_xor_b64 s[16:17], exec, s[16:17]
	s_cbranch_execz .LBB479_502
; %bb.497:
	v_cmp_lt_i64_e32 vcc, 16, v[0:1]
	s_and_saveexec_b64 s[20:21], vcc
	s_xor_b64 s[20:21], exec, s[20:21]
	s_cbranch_execz .LBB479_499
; %bb.498:
	s_waitcnt lgkmcnt(0)
	flat_store_short v[4:5], v34
                                        ; implicit-def: $vgpr28
.LBB479_499:
	s_andn2_saveexec_b64 s[20:21], s[20:21]
	s_cbranch_execz .LBB479_501
; %bb.500:
	s_waitcnt lgkmcnt(0)
	flat_store_short v[4:5], v28
.LBB479_501:
	s_or_b64 exec, exec, s[20:21]
                                        ; implicit-def: $vgpr16
.LBB479_502:
	s_or_saveexec_b64 s[16:17], s[16:17]
	s_mov_b64 s[20:21], s[8:9]
	s_xor_b64 exec, exec, s[16:17]
; %bb.503:
	s_or_b64 s[20:21], s[8:9], exec
; %bb.504:
	s_or_b64 exec, exec, s[16:17]
	s_andn2_b64 s[16:17], s[8:9], exec
	s_and_b64 s[20:21], s[20:21], exec
	s_or_b64 s[16:17], s[16:17], s[20:21]
                                        ; implicit-def: $vgpr24
                                        ; implicit-def: $vgpr19
                                        ; implicit-def: $vgpr20
.LBB479_505:
	s_or_saveexec_b64 s[18:19], s[18:19]
	s_mov_b64 s[20:21], s[10:11]
                                        ; implicit-def: $vgpr17
	s_xor_b64 exec, exec, s[18:19]
	s_cbranch_execz .LBB479_515
; %bb.506:
	v_cmp_lt_i64_e32 vcc, 12, v[0:1]
	s_mov_b64 s[22:23], s[10:11]
	s_mov_b64 s[24:25], s[16:17]
                                        ; implicit-def: $vgpr16
                                        ; implicit-def: $vgpr17
	s_and_saveexec_b64 s[20:21], vcc
	s_xor_b64 s[20:21], exec, s[20:21]
	s_cbranch_execz .LBB479_512
; %bb.507:
	v_cmp_lt_i64_e32 vcc, 13, v[0:1]
	s_mov_b64 s[22:23], s[16:17]
	s_and_saveexec_b64 s[24:25], vcc
	s_xor_b64 s[24:25], exec, s[24:25]
; %bb.508:
	s_or_b64 s[22:23], s[16:17], exec
                                        ; implicit-def: $vgpr19
; %bb.509:
	s_or_saveexec_b64 s[24:25], s[24:25]
	s_mov_b64 s[26:27], s[10:11]
	s_xor_b64 exec, exec, s[24:25]
; %bb.510:
	s_or_b64 s[26:27], s[10:11], exec
                                        ; implicit-def: $vgpr20
; %bb.511:
	s_or_b64 exec, exec, s[24:25]
	s_andn2_b64 s[24:25], s[16:17], exec
	s_and_b64 s[22:23], s[22:23], exec
	s_or_b64 s[24:25], s[24:25], s[22:23]
	s_andn2_b64 s[22:23], s[10:11], exec
	s_and_b64 s[26:27], s[26:27], exec
	s_or_b64 s[22:23], s[22:23], s[26:27]
	s_waitcnt lgkmcnt(0)
	v_mov_b32_e32 v16, v20
	v_mov_b32_e32 v17, v19
                                        ; implicit-def: $vgpr24
.LBB479_512:
	s_andn2_saveexec_b64 s[20:21], s[20:21]
	s_cbranch_execz .LBB479_514
; %bb.513:
	s_or_b64 s[22:23], s[22:23], exec
                                        ; implicit-def: $vgpr16
	s_waitcnt lgkmcnt(0)
	v_mov_b32_e32 v17, v24
.LBB479_514:
	s_or_b64 exec, exec, s[20:21]
	s_andn2_b64 s[16:17], s[16:17], exec
	s_and_b64 s[20:21], s[24:25], exec
	s_or_b64 s[16:17], s[16:17], s[20:21]
	s_andn2_b64 s[20:21], s[10:11], exec
	s_and_b64 s[22:23], s[22:23], exec
	s_or_b64 s[20:21], s[20:21], s[22:23]
.LBB479_515:
	s_or_b64 exec, exec, s[18:19]
	s_andn2_b64 s[8:9], s[8:9], exec
	s_and_b64 s[16:17], s[16:17], exec
	s_or_b64 s[8:9], s[8:9], s[16:17]
	s_andn2_b64 s[10:11], s[10:11], exec
	s_and_b64 s[16:17], s[20:21], exec
	s_or_b64 s[10:11], s[10:11], s[16:17]
                                        ; implicit-def: $vgpr18
.LBB479_516:
	s_or_b64 exec, exec, s[14:15]
	s_and_b64 s[8:9], s[8:9], exec
	s_and_b64 s[10:11], s[10:11], exec
	s_and_b64 s[12:13], s[12:13], exec
                                        ; implicit-def: $vgpr23
                                        ; implicit-def: $vgpr21
                                        ; implicit-def: $vgpr22
                                        ; implicit-def: $vgpr29
                                        ; implicit-def: $vgpr26
                                        ; implicit-def: $vgpr25
	s_andn2_saveexec_b64 s[6:7], s[6:7]
	s_cbranch_execz .LBB479_468
.LBB479_517:
	v_cmp_lt_i64_e32 vcc, 5, v[0:1]
	s_mov_b64 s[16:17], -1
	s_mov_b64 s[14:15], s[12:13]
	s_mov_b64 s[18:19], s[10:11]
	;; [unrolled: 1-line block ×3, first 2 shown]
                                        ; implicit-def: $vgpr16
                                        ; implicit-def: $vgpr17
                                        ; implicit-def: $vgpr18
	s_and_saveexec_b64 s[0:1], vcc
	s_cbranch_execz .LBB479_533
; %bb.518:
	v_cmp_lt_i64_e32 vcc, 8, v[0:1]
	s_mov_b64 s[14:15], s[12:13]
                                        ; implicit-def: $vgpr18
	s_and_saveexec_b64 s[16:17], vcc
	s_xor_b64 s[16:17], exec, s[16:17]
	s_cbranch_execz .LBB479_528
; %bb.519:
	v_cmp_lt_i64_e32 vcc, 9, v[0:1]
	s_and_saveexec_b64 s[14:15], vcc
	s_xor_b64 s[14:15], exec, s[14:15]
	s_cbranch_execz .LBB479_525
; %bb.520:
	v_cmp_lt_i64_e32 vcc, 10, v[0:1]
	s_and_saveexec_b64 s[18:19], vcc
	s_xor_b64 s[18:19], exec, s[18:19]
; %bb.521:
                                        ; implicit-def: $vgpr26
; %bb.522:
	s_andn2_saveexec_b64 s[18:19], s[18:19]
	s_cbranch_execz .LBB479_524
; %bb.523:
	s_waitcnt lgkmcnt(0)
	v_mov_b32_e32 v25, v26
.LBB479_524:
	s_or_b64 exec, exec, s[18:19]
                                        ; implicit-def: $vgpr29
.LBB479_525:
	s_andn2_saveexec_b64 s[14:15], s[14:15]
	s_cbranch_execz .LBB479_527
; %bb.526:
	s_waitcnt lgkmcnt(0)
	v_mov_b32_e32 v25, v29
.LBB479_527:
	s_or_b64 exec, exec, s[14:15]
	s_or_b64 s[14:15], s[12:13], exec
	s_waitcnt lgkmcnt(0)
	v_mov_b32_e32 v18, v25
                                        ; implicit-def: $vgpr23
                                        ; implicit-def: $vgpr21
                                        ; implicit-def: $vgpr22
.LBB479_528:
	s_or_saveexec_b64 s[16:17], s[16:17]
	s_mov_b64 s[18:19], s[10:11]
	s_mov_b64 s[22:23], s[8:9]
                                        ; implicit-def: $vgpr16
                                        ; implicit-def: $vgpr17
	s_xor_b64 exec, exec, s[16:17]
	s_cbranch_execz .LBB479_532
; %bb.529:
	v_cmp_lt_i64_e32 vcc, 6, v[0:1]
	s_mov_b64 s[22:23], -1
	s_mov_b64 s[20:21], s[14:15]
	s_mov_b64 s[18:19], s[10:11]
	s_and_saveexec_b64 s[24:25], vcc
; %bb.530:
	v_cmp_lt_i64_e32 vcc, 7, v[0:1]
	s_andn2_b64 s[20:21], s[14:15], exec
	s_and_b64 s[26:27], vcc, exec
	s_xor_b64 s[22:23], exec, -1
	s_or_b64 s[18:19], s[10:11], exec
	s_or_b64 s[20:21], s[20:21], s[26:27]
                                        ; implicit-def: $vgpr23
; %bb.531:
	s_or_b64 exec, exec, s[24:25]
	s_andn2_b64 s[24:25], s[8:9], exec
	s_and_b64 s[22:23], s[22:23], exec
	s_or_b64 s[22:23], s[24:25], s[22:23]
	s_andn2_b64 s[24:25], s[10:11], exec
	s_and_b64 s[18:19], s[18:19], exec
	s_andn2_b64 s[14:15], s[14:15], exec
	s_and_b64 s[20:21], s[20:21], exec
	s_or_b64 s[18:19], s[24:25], s[18:19]
	s_or_b64 s[14:15], s[14:15], s[20:21]
	s_waitcnt lgkmcnt(0)
	v_mov_b32_e32 v16, v23
	v_mov_b32_e32 v17, v21
	;; [unrolled: 1-line block ×3, first 2 shown]
.LBB479_532:
	s_or_b64 exec, exec, s[16:17]
	s_andn2_b64 s[20:21], s[8:9], exec
	s_and_b64 s[22:23], s[22:23], exec
	s_or_b64 s[20:21], s[20:21], s[22:23]
	s_andn2_b64 s[22:23], s[10:11], exec
	s_and_b64 s[18:19], s[18:19], exec
	s_or_b64 s[18:19], s[22:23], s[18:19]
	s_andn2_b64 s[22:23], s[12:13], exec
	s_and_b64 s[14:15], s[14:15], exec
	s_xor_b64 s[16:17], exec, -1
	s_or_b64 s[14:15], s[22:23], s[14:15]
.LBB479_533:
	s_or_b64 exec, exec, s[0:1]
	s_and_b64 s[0:1], s[16:17], exec
	s_andn2_b64 s[8:9], s[8:9], exec
	s_and_b64 s[16:17], s[20:21], exec
	s_or_b64 s[8:9], s[8:9], s[16:17]
	s_andn2_b64 s[10:11], s[10:11], exec
	s_and_b64 s[16:17], s[18:19], exec
	s_andn2_b64 s[12:13], s[12:13], exec
	s_and_b64 s[14:15], s[14:15], exec
	s_or_b64 s[10:11], s[10:11], s[16:17]
	s_or_b64 s[12:13], s[12:13], s[14:15]
	s_or_b64 exec, exec, s[6:7]
	s_and_saveexec_b64 s[6:7], s[12:13]
	s_cbranch_execz .LBB479_469
.LBB479_534:
	s_andn2_b64 s[10:11], s[10:11], exec
	s_waitcnt lgkmcnt(0)
	flat_store_short v[4:5], v18
                                        ; implicit-def: $vgpr16
                                        ; implicit-def: $vgpr17
	s_or_b64 exec, exec, s[6:7]
	s_and_saveexec_b64 s[6:7], s[10:11]
	s_cbranch_execz .LBB479_470
.LBB479_535:
	s_waitcnt lgkmcnt(0)
	flat_store_short v[4:5], v17
                                        ; implicit-def: $vgpr16
	s_or_b64 exec, exec, s[6:7]
	s_and_saveexec_b64 s[6:7], s[8:9]
	s_xor_b64 s[6:7], exec, s[6:7]
	s_cbranch_execz .LBB479_471
.LBB479_536:
	s_waitcnt lgkmcnt(0)
	flat_store_short v[4:5], v16
	s_or_b64 exec, exec, s[6:7]
	s_and_b64 exec, exec, s[0:1]
	s_cbranch_execz .LBB479_555
.LBB479_537:
	v_cmp_lt_i64_e32 vcc, 2, v[0:1]
	s_and_saveexec_b64 s[0:1], vcc
	s_xor_b64 s[0:1], exec, s[0:1]
	s_cbranch_execz .LBB479_547
; %bb.538:
	v_cmp_lt_i64_e32 vcc, 3, v[0:1]
	s_and_saveexec_b64 s[6:7], vcc
	s_xor_b64 s[6:7], exec, s[6:7]
	s_cbranch_execz .LBB479_544
; %bb.539:
	;; [unrolled: 5-line block ×3, first 2 shown]
	s_waitcnt lgkmcnt(0)
	flat_store_short v[4:5], v15
                                        ; implicit-def: $vgpr4_vgpr5
                                        ; implicit-def: $vgpr12
.LBB479_541:
	s_andn2_saveexec_b64 s[8:9], s[8:9]
	s_cbranch_execz .LBB479_543
; %bb.542:
	s_waitcnt lgkmcnt(0)
	flat_store_short v[4:5], v12
.LBB479_543:
	s_or_b64 exec, exec, s[8:9]
                                        ; implicit-def: $vgpr4_vgpr5
                                        ; implicit-def: $vgpr14
.LBB479_544:
	s_andn2_saveexec_b64 s[6:7], s[6:7]
	s_cbranch_execz .LBB479_546
; %bb.545:
	s_waitcnt lgkmcnt(0)
	flat_store_short v[4:5], v14
.LBB479_546:
	s_or_b64 exec, exec, s[6:7]
                                        ; implicit-def: $vgpr0_vgpr1
                                        ; implicit-def: $vgpr4_vgpr5
                                        ; implicit-def: $vgpr13
                                        ; implicit-def: $vgpr6
                                        ; implicit-def: $vgpr7
.LBB479_547:
	s_andn2_saveexec_b64 s[0:1], s[0:1]
	s_cbranch_execz .LBB479_555
; %bb.548:
	v_cmp_lt_i64_e32 vcc, 1, v[0:1]
	s_and_saveexec_b64 s[0:1], vcc
	s_xor_b64 s[0:1], exec, s[0:1]
	s_cbranch_execz .LBB479_550
; %bb.549:
	s_waitcnt lgkmcnt(0)
	flat_store_short v[4:5], v13
                                        ; implicit-def: $vgpr4_vgpr5
                                        ; implicit-def: $vgpr6
                                        ; implicit-def: $vgpr0_vgpr1
                                        ; implicit-def: $vgpr7
.LBB479_550:
	s_andn2_saveexec_b64 s[0:1], s[0:1]
	s_cbranch_execz .LBB479_555
; %bb.551:
	v_cmp_ne_u64_e32 vcc, 1, v[0:1]
	s_and_saveexec_b64 s[0:1], vcc
	s_xor_b64 s[0:1], exec, s[0:1]
	s_cbranch_execz .LBB479_553
; %bb.552:
	s_waitcnt lgkmcnt(0)
	flat_store_short v[4:5], v7
                                        ; implicit-def: $vgpr4_vgpr5
                                        ; implicit-def: $vgpr6
.LBB479_553:
	s_andn2_saveexec_b64 s[0:1], s[0:1]
	s_cbranch_execz .LBB479_555
; %bb.554:
	s_waitcnt lgkmcnt(0)
	flat_store_short v[4:5], v6
.LBB479_555:
	s_or_b64 exec, exec, s[4:5]
.LBB479_556:
	s_or_b64 exec, exec, s[2:3]
	v_readlane_b32 s30, v40, 0
	v_readlane_b32 s31, v40, 1
	s_or_saveexec_b64 s[0:1], -1
	scratch_load_dword v40, off, s32        ; 4-byte Folded Reload
	s_mov_b64 exec, s[0:1]
	s_waitcnt vmcnt(0) lgkmcnt(0)
	s_setpc_b64 s[30:31]
.Lfunc_end479:
	.size	_ZZZN7rocprim17ROCPRIM_400000_NS6detail9scan_implILNS1_25lookback_scan_determinismE0ELb0ELb0ENS0_14default_configEPKN3c108BFloat16EPS6_S6_ZZZN2at6native31launch_logcumsumexp_cuda_kernelERKNSA_10TensorBaseESE_lENKUlvE_clEvENKUlvE4_clEvEUlS6_S6_E_S6_EEDaPvRmT3_T4_T5_mT6_P12ihipStream_tbENKUlT_T0_E_clISt17integral_constantIbLb1EESV_EEDaSQ_SR_ENKUlSQ_E_clINS1_13target_configIS4_NS1_20scan_config_selectorIS6_EENS1_11comp_targetILNS1_3genE5ELNS1_11target_archE942ELNS1_3gpuE9ELNS1_3repE0EEELNS0_4arch9wavefront6targetE1EEEEEDaSQ_, .Lfunc_end479-_ZZZN7rocprim17ROCPRIM_400000_NS6detail9scan_implILNS1_25lookback_scan_determinismE0ELb0ELb0ENS0_14default_configEPKN3c108BFloat16EPS6_S6_ZZZN2at6native31launch_logcumsumexp_cuda_kernelERKNSA_10TensorBaseESE_lENKUlvE_clEvENKUlvE4_clEvEUlS6_S6_E_S6_EEDaPvRmT3_T4_T5_mT6_P12ihipStream_tbENKUlT_T0_E_clISt17integral_constantIbLb1EESV_EEDaSQ_SR_ENKUlSQ_E_clINS1_13target_configIS4_NS1_20scan_config_selectorIS6_EENS1_11comp_targetILNS1_3genE5ELNS1_11target_archE942ELNS1_3gpuE9ELNS1_3repE0EEELNS0_4arch9wavefront6targetE1EEEEEDaSQ_
                                        ; -- End function
	.section	.AMDGPU.csdata,"",@progbits
; Function info:
; codeLenInByte = 120780
; NumSgprs: 82
; NumVgprs: 225
; NumAgprs: 0
; TotalNumVgprs: 225
; ScratchSize: 8
; MemoryBound: 0
	.section	.text._ZN7rocprim17ROCPRIM_400000_NS6detail17trampoline_kernelINS0_14default_configENS1_20scan_config_selectorIN3c108BFloat16EEEZZNS1_9scan_implILNS1_25lookback_scan_determinismE0ELb0ELb0ES3_PKS6_PS6_S6_ZZZN2at6native31launch_logcumsumexp_cuda_kernelERKNSD_10TensorBaseESH_lENKUlvE_clEvENKUlvE4_clEvEUlS6_S6_E_S6_EEDaPvRmT3_T4_T5_mT6_P12ihipStream_tbENKUlT_T0_E_clISt17integral_constantIbLb1EESY_EEDaST_SU_EUlST_E_NS1_11comp_targetILNS1_3genE5ELNS1_11target_archE942ELNS1_3gpuE9ELNS1_3repE0EEENS1_30default_config_static_selectorELNS0_4arch9wavefront6targetE1EEEvT1_,"axG",@progbits,_ZN7rocprim17ROCPRIM_400000_NS6detail17trampoline_kernelINS0_14default_configENS1_20scan_config_selectorIN3c108BFloat16EEEZZNS1_9scan_implILNS1_25lookback_scan_determinismE0ELb0ELb0ES3_PKS6_PS6_S6_ZZZN2at6native31launch_logcumsumexp_cuda_kernelERKNSD_10TensorBaseESH_lENKUlvE_clEvENKUlvE4_clEvEUlS6_S6_E_S6_EEDaPvRmT3_T4_T5_mT6_P12ihipStream_tbENKUlT_T0_E_clISt17integral_constantIbLb1EESY_EEDaST_SU_EUlST_E_NS1_11comp_targetILNS1_3genE5ELNS1_11target_archE942ELNS1_3gpuE9ELNS1_3repE0EEENS1_30default_config_static_selectorELNS0_4arch9wavefront6targetE1EEEvT1_,comdat
	.globl	_ZN7rocprim17ROCPRIM_400000_NS6detail17trampoline_kernelINS0_14default_configENS1_20scan_config_selectorIN3c108BFloat16EEEZZNS1_9scan_implILNS1_25lookback_scan_determinismE0ELb0ELb0ES3_PKS6_PS6_S6_ZZZN2at6native31launch_logcumsumexp_cuda_kernelERKNSD_10TensorBaseESH_lENKUlvE_clEvENKUlvE4_clEvEUlS6_S6_E_S6_EEDaPvRmT3_T4_T5_mT6_P12ihipStream_tbENKUlT_T0_E_clISt17integral_constantIbLb1EESY_EEDaST_SU_EUlST_E_NS1_11comp_targetILNS1_3genE5ELNS1_11target_archE942ELNS1_3gpuE9ELNS1_3repE0EEENS1_30default_config_static_selectorELNS0_4arch9wavefront6targetE1EEEvT1_ ; -- Begin function _ZN7rocprim17ROCPRIM_400000_NS6detail17trampoline_kernelINS0_14default_configENS1_20scan_config_selectorIN3c108BFloat16EEEZZNS1_9scan_implILNS1_25lookback_scan_determinismE0ELb0ELb0ES3_PKS6_PS6_S6_ZZZN2at6native31launch_logcumsumexp_cuda_kernelERKNSD_10TensorBaseESH_lENKUlvE_clEvENKUlvE4_clEvEUlS6_S6_E_S6_EEDaPvRmT3_T4_T5_mT6_P12ihipStream_tbENKUlT_T0_E_clISt17integral_constantIbLb1EESY_EEDaST_SU_EUlST_E_NS1_11comp_targetILNS1_3genE5ELNS1_11target_archE942ELNS1_3gpuE9ELNS1_3repE0EEENS1_30default_config_static_selectorELNS0_4arch9wavefront6targetE1EEEvT1_
	.p2align	8
	.type	_ZN7rocprim17ROCPRIM_400000_NS6detail17trampoline_kernelINS0_14default_configENS1_20scan_config_selectorIN3c108BFloat16EEEZZNS1_9scan_implILNS1_25lookback_scan_determinismE0ELb0ELb0ES3_PKS6_PS6_S6_ZZZN2at6native31launch_logcumsumexp_cuda_kernelERKNSD_10TensorBaseESH_lENKUlvE_clEvENKUlvE4_clEvEUlS6_S6_E_S6_EEDaPvRmT3_T4_T5_mT6_P12ihipStream_tbENKUlT_T0_E_clISt17integral_constantIbLb1EESY_EEDaST_SU_EUlST_E_NS1_11comp_targetILNS1_3genE5ELNS1_11target_archE942ELNS1_3gpuE9ELNS1_3repE0EEENS1_30default_config_static_selectorELNS0_4arch9wavefront6targetE1EEEvT1_,@function
_ZN7rocprim17ROCPRIM_400000_NS6detail17trampoline_kernelINS0_14default_configENS1_20scan_config_selectorIN3c108BFloat16EEEZZNS1_9scan_implILNS1_25lookback_scan_determinismE0ELb0ELb0ES3_PKS6_PS6_S6_ZZZN2at6native31launch_logcumsumexp_cuda_kernelERKNSD_10TensorBaseESH_lENKUlvE_clEvENKUlvE4_clEvEUlS6_S6_E_S6_EEDaPvRmT3_T4_T5_mT6_P12ihipStream_tbENKUlT_T0_E_clISt17integral_constantIbLb1EESY_EEDaST_SU_EUlST_E_NS1_11comp_targetILNS1_3genE5ELNS1_11target_archE942ELNS1_3gpuE9ELNS1_3repE0EEENS1_30default_config_static_selectorELNS0_4arch9wavefront6targetE1EEEvT1_: ; @_ZN7rocprim17ROCPRIM_400000_NS6detail17trampoline_kernelINS0_14default_configENS1_20scan_config_selectorIN3c108BFloat16EEEZZNS1_9scan_implILNS1_25lookback_scan_determinismE0ELb0ELb0ES3_PKS6_PS6_S6_ZZZN2at6native31launch_logcumsumexp_cuda_kernelERKNSD_10TensorBaseESH_lENKUlvE_clEvENKUlvE4_clEvEUlS6_S6_E_S6_EEDaPvRmT3_T4_T5_mT6_P12ihipStream_tbENKUlT_T0_E_clISt17integral_constantIbLb1EESY_EEDaST_SU_EUlST_E_NS1_11comp_targetILNS1_3genE5ELNS1_11target_archE942ELNS1_3gpuE9ELNS1_3repE0EEENS1_30default_config_static_selectorELNS0_4arch9wavefront6targetE1EEEvT1_
; %bb.0:
	s_load_dwordx8 s[4:11], s[0:1], 0x0
	s_load_dwordx8 s[12:19], s[0:1], 0x20
	s_mov_b64 s[2:3], src_private_base
	v_mov_b32_e32 v31, v0
	v_mov_b32_e32 v0, 0
	s_waitcnt lgkmcnt(0)
	v_mov_b64_e32 v[2:3], s[4:5]
	v_mov_b64_e32 v[6:7], s[8:9]
	;; [unrolled: 1-line block ×4, first 2 shown]
	s_load_dwordx8 s[4:11], s[0:1], 0x40
	scratch_store_dwordx4 off, v[2:5], off
	scratch_store_dwordx4 off, v[6:9], off offset:16
	v_mov_b32_e32 v1, s3
	v_mov_b64_e32 v[2:3], s[12:13]
	v_mov_b64_e32 v[4:5], s[14:15]
	scratch_store_dwordx4 off, v[2:5], off offset:32
	s_movk_i32 s32, 0x70
	s_nop 0
	v_mov_b64_e32 v[2:3], s[16:17]
	v_mov_b64_e32 v[4:5], s[18:19]
	scratch_store_dwordx4 off, v[2:5], off offset:48
	s_waitcnt lgkmcnt(0)
	s_nop 0
	v_mov_b64_e32 v[2:3], s[4:5]
	v_mov_b64_e32 v[4:5], s[6:7]
	scratch_store_dwordx4 off, v[2:5], off offset:64
	s_nop 1
	v_mov_b64_e32 v[2:3], s[8:9]
	v_mov_b64_e32 v[4:5], s[10:11]
	s_add_u32 s8, s0, 0x60
	s_addc_u32 s9, s1, 0
	scratch_store_dwordx4 off, v[2:5], off offset:80
	s_getpc_b64 s[0:1]
	s_add_u32 s0, s0, _ZZZN7rocprim17ROCPRIM_400000_NS6detail9scan_implILNS1_25lookback_scan_determinismE0ELb0ELb0ENS0_14default_configEPKN3c108BFloat16EPS6_S6_ZZZN2at6native31launch_logcumsumexp_cuda_kernelERKNSA_10TensorBaseESE_lENKUlvE_clEvENKUlvE4_clEvEUlS6_S6_E_S6_EEDaPvRmT3_T4_T5_mT6_P12ihipStream_tbENKUlT_T0_E_clISt17integral_constantIbLb1EESV_EEDaSQ_SR_ENKUlSQ_E_clINS1_13target_configIS4_NS1_20scan_config_selectorIS6_EENS1_11comp_targetILNS1_3genE5ELNS1_11target_archE942ELNS1_3gpuE9ELNS1_3repE0EEELNS0_4arch9wavefront6targetE1EEEEEDaSQ_@rel32@lo+4
	s_addc_u32 s1, s1, _ZZZN7rocprim17ROCPRIM_400000_NS6detail9scan_implILNS1_25lookback_scan_determinismE0ELb0ELb0ENS0_14default_configEPKN3c108BFloat16EPS6_S6_ZZZN2at6native31launch_logcumsumexp_cuda_kernelERKNSA_10TensorBaseESE_lENKUlvE_clEvENKUlvE4_clEvEUlS6_S6_E_S6_EEDaPvRmT3_T4_T5_mT6_P12ihipStream_tbENKUlT_T0_E_clISt17integral_constantIbLb1EESV_EEDaSQ_SR_ENKUlSQ_E_clINS1_13target_configIS4_NS1_20scan_config_selectorIS6_EENS1_11comp_targetILNS1_3genE5ELNS1_11target_archE942ELNS1_3gpuE9ELNS1_3repE0EEELNS0_4arch9wavefront6targetE1EEEEEDaSQ_@rel32@hi+12
	s_swappc_b64 s[30:31], s[0:1]
	s_endpgm
	.section	.rodata,"a",@progbits
	.p2align	6, 0x0
	.amdhsa_kernel _ZN7rocprim17ROCPRIM_400000_NS6detail17trampoline_kernelINS0_14default_configENS1_20scan_config_selectorIN3c108BFloat16EEEZZNS1_9scan_implILNS1_25lookback_scan_determinismE0ELb0ELb0ES3_PKS6_PS6_S6_ZZZN2at6native31launch_logcumsumexp_cuda_kernelERKNSD_10TensorBaseESH_lENKUlvE_clEvENKUlvE4_clEvEUlS6_S6_E_S6_EEDaPvRmT3_T4_T5_mT6_P12ihipStream_tbENKUlT_T0_E_clISt17integral_constantIbLb1EESY_EEDaST_SU_EUlST_E_NS1_11comp_targetILNS1_3genE5ELNS1_11target_archE942ELNS1_3gpuE9ELNS1_3repE0EEENS1_30default_config_static_selectorELNS0_4arch9wavefront6targetE1EEEvT1_
		.amdhsa_group_segment_fixed_size 12288
		.amdhsa_private_segment_fixed_size 120
		.amdhsa_kernarg_size 352
		.amdhsa_user_sgpr_count 2
		.amdhsa_user_sgpr_dispatch_ptr 0
		.amdhsa_user_sgpr_queue_ptr 0
		.amdhsa_user_sgpr_kernarg_segment_ptr 1
		.amdhsa_user_sgpr_dispatch_id 0
		.amdhsa_user_sgpr_kernarg_preload_length 0
		.amdhsa_user_sgpr_kernarg_preload_offset 0
		.amdhsa_user_sgpr_private_segment_size 0
		.amdhsa_uses_dynamic_stack 0
		.amdhsa_enable_private_segment 1
		.amdhsa_system_sgpr_workgroup_id_x 1
		.amdhsa_system_sgpr_workgroup_id_y 0
		.amdhsa_system_sgpr_workgroup_id_z 0
		.amdhsa_system_sgpr_workgroup_info 0
		.amdhsa_system_vgpr_workitem_id 0
		.amdhsa_next_free_vgpr 225
		.amdhsa_next_free_sgpr 76
		.amdhsa_accum_offset 228
		.amdhsa_reserve_vcc 1
		.amdhsa_float_round_mode_32 0
		.amdhsa_float_round_mode_16_64 0
		.amdhsa_float_denorm_mode_32 3
		.amdhsa_float_denorm_mode_16_64 3
		.amdhsa_dx10_clamp 1
		.amdhsa_ieee_mode 1
		.amdhsa_fp16_overflow 0
		.amdhsa_tg_split 0
		.amdhsa_exception_fp_ieee_invalid_op 0
		.amdhsa_exception_fp_denorm_src 0
		.amdhsa_exception_fp_ieee_div_zero 0
		.amdhsa_exception_fp_ieee_overflow 0
		.amdhsa_exception_fp_ieee_underflow 0
		.amdhsa_exception_fp_ieee_inexact 0
		.amdhsa_exception_int_div_zero 0
	.end_amdhsa_kernel
	.section	.text._ZN7rocprim17ROCPRIM_400000_NS6detail17trampoline_kernelINS0_14default_configENS1_20scan_config_selectorIN3c108BFloat16EEEZZNS1_9scan_implILNS1_25lookback_scan_determinismE0ELb0ELb0ES3_PKS6_PS6_S6_ZZZN2at6native31launch_logcumsumexp_cuda_kernelERKNSD_10TensorBaseESH_lENKUlvE_clEvENKUlvE4_clEvEUlS6_S6_E_S6_EEDaPvRmT3_T4_T5_mT6_P12ihipStream_tbENKUlT_T0_E_clISt17integral_constantIbLb1EESY_EEDaST_SU_EUlST_E_NS1_11comp_targetILNS1_3genE5ELNS1_11target_archE942ELNS1_3gpuE9ELNS1_3repE0EEENS1_30default_config_static_selectorELNS0_4arch9wavefront6targetE1EEEvT1_,"axG",@progbits,_ZN7rocprim17ROCPRIM_400000_NS6detail17trampoline_kernelINS0_14default_configENS1_20scan_config_selectorIN3c108BFloat16EEEZZNS1_9scan_implILNS1_25lookback_scan_determinismE0ELb0ELb0ES3_PKS6_PS6_S6_ZZZN2at6native31launch_logcumsumexp_cuda_kernelERKNSD_10TensorBaseESH_lENKUlvE_clEvENKUlvE4_clEvEUlS6_S6_E_S6_EEDaPvRmT3_T4_T5_mT6_P12ihipStream_tbENKUlT_T0_E_clISt17integral_constantIbLb1EESY_EEDaST_SU_EUlST_E_NS1_11comp_targetILNS1_3genE5ELNS1_11target_archE942ELNS1_3gpuE9ELNS1_3repE0EEENS1_30default_config_static_selectorELNS0_4arch9wavefront6targetE1EEEvT1_,comdat
.Lfunc_end480:
	.size	_ZN7rocprim17ROCPRIM_400000_NS6detail17trampoline_kernelINS0_14default_configENS1_20scan_config_selectorIN3c108BFloat16EEEZZNS1_9scan_implILNS1_25lookback_scan_determinismE0ELb0ELb0ES3_PKS6_PS6_S6_ZZZN2at6native31launch_logcumsumexp_cuda_kernelERKNSD_10TensorBaseESH_lENKUlvE_clEvENKUlvE4_clEvEUlS6_S6_E_S6_EEDaPvRmT3_T4_T5_mT6_P12ihipStream_tbENKUlT_T0_E_clISt17integral_constantIbLb1EESY_EEDaST_SU_EUlST_E_NS1_11comp_targetILNS1_3genE5ELNS1_11target_archE942ELNS1_3gpuE9ELNS1_3repE0EEENS1_30default_config_static_selectorELNS0_4arch9wavefront6targetE1EEEvT1_, .Lfunc_end480-_ZN7rocprim17ROCPRIM_400000_NS6detail17trampoline_kernelINS0_14default_configENS1_20scan_config_selectorIN3c108BFloat16EEEZZNS1_9scan_implILNS1_25lookback_scan_determinismE0ELb0ELb0ES3_PKS6_PS6_S6_ZZZN2at6native31launch_logcumsumexp_cuda_kernelERKNSD_10TensorBaseESH_lENKUlvE_clEvENKUlvE4_clEvEUlS6_S6_E_S6_EEDaPvRmT3_T4_T5_mT6_P12ihipStream_tbENKUlT_T0_E_clISt17integral_constantIbLb1EESY_EEDaST_SU_EUlST_E_NS1_11comp_targetILNS1_3genE5ELNS1_11target_archE942ELNS1_3gpuE9ELNS1_3repE0EEENS1_30default_config_static_selectorELNS0_4arch9wavefront6targetE1EEEvT1_
                                        ; -- End function
	.section	.AMDGPU.csdata,"",@progbits
; Kernel info:
; codeLenInByte = 200
; NumSgprs: 82
; NumVgprs: 225
; NumAgprs: 0
; TotalNumVgprs: 225
; ScratchSize: 120
; MemoryBound: 0
; FloatMode: 240
; IeeeMode: 1
; LDSByteSize: 12288 bytes/workgroup (compile time only)
; SGPRBlocks: 10
; VGPRBlocks: 28
; NumSGPRsForWavesPerEU: 82
; NumVGPRsForWavesPerEU: 225
; AccumOffset: 228
; Occupancy: 2
; WaveLimiterHint : 1
; COMPUTE_PGM_RSRC2:SCRATCH_EN: 1
; COMPUTE_PGM_RSRC2:USER_SGPR: 2
; COMPUTE_PGM_RSRC2:TRAP_HANDLER: 0
; COMPUTE_PGM_RSRC2:TGID_X_EN: 1
; COMPUTE_PGM_RSRC2:TGID_Y_EN: 0
; COMPUTE_PGM_RSRC2:TGID_Z_EN: 0
; COMPUTE_PGM_RSRC2:TIDIG_COMP_CNT: 0
; COMPUTE_PGM_RSRC3_GFX90A:ACCUM_OFFSET: 56
; COMPUTE_PGM_RSRC3_GFX90A:TG_SPLIT: 0
	.section	.text._ZN7rocprim17ROCPRIM_400000_NS6detail17trampoline_kernelINS0_14default_configENS1_20scan_config_selectorIN3c108BFloat16EEEZZNS1_9scan_implILNS1_25lookback_scan_determinismE0ELb0ELb0ES3_PKS6_PS6_S6_ZZZN2at6native31launch_logcumsumexp_cuda_kernelERKNSD_10TensorBaseESH_lENKUlvE_clEvENKUlvE4_clEvEUlS6_S6_E_S6_EEDaPvRmT3_T4_T5_mT6_P12ihipStream_tbENKUlT_T0_E_clISt17integral_constantIbLb1EESY_EEDaST_SU_EUlST_E_NS1_11comp_targetILNS1_3genE4ELNS1_11target_archE910ELNS1_3gpuE8ELNS1_3repE0EEENS1_30default_config_static_selectorELNS0_4arch9wavefront6targetE1EEEvT1_,"axG",@progbits,_ZN7rocprim17ROCPRIM_400000_NS6detail17trampoline_kernelINS0_14default_configENS1_20scan_config_selectorIN3c108BFloat16EEEZZNS1_9scan_implILNS1_25lookback_scan_determinismE0ELb0ELb0ES3_PKS6_PS6_S6_ZZZN2at6native31launch_logcumsumexp_cuda_kernelERKNSD_10TensorBaseESH_lENKUlvE_clEvENKUlvE4_clEvEUlS6_S6_E_S6_EEDaPvRmT3_T4_T5_mT6_P12ihipStream_tbENKUlT_T0_E_clISt17integral_constantIbLb1EESY_EEDaST_SU_EUlST_E_NS1_11comp_targetILNS1_3genE4ELNS1_11target_archE910ELNS1_3gpuE8ELNS1_3repE0EEENS1_30default_config_static_selectorELNS0_4arch9wavefront6targetE1EEEvT1_,comdat
	.globl	_ZN7rocprim17ROCPRIM_400000_NS6detail17trampoline_kernelINS0_14default_configENS1_20scan_config_selectorIN3c108BFloat16EEEZZNS1_9scan_implILNS1_25lookback_scan_determinismE0ELb0ELb0ES3_PKS6_PS6_S6_ZZZN2at6native31launch_logcumsumexp_cuda_kernelERKNSD_10TensorBaseESH_lENKUlvE_clEvENKUlvE4_clEvEUlS6_S6_E_S6_EEDaPvRmT3_T4_T5_mT6_P12ihipStream_tbENKUlT_T0_E_clISt17integral_constantIbLb1EESY_EEDaST_SU_EUlST_E_NS1_11comp_targetILNS1_3genE4ELNS1_11target_archE910ELNS1_3gpuE8ELNS1_3repE0EEENS1_30default_config_static_selectorELNS0_4arch9wavefront6targetE1EEEvT1_ ; -- Begin function _ZN7rocprim17ROCPRIM_400000_NS6detail17trampoline_kernelINS0_14default_configENS1_20scan_config_selectorIN3c108BFloat16EEEZZNS1_9scan_implILNS1_25lookback_scan_determinismE0ELb0ELb0ES3_PKS6_PS6_S6_ZZZN2at6native31launch_logcumsumexp_cuda_kernelERKNSD_10TensorBaseESH_lENKUlvE_clEvENKUlvE4_clEvEUlS6_S6_E_S6_EEDaPvRmT3_T4_T5_mT6_P12ihipStream_tbENKUlT_T0_E_clISt17integral_constantIbLb1EESY_EEDaST_SU_EUlST_E_NS1_11comp_targetILNS1_3genE4ELNS1_11target_archE910ELNS1_3gpuE8ELNS1_3repE0EEENS1_30default_config_static_selectorELNS0_4arch9wavefront6targetE1EEEvT1_
	.p2align	8
	.type	_ZN7rocprim17ROCPRIM_400000_NS6detail17trampoline_kernelINS0_14default_configENS1_20scan_config_selectorIN3c108BFloat16EEEZZNS1_9scan_implILNS1_25lookback_scan_determinismE0ELb0ELb0ES3_PKS6_PS6_S6_ZZZN2at6native31launch_logcumsumexp_cuda_kernelERKNSD_10TensorBaseESH_lENKUlvE_clEvENKUlvE4_clEvEUlS6_S6_E_S6_EEDaPvRmT3_T4_T5_mT6_P12ihipStream_tbENKUlT_T0_E_clISt17integral_constantIbLb1EESY_EEDaST_SU_EUlST_E_NS1_11comp_targetILNS1_3genE4ELNS1_11target_archE910ELNS1_3gpuE8ELNS1_3repE0EEENS1_30default_config_static_selectorELNS0_4arch9wavefront6targetE1EEEvT1_,@function
_ZN7rocprim17ROCPRIM_400000_NS6detail17trampoline_kernelINS0_14default_configENS1_20scan_config_selectorIN3c108BFloat16EEEZZNS1_9scan_implILNS1_25lookback_scan_determinismE0ELb0ELb0ES3_PKS6_PS6_S6_ZZZN2at6native31launch_logcumsumexp_cuda_kernelERKNSD_10TensorBaseESH_lENKUlvE_clEvENKUlvE4_clEvEUlS6_S6_E_S6_EEDaPvRmT3_T4_T5_mT6_P12ihipStream_tbENKUlT_T0_E_clISt17integral_constantIbLb1EESY_EEDaST_SU_EUlST_E_NS1_11comp_targetILNS1_3genE4ELNS1_11target_archE910ELNS1_3gpuE8ELNS1_3repE0EEENS1_30default_config_static_selectorELNS0_4arch9wavefront6targetE1EEEvT1_: ; @_ZN7rocprim17ROCPRIM_400000_NS6detail17trampoline_kernelINS0_14default_configENS1_20scan_config_selectorIN3c108BFloat16EEEZZNS1_9scan_implILNS1_25lookback_scan_determinismE0ELb0ELb0ES3_PKS6_PS6_S6_ZZZN2at6native31launch_logcumsumexp_cuda_kernelERKNSD_10TensorBaseESH_lENKUlvE_clEvENKUlvE4_clEvEUlS6_S6_E_S6_EEDaPvRmT3_T4_T5_mT6_P12ihipStream_tbENKUlT_T0_E_clISt17integral_constantIbLb1EESY_EEDaST_SU_EUlST_E_NS1_11comp_targetILNS1_3genE4ELNS1_11target_archE910ELNS1_3gpuE8ELNS1_3repE0EEENS1_30default_config_static_selectorELNS0_4arch9wavefront6targetE1EEEvT1_
; %bb.0:
	.section	.rodata,"a",@progbits
	.p2align	6, 0x0
	.amdhsa_kernel _ZN7rocprim17ROCPRIM_400000_NS6detail17trampoline_kernelINS0_14default_configENS1_20scan_config_selectorIN3c108BFloat16EEEZZNS1_9scan_implILNS1_25lookback_scan_determinismE0ELb0ELb0ES3_PKS6_PS6_S6_ZZZN2at6native31launch_logcumsumexp_cuda_kernelERKNSD_10TensorBaseESH_lENKUlvE_clEvENKUlvE4_clEvEUlS6_S6_E_S6_EEDaPvRmT3_T4_T5_mT6_P12ihipStream_tbENKUlT_T0_E_clISt17integral_constantIbLb1EESY_EEDaST_SU_EUlST_E_NS1_11comp_targetILNS1_3genE4ELNS1_11target_archE910ELNS1_3gpuE8ELNS1_3repE0EEENS1_30default_config_static_selectorELNS0_4arch9wavefront6targetE1EEEvT1_
		.amdhsa_group_segment_fixed_size 0
		.amdhsa_private_segment_fixed_size 0
		.amdhsa_kernarg_size 96
		.amdhsa_user_sgpr_count 2
		.amdhsa_user_sgpr_dispatch_ptr 0
		.amdhsa_user_sgpr_queue_ptr 0
		.amdhsa_user_sgpr_kernarg_segment_ptr 1
		.amdhsa_user_sgpr_dispatch_id 0
		.amdhsa_user_sgpr_kernarg_preload_length 0
		.amdhsa_user_sgpr_kernarg_preload_offset 0
		.amdhsa_user_sgpr_private_segment_size 0
		.amdhsa_uses_dynamic_stack 0
		.amdhsa_enable_private_segment 0
		.amdhsa_system_sgpr_workgroup_id_x 1
		.amdhsa_system_sgpr_workgroup_id_y 0
		.amdhsa_system_sgpr_workgroup_id_z 0
		.amdhsa_system_sgpr_workgroup_info 0
		.amdhsa_system_vgpr_workitem_id 0
		.amdhsa_next_free_vgpr 1
		.amdhsa_next_free_sgpr 0
		.amdhsa_accum_offset 4
		.amdhsa_reserve_vcc 0
		.amdhsa_float_round_mode_32 0
		.amdhsa_float_round_mode_16_64 0
		.amdhsa_float_denorm_mode_32 3
		.amdhsa_float_denorm_mode_16_64 3
		.amdhsa_dx10_clamp 1
		.amdhsa_ieee_mode 1
		.amdhsa_fp16_overflow 0
		.amdhsa_tg_split 0
		.amdhsa_exception_fp_ieee_invalid_op 0
		.amdhsa_exception_fp_denorm_src 0
		.amdhsa_exception_fp_ieee_div_zero 0
		.amdhsa_exception_fp_ieee_overflow 0
		.amdhsa_exception_fp_ieee_underflow 0
		.amdhsa_exception_fp_ieee_inexact 0
		.amdhsa_exception_int_div_zero 0
	.end_amdhsa_kernel
	.section	.text._ZN7rocprim17ROCPRIM_400000_NS6detail17trampoline_kernelINS0_14default_configENS1_20scan_config_selectorIN3c108BFloat16EEEZZNS1_9scan_implILNS1_25lookback_scan_determinismE0ELb0ELb0ES3_PKS6_PS6_S6_ZZZN2at6native31launch_logcumsumexp_cuda_kernelERKNSD_10TensorBaseESH_lENKUlvE_clEvENKUlvE4_clEvEUlS6_S6_E_S6_EEDaPvRmT3_T4_T5_mT6_P12ihipStream_tbENKUlT_T0_E_clISt17integral_constantIbLb1EESY_EEDaST_SU_EUlST_E_NS1_11comp_targetILNS1_3genE4ELNS1_11target_archE910ELNS1_3gpuE8ELNS1_3repE0EEENS1_30default_config_static_selectorELNS0_4arch9wavefront6targetE1EEEvT1_,"axG",@progbits,_ZN7rocprim17ROCPRIM_400000_NS6detail17trampoline_kernelINS0_14default_configENS1_20scan_config_selectorIN3c108BFloat16EEEZZNS1_9scan_implILNS1_25lookback_scan_determinismE0ELb0ELb0ES3_PKS6_PS6_S6_ZZZN2at6native31launch_logcumsumexp_cuda_kernelERKNSD_10TensorBaseESH_lENKUlvE_clEvENKUlvE4_clEvEUlS6_S6_E_S6_EEDaPvRmT3_T4_T5_mT6_P12ihipStream_tbENKUlT_T0_E_clISt17integral_constantIbLb1EESY_EEDaST_SU_EUlST_E_NS1_11comp_targetILNS1_3genE4ELNS1_11target_archE910ELNS1_3gpuE8ELNS1_3repE0EEENS1_30default_config_static_selectorELNS0_4arch9wavefront6targetE1EEEvT1_,comdat
.Lfunc_end481:
	.size	_ZN7rocprim17ROCPRIM_400000_NS6detail17trampoline_kernelINS0_14default_configENS1_20scan_config_selectorIN3c108BFloat16EEEZZNS1_9scan_implILNS1_25lookback_scan_determinismE0ELb0ELb0ES3_PKS6_PS6_S6_ZZZN2at6native31launch_logcumsumexp_cuda_kernelERKNSD_10TensorBaseESH_lENKUlvE_clEvENKUlvE4_clEvEUlS6_S6_E_S6_EEDaPvRmT3_T4_T5_mT6_P12ihipStream_tbENKUlT_T0_E_clISt17integral_constantIbLb1EESY_EEDaST_SU_EUlST_E_NS1_11comp_targetILNS1_3genE4ELNS1_11target_archE910ELNS1_3gpuE8ELNS1_3repE0EEENS1_30default_config_static_selectorELNS0_4arch9wavefront6targetE1EEEvT1_, .Lfunc_end481-_ZN7rocprim17ROCPRIM_400000_NS6detail17trampoline_kernelINS0_14default_configENS1_20scan_config_selectorIN3c108BFloat16EEEZZNS1_9scan_implILNS1_25lookback_scan_determinismE0ELb0ELb0ES3_PKS6_PS6_S6_ZZZN2at6native31launch_logcumsumexp_cuda_kernelERKNSD_10TensorBaseESH_lENKUlvE_clEvENKUlvE4_clEvEUlS6_S6_E_S6_EEDaPvRmT3_T4_T5_mT6_P12ihipStream_tbENKUlT_T0_E_clISt17integral_constantIbLb1EESY_EEDaST_SU_EUlST_E_NS1_11comp_targetILNS1_3genE4ELNS1_11target_archE910ELNS1_3gpuE8ELNS1_3repE0EEENS1_30default_config_static_selectorELNS0_4arch9wavefront6targetE1EEEvT1_
                                        ; -- End function
	.section	.AMDGPU.csdata,"",@progbits
; Kernel info:
; codeLenInByte = 0
; NumSgprs: 6
; NumVgprs: 0
; NumAgprs: 0
; TotalNumVgprs: 0
; ScratchSize: 0
; MemoryBound: 0
; FloatMode: 240
; IeeeMode: 1
; LDSByteSize: 0 bytes/workgroup (compile time only)
; SGPRBlocks: 0
; VGPRBlocks: 0
; NumSGPRsForWavesPerEU: 6
; NumVGPRsForWavesPerEU: 1
; AccumOffset: 4
; Occupancy: 8
; WaveLimiterHint : 0
; COMPUTE_PGM_RSRC2:SCRATCH_EN: 0
; COMPUTE_PGM_RSRC2:USER_SGPR: 2
; COMPUTE_PGM_RSRC2:TRAP_HANDLER: 0
; COMPUTE_PGM_RSRC2:TGID_X_EN: 1
; COMPUTE_PGM_RSRC2:TGID_Y_EN: 0
; COMPUTE_PGM_RSRC2:TGID_Z_EN: 0
; COMPUTE_PGM_RSRC2:TIDIG_COMP_CNT: 0
; COMPUTE_PGM_RSRC3_GFX90A:ACCUM_OFFSET: 0
; COMPUTE_PGM_RSRC3_GFX90A:TG_SPLIT: 0
	.section	.text._ZN7rocprim17ROCPRIM_400000_NS6detail17trampoline_kernelINS0_14default_configENS1_20scan_config_selectorIN3c108BFloat16EEEZZNS1_9scan_implILNS1_25lookback_scan_determinismE0ELb0ELb0ES3_PKS6_PS6_S6_ZZZN2at6native31launch_logcumsumexp_cuda_kernelERKNSD_10TensorBaseESH_lENKUlvE_clEvENKUlvE4_clEvEUlS6_S6_E_S6_EEDaPvRmT3_T4_T5_mT6_P12ihipStream_tbENKUlT_T0_E_clISt17integral_constantIbLb1EESY_EEDaST_SU_EUlST_E_NS1_11comp_targetILNS1_3genE3ELNS1_11target_archE908ELNS1_3gpuE7ELNS1_3repE0EEENS1_30default_config_static_selectorELNS0_4arch9wavefront6targetE1EEEvT1_,"axG",@progbits,_ZN7rocprim17ROCPRIM_400000_NS6detail17trampoline_kernelINS0_14default_configENS1_20scan_config_selectorIN3c108BFloat16EEEZZNS1_9scan_implILNS1_25lookback_scan_determinismE0ELb0ELb0ES3_PKS6_PS6_S6_ZZZN2at6native31launch_logcumsumexp_cuda_kernelERKNSD_10TensorBaseESH_lENKUlvE_clEvENKUlvE4_clEvEUlS6_S6_E_S6_EEDaPvRmT3_T4_T5_mT6_P12ihipStream_tbENKUlT_T0_E_clISt17integral_constantIbLb1EESY_EEDaST_SU_EUlST_E_NS1_11comp_targetILNS1_3genE3ELNS1_11target_archE908ELNS1_3gpuE7ELNS1_3repE0EEENS1_30default_config_static_selectorELNS0_4arch9wavefront6targetE1EEEvT1_,comdat
	.globl	_ZN7rocprim17ROCPRIM_400000_NS6detail17trampoline_kernelINS0_14default_configENS1_20scan_config_selectorIN3c108BFloat16EEEZZNS1_9scan_implILNS1_25lookback_scan_determinismE0ELb0ELb0ES3_PKS6_PS6_S6_ZZZN2at6native31launch_logcumsumexp_cuda_kernelERKNSD_10TensorBaseESH_lENKUlvE_clEvENKUlvE4_clEvEUlS6_S6_E_S6_EEDaPvRmT3_T4_T5_mT6_P12ihipStream_tbENKUlT_T0_E_clISt17integral_constantIbLb1EESY_EEDaST_SU_EUlST_E_NS1_11comp_targetILNS1_3genE3ELNS1_11target_archE908ELNS1_3gpuE7ELNS1_3repE0EEENS1_30default_config_static_selectorELNS0_4arch9wavefront6targetE1EEEvT1_ ; -- Begin function _ZN7rocprim17ROCPRIM_400000_NS6detail17trampoline_kernelINS0_14default_configENS1_20scan_config_selectorIN3c108BFloat16EEEZZNS1_9scan_implILNS1_25lookback_scan_determinismE0ELb0ELb0ES3_PKS6_PS6_S6_ZZZN2at6native31launch_logcumsumexp_cuda_kernelERKNSD_10TensorBaseESH_lENKUlvE_clEvENKUlvE4_clEvEUlS6_S6_E_S6_EEDaPvRmT3_T4_T5_mT6_P12ihipStream_tbENKUlT_T0_E_clISt17integral_constantIbLb1EESY_EEDaST_SU_EUlST_E_NS1_11comp_targetILNS1_3genE3ELNS1_11target_archE908ELNS1_3gpuE7ELNS1_3repE0EEENS1_30default_config_static_selectorELNS0_4arch9wavefront6targetE1EEEvT1_
	.p2align	8
	.type	_ZN7rocprim17ROCPRIM_400000_NS6detail17trampoline_kernelINS0_14default_configENS1_20scan_config_selectorIN3c108BFloat16EEEZZNS1_9scan_implILNS1_25lookback_scan_determinismE0ELb0ELb0ES3_PKS6_PS6_S6_ZZZN2at6native31launch_logcumsumexp_cuda_kernelERKNSD_10TensorBaseESH_lENKUlvE_clEvENKUlvE4_clEvEUlS6_S6_E_S6_EEDaPvRmT3_T4_T5_mT6_P12ihipStream_tbENKUlT_T0_E_clISt17integral_constantIbLb1EESY_EEDaST_SU_EUlST_E_NS1_11comp_targetILNS1_3genE3ELNS1_11target_archE908ELNS1_3gpuE7ELNS1_3repE0EEENS1_30default_config_static_selectorELNS0_4arch9wavefront6targetE1EEEvT1_,@function
_ZN7rocprim17ROCPRIM_400000_NS6detail17trampoline_kernelINS0_14default_configENS1_20scan_config_selectorIN3c108BFloat16EEEZZNS1_9scan_implILNS1_25lookback_scan_determinismE0ELb0ELb0ES3_PKS6_PS6_S6_ZZZN2at6native31launch_logcumsumexp_cuda_kernelERKNSD_10TensorBaseESH_lENKUlvE_clEvENKUlvE4_clEvEUlS6_S6_E_S6_EEDaPvRmT3_T4_T5_mT6_P12ihipStream_tbENKUlT_T0_E_clISt17integral_constantIbLb1EESY_EEDaST_SU_EUlST_E_NS1_11comp_targetILNS1_3genE3ELNS1_11target_archE908ELNS1_3gpuE7ELNS1_3repE0EEENS1_30default_config_static_selectorELNS0_4arch9wavefront6targetE1EEEvT1_: ; @_ZN7rocprim17ROCPRIM_400000_NS6detail17trampoline_kernelINS0_14default_configENS1_20scan_config_selectorIN3c108BFloat16EEEZZNS1_9scan_implILNS1_25lookback_scan_determinismE0ELb0ELb0ES3_PKS6_PS6_S6_ZZZN2at6native31launch_logcumsumexp_cuda_kernelERKNSD_10TensorBaseESH_lENKUlvE_clEvENKUlvE4_clEvEUlS6_S6_E_S6_EEDaPvRmT3_T4_T5_mT6_P12ihipStream_tbENKUlT_T0_E_clISt17integral_constantIbLb1EESY_EEDaST_SU_EUlST_E_NS1_11comp_targetILNS1_3genE3ELNS1_11target_archE908ELNS1_3gpuE7ELNS1_3repE0EEENS1_30default_config_static_selectorELNS0_4arch9wavefront6targetE1EEEvT1_
; %bb.0:
	.section	.rodata,"a",@progbits
	.p2align	6, 0x0
	.amdhsa_kernel _ZN7rocprim17ROCPRIM_400000_NS6detail17trampoline_kernelINS0_14default_configENS1_20scan_config_selectorIN3c108BFloat16EEEZZNS1_9scan_implILNS1_25lookback_scan_determinismE0ELb0ELb0ES3_PKS6_PS6_S6_ZZZN2at6native31launch_logcumsumexp_cuda_kernelERKNSD_10TensorBaseESH_lENKUlvE_clEvENKUlvE4_clEvEUlS6_S6_E_S6_EEDaPvRmT3_T4_T5_mT6_P12ihipStream_tbENKUlT_T0_E_clISt17integral_constantIbLb1EESY_EEDaST_SU_EUlST_E_NS1_11comp_targetILNS1_3genE3ELNS1_11target_archE908ELNS1_3gpuE7ELNS1_3repE0EEENS1_30default_config_static_selectorELNS0_4arch9wavefront6targetE1EEEvT1_
		.amdhsa_group_segment_fixed_size 0
		.amdhsa_private_segment_fixed_size 0
		.amdhsa_kernarg_size 96
		.amdhsa_user_sgpr_count 2
		.amdhsa_user_sgpr_dispatch_ptr 0
		.amdhsa_user_sgpr_queue_ptr 0
		.amdhsa_user_sgpr_kernarg_segment_ptr 1
		.amdhsa_user_sgpr_dispatch_id 0
		.amdhsa_user_sgpr_kernarg_preload_length 0
		.amdhsa_user_sgpr_kernarg_preload_offset 0
		.amdhsa_user_sgpr_private_segment_size 0
		.amdhsa_uses_dynamic_stack 0
		.amdhsa_enable_private_segment 0
		.amdhsa_system_sgpr_workgroup_id_x 1
		.amdhsa_system_sgpr_workgroup_id_y 0
		.amdhsa_system_sgpr_workgroup_id_z 0
		.amdhsa_system_sgpr_workgroup_info 0
		.amdhsa_system_vgpr_workitem_id 0
		.amdhsa_next_free_vgpr 1
		.amdhsa_next_free_sgpr 0
		.amdhsa_accum_offset 4
		.amdhsa_reserve_vcc 0
		.amdhsa_float_round_mode_32 0
		.amdhsa_float_round_mode_16_64 0
		.amdhsa_float_denorm_mode_32 3
		.amdhsa_float_denorm_mode_16_64 3
		.amdhsa_dx10_clamp 1
		.amdhsa_ieee_mode 1
		.amdhsa_fp16_overflow 0
		.amdhsa_tg_split 0
		.amdhsa_exception_fp_ieee_invalid_op 0
		.amdhsa_exception_fp_denorm_src 0
		.amdhsa_exception_fp_ieee_div_zero 0
		.amdhsa_exception_fp_ieee_overflow 0
		.amdhsa_exception_fp_ieee_underflow 0
		.amdhsa_exception_fp_ieee_inexact 0
		.amdhsa_exception_int_div_zero 0
	.end_amdhsa_kernel
	.section	.text._ZN7rocprim17ROCPRIM_400000_NS6detail17trampoline_kernelINS0_14default_configENS1_20scan_config_selectorIN3c108BFloat16EEEZZNS1_9scan_implILNS1_25lookback_scan_determinismE0ELb0ELb0ES3_PKS6_PS6_S6_ZZZN2at6native31launch_logcumsumexp_cuda_kernelERKNSD_10TensorBaseESH_lENKUlvE_clEvENKUlvE4_clEvEUlS6_S6_E_S6_EEDaPvRmT3_T4_T5_mT6_P12ihipStream_tbENKUlT_T0_E_clISt17integral_constantIbLb1EESY_EEDaST_SU_EUlST_E_NS1_11comp_targetILNS1_3genE3ELNS1_11target_archE908ELNS1_3gpuE7ELNS1_3repE0EEENS1_30default_config_static_selectorELNS0_4arch9wavefront6targetE1EEEvT1_,"axG",@progbits,_ZN7rocprim17ROCPRIM_400000_NS6detail17trampoline_kernelINS0_14default_configENS1_20scan_config_selectorIN3c108BFloat16EEEZZNS1_9scan_implILNS1_25lookback_scan_determinismE0ELb0ELb0ES3_PKS6_PS6_S6_ZZZN2at6native31launch_logcumsumexp_cuda_kernelERKNSD_10TensorBaseESH_lENKUlvE_clEvENKUlvE4_clEvEUlS6_S6_E_S6_EEDaPvRmT3_T4_T5_mT6_P12ihipStream_tbENKUlT_T0_E_clISt17integral_constantIbLb1EESY_EEDaST_SU_EUlST_E_NS1_11comp_targetILNS1_3genE3ELNS1_11target_archE908ELNS1_3gpuE7ELNS1_3repE0EEENS1_30default_config_static_selectorELNS0_4arch9wavefront6targetE1EEEvT1_,comdat
.Lfunc_end482:
	.size	_ZN7rocprim17ROCPRIM_400000_NS6detail17trampoline_kernelINS0_14default_configENS1_20scan_config_selectorIN3c108BFloat16EEEZZNS1_9scan_implILNS1_25lookback_scan_determinismE0ELb0ELb0ES3_PKS6_PS6_S6_ZZZN2at6native31launch_logcumsumexp_cuda_kernelERKNSD_10TensorBaseESH_lENKUlvE_clEvENKUlvE4_clEvEUlS6_S6_E_S6_EEDaPvRmT3_T4_T5_mT6_P12ihipStream_tbENKUlT_T0_E_clISt17integral_constantIbLb1EESY_EEDaST_SU_EUlST_E_NS1_11comp_targetILNS1_3genE3ELNS1_11target_archE908ELNS1_3gpuE7ELNS1_3repE0EEENS1_30default_config_static_selectorELNS0_4arch9wavefront6targetE1EEEvT1_, .Lfunc_end482-_ZN7rocprim17ROCPRIM_400000_NS6detail17trampoline_kernelINS0_14default_configENS1_20scan_config_selectorIN3c108BFloat16EEEZZNS1_9scan_implILNS1_25lookback_scan_determinismE0ELb0ELb0ES3_PKS6_PS6_S6_ZZZN2at6native31launch_logcumsumexp_cuda_kernelERKNSD_10TensorBaseESH_lENKUlvE_clEvENKUlvE4_clEvEUlS6_S6_E_S6_EEDaPvRmT3_T4_T5_mT6_P12ihipStream_tbENKUlT_T0_E_clISt17integral_constantIbLb1EESY_EEDaST_SU_EUlST_E_NS1_11comp_targetILNS1_3genE3ELNS1_11target_archE908ELNS1_3gpuE7ELNS1_3repE0EEENS1_30default_config_static_selectorELNS0_4arch9wavefront6targetE1EEEvT1_
                                        ; -- End function
	.section	.AMDGPU.csdata,"",@progbits
; Kernel info:
; codeLenInByte = 0
; NumSgprs: 6
; NumVgprs: 0
; NumAgprs: 0
; TotalNumVgprs: 0
; ScratchSize: 0
; MemoryBound: 0
; FloatMode: 240
; IeeeMode: 1
; LDSByteSize: 0 bytes/workgroup (compile time only)
; SGPRBlocks: 0
; VGPRBlocks: 0
; NumSGPRsForWavesPerEU: 6
; NumVGPRsForWavesPerEU: 1
; AccumOffset: 4
; Occupancy: 8
; WaveLimiterHint : 0
; COMPUTE_PGM_RSRC2:SCRATCH_EN: 0
; COMPUTE_PGM_RSRC2:USER_SGPR: 2
; COMPUTE_PGM_RSRC2:TRAP_HANDLER: 0
; COMPUTE_PGM_RSRC2:TGID_X_EN: 1
; COMPUTE_PGM_RSRC2:TGID_Y_EN: 0
; COMPUTE_PGM_RSRC2:TGID_Z_EN: 0
; COMPUTE_PGM_RSRC2:TIDIG_COMP_CNT: 0
; COMPUTE_PGM_RSRC3_GFX90A:ACCUM_OFFSET: 0
; COMPUTE_PGM_RSRC3_GFX90A:TG_SPLIT: 0
	.section	.text._ZN7rocprim17ROCPRIM_400000_NS6detail17trampoline_kernelINS0_14default_configENS1_20scan_config_selectorIN3c108BFloat16EEEZZNS1_9scan_implILNS1_25lookback_scan_determinismE0ELb0ELb0ES3_PKS6_PS6_S6_ZZZN2at6native31launch_logcumsumexp_cuda_kernelERKNSD_10TensorBaseESH_lENKUlvE_clEvENKUlvE4_clEvEUlS6_S6_E_S6_EEDaPvRmT3_T4_T5_mT6_P12ihipStream_tbENKUlT_T0_E_clISt17integral_constantIbLb1EESY_EEDaST_SU_EUlST_E_NS1_11comp_targetILNS1_3genE2ELNS1_11target_archE906ELNS1_3gpuE6ELNS1_3repE0EEENS1_30default_config_static_selectorELNS0_4arch9wavefront6targetE1EEEvT1_,"axG",@progbits,_ZN7rocprim17ROCPRIM_400000_NS6detail17trampoline_kernelINS0_14default_configENS1_20scan_config_selectorIN3c108BFloat16EEEZZNS1_9scan_implILNS1_25lookback_scan_determinismE0ELb0ELb0ES3_PKS6_PS6_S6_ZZZN2at6native31launch_logcumsumexp_cuda_kernelERKNSD_10TensorBaseESH_lENKUlvE_clEvENKUlvE4_clEvEUlS6_S6_E_S6_EEDaPvRmT3_T4_T5_mT6_P12ihipStream_tbENKUlT_T0_E_clISt17integral_constantIbLb1EESY_EEDaST_SU_EUlST_E_NS1_11comp_targetILNS1_3genE2ELNS1_11target_archE906ELNS1_3gpuE6ELNS1_3repE0EEENS1_30default_config_static_selectorELNS0_4arch9wavefront6targetE1EEEvT1_,comdat
	.globl	_ZN7rocprim17ROCPRIM_400000_NS6detail17trampoline_kernelINS0_14default_configENS1_20scan_config_selectorIN3c108BFloat16EEEZZNS1_9scan_implILNS1_25lookback_scan_determinismE0ELb0ELb0ES3_PKS6_PS6_S6_ZZZN2at6native31launch_logcumsumexp_cuda_kernelERKNSD_10TensorBaseESH_lENKUlvE_clEvENKUlvE4_clEvEUlS6_S6_E_S6_EEDaPvRmT3_T4_T5_mT6_P12ihipStream_tbENKUlT_T0_E_clISt17integral_constantIbLb1EESY_EEDaST_SU_EUlST_E_NS1_11comp_targetILNS1_3genE2ELNS1_11target_archE906ELNS1_3gpuE6ELNS1_3repE0EEENS1_30default_config_static_selectorELNS0_4arch9wavefront6targetE1EEEvT1_ ; -- Begin function _ZN7rocprim17ROCPRIM_400000_NS6detail17trampoline_kernelINS0_14default_configENS1_20scan_config_selectorIN3c108BFloat16EEEZZNS1_9scan_implILNS1_25lookback_scan_determinismE0ELb0ELb0ES3_PKS6_PS6_S6_ZZZN2at6native31launch_logcumsumexp_cuda_kernelERKNSD_10TensorBaseESH_lENKUlvE_clEvENKUlvE4_clEvEUlS6_S6_E_S6_EEDaPvRmT3_T4_T5_mT6_P12ihipStream_tbENKUlT_T0_E_clISt17integral_constantIbLb1EESY_EEDaST_SU_EUlST_E_NS1_11comp_targetILNS1_3genE2ELNS1_11target_archE906ELNS1_3gpuE6ELNS1_3repE0EEENS1_30default_config_static_selectorELNS0_4arch9wavefront6targetE1EEEvT1_
	.p2align	8
	.type	_ZN7rocprim17ROCPRIM_400000_NS6detail17trampoline_kernelINS0_14default_configENS1_20scan_config_selectorIN3c108BFloat16EEEZZNS1_9scan_implILNS1_25lookback_scan_determinismE0ELb0ELb0ES3_PKS6_PS6_S6_ZZZN2at6native31launch_logcumsumexp_cuda_kernelERKNSD_10TensorBaseESH_lENKUlvE_clEvENKUlvE4_clEvEUlS6_S6_E_S6_EEDaPvRmT3_T4_T5_mT6_P12ihipStream_tbENKUlT_T0_E_clISt17integral_constantIbLb1EESY_EEDaST_SU_EUlST_E_NS1_11comp_targetILNS1_3genE2ELNS1_11target_archE906ELNS1_3gpuE6ELNS1_3repE0EEENS1_30default_config_static_selectorELNS0_4arch9wavefront6targetE1EEEvT1_,@function
_ZN7rocprim17ROCPRIM_400000_NS6detail17trampoline_kernelINS0_14default_configENS1_20scan_config_selectorIN3c108BFloat16EEEZZNS1_9scan_implILNS1_25lookback_scan_determinismE0ELb0ELb0ES3_PKS6_PS6_S6_ZZZN2at6native31launch_logcumsumexp_cuda_kernelERKNSD_10TensorBaseESH_lENKUlvE_clEvENKUlvE4_clEvEUlS6_S6_E_S6_EEDaPvRmT3_T4_T5_mT6_P12ihipStream_tbENKUlT_T0_E_clISt17integral_constantIbLb1EESY_EEDaST_SU_EUlST_E_NS1_11comp_targetILNS1_3genE2ELNS1_11target_archE906ELNS1_3gpuE6ELNS1_3repE0EEENS1_30default_config_static_selectorELNS0_4arch9wavefront6targetE1EEEvT1_: ; @_ZN7rocprim17ROCPRIM_400000_NS6detail17trampoline_kernelINS0_14default_configENS1_20scan_config_selectorIN3c108BFloat16EEEZZNS1_9scan_implILNS1_25lookback_scan_determinismE0ELb0ELb0ES3_PKS6_PS6_S6_ZZZN2at6native31launch_logcumsumexp_cuda_kernelERKNSD_10TensorBaseESH_lENKUlvE_clEvENKUlvE4_clEvEUlS6_S6_E_S6_EEDaPvRmT3_T4_T5_mT6_P12ihipStream_tbENKUlT_T0_E_clISt17integral_constantIbLb1EESY_EEDaST_SU_EUlST_E_NS1_11comp_targetILNS1_3genE2ELNS1_11target_archE906ELNS1_3gpuE6ELNS1_3repE0EEENS1_30default_config_static_selectorELNS0_4arch9wavefront6targetE1EEEvT1_
; %bb.0:
	.section	.rodata,"a",@progbits
	.p2align	6, 0x0
	.amdhsa_kernel _ZN7rocprim17ROCPRIM_400000_NS6detail17trampoline_kernelINS0_14default_configENS1_20scan_config_selectorIN3c108BFloat16EEEZZNS1_9scan_implILNS1_25lookback_scan_determinismE0ELb0ELb0ES3_PKS6_PS6_S6_ZZZN2at6native31launch_logcumsumexp_cuda_kernelERKNSD_10TensorBaseESH_lENKUlvE_clEvENKUlvE4_clEvEUlS6_S6_E_S6_EEDaPvRmT3_T4_T5_mT6_P12ihipStream_tbENKUlT_T0_E_clISt17integral_constantIbLb1EESY_EEDaST_SU_EUlST_E_NS1_11comp_targetILNS1_3genE2ELNS1_11target_archE906ELNS1_3gpuE6ELNS1_3repE0EEENS1_30default_config_static_selectorELNS0_4arch9wavefront6targetE1EEEvT1_
		.amdhsa_group_segment_fixed_size 0
		.amdhsa_private_segment_fixed_size 0
		.amdhsa_kernarg_size 96
		.amdhsa_user_sgpr_count 2
		.amdhsa_user_sgpr_dispatch_ptr 0
		.amdhsa_user_sgpr_queue_ptr 0
		.amdhsa_user_sgpr_kernarg_segment_ptr 1
		.amdhsa_user_sgpr_dispatch_id 0
		.amdhsa_user_sgpr_kernarg_preload_length 0
		.amdhsa_user_sgpr_kernarg_preload_offset 0
		.amdhsa_user_sgpr_private_segment_size 0
		.amdhsa_uses_dynamic_stack 0
		.amdhsa_enable_private_segment 0
		.amdhsa_system_sgpr_workgroup_id_x 1
		.amdhsa_system_sgpr_workgroup_id_y 0
		.amdhsa_system_sgpr_workgroup_id_z 0
		.amdhsa_system_sgpr_workgroup_info 0
		.amdhsa_system_vgpr_workitem_id 0
		.amdhsa_next_free_vgpr 1
		.amdhsa_next_free_sgpr 0
		.amdhsa_accum_offset 4
		.amdhsa_reserve_vcc 0
		.amdhsa_float_round_mode_32 0
		.amdhsa_float_round_mode_16_64 0
		.amdhsa_float_denorm_mode_32 3
		.amdhsa_float_denorm_mode_16_64 3
		.amdhsa_dx10_clamp 1
		.amdhsa_ieee_mode 1
		.amdhsa_fp16_overflow 0
		.amdhsa_tg_split 0
		.amdhsa_exception_fp_ieee_invalid_op 0
		.amdhsa_exception_fp_denorm_src 0
		.amdhsa_exception_fp_ieee_div_zero 0
		.amdhsa_exception_fp_ieee_overflow 0
		.amdhsa_exception_fp_ieee_underflow 0
		.amdhsa_exception_fp_ieee_inexact 0
		.amdhsa_exception_int_div_zero 0
	.end_amdhsa_kernel
	.section	.text._ZN7rocprim17ROCPRIM_400000_NS6detail17trampoline_kernelINS0_14default_configENS1_20scan_config_selectorIN3c108BFloat16EEEZZNS1_9scan_implILNS1_25lookback_scan_determinismE0ELb0ELb0ES3_PKS6_PS6_S6_ZZZN2at6native31launch_logcumsumexp_cuda_kernelERKNSD_10TensorBaseESH_lENKUlvE_clEvENKUlvE4_clEvEUlS6_S6_E_S6_EEDaPvRmT3_T4_T5_mT6_P12ihipStream_tbENKUlT_T0_E_clISt17integral_constantIbLb1EESY_EEDaST_SU_EUlST_E_NS1_11comp_targetILNS1_3genE2ELNS1_11target_archE906ELNS1_3gpuE6ELNS1_3repE0EEENS1_30default_config_static_selectorELNS0_4arch9wavefront6targetE1EEEvT1_,"axG",@progbits,_ZN7rocprim17ROCPRIM_400000_NS6detail17trampoline_kernelINS0_14default_configENS1_20scan_config_selectorIN3c108BFloat16EEEZZNS1_9scan_implILNS1_25lookback_scan_determinismE0ELb0ELb0ES3_PKS6_PS6_S6_ZZZN2at6native31launch_logcumsumexp_cuda_kernelERKNSD_10TensorBaseESH_lENKUlvE_clEvENKUlvE4_clEvEUlS6_S6_E_S6_EEDaPvRmT3_T4_T5_mT6_P12ihipStream_tbENKUlT_T0_E_clISt17integral_constantIbLb1EESY_EEDaST_SU_EUlST_E_NS1_11comp_targetILNS1_3genE2ELNS1_11target_archE906ELNS1_3gpuE6ELNS1_3repE0EEENS1_30default_config_static_selectorELNS0_4arch9wavefront6targetE1EEEvT1_,comdat
.Lfunc_end483:
	.size	_ZN7rocprim17ROCPRIM_400000_NS6detail17trampoline_kernelINS0_14default_configENS1_20scan_config_selectorIN3c108BFloat16EEEZZNS1_9scan_implILNS1_25lookback_scan_determinismE0ELb0ELb0ES3_PKS6_PS6_S6_ZZZN2at6native31launch_logcumsumexp_cuda_kernelERKNSD_10TensorBaseESH_lENKUlvE_clEvENKUlvE4_clEvEUlS6_S6_E_S6_EEDaPvRmT3_T4_T5_mT6_P12ihipStream_tbENKUlT_T0_E_clISt17integral_constantIbLb1EESY_EEDaST_SU_EUlST_E_NS1_11comp_targetILNS1_3genE2ELNS1_11target_archE906ELNS1_3gpuE6ELNS1_3repE0EEENS1_30default_config_static_selectorELNS0_4arch9wavefront6targetE1EEEvT1_, .Lfunc_end483-_ZN7rocprim17ROCPRIM_400000_NS6detail17trampoline_kernelINS0_14default_configENS1_20scan_config_selectorIN3c108BFloat16EEEZZNS1_9scan_implILNS1_25lookback_scan_determinismE0ELb0ELb0ES3_PKS6_PS6_S6_ZZZN2at6native31launch_logcumsumexp_cuda_kernelERKNSD_10TensorBaseESH_lENKUlvE_clEvENKUlvE4_clEvEUlS6_S6_E_S6_EEDaPvRmT3_T4_T5_mT6_P12ihipStream_tbENKUlT_T0_E_clISt17integral_constantIbLb1EESY_EEDaST_SU_EUlST_E_NS1_11comp_targetILNS1_3genE2ELNS1_11target_archE906ELNS1_3gpuE6ELNS1_3repE0EEENS1_30default_config_static_selectorELNS0_4arch9wavefront6targetE1EEEvT1_
                                        ; -- End function
	.section	.AMDGPU.csdata,"",@progbits
; Kernel info:
; codeLenInByte = 0
; NumSgprs: 6
; NumVgprs: 0
; NumAgprs: 0
; TotalNumVgprs: 0
; ScratchSize: 0
; MemoryBound: 0
; FloatMode: 240
; IeeeMode: 1
; LDSByteSize: 0 bytes/workgroup (compile time only)
; SGPRBlocks: 0
; VGPRBlocks: 0
; NumSGPRsForWavesPerEU: 6
; NumVGPRsForWavesPerEU: 1
; AccumOffset: 4
; Occupancy: 8
; WaveLimiterHint : 0
; COMPUTE_PGM_RSRC2:SCRATCH_EN: 0
; COMPUTE_PGM_RSRC2:USER_SGPR: 2
; COMPUTE_PGM_RSRC2:TRAP_HANDLER: 0
; COMPUTE_PGM_RSRC2:TGID_X_EN: 1
; COMPUTE_PGM_RSRC2:TGID_Y_EN: 0
; COMPUTE_PGM_RSRC2:TGID_Z_EN: 0
; COMPUTE_PGM_RSRC2:TIDIG_COMP_CNT: 0
; COMPUTE_PGM_RSRC3_GFX90A:ACCUM_OFFSET: 0
; COMPUTE_PGM_RSRC3_GFX90A:TG_SPLIT: 0
	.section	.text._ZN7rocprim17ROCPRIM_400000_NS6detail17trampoline_kernelINS0_14default_configENS1_20scan_config_selectorIN3c108BFloat16EEEZZNS1_9scan_implILNS1_25lookback_scan_determinismE0ELb0ELb0ES3_PKS6_PS6_S6_ZZZN2at6native31launch_logcumsumexp_cuda_kernelERKNSD_10TensorBaseESH_lENKUlvE_clEvENKUlvE4_clEvEUlS6_S6_E_S6_EEDaPvRmT3_T4_T5_mT6_P12ihipStream_tbENKUlT_T0_E_clISt17integral_constantIbLb1EESY_EEDaST_SU_EUlST_E_NS1_11comp_targetILNS1_3genE10ELNS1_11target_archE1201ELNS1_3gpuE5ELNS1_3repE0EEENS1_30default_config_static_selectorELNS0_4arch9wavefront6targetE1EEEvT1_,"axG",@progbits,_ZN7rocprim17ROCPRIM_400000_NS6detail17trampoline_kernelINS0_14default_configENS1_20scan_config_selectorIN3c108BFloat16EEEZZNS1_9scan_implILNS1_25lookback_scan_determinismE0ELb0ELb0ES3_PKS6_PS6_S6_ZZZN2at6native31launch_logcumsumexp_cuda_kernelERKNSD_10TensorBaseESH_lENKUlvE_clEvENKUlvE4_clEvEUlS6_S6_E_S6_EEDaPvRmT3_T4_T5_mT6_P12ihipStream_tbENKUlT_T0_E_clISt17integral_constantIbLb1EESY_EEDaST_SU_EUlST_E_NS1_11comp_targetILNS1_3genE10ELNS1_11target_archE1201ELNS1_3gpuE5ELNS1_3repE0EEENS1_30default_config_static_selectorELNS0_4arch9wavefront6targetE1EEEvT1_,comdat
	.globl	_ZN7rocprim17ROCPRIM_400000_NS6detail17trampoline_kernelINS0_14default_configENS1_20scan_config_selectorIN3c108BFloat16EEEZZNS1_9scan_implILNS1_25lookback_scan_determinismE0ELb0ELb0ES3_PKS6_PS6_S6_ZZZN2at6native31launch_logcumsumexp_cuda_kernelERKNSD_10TensorBaseESH_lENKUlvE_clEvENKUlvE4_clEvEUlS6_S6_E_S6_EEDaPvRmT3_T4_T5_mT6_P12ihipStream_tbENKUlT_T0_E_clISt17integral_constantIbLb1EESY_EEDaST_SU_EUlST_E_NS1_11comp_targetILNS1_3genE10ELNS1_11target_archE1201ELNS1_3gpuE5ELNS1_3repE0EEENS1_30default_config_static_selectorELNS0_4arch9wavefront6targetE1EEEvT1_ ; -- Begin function _ZN7rocprim17ROCPRIM_400000_NS6detail17trampoline_kernelINS0_14default_configENS1_20scan_config_selectorIN3c108BFloat16EEEZZNS1_9scan_implILNS1_25lookback_scan_determinismE0ELb0ELb0ES3_PKS6_PS6_S6_ZZZN2at6native31launch_logcumsumexp_cuda_kernelERKNSD_10TensorBaseESH_lENKUlvE_clEvENKUlvE4_clEvEUlS6_S6_E_S6_EEDaPvRmT3_T4_T5_mT6_P12ihipStream_tbENKUlT_T0_E_clISt17integral_constantIbLb1EESY_EEDaST_SU_EUlST_E_NS1_11comp_targetILNS1_3genE10ELNS1_11target_archE1201ELNS1_3gpuE5ELNS1_3repE0EEENS1_30default_config_static_selectorELNS0_4arch9wavefront6targetE1EEEvT1_
	.p2align	8
	.type	_ZN7rocprim17ROCPRIM_400000_NS6detail17trampoline_kernelINS0_14default_configENS1_20scan_config_selectorIN3c108BFloat16EEEZZNS1_9scan_implILNS1_25lookback_scan_determinismE0ELb0ELb0ES3_PKS6_PS6_S6_ZZZN2at6native31launch_logcumsumexp_cuda_kernelERKNSD_10TensorBaseESH_lENKUlvE_clEvENKUlvE4_clEvEUlS6_S6_E_S6_EEDaPvRmT3_T4_T5_mT6_P12ihipStream_tbENKUlT_T0_E_clISt17integral_constantIbLb1EESY_EEDaST_SU_EUlST_E_NS1_11comp_targetILNS1_3genE10ELNS1_11target_archE1201ELNS1_3gpuE5ELNS1_3repE0EEENS1_30default_config_static_selectorELNS0_4arch9wavefront6targetE1EEEvT1_,@function
_ZN7rocprim17ROCPRIM_400000_NS6detail17trampoline_kernelINS0_14default_configENS1_20scan_config_selectorIN3c108BFloat16EEEZZNS1_9scan_implILNS1_25lookback_scan_determinismE0ELb0ELb0ES3_PKS6_PS6_S6_ZZZN2at6native31launch_logcumsumexp_cuda_kernelERKNSD_10TensorBaseESH_lENKUlvE_clEvENKUlvE4_clEvEUlS6_S6_E_S6_EEDaPvRmT3_T4_T5_mT6_P12ihipStream_tbENKUlT_T0_E_clISt17integral_constantIbLb1EESY_EEDaST_SU_EUlST_E_NS1_11comp_targetILNS1_3genE10ELNS1_11target_archE1201ELNS1_3gpuE5ELNS1_3repE0EEENS1_30default_config_static_selectorELNS0_4arch9wavefront6targetE1EEEvT1_: ; @_ZN7rocprim17ROCPRIM_400000_NS6detail17trampoline_kernelINS0_14default_configENS1_20scan_config_selectorIN3c108BFloat16EEEZZNS1_9scan_implILNS1_25lookback_scan_determinismE0ELb0ELb0ES3_PKS6_PS6_S6_ZZZN2at6native31launch_logcumsumexp_cuda_kernelERKNSD_10TensorBaseESH_lENKUlvE_clEvENKUlvE4_clEvEUlS6_S6_E_S6_EEDaPvRmT3_T4_T5_mT6_P12ihipStream_tbENKUlT_T0_E_clISt17integral_constantIbLb1EESY_EEDaST_SU_EUlST_E_NS1_11comp_targetILNS1_3genE10ELNS1_11target_archE1201ELNS1_3gpuE5ELNS1_3repE0EEENS1_30default_config_static_selectorELNS0_4arch9wavefront6targetE1EEEvT1_
; %bb.0:
	.section	.rodata,"a",@progbits
	.p2align	6, 0x0
	.amdhsa_kernel _ZN7rocprim17ROCPRIM_400000_NS6detail17trampoline_kernelINS0_14default_configENS1_20scan_config_selectorIN3c108BFloat16EEEZZNS1_9scan_implILNS1_25lookback_scan_determinismE0ELb0ELb0ES3_PKS6_PS6_S6_ZZZN2at6native31launch_logcumsumexp_cuda_kernelERKNSD_10TensorBaseESH_lENKUlvE_clEvENKUlvE4_clEvEUlS6_S6_E_S6_EEDaPvRmT3_T4_T5_mT6_P12ihipStream_tbENKUlT_T0_E_clISt17integral_constantIbLb1EESY_EEDaST_SU_EUlST_E_NS1_11comp_targetILNS1_3genE10ELNS1_11target_archE1201ELNS1_3gpuE5ELNS1_3repE0EEENS1_30default_config_static_selectorELNS0_4arch9wavefront6targetE1EEEvT1_
		.amdhsa_group_segment_fixed_size 0
		.amdhsa_private_segment_fixed_size 0
		.amdhsa_kernarg_size 96
		.amdhsa_user_sgpr_count 2
		.amdhsa_user_sgpr_dispatch_ptr 0
		.amdhsa_user_sgpr_queue_ptr 0
		.amdhsa_user_sgpr_kernarg_segment_ptr 1
		.amdhsa_user_sgpr_dispatch_id 0
		.amdhsa_user_sgpr_kernarg_preload_length 0
		.amdhsa_user_sgpr_kernarg_preload_offset 0
		.amdhsa_user_sgpr_private_segment_size 0
		.amdhsa_uses_dynamic_stack 0
		.amdhsa_enable_private_segment 0
		.amdhsa_system_sgpr_workgroup_id_x 1
		.amdhsa_system_sgpr_workgroup_id_y 0
		.amdhsa_system_sgpr_workgroup_id_z 0
		.amdhsa_system_sgpr_workgroup_info 0
		.amdhsa_system_vgpr_workitem_id 0
		.amdhsa_next_free_vgpr 1
		.amdhsa_next_free_sgpr 0
		.amdhsa_accum_offset 4
		.amdhsa_reserve_vcc 0
		.amdhsa_float_round_mode_32 0
		.amdhsa_float_round_mode_16_64 0
		.amdhsa_float_denorm_mode_32 3
		.amdhsa_float_denorm_mode_16_64 3
		.amdhsa_dx10_clamp 1
		.amdhsa_ieee_mode 1
		.amdhsa_fp16_overflow 0
		.amdhsa_tg_split 0
		.amdhsa_exception_fp_ieee_invalid_op 0
		.amdhsa_exception_fp_denorm_src 0
		.amdhsa_exception_fp_ieee_div_zero 0
		.amdhsa_exception_fp_ieee_overflow 0
		.amdhsa_exception_fp_ieee_underflow 0
		.amdhsa_exception_fp_ieee_inexact 0
		.amdhsa_exception_int_div_zero 0
	.end_amdhsa_kernel
	.section	.text._ZN7rocprim17ROCPRIM_400000_NS6detail17trampoline_kernelINS0_14default_configENS1_20scan_config_selectorIN3c108BFloat16EEEZZNS1_9scan_implILNS1_25lookback_scan_determinismE0ELb0ELb0ES3_PKS6_PS6_S6_ZZZN2at6native31launch_logcumsumexp_cuda_kernelERKNSD_10TensorBaseESH_lENKUlvE_clEvENKUlvE4_clEvEUlS6_S6_E_S6_EEDaPvRmT3_T4_T5_mT6_P12ihipStream_tbENKUlT_T0_E_clISt17integral_constantIbLb1EESY_EEDaST_SU_EUlST_E_NS1_11comp_targetILNS1_3genE10ELNS1_11target_archE1201ELNS1_3gpuE5ELNS1_3repE0EEENS1_30default_config_static_selectorELNS0_4arch9wavefront6targetE1EEEvT1_,"axG",@progbits,_ZN7rocprim17ROCPRIM_400000_NS6detail17trampoline_kernelINS0_14default_configENS1_20scan_config_selectorIN3c108BFloat16EEEZZNS1_9scan_implILNS1_25lookback_scan_determinismE0ELb0ELb0ES3_PKS6_PS6_S6_ZZZN2at6native31launch_logcumsumexp_cuda_kernelERKNSD_10TensorBaseESH_lENKUlvE_clEvENKUlvE4_clEvEUlS6_S6_E_S6_EEDaPvRmT3_T4_T5_mT6_P12ihipStream_tbENKUlT_T0_E_clISt17integral_constantIbLb1EESY_EEDaST_SU_EUlST_E_NS1_11comp_targetILNS1_3genE10ELNS1_11target_archE1201ELNS1_3gpuE5ELNS1_3repE0EEENS1_30default_config_static_selectorELNS0_4arch9wavefront6targetE1EEEvT1_,comdat
.Lfunc_end484:
	.size	_ZN7rocprim17ROCPRIM_400000_NS6detail17trampoline_kernelINS0_14default_configENS1_20scan_config_selectorIN3c108BFloat16EEEZZNS1_9scan_implILNS1_25lookback_scan_determinismE0ELb0ELb0ES3_PKS6_PS6_S6_ZZZN2at6native31launch_logcumsumexp_cuda_kernelERKNSD_10TensorBaseESH_lENKUlvE_clEvENKUlvE4_clEvEUlS6_S6_E_S6_EEDaPvRmT3_T4_T5_mT6_P12ihipStream_tbENKUlT_T0_E_clISt17integral_constantIbLb1EESY_EEDaST_SU_EUlST_E_NS1_11comp_targetILNS1_3genE10ELNS1_11target_archE1201ELNS1_3gpuE5ELNS1_3repE0EEENS1_30default_config_static_selectorELNS0_4arch9wavefront6targetE1EEEvT1_, .Lfunc_end484-_ZN7rocprim17ROCPRIM_400000_NS6detail17trampoline_kernelINS0_14default_configENS1_20scan_config_selectorIN3c108BFloat16EEEZZNS1_9scan_implILNS1_25lookback_scan_determinismE0ELb0ELb0ES3_PKS6_PS6_S6_ZZZN2at6native31launch_logcumsumexp_cuda_kernelERKNSD_10TensorBaseESH_lENKUlvE_clEvENKUlvE4_clEvEUlS6_S6_E_S6_EEDaPvRmT3_T4_T5_mT6_P12ihipStream_tbENKUlT_T0_E_clISt17integral_constantIbLb1EESY_EEDaST_SU_EUlST_E_NS1_11comp_targetILNS1_3genE10ELNS1_11target_archE1201ELNS1_3gpuE5ELNS1_3repE0EEENS1_30default_config_static_selectorELNS0_4arch9wavefront6targetE1EEEvT1_
                                        ; -- End function
	.section	.AMDGPU.csdata,"",@progbits
; Kernel info:
; codeLenInByte = 0
; NumSgprs: 6
; NumVgprs: 0
; NumAgprs: 0
; TotalNumVgprs: 0
; ScratchSize: 0
; MemoryBound: 0
; FloatMode: 240
; IeeeMode: 1
; LDSByteSize: 0 bytes/workgroup (compile time only)
; SGPRBlocks: 0
; VGPRBlocks: 0
; NumSGPRsForWavesPerEU: 6
; NumVGPRsForWavesPerEU: 1
; AccumOffset: 4
; Occupancy: 8
; WaveLimiterHint : 0
; COMPUTE_PGM_RSRC2:SCRATCH_EN: 0
; COMPUTE_PGM_RSRC2:USER_SGPR: 2
; COMPUTE_PGM_RSRC2:TRAP_HANDLER: 0
; COMPUTE_PGM_RSRC2:TGID_X_EN: 1
; COMPUTE_PGM_RSRC2:TGID_Y_EN: 0
; COMPUTE_PGM_RSRC2:TGID_Z_EN: 0
; COMPUTE_PGM_RSRC2:TIDIG_COMP_CNT: 0
; COMPUTE_PGM_RSRC3_GFX90A:ACCUM_OFFSET: 0
; COMPUTE_PGM_RSRC3_GFX90A:TG_SPLIT: 0
	.section	.text._ZN7rocprim17ROCPRIM_400000_NS6detail17trampoline_kernelINS0_14default_configENS1_20scan_config_selectorIN3c108BFloat16EEEZZNS1_9scan_implILNS1_25lookback_scan_determinismE0ELb0ELb0ES3_PKS6_PS6_S6_ZZZN2at6native31launch_logcumsumexp_cuda_kernelERKNSD_10TensorBaseESH_lENKUlvE_clEvENKUlvE4_clEvEUlS6_S6_E_S6_EEDaPvRmT3_T4_T5_mT6_P12ihipStream_tbENKUlT_T0_E_clISt17integral_constantIbLb1EESY_EEDaST_SU_EUlST_E_NS1_11comp_targetILNS1_3genE10ELNS1_11target_archE1200ELNS1_3gpuE4ELNS1_3repE0EEENS1_30default_config_static_selectorELNS0_4arch9wavefront6targetE1EEEvT1_,"axG",@progbits,_ZN7rocprim17ROCPRIM_400000_NS6detail17trampoline_kernelINS0_14default_configENS1_20scan_config_selectorIN3c108BFloat16EEEZZNS1_9scan_implILNS1_25lookback_scan_determinismE0ELb0ELb0ES3_PKS6_PS6_S6_ZZZN2at6native31launch_logcumsumexp_cuda_kernelERKNSD_10TensorBaseESH_lENKUlvE_clEvENKUlvE4_clEvEUlS6_S6_E_S6_EEDaPvRmT3_T4_T5_mT6_P12ihipStream_tbENKUlT_T0_E_clISt17integral_constantIbLb1EESY_EEDaST_SU_EUlST_E_NS1_11comp_targetILNS1_3genE10ELNS1_11target_archE1200ELNS1_3gpuE4ELNS1_3repE0EEENS1_30default_config_static_selectorELNS0_4arch9wavefront6targetE1EEEvT1_,comdat
	.globl	_ZN7rocprim17ROCPRIM_400000_NS6detail17trampoline_kernelINS0_14default_configENS1_20scan_config_selectorIN3c108BFloat16EEEZZNS1_9scan_implILNS1_25lookback_scan_determinismE0ELb0ELb0ES3_PKS6_PS6_S6_ZZZN2at6native31launch_logcumsumexp_cuda_kernelERKNSD_10TensorBaseESH_lENKUlvE_clEvENKUlvE4_clEvEUlS6_S6_E_S6_EEDaPvRmT3_T4_T5_mT6_P12ihipStream_tbENKUlT_T0_E_clISt17integral_constantIbLb1EESY_EEDaST_SU_EUlST_E_NS1_11comp_targetILNS1_3genE10ELNS1_11target_archE1200ELNS1_3gpuE4ELNS1_3repE0EEENS1_30default_config_static_selectorELNS0_4arch9wavefront6targetE1EEEvT1_ ; -- Begin function _ZN7rocprim17ROCPRIM_400000_NS6detail17trampoline_kernelINS0_14default_configENS1_20scan_config_selectorIN3c108BFloat16EEEZZNS1_9scan_implILNS1_25lookback_scan_determinismE0ELb0ELb0ES3_PKS6_PS6_S6_ZZZN2at6native31launch_logcumsumexp_cuda_kernelERKNSD_10TensorBaseESH_lENKUlvE_clEvENKUlvE4_clEvEUlS6_S6_E_S6_EEDaPvRmT3_T4_T5_mT6_P12ihipStream_tbENKUlT_T0_E_clISt17integral_constantIbLb1EESY_EEDaST_SU_EUlST_E_NS1_11comp_targetILNS1_3genE10ELNS1_11target_archE1200ELNS1_3gpuE4ELNS1_3repE0EEENS1_30default_config_static_selectorELNS0_4arch9wavefront6targetE1EEEvT1_
	.p2align	8
	.type	_ZN7rocprim17ROCPRIM_400000_NS6detail17trampoline_kernelINS0_14default_configENS1_20scan_config_selectorIN3c108BFloat16EEEZZNS1_9scan_implILNS1_25lookback_scan_determinismE0ELb0ELb0ES3_PKS6_PS6_S6_ZZZN2at6native31launch_logcumsumexp_cuda_kernelERKNSD_10TensorBaseESH_lENKUlvE_clEvENKUlvE4_clEvEUlS6_S6_E_S6_EEDaPvRmT3_T4_T5_mT6_P12ihipStream_tbENKUlT_T0_E_clISt17integral_constantIbLb1EESY_EEDaST_SU_EUlST_E_NS1_11comp_targetILNS1_3genE10ELNS1_11target_archE1200ELNS1_3gpuE4ELNS1_3repE0EEENS1_30default_config_static_selectorELNS0_4arch9wavefront6targetE1EEEvT1_,@function
_ZN7rocprim17ROCPRIM_400000_NS6detail17trampoline_kernelINS0_14default_configENS1_20scan_config_selectorIN3c108BFloat16EEEZZNS1_9scan_implILNS1_25lookback_scan_determinismE0ELb0ELb0ES3_PKS6_PS6_S6_ZZZN2at6native31launch_logcumsumexp_cuda_kernelERKNSD_10TensorBaseESH_lENKUlvE_clEvENKUlvE4_clEvEUlS6_S6_E_S6_EEDaPvRmT3_T4_T5_mT6_P12ihipStream_tbENKUlT_T0_E_clISt17integral_constantIbLb1EESY_EEDaST_SU_EUlST_E_NS1_11comp_targetILNS1_3genE10ELNS1_11target_archE1200ELNS1_3gpuE4ELNS1_3repE0EEENS1_30default_config_static_selectorELNS0_4arch9wavefront6targetE1EEEvT1_: ; @_ZN7rocprim17ROCPRIM_400000_NS6detail17trampoline_kernelINS0_14default_configENS1_20scan_config_selectorIN3c108BFloat16EEEZZNS1_9scan_implILNS1_25lookback_scan_determinismE0ELb0ELb0ES3_PKS6_PS6_S6_ZZZN2at6native31launch_logcumsumexp_cuda_kernelERKNSD_10TensorBaseESH_lENKUlvE_clEvENKUlvE4_clEvEUlS6_S6_E_S6_EEDaPvRmT3_T4_T5_mT6_P12ihipStream_tbENKUlT_T0_E_clISt17integral_constantIbLb1EESY_EEDaST_SU_EUlST_E_NS1_11comp_targetILNS1_3genE10ELNS1_11target_archE1200ELNS1_3gpuE4ELNS1_3repE0EEENS1_30default_config_static_selectorELNS0_4arch9wavefront6targetE1EEEvT1_
; %bb.0:
	.section	.rodata,"a",@progbits
	.p2align	6, 0x0
	.amdhsa_kernel _ZN7rocprim17ROCPRIM_400000_NS6detail17trampoline_kernelINS0_14default_configENS1_20scan_config_selectorIN3c108BFloat16EEEZZNS1_9scan_implILNS1_25lookback_scan_determinismE0ELb0ELb0ES3_PKS6_PS6_S6_ZZZN2at6native31launch_logcumsumexp_cuda_kernelERKNSD_10TensorBaseESH_lENKUlvE_clEvENKUlvE4_clEvEUlS6_S6_E_S6_EEDaPvRmT3_T4_T5_mT6_P12ihipStream_tbENKUlT_T0_E_clISt17integral_constantIbLb1EESY_EEDaST_SU_EUlST_E_NS1_11comp_targetILNS1_3genE10ELNS1_11target_archE1200ELNS1_3gpuE4ELNS1_3repE0EEENS1_30default_config_static_selectorELNS0_4arch9wavefront6targetE1EEEvT1_
		.amdhsa_group_segment_fixed_size 0
		.amdhsa_private_segment_fixed_size 0
		.amdhsa_kernarg_size 96
		.amdhsa_user_sgpr_count 2
		.amdhsa_user_sgpr_dispatch_ptr 0
		.amdhsa_user_sgpr_queue_ptr 0
		.amdhsa_user_sgpr_kernarg_segment_ptr 1
		.amdhsa_user_sgpr_dispatch_id 0
		.amdhsa_user_sgpr_kernarg_preload_length 0
		.amdhsa_user_sgpr_kernarg_preload_offset 0
		.amdhsa_user_sgpr_private_segment_size 0
		.amdhsa_uses_dynamic_stack 0
		.amdhsa_enable_private_segment 0
		.amdhsa_system_sgpr_workgroup_id_x 1
		.amdhsa_system_sgpr_workgroup_id_y 0
		.amdhsa_system_sgpr_workgroup_id_z 0
		.amdhsa_system_sgpr_workgroup_info 0
		.amdhsa_system_vgpr_workitem_id 0
		.amdhsa_next_free_vgpr 1
		.amdhsa_next_free_sgpr 0
		.amdhsa_accum_offset 4
		.amdhsa_reserve_vcc 0
		.amdhsa_float_round_mode_32 0
		.amdhsa_float_round_mode_16_64 0
		.amdhsa_float_denorm_mode_32 3
		.amdhsa_float_denorm_mode_16_64 3
		.amdhsa_dx10_clamp 1
		.amdhsa_ieee_mode 1
		.amdhsa_fp16_overflow 0
		.amdhsa_tg_split 0
		.amdhsa_exception_fp_ieee_invalid_op 0
		.amdhsa_exception_fp_denorm_src 0
		.amdhsa_exception_fp_ieee_div_zero 0
		.amdhsa_exception_fp_ieee_overflow 0
		.amdhsa_exception_fp_ieee_underflow 0
		.amdhsa_exception_fp_ieee_inexact 0
		.amdhsa_exception_int_div_zero 0
	.end_amdhsa_kernel
	.section	.text._ZN7rocprim17ROCPRIM_400000_NS6detail17trampoline_kernelINS0_14default_configENS1_20scan_config_selectorIN3c108BFloat16EEEZZNS1_9scan_implILNS1_25lookback_scan_determinismE0ELb0ELb0ES3_PKS6_PS6_S6_ZZZN2at6native31launch_logcumsumexp_cuda_kernelERKNSD_10TensorBaseESH_lENKUlvE_clEvENKUlvE4_clEvEUlS6_S6_E_S6_EEDaPvRmT3_T4_T5_mT6_P12ihipStream_tbENKUlT_T0_E_clISt17integral_constantIbLb1EESY_EEDaST_SU_EUlST_E_NS1_11comp_targetILNS1_3genE10ELNS1_11target_archE1200ELNS1_3gpuE4ELNS1_3repE0EEENS1_30default_config_static_selectorELNS0_4arch9wavefront6targetE1EEEvT1_,"axG",@progbits,_ZN7rocprim17ROCPRIM_400000_NS6detail17trampoline_kernelINS0_14default_configENS1_20scan_config_selectorIN3c108BFloat16EEEZZNS1_9scan_implILNS1_25lookback_scan_determinismE0ELb0ELb0ES3_PKS6_PS6_S6_ZZZN2at6native31launch_logcumsumexp_cuda_kernelERKNSD_10TensorBaseESH_lENKUlvE_clEvENKUlvE4_clEvEUlS6_S6_E_S6_EEDaPvRmT3_T4_T5_mT6_P12ihipStream_tbENKUlT_T0_E_clISt17integral_constantIbLb1EESY_EEDaST_SU_EUlST_E_NS1_11comp_targetILNS1_3genE10ELNS1_11target_archE1200ELNS1_3gpuE4ELNS1_3repE0EEENS1_30default_config_static_selectorELNS0_4arch9wavefront6targetE1EEEvT1_,comdat
.Lfunc_end485:
	.size	_ZN7rocprim17ROCPRIM_400000_NS6detail17trampoline_kernelINS0_14default_configENS1_20scan_config_selectorIN3c108BFloat16EEEZZNS1_9scan_implILNS1_25lookback_scan_determinismE0ELb0ELb0ES3_PKS6_PS6_S6_ZZZN2at6native31launch_logcumsumexp_cuda_kernelERKNSD_10TensorBaseESH_lENKUlvE_clEvENKUlvE4_clEvEUlS6_S6_E_S6_EEDaPvRmT3_T4_T5_mT6_P12ihipStream_tbENKUlT_T0_E_clISt17integral_constantIbLb1EESY_EEDaST_SU_EUlST_E_NS1_11comp_targetILNS1_3genE10ELNS1_11target_archE1200ELNS1_3gpuE4ELNS1_3repE0EEENS1_30default_config_static_selectorELNS0_4arch9wavefront6targetE1EEEvT1_, .Lfunc_end485-_ZN7rocprim17ROCPRIM_400000_NS6detail17trampoline_kernelINS0_14default_configENS1_20scan_config_selectorIN3c108BFloat16EEEZZNS1_9scan_implILNS1_25lookback_scan_determinismE0ELb0ELb0ES3_PKS6_PS6_S6_ZZZN2at6native31launch_logcumsumexp_cuda_kernelERKNSD_10TensorBaseESH_lENKUlvE_clEvENKUlvE4_clEvEUlS6_S6_E_S6_EEDaPvRmT3_T4_T5_mT6_P12ihipStream_tbENKUlT_T0_E_clISt17integral_constantIbLb1EESY_EEDaST_SU_EUlST_E_NS1_11comp_targetILNS1_3genE10ELNS1_11target_archE1200ELNS1_3gpuE4ELNS1_3repE0EEENS1_30default_config_static_selectorELNS0_4arch9wavefront6targetE1EEEvT1_
                                        ; -- End function
	.section	.AMDGPU.csdata,"",@progbits
; Kernel info:
; codeLenInByte = 0
; NumSgprs: 6
; NumVgprs: 0
; NumAgprs: 0
; TotalNumVgprs: 0
; ScratchSize: 0
; MemoryBound: 0
; FloatMode: 240
; IeeeMode: 1
; LDSByteSize: 0 bytes/workgroup (compile time only)
; SGPRBlocks: 0
; VGPRBlocks: 0
; NumSGPRsForWavesPerEU: 6
; NumVGPRsForWavesPerEU: 1
; AccumOffset: 4
; Occupancy: 8
; WaveLimiterHint : 0
; COMPUTE_PGM_RSRC2:SCRATCH_EN: 0
; COMPUTE_PGM_RSRC2:USER_SGPR: 2
; COMPUTE_PGM_RSRC2:TRAP_HANDLER: 0
; COMPUTE_PGM_RSRC2:TGID_X_EN: 1
; COMPUTE_PGM_RSRC2:TGID_Y_EN: 0
; COMPUTE_PGM_RSRC2:TGID_Z_EN: 0
; COMPUTE_PGM_RSRC2:TIDIG_COMP_CNT: 0
; COMPUTE_PGM_RSRC3_GFX90A:ACCUM_OFFSET: 0
; COMPUTE_PGM_RSRC3_GFX90A:TG_SPLIT: 0
	.section	.text._ZN7rocprim17ROCPRIM_400000_NS6detail17trampoline_kernelINS0_14default_configENS1_20scan_config_selectorIN3c108BFloat16EEEZZNS1_9scan_implILNS1_25lookback_scan_determinismE0ELb0ELb0ES3_PKS6_PS6_S6_ZZZN2at6native31launch_logcumsumexp_cuda_kernelERKNSD_10TensorBaseESH_lENKUlvE_clEvENKUlvE4_clEvEUlS6_S6_E_S6_EEDaPvRmT3_T4_T5_mT6_P12ihipStream_tbENKUlT_T0_E_clISt17integral_constantIbLb1EESY_EEDaST_SU_EUlST_E_NS1_11comp_targetILNS1_3genE9ELNS1_11target_archE1100ELNS1_3gpuE3ELNS1_3repE0EEENS1_30default_config_static_selectorELNS0_4arch9wavefront6targetE1EEEvT1_,"axG",@progbits,_ZN7rocprim17ROCPRIM_400000_NS6detail17trampoline_kernelINS0_14default_configENS1_20scan_config_selectorIN3c108BFloat16EEEZZNS1_9scan_implILNS1_25lookback_scan_determinismE0ELb0ELb0ES3_PKS6_PS6_S6_ZZZN2at6native31launch_logcumsumexp_cuda_kernelERKNSD_10TensorBaseESH_lENKUlvE_clEvENKUlvE4_clEvEUlS6_S6_E_S6_EEDaPvRmT3_T4_T5_mT6_P12ihipStream_tbENKUlT_T0_E_clISt17integral_constantIbLb1EESY_EEDaST_SU_EUlST_E_NS1_11comp_targetILNS1_3genE9ELNS1_11target_archE1100ELNS1_3gpuE3ELNS1_3repE0EEENS1_30default_config_static_selectorELNS0_4arch9wavefront6targetE1EEEvT1_,comdat
	.globl	_ZN7rocprim17ROCPRIM_400000_NS6detail17trampoline_kernelINS0_14default_configENS1_20scan_config_selectorIN3c108BFloat16EEEZZNS1_9scan_implILNS1_25lookback_scan_determinismE0ELb0ELb0ES3_PKS6_PS6_S6_ZZZN2at6native31launch_logcumsumexp_cuda_kernelERKNSD_10TensorBaseESH_lENKUlvE_clEvENKUlvE4_clEvEUlS6_S6_E_S6_EEDaPvRmT3_T4_T5_mT6_P12ihipStream_tbENKUlT_T0_E_clISt17integral_constantIbLb1EESY_EEDaST_SU_EUlST_E_NS1_11comp_targetILNS1_3genE9ELNS1_11target_archE1100ELNS1_3gpuE3ELNS1_3repE0EEENS1_30default_config_static_selectorELNS0_4arch9wavefront6targetE1EEEvT1_ ; -- Begin function _ZN7rocprim17ROCPRIM_400000_NS6detail17trampoline_kernelINS0_14default_configENS1_20scan_config_selectorIN3c108BFloat16EEEZZNS1_9scan_implILNS1_25lookback_scan_determinismE0ELb0ELb0ES3_PKS6_PS6_S6_ZZZN2at6native31launch_logcumsumexp_cuda_kernelERKNSD_10TensorBaseESH_lENKUlvE_clEvENKUlvE4_clEvEUlS6_S6_E_S6_EEDaPvRmT3_T4_T5_mT6_P12ihipStream_tbENKUlT_T0_E_clISt17integral_constantIbLb1EESY_EEDaST_SU_EUlST_E_NS1_11comp_targetILNS1_3genE9ELNS1_11target_archE1100ELNS1_3gpuE3ELNS1_3repE0EEENS1_30default_config_static_selectorELNS0_4arch9wavefront6targetE1EEEvT1_
	.p2align	8
	.type	_ZN7rocprim17ROCPRIM_400000_NS6detail17trampoline_kernelINS0_14default_configENS1_20scan_config_selectorIN3c108BFloat16EEEZZNS1_9scan_implILNS1_25lookback_scan_determinismE0ELb0ELb0ES3_PKS6_PS6_S6_ZZZN2at6native31launch_logcumsumexp_cuda_kernelERKNSD_10TensorBaseESH_lENKUlvE_clEvENKUlvE4_clEvEUlS6_S6_E_S6_EEDaPvRmT3_T4_T5_mT6_P12ihipStream_tbENKUlT_T0_E_clISt17integral_constantIbLb1EESY_EEDaST_SU_EUlST_E_NS1_11comp_targetILNS1_3genE9ELNS1_11target_archE1100ELNS1_3gpuE3ELNS1_3repE0EEENS1_30default_config_static_selectorELNS0_4arch9wavefront6targetE1EEEvT1_,@function
_ZN7rocprim17ROCPRIM_400000_NS6detail17trampoline_kernelINS0_14default_configENS1_20scan_config_selectorIN3c108BFloat16EEEZZNS1_9scan_implILNS1_25lookback_scan_determinismE0ELb0ELb0ES3_PKS6_PS6_S6_ZZZN2at6native31launch_logcumsumexp_cuda_kernelERKNSD_10TensorBaseESH_lENKUlvE_clEvENKUlvE4_clEvEUlS6_S6_E_S6_EEDaPvRmT3_T4_T5_mT6_P12ihipStream_tbENKUlT_T0_E_clISt17integral_constantIbLb1EESY_EEDaST_SU_EUlST_E_NS1_11comp_targetILNS1_3genE9ELNS1_11target_archE1100ELNS1_3gpuE3ELNS1_3repE0EEENS1_30default_config_static_selectorELNS0_4arch9wavefront6targetE1EEEvT1_: ; @_ZN7rocprim17ROCPRIM_400000_NS6detail17trampoline_kernelINS0_14default_configENS1_20scan_config_selectorIN3c108BFloat16EEEZZNS1_9scan_implILNS1_25lookback_scan_determinismE0ELb0ELb0ES3_PKS6_PS6_S6_ZZZN2at6native31launch_logcumsumexp_cuda_kernelERKNSD_10TensorBaseESH_lENKUlvE_clEvENKUlvE4_clEvEUlS6_S6_E_S6_EEDaPvRmT3_T4_T5_mT6_P12ihipStream_tbENKUlT_T0_E_clISt17integral_constantIbLb1EESY_EEDaST_SU_EUlST_E_NS1_11comp_targetILNS1_3genE9ELNS1_11target_archE1100ELNS1_3gpuE3ELNS1_3repE0EEENS1_30default_config_static_selectorELNS0_4arch9wavefront6targetE1EEEvT1_
; %bb.0:
	.section	.rodata,"a",@progbits
	.p2align	6, 0x0
	.amdhsa_kernel _ZN7rocprim17ROCPRIM_400000_NS6detail17trampoline_kernelINS0_14default_configENS1_20scan_config_selectorIN3c108BFloat16EEEZZNS1_9scan_implILNS1_25lookback_scan_determinismE0ELb0ELb0ES3_PKS6_PS6_S6_ZZZN2at6native31launch_logcumsumexp_cuda_kernelERKNSD_10TensorBaseESH_lENKUlvE_clEvENKUlvE4_clEvEUlS6_S6_E_S6_EEDaPvRmT3_T4_T5_mT6_P12ihipStream_tbENKUlT_T0_E_clISt17integral_constantIbLb1EESY_EEDaST_SU_EUlST_E_NS1_11comp_targetILNS1_3genE9ELNS1_11target_archE1100ELNS1_3gpuE3ELNS1_3repE0EEENS1_30default_config_static_selectorELNS0_4arch9wavefront6targetE1EEEvT1_
		.amdhsa_group_segment_fixed_size 0
		.amdhsa_private_segment_fixed_size 0
		.amdhsa_kernarg_size 96
		.amdhsa_user_sgpr_count 2
		.amdhsa_user_sgpr_dispatch_ptr 0
		.amdhsa_user_sgpr_queue_ptr 0
		.amdhsa_user_sgpr_kernarg_segment_ptr 1
		.amdhsa_user_sgpr_dispatch_id 0
		.amdhsa_user_sgpr_kernarg_preload_length 0
		.amdhsa_user_sgpr_kernarg_preload_offset 0
		.amdhsa_user_sgpr_private_segment_size 0
		.amdhsa_uses_dynamic_stack 0
		.amdhsa_enable_private_segment 0
		.amdhsa_system_sgpr_workgroup_id_x 1
		.amdhsa_system_sgpr_workgroup_id_y 0
		.amdhsa_system_sgpr_workgroup_id_z 0
		.amdhsa_system_sgpr_workgroup_info 0
		.amdhsa_system_vgpr_workitem_id 0
		.amdhsa_next_free_vgpr 1
		.amdhsa_next_free_sgpr 0
		.amdhsa_accum_offset 4
		.amdhsa_reserve_vcc 0
		.amdhsa_float_round_mode_32 0
		.amdhsa_float_round_mode_16_64 0
		.amdhsa_float_denorm_mode_32 3
		.amdhsa_float_denorm_mode_16_64 3
		.amdhsa_dx10_clamp 1
		.amdhsa_ieee_mode 1
		.amdhsa_fp16_overflow 0
		.amdhsa_tg_split 0
		.amdhsa_exception_fp_ieee_invalid_op 0
		.amdhsa_exception_fp_denorm_src 0
		.amdhsa_exception_fp_ieee_div_zero 0
		.amdhsa_exception_fp_ieee_overflow 0
		.amdhsa_exception_fp_ieee_underflow 0
		.amdhsa_exception_fp_ieee_inexact 0
		.amdhsa_exception_int_div_zero 0
	.end_amdhsa_kernel
	.section	.text._ZN7rocprim17ROCPRIM_400000_NS6detail17trampoline_kernelINS0_14default_configENS1_20scan_config_selectorIN3c108BFloat16EEEZZNS1_9scan_implILNS1_25lookback_scan_determinismE0ELb0ELb0ES3_PKS6_PS6_S6_ZZZN2at6native31launch_logcumsumexp_cuda_kernelERKNSD_10TensorBaseESH_lENKUlvE_clEvENKUlvE4_clEvEUlS6_S6_E_S6_EEDaPvRmT3_T4_T5_mT6_P12ihipStream_tbENKUlT_T0_E_clISt17integral_constantIbLb1EESY_EEDaST_SU_EUlST_E_NS1_11comp_targetILNS1_3genE9ELNS1_11target_archE1100ELNS1_3gpuE3ELNS1_3repE0EEENS1_30default_config_static_selectorELNS0_4arch9wavefront6targetE1EEEvT1_,"axG",@progbits,_ZN7rocprim17ROCPRIM_400000_NS6detail17trampoline_kernelINS0_14default_configENS1_20scan_config_selectorIN3c108BFloat16EEEZZNS1_9scan_implILNS1_25lookback_scan_determinismE0ELb0ELb0ES3_PKS6_PS6_S6_ZZZN2at6native31launch_logcumsumexp_cuda_kernelERKNSD_10TensorBaseESH_lENKUlvE_clEvENKUlvE4_clEvEUlS6_S6_E_S6_EEDaPvRmT3_T4_T5_mT6_P12ihipStream_tbENKUlT_T0_E_clISt17integral_constantIbLb1EESY_EEDaST_SU_EUlST_E_NS1_11comp_targetILNS1_3genE9ELNS1_11target_archE1100ELNS1_3gpuE3ELNS1_3repE0EEENS1_30default_config_static_selectorELNS0_4arch9wavefront6targetE1EEEvT1_,comdat
.Lfunc_end486:
	.size	_ZN7rocprim17ROCPRIM_400000_NS6detail17trampoline_kernelINS0_14default_configENS1_20scan_config_selectorIN3c108BFloat16EEEZZNS1_9scan_implILNS1_25lookback_scan_determinismE0ELb0ELb0ES3_PKS6_PS6_S6_ZZZN2at6native31launch_logcumsumexp_cuda_kernelERKNSD_10TensorBaseESH_lENKUlvE_clEvENKUlvE4_clEvEUlS6_S6_E_S6_EEDaPvRmT3_T4_T5_mT6_P12ihipStream_tbENKUlT_T0_E_clISt17integral_constantIbLb1EESY_EEDaST_SU_EUlST_E_NS1_11comp_targetILNS1_3genE9ELNS1_11target_archE1100ELNS1_3gpuE3ELNS1_3repE0EEENS1_30default_config_static_selectorELNS0_4arch9wavefront6targetE1EEEvT1_, .Lfunc_end486-_ZN7rocprim17ROCPRIM_400000_NS6detail17trampoline_kernelINS0_14default_configENS1_20scan_config_selectorIN3c108BFloat16EEEZZNS1_9scan_implILNS1_25lookback_scan_determinismE0ELb0ELb0ES3_PKS6_PS6_S6_ZZZN2at6native31launch_logcumsumexp_cuda_kernelERKNSD_10TensorBaseESH_lENKUlvE_clEvENKUlvE4_clEvEUlS6_S6_E_S6_EEDaPvRmT3_T4_T5_mT6_P12ihipStream_tbENKUlT_T0_E_clISt17integral_constantIbLb1EESY_EEDaST_SU_EUlST_E_NS1_11comp_targetILNS1_3genE9ELNS1_11target_archE1100ELNS1_3gpuE3ELNS1_3repE0EEENS1_30default_config_static_selectorELNS0_4arch9wavefront6targetE1EEEvT1_
                                        ; -- End function
	.section	.AMDGPU.csdata,"",@progbits
; Kernel info:
; codeLenInByte = 0
; NumSgprs: 6
; NumVgprs: 0
; NumAgprs: 0
; TotalNumVgprs: 0
; ScratchSize: 0
; MemoryBound: 0
; FloatMode: 240
; IeeeMode: 1
; LDSByteSize: 0 bytes/workgroup (compile time only)
; SGPRBlocks: 0
; VGPRBlocks: 0
; NumSGPRsForWavesPerEU: 6
; NumVGPRsForWavesPerEU: 1
; AccumOffset: 4
; Occupancy: 8
; WaveLimiterHint : 0
; COMPUTE_PGM_RSRC2:SCRATCH_EN: 0
; COMPUTE_PGM_RSRC2:USER_SGPR: 2
; COMPUTE_PGM_RSRC2:TRAP_HANDLER: 0
; COMPUTE_PGM_RSRC2:TGID_X_EN: 1
; COMPUTE_PGM_RSRC2:TGID_Y_EN: 0
; COMPUTE_PGM_RSRC2:TGID_Z_EN: 0
; COMPUTE_PGM_RSRC2:TIDIG_COMP_CNT: 0
; COMPUTE_PGM_RSRC3_GFX90A:ACCUM_OFFSET: 0
; COMPUTE_PGM_RSRC3_GFX90A:TG_SPLIT: 0
	.section	.text._ZN7rocprim17ROCPRIM_400000_NS6detail17trampoline_kernelINS0_14default_configENS1_20scan_config_selectorIN3c108BFloat16EEEZZNS1_9scan_implILNS1_25lookback_scan_determinismE0ELb0ELb0ES3_PKS6_PS6_S6_ZZZN2at6native31launch_logcumsumexp_cuda_kernelERKNSD_10TensorBaseESH_lENKUlvE_clEvENKUlvE4_clEvEUlS6_S6_E_S6_EEDaPvRmT3_T4_T5_mT6_P12ihipStream_tbENKUlT_T0_E_clISt17integral_constantIbLb1EESY_EEDaST_SU_EUlST_E_NS1_11comp_targetILNS1_3genE8ELNS1_11target_archE1030ELNS1_3gpuE2ELNS1_3repE0EEENS1_30default_config_static_selectorELNS0_4arch9wavefront6targetE1EEEvT1_,"axG",@progbits,_ZN7rocprim17ROCPRIM_400000_NS6detail17trampoline_kernelINS0_14default_configENS1_20scan_config_selectorIN3c108BFloat16EEEZZNS1_9scan_implILNS1_25lookback_scan_determinismE0ELb0ELb0ES3_PKS6_PS6_S6_ZZZN2at6native31launch_logcumsumexp_cuda_kernelERKNSD_10TensorBaseESH_lENKUlvE_clEvENKUlvE4_clEvEUlS6_S6_E_S6_EEDaPvRmT3_T4_T5_mT6_P12ihipStream_tbENKUlT_T0_E_clISt17integral_constantIbLb1EESY_EEDaST_SU_EUlST_E_NS1_11comp_targetILNS1_3genE8ELNS1_11target_archE1030ELNS1_3gpuE2ELNS1_3repE0EEENS1_30default_config_static_selectorELNS0_4arch9wavefront6targetE1EEEvT1_,comdat
	.globl	_ZN7rocprim17ROCPRIM_400000_NS6detail17trampoline_kernelINS0_14default_configENS1_20scan_config_selectorIN3c108BFloat16EEEZZNS1_9scan_implILNS1_25lookback_scan_determinismE0ELb0ELb0ES3_PKS6_PS6_S6_ZZZN2at6native31launch_logcumsumexp_cuda_kernelERKNSD_10TensorBaseESH_lENKUlvE_clEvENKUlvE4_clEvEUlS6_S6_E_S6_EEDaPvRmT3_T4_T5_mT6_P12ihipStream_tbENKUlT_T0_E_clISt17integral_constantIbLb1EESY_EEDaST_SU_EUlST_E_NS1_11comp_targetILNS1_3genE8ELNS1_11target_archE1030ELNS1_3gpuE2ELNS1_3repE0EEENS1_30default_config_static_selectorELNS0_4arch9wavefront6targetE1EEEvT1_ ; -- Begin function _ZN7rocprim17ROCPRIM_400000_NS6detail17trampoline_kernelINS0_14default_configENS1_20scan_config_selectorIN3c108BFloat16EEEZZNS1_9scan_implILNS1_25lookback_scan_determinismE0ELb0ELb0ES3_PKS6_PS6_S6_ZZZN2at6native31launch_logcumsumexp_cuda_kernelERKNSD_10TensorBaseESH_lENKUlvE_clEvENKUlvE4_clEvEUlS6_S6_E_S6_EEDaPvRmT3_T4_T5_mT6_P12ihipStream_tbENKUlT_T0_E_clISt17integral_constantIbLb1EESY_EEDaST_SU_EUlST_E_NS1_11comp_targetILNS1_3genE8ELNS1_11target_archE1030ELNS1_3gpuE2ELNS1_3repE0EEENS1_30default_config_static_selectorELNS0_4arch9wavefront6targetE1EEEvT1_
	.p2align	8
	.type	_ZN7rocprim17ROCPRIM_400000_NS6detail17trampoline_kernelINS0_14default_configENS1_20scan_config_selectorIN3c108BFloat16EEEZZNS1_9scan_implILNS1_25lookback_scan_determinismE0ELb0ELb0ES3_PKS6_PS6_S6_ZZZN2at6native31launch_logcumsumexp_cuda_kernelERKNSD_10TensorBaseESH_lENKUlvE_clEvENKUlvE4_clEvEUlS6_S6_E_S6_EEDaPvRmT3_T4_T5_mT6_P12ihipStream_tbENKUlT_T0_E_clISt17integral_constantIbLb1EESY_EEDaST_SU_EUlST_E_NS1_11comp_targetILNS1_3genE8ELNS1_11target_archE1030ELNS1_3gpuE2ELNS1_3repE0EEENS1_30default_config_static_selectorELNS0_4arch9wavefront6targetE1EEEvT1_,@function
_ZN7rocprim17ROCPRIM_400000_NS6detail17trampoline_kernelINS0_14default_configENS1_20scan_config_selectorIN3c108BFloat16EEEZZNS1_9scan_implILNS1_25lookback_scan_determinismE0ELb0ELb0ES3_PKS6_PS6_S6_ZZZN2at6native31launch_logcumsumexp_cuda_kernelERKNSD_10TensorBaseESH_lENKUlvE_clEvENKUlvE4_clEvEUlS6_S6_E_S6_EEDaPvRmT3_T4_T5_mT6_P12ihipStream_tbENKUlT_T0_E_clISt17integral_constantIbLb1EESY_EEDaST_SU_EUlST_E_NS1_11comp_targetILNS1_3genE8ELNS1_11target_archE1030ELNS1_3gpuE2ELNS1_3repE0EEENS1_30default_config_static_selectorELNS0_4arch9wavefront6targetE1EEEvT1_: ; @_ZN7rocprim17ROCPRIM_400000_NS6detail17trampoline_kernelINS0_14default_configENS1_20scan_config_selectorIN3c108BFloat16EEEZZNS1_9scan_implILNS1_25lookback_scan_determinismE0ELb0ELb0ES3_PKS6_PS6_S6_ZZZN2at6native31launch_logcumsumexp_cuda_kernelERKNSD_10TensorBaseESH_lENKUlvE_clEvENKUlvE4_clEvEUlS6_S6_E_S6_EEDaPvRmT3_T4_T5_mT6_P12ihipStream_tbENKUlT_T0_E_clISt17integral_constantIbLb1EESY_EEDaST_SU_EUlST_E_NS1_11comp_targetILNS1_3genE8ELNS1_11target_archE1030ELNS1_3gpuE2ELNS1_3repE0EEENS1_30default_config_static_selectorELNS0_4arch9wavefront6targetE1EEEvT1_
; %bb.0:
	.section	.rodata,"a",@progbits
	.p2align	6, 0x0
	.amdhsa_kernel _ZN7rocprim17ROCPRIM_400000_NS6detail17trampoline_kernelINS0_14default_configENS1_20scan_config_selectorIN3c108BFloat16EEEZZNS1_9scan_implILNS1_25lookback_scan_determinismE0ELb0ELb0ES3_PKS6_PS6_S6_ZZZN2at6native31launch_logcumsumexp_cuda_kernelERKNSD_10TensorBaseESH_lENKUlvE_clEvENKUlvE4_clEvEUlS6_S6_E_S6_EEDaPvRmT3_T4_T5_mT6_P12ihipStream_tbENKUlT_T0_E_clISt17integral_constantIbLb1EESY_EEDaST_SU_EUlST_E_NS1_11comp_targetILNS1_3genE8ELNS1_11target_archE1030ELNS1_3gpuE2ELNS1_3repE0EEENS1_30default_config_static_selectorELNS0_4arch9wavefront6targetE1EEEvT1_
		.amdhsa_group_segment_fixed_size 0
		.amdhsa_private_segment_fixed_size 0
		.amdhsa_kernarg_size 96
		.amdhsa_user_sgpr_count 2
		.amdhsa_user_sgpr_dispatch_ptr 0
		.amdhsa_user_sgpr_queue_ptr 0
		.amdhsa_user_sgpr_kernarg_segment_ptr 1
		.amdhsa_user_sgpr_dispatch_id 0
		.amdhsa_user_sgpr_kernarg_preload_length 0
		.amdhsa_user_sgpr_kernarg_preload_offset 0
		.amdhsa_user_sgpr_private_segment_size 0
		.amdhsa_uses_dynamic_stack 0
		.amdhsa_enable_private_segment 0
		.amdhsa_system_sgpr_workgroup_id_x 1
		.amdhsa_system_sgpr_workgroup_id_y 0
		.amdhsa_system_sgpr_workgroup_id_z 0
		.amdhsa_system_sgpr_workgroup_info 0
		.amdhsa_system_vgpr_workitem_id 0
		.amdhsa_next_free_vgpr 1
		.amdhsa_next_free_sgpr 0
		.amdhsa_accum_offset 4
		.amdhsa_reserve_vcc 0
		.amdhsa_float_round_mode_32 0
		.amdhsa_float_round_mode_16_64 0
		.amdhsa_float_denorm_mode_32 3
		.amdhsa_float_denorm_mode_16_64 3
		.amdhsa_dx10_clamp 1
		.amdhsa_ieee_mode 1
		.amdhsa_fp16_overflow 0
		.amdhsa_tg_split 0
		.amdhsa_exception_fp_ieee_invalid_op 0
		.amdhsa_exception_fp_denorm_src 0
		.amdhsa_exception_fp_ieee_div_zero 0
		.amdhsa_exception_fp_ieee_overflow 0
		.amdhsa_exception_fp_ieee_underflow 0
		.amdhsa_exception_fp_ieee_inexact 0
		.amdhsa_exception_int_div_zero 0
	.end_amdhsa_kernel
	.section	.text._ZN7rocprim17ROCPRIM_400000_NS6detail17trampoline_kernelINS0_14default_configENS1_20scan_config_selectorIN3c108BFloat16EEEZZNS1_9scan_implILNS1_25lookback_scan_determinismE0ELb0ELb0ES3_PKS6_PS6_S6_ZZZN2at6native31launch_logcumsumexp_cuda_kernelERKNSD_10TensorBaseESH_lENKUlvE_clEvENKUlvE4_clEvEUlS6_S6_E_S6_EEDaPvRmT3_T4_T5_mT6_P12ihipStream_tbENKUlT_T0_E_clISt17integral_constantIbLb1EESY_EEDaST_SU_EUlST_E_NS1_11comp_targetILNS1_3genE8ELNS1_11target_archE1030ELNS1_3gpuE2ELNS1_3repE0EEENS1_30default_config_static_selectorELNS0_4arch9wavefront6targetE1EEEvT1_,"axG",@progbits,_ZN7rocprim17ROCPRIM_400000_NS6detail17trampoline_kernelINS0_14default_configENS1_20scan_config_selectorIN3c108BFloat16EEEZZNS1_9scan_implILNS1_25lookback_scan_determinismE0ELb0ELb0ES3_PKS6_PS6_S6_ZZZN2at6native31launch_logcumsumexp_cuda_kernelERKNSD_10TensorBaseESH_lENKUlvE_clEvENKUlvE4_clEvEUlS6_S6_E_S6_EEDaPvRmT3_T4_T5_mT6_P12ihipStream_tbENKUlT_T0_E_clISt17integral_constantIbLb1EESY_EEDaST_SU_EUlST_E_NS1_11comp_targetILNS1_3genE8ELNS1_11target_archE1030ELNS1_3gpuE2ELNS1_3repE0EEENS1_30default_config_static_selectorELNS0_4arch9wavefront6targetE1EEEvT1_,comdat
.Lfunc_end487:
	.size	_ZN7rocprim17ROCPRIM_400000_NS6detail17trampoline_kernelINS0_14default_configENS1_20scan_config_selectorIN3c108BFloat16EEEZZNS1_9scan_implILNS1_25lookback_scan_determinismE0ELb0ELb0ES3_PKS6_PS6_S6_ZZZN2at6native31launch_logcumsumexp_cuda_kernelERKNSD_10TensorBaseESH_lENKUlvE_clEvENKUlvE4_clEvEUlS6_S6_E_S6_EEDaPvRmT3_T4_T5_mT6_P12ihipStream_tbENKUlT_T0_E_clISt17integral_constantIbLb1EESY_EEDaST_SU_EUlST_E_NS1_11comp_targetILNS1_3genE8ELNS1_11target_archE1030ELNS1_3gpuE2ELNS1_3repE0EEENS1_30default_config_static_selectorELNS0_4arch9wavefront6targetE1EEEvT1_, .Lfunc_end487-_ZN7rocprim17ROCPRIM_400000_NS6detail17trampoline_kernelINS0_14default_configENS1_20scan_config_selectorIN3c108BFloat16EEEZZNS1_9scan_implILNS1_25lookback_scan_determinismE0ELb0ELb0ES3_PKS6_PS6_S6_ZZZN2at6native31launch_logcumsumexp_cuda_kernelERKNSD_10TensorBaseESH_lENKUlvE_clEvENKUlvE4_clEvEUlS6_S6_E_S6_EEDaPvRmT3_T4_T5_mT6_P12ihipStream_tbENKUlT_T0_E_clISt17integral_constantIbLb1EESY_EEDaST_SU_EUlST_E_NS1_11comp_targetILNS1_3genE8ELNS1_11target_archE1030ELNS1_3gpuE2ELNS1_3repE0EEENS1_30default_config_static_selectorELNS0_4arch9wavefront6targetE1EEEvT1_
                                        ; -- End function
	.section	.AMDGPU.csdata,"",@progbits
; Kernel info:
; codeLenInByte = 0
; NumSgprs: 6
; NumVgprs: 0
; NumAgprs: 0
; TotalNumVgprs: 0
; ScratchSize: 0
; MemoryBound: 0
; FloatMode: 240
; IeeeMode: 1
; LDSByteSize: 0 bytes/workgroup (compile time only)
; SGPRBlocks: 0
; VGPRBlocks: 0
; NumSGPRsForWavesPerEU: 6
; NumVGPRsForWavesPerEU: 1
; AccumOffset: 4
; Occupancy: 8
; WaveLimiterHint : 0
; COMPUTE_PGM_RSRC2:SCRATCH_EN: 0
; COMPUTE_PGM_RSRC2:USER_SGPR: 2
; COMPUTE_PGM_RSRC2:TRAP_HANDLER: 0
; COMPUTE_PGM_RSRC2:TGID_X_EN: 1
; COMPUTE_PGM_RSRC2:TGID_Y_EN: 0
; COMPUTE_PGM_RSRC2:TGID_Z_EN: 0
; COMPUTE_PGM_RSRC2:TIDIG_COMP_CNT: 0
; COMPUTE_PGM_RSRC3_GFX90A:ACCUM_OFFSET: 0
; COMPUTE_PGM_RSRC3_GFX90A:TG_SPLIT: 0
	.section	.text._ZN7rocprim17ROCPRIM_400000_NS6detail17trampoline_kernelINS0_14default_configENS1_20scan_config_selectorIN3c108BFloat16EEEZZNS1_9scan_implILNS1_25lookback_scan_determinismE0ELb0ELb0ES3_PKS6_PS6_S6_ZZZN2at6native31launch_logcumsumexp_cuda_kernelERKNSD_10TensorBaseESH_lENKUlvE_clEvENKUlvE4_clEvEUlS6_S6_E_S6_EEDaPvRmT3_T4_T5_mT6_P12ihipStream_tbENKUlT_T0_E_clISt17integral_constantIbLb1EESY_EEDaST_SU_EUlST_E0_NS1_11comp_targetILNS1_3genE0ELNS1_11target_archE4294967295ELNS1_3gpuE0ELNS1_3repE0EEENS1_30default_config_static_selectorELNS0_4arch9wavefront6targetE1EEEvT1_,"axG",@progbits,_ZN7rocprim17ROCPRIM_400000_NS6detail17trampoline_kernelINS0_14default_configENS1_20scan_config_selectorIN3c108BFloat16EEEZZNS1_9scan_implILNS1_25lookback_scan_determinismE0ELb0ELb0ES3_PKS6_PS6_S6_ZZZN2at6native31launch_logcumsumexp_cuda_kernelERKNSD_10TensorBaseESH_lENKUlvE_clEvENKUlvE4_clEvEUlS6_S6_E_S6_EEDaPvRmT3_T4_T5_mT6_P12ihipStream_tbENKUlT_T0_E_clISt17integral_constantIbLb1EESY_EEDaST_SU_EUlST_E0_NS1_11comp_targetILNS1_3genE0ELNS1_11target_archE4294967295ELNS1_3gpuE0ELNS1_3repE0EEENS1_30default_config_static_selectorELNS0_4arch9wavefront6targetE1EEEvT1_,comdat
	.globl	_ZN7rocprim17ROCPRIM_400000_NS6detail17trampoline_kernelINS0_14default_configENS1_20scan_config_selectorIN3c108BFloat16EEEZZNS1_9scan_implILNS1_25lookback_scan_determinismE0ELb0ELb0ES3_PKS6_PS6_S6_ZZZN2at6native31launch_logcumsumexp_cuda_kernelERKNSD_10TensorBaseESH_lENKUlvE_clEvENKUlvE4_clEvEUlS6_S6_E_S6_EEDaPvRmT3_T4_T5_mT6_P12ihipStream_tbENKUlT_T0_E_clISt17integral_constantIbLb1EESY_EEDaST_SU_EUlST_E0_NS1_11comp_targetILNS1_3genE0ELNS1_11target_archE4294967295ELNS1_3gpuE0ELNS1_3repE0EEENS1_30default_config_static_selectorELNS0_4arch9wavefront6targetE1EEEvT1_ ; -- Begin function _ZN7rocprim17ROCPRIM_400000_NS6detail17trampoline_kernelINS0_14default_configENS1_20scan_config_selectorIN3c108BFloat16EEEZZNS1_9scan_implILNS1_25lookback_scan_determinismE0ELb0ELb0ES3_PKS6_PS6_S6_ZZZN2at6native31launch_logcumsumexp_cuda_kernelERKNSD_10TensorBaseESH_lENKUlvE_clEvENKUlvE4_clEvEUlS6_S6_E_S6_EEDaPvRmT3_T4_T5_mT6_P12ihipStream_tbENKUlT_T0_E_clISt17integral_constantIbLb1EESY_EEDaST_SU_EUlST_E0_NS1_11comp_targetILNS1_3genE0ELNS1_11target_archE4294967295ELNS1_3gpuE0ELNS1_3repE0EEENS1_30default_config_static_selectorELNS0_4arch9wavefront6targetE1EEEvT1_
	.p2align	8
	.type	_ZN7rocprim17ROCPRIM_400000_NS6detail17trampoline_kernelINS0_14default_configENS1_20scan_config_selectorIN3c108BFloat16EEEZZNS1_9scan_implILNS1_25lookback_scan_determinismE0ELb0ELb0ES3_PKS6_PS6_S6_ZZZN2at6native31launch_logcumsumexp_cuda_kernelERKNSD_10TensorBaseESH_lENKUlvE_clEvENKUlvE4_clEvEUlS6_S6_E_S6_EEDaPvRmT3_T4_T5_mT6_P12ihipStream_tbENKUlT_T0_E_clISt17integral_constantIbLb1EESY_EEDaST_SU_EUlST_E0_NS1_11comp_targetILNS1_3genE0ELNS1_11target_archE4294967295ELNS1_3gpuE0ELNS1_3repE0EEENS1_30default_config_static_selectorELNS0_4arch9wavefront6targetE1EEEvT1_,@function
_ZN7rocprim17ROCPRIM_400000_NS6detail17trampoline_kernelINS0_14default_configENS1_20scan_config_selectorIN3c108BFloat16EEEZZNS1_9scan_implILNS1_25lookback_scan_determinismE0ELb0ELb0ES3_PKS6_PS6_S6_ZZZN2at6native31launch_logcumsumexp_cuda_kernelERKNSD_10TensorBaseESH_lENKUlvE_clEvENKUlvE4_clEvEUlS6_S6_E_S6_EEDaPvRmT3_T4_T5_mT6_P12ihipStream_tbENKUlT_T0_E_clISt17integral_constantIbLb1EESY_EEDaST_SU_EUlST_E0_NS1_11comp_targetILNS1_3genE0ELNS1_11target_archE4294967295ELNS1_3gpuE0ELNS1_3repE0EEENS1_30default_config_static_selectorELNS0_4arch9wavefront6targetE1EEEvT1_: ; @_ZN7rocprim17ROCPRIM_400000_NS6detail17trampoline_kernelINS0_14default_configENS1_20scan_config_selectorIN3c108BFloat16EEEZZNS1_9scan_implILNS1_25lookback_scan_determinismE0ELb0ELb0ES3_PKS6_PS6_S6_ZZZN2at6native31launch_logcumsumexp_cuda_kernelERKNSD_10TensorBaseESH_lENKUlvE_clEvENKUlvE4_clEvEUlS6_S6_E_S6_EEDaPvRmT3_T4_T5_mT6_P12ihipStream_tbENKUlT_T0_E_clISt17integral_constantIbLb1EESY_EEDaST_SU_EUlST_E0_NS1_11comp_targetILNS1_3genE0ELNS1_11target_archE4294967295ELNS1_3gpuE0ELNS1_3repE0EEENS1_30default_config_static_selectorELNS0_4arch9wavefront6targetE1EEEvT1_
; %bb.0:
	.section	.rodata,"a",@progbits
	.p2align	6, 0x0
	.amdhsa_kernel _ZN7rocprim17ROCPRIM_400000_NS6detail17trampoline_kernelINS0_14default_configENS1_20scan_config_selectorIN3c108BFloat16EEEZZNS1_9scan_implILNS1_25lookback_scan_determinismE0ELb0ELb0ES3_PKS6_PS6_S6_ZZZN2at6native31launch_logcumsumexp_cuda_kernelERKNSD_10TensorBaseESH_lENKUlvE_clEvENKUlvE4_clEvEUlS6_S6_E_S6_EEDaPvRmT3_T4_T5_mT6_P12ihipStream_tbENKUlT_T0_E_clISt17integral_constantIbLb1EESY_EEDaST_SU_EUlST_E0_NS1_11comp_targetILNS1_3genE0ELNS1_11target_archE4294967295ELNS1_3gpuE0ELNS1_3repE0EEENS1_30default_config_static_selectorELNS0_4arch9wavefront6targetE1EEEvT1_
		.amdhsa_group_segment_fixed_size 0
		.amdhsa_private_segment_fixed_size 0
		.amdhsa_kernarg_size 32
		.amdhsa_user_sgpr_count 2
		.amdhsa_user_sgpr_dispatch_ptr 0
		.amdhsa_user_sgpr_queue_ptr 0
		.amdhsa_user_sgpr_kernarg_segment_ptr 1
		.amdhsa_user_sgpr_dispatch_id 0
		.amdhsa_user_sgpr_kernarg_preload_length 0
		.amdhsa_user_sgpr_kernarg_preload_offset 0
		.amdhsa_user_sgpr_private_segment_size 0
		.amdhsa_uses_dynamic_stack 0
		.amdhsa_enable_private_segment 0
		.amdhsa_system_sgpr_workgroup_id_x 1
		.amdhsa_system_sgpr_workgroup_id_y 0
		.amdhsa_system_sgpr_workgroup_id_z 0
		.amdhsa_system_sgpr_workgroup_info 0
		.amdhsa_system_vgpr_workitem_id 0
		.amdhsa_next_free_vgpr 1
		.amdhsa_next_free_sgpr 0
		.amdhsa_accum_offset 4
		.amdhsa_reserve_vcc 0
		.amdhsa_float_round_mode_32 0
		.amdhsa_float_round_mode_16_64 0
		.amdhsa_float_denorm_mode_32 3
		.amdhsa_float_denorm_mode_16_64 3
		.amdhsa_dx10_clamp 1
		.amdhsa_ieee_mode 1
		.amdhsa_fp16_overflow 0
		.amdhsa_tg_split 0
		.amdhsa_exception_fp_ieee_invalid_op 0
		.amdhsa_exception_fp_denorm_src 0
		.amdhsa_exception_fp_ieee_div_zero 0
		.amdhsa_exception_fp_ieee_overflow 0
		.amdhsa_exception_fp_ieee_underflow 0
		.amdhsa_exception_fp_ieee_inexact 0
		.amdhsa_exception_int_div_zero 0
	.end_amdhsa_kernel
	.section	.text._ZN7rocprim17ROCPRIM_400000_NS6detail17trampoline_kernelINS0_14default_configENS1_20scan_config_selectorIN3c108BFloat16EEEZZNS1_9scan_implILNS1_25lookback_scan_determinismE0ELb0ELb0ES3_PKS6_PS6_S6_ZZZN2at6native31launch_logcumsumexp_cuda_kernelERKNSD_10TensorBaseESH_lENKUlvE_clEvENKUlvE4_clEvEUlS6_S6_E_S6_EEDaPvRmT3_T4_T5_mT6_P12ihipStream_tbENKUlT_T0_E_clISt17integral_constantIbLb1EESY_EEDaST_SU_EUlST_E0_NS1_11comp_targetILNS1_3genE0ELNS1_11target_archE4294967295ELNS1_3gpuE0ELNS1_3repE0EEENS1_30default_config_static_selectorELNS0_4arch9wavefront6targetE1EEEvT1_,"axG",@progbits,_ZN7rocprim17ROCPRIM_400000_NS6detail17trampoline_kernelINS0_14default_configENS1_20scan_config_selectorIN3c108BFloat16EEEZZNS1_9scan_implILNS1_25lookback_scan_determinismE0ELb0ELb0ES3_PKS6_PS6_S6_ZZZN2at6native31launch_logcumsumexp_cuda_kernelERKNSD_10TensorBaseESH_lENKUlvE_clEvENKUlvE4_clEvEUlS6_S6_E_S6_EEDaPvRmT3_T4_T5_mT6_P12ihipStream_tbENKUlT_T0_E_clISt17integral_constantIbLb1EESY_EEDaST_SU_EUlST_E0_NS1_11comp_targetILNS1_3genE0ELNS1_11target_archE4294967295ELNS1_3gpuE0ELNS1_3repE0EEENS1_30default_config_static_selectorELNS0_4arch9wavefront6targetE1EEEvT1_,comdat
.Lfunc_end488:
	.size	_ZN7rocprim17ROCPRIM_400000_NS6detail17trampoline_kernelINS0_14default_configENS1_20scan_config_selectorIN3c108BFloat16EEEZZNS1_9scan_implILNS1_25lookback_scan_determinismE0ELb0ELb0ES3_PKS6_PS6_S6_ZZZN2at6native31launch_logcumsumexp_cuda_kernelERKNSD_10TensorBaseESH_lENKUlvE_clEvENKUlvE4_clEvEUlS6_S6_E_S6_EEDaPvRmT3_T4_T5_mT6_P12ihipStream_tbENKUlT_T0_E_clISt17integral_constantIbLb1EESY_EEDaST_SU_EUlST_E0_NS1_11comp_targetILNS1_3genE0ELNS1_11target_archE4294967295ELNS1_3gpuE0ELNS1_3repE0EEENS1_30default_config_static_selectorELNS0_4arch9wavefront6targetE1EEEvT1_, .Lfunc_end488-_ZN7rocprim17ROCPRIM_400000_NS6detail17trampoline_kernelINS0_14default_configENS1_20scan_config_selectorIN3c108BFloat16EEEZZNS1_9scan_implILNS1_25lookback_scan_determinismE0ELb0ELb0ES3_PKS6_PS6_S6_ZZZN2at6native31launch_logcumsumexp_cuda_kernelERKNSD_10TensorBaseESH_lENKUlvE_clEvENKUlvE4_clEvEUlS6_S6_E_S6_EEDaPvRmT3_T4_T5_mT6_P12ihipStream_tbENKUlT_T0_E_clISt17integral_constantIbLb1EESY_EEDaST_SU_EUlST_E0_NS1_11comp_targetILNS1_3genE0ELNS1_11target_archE4294967295ELNS1_3gpuE0ELNS1_3repE0EEENS1_30default_config_static_selectorELNS0_4arch9wavefront6targetE1EEEvT1_
                                        ; -- End function
	.section	.AMDGPU.csdata,"",@progbits
; Kernel info:
; codeLenInByte = 0
; NumSgprs: 6
; NumVgprs: 0
; NumAgprs: 0
; TotalNumVgprs: 0
; ScratchSize: 0
; MemoryBound: 0
; FloatMode: 240
; IeeeMode: 1
; LDSByteSize: 0 bytes/workgroup (compile time only)
; SGPRBlocks: 0
; VGPRBlocks: 0
; NumSGPRsForWavesPerEU: 6
; NumVGPRsForWavesPerEU: 1
; AccumOffset: 4
; Occupancy: 8
; WaveLimiterHint : 0
; COMPUTE_PGM_RSRC2:SCRATCH_EN: 0
; COMPUTE_PGM_RSRC2:USER_SGPR: 2
; COMPUTE_PGM_RSRC2:TRAP_HANDLER: 0
; COMPUTE_PGM_RSRC2:TGID_X_EN: 1
; COMPUTE_PGM_RSRC2:TGID_Y_EN: 0
; COMPUTE_PGM_RSRC2:TGID_Z_EN: 0
; COMPUTE_PGM_RSRC2:TIDIG_COMP_CNT: 0
; COMPUTE_PGM_RSRC3_GFX90A:ACCUM_OFFSET: 0
; COMPUTE_PGM_RSRC3_GFX90A:TG_SPLIT: 0
	.section	.text._ZN7rocprim17ROCPRIM_400000_NS6detail17trampoline_kernelINS0_14default_configENS1_20scan_config_selectorIN3c108BFloat16EEEZZNS1_9scan_implILNS1_25lookback_scan_determinismE0ELb0ELb0ES3_PKS6_PS6_S6_ZZZN2at6native31launch_logcumsumexp_cuda_kernelERKNSD_10TensorBaseESH_lENKUlvE_clEvENKUlvE4_clEvEUlS6_S6_E_S6_EEDaPvRmT3_T4_T5_mT6_P12ihipStream_tbENKUlT_T0_E_clISt17integral_constantIbLb1EESY_EEDaST_SU_EUlST_E0_NS1_11comp_targetILNS1_3genE5ELNS1_11target_archE942ELNS1_3gpuE9ELNS1_3repE0EEENS1_30default_config_static_selectorELNS0_4arch9wavefront6targetE1EEEvT1_,"axG",@progbits,_ZN7rocprim17ROCPRIM_400000_NS6detail17trampoline_kernelINS0_14default_configENS1_20scan_config_selectorIN3c108BFloat16EEEZZNS1_9scan_implILNS1_25lookback_scan_determinismE0ELb0ELb0ES3_PKS6_PS6_S6_ZZZN2at6native31launch_logcumsumexp_cuda_kernelERKNSD_10TensorBaseESH_lENKUlvE_clEvENKUlvE4_clEvEUlS6_S6_E_S6_EEDaPvRmT3_T4_T5_mT6_P12ihipStream_tbENKUlT_T0_E_clISt17integral_constantIbLb1EESY_EEDaST_SU_EUlST_E0_NS1_11comp_targetILNS1_3genE5ELNS1_11target_archE942ELNS1_3gpuE9ELNS1_3repE0EEENS1_30default_config_static_selectorELNS0_4arch9wavefront6targetE1EEEvT1_,comdat
	.globl	_ZN7rocprim17ROCPRIM_400000_NS6detail17trampoline_kernelINS0_14default_configENS1_20scan_config_selectorIN3c108BFloat16EEEZZNS1_9scan_implILNS1_25lookback_scan_determinismE0ELb0ELb0ES3_PKS6_PS6_S6_ZZZN2at6native31launch_logcumsumexp_cuda_kernelERKNSD_10TensorBaseESH_lENKUlvE_clEvENKUlvE4_clEvEUlS6_S6_E_S6_EEDaPvRmT3_T4_T5_mT6_P12ihipStream_tbENKUlT_T0_E_clISt17integral_constantIbLb1EESY_EEDaST_SU_EUlST_E0_NS1_11comp_targetILNS1_3genE5ELNS1_11target_archE942ELNS1_3gpuE9ELNS1_3repE0EEENS1_30default_config_static_selectorELNS0_4arch9wavefront6targetE1EEEvT1_ ; -- Begin function _ZN7rocprim17ROCPRIM_400000_NS6detail17trampoline_kernelINS0_14default_configENS1_20scan_config_selectorIN3c108BFloat16EEEZZNS1_9scan_implILNS1_25lookback_scan_determinismE0ELb0ELb0ES3_PKS6_PS6_S6_ZZZN2at6native31launch_logcumsumexp_cuda_kernelERKNSD_10TensorBaseESH_lENKUlvE_clEvENKUlvE4_clEvEUlS6_S6_E_S6_EEDaPvRmT3_T4_T5_mT6_P12ihipStream_tbENKUlT_T0_E_clISt17integral_constantIbLb1EESY_EEDaST_SU_EUlST_E0_NS1_11comp_targetILNS1_3genE5ELNS1_11target_archE942ELNS1_3gpuE9ELNS1_3repE0EEENS1_30default_config_static_selectorELNS0_4arch9wavefront6targetE1EEEvT1_
	.p2align	8
	.type	_ZN7rocprim17ROCPRIM_400000_NS6detail17trampoline_kernelINS0_14default_configENS1_20scan_config_selectorIN3c108BFloat16EEEZZNS1_9scan_implILNS1_25lookback_scan_determinismE0ELb0ELb0ES3_PKS6_PS6_S6_ZZZN2at6native31launch_logcumsumexp_cuda_kernelERKNSD_10TensorBaseESH_lENKUlvE_clEvENKUlvE4_clEvEUlS6_S6_E_S6_EEDaPvRmT3_T4_T5_mT6_P12ihipStream_tbENKUlT_T0_E_clISt17integral_constantIbLb1EESY_EEDaST_SU_EUlST_E0_NS1_11comp_targetILNS1_3genE5ELNS1_11target_archE942ELNS1_3gpuE9ELNS1_3repE0EEENS1_30default_config_static_selectorELNS0_4arch9wavefront6targetE1EEEvT1_,@function
_ZN7rocprim17ROCPRIM_400000_NS6detail17trampoline_kernelINS0_14default_configENS1_20scan_config_selectorIN3c108BFloat16EEEZZNS1_9scan_implILNS1_25lookback_scan_determinismE0ELb0ELb0ES3_PKS6_PS6_S6_ZZZN2at6native31launch_logcumsumexp_cuda_kernelERKNSD_10TensorBaseESH_lENKUlvE_clEvENKUlvE4_clEvEUlS6_S6_E_S6_EEDaPvRmT3_T4_T5_mT6_P12ihipStream_tbENKUlT_T0_E_clISt17integral_constantIbLb1EESY_EEDaST_SU_EUlST_E0_NS1_11comp_targetILNS1_3genE5ELNS1_11target_archE942ELNS1_3gpuE9ELNS1_3repE0EEENS1_30default_config_static_selectorELNS0_4arch9wavefront6targetE1EEEvT1_: ; @_ZN7rocprim17ROCPRIM_400000_NS6detail17trampoline_kernelINS0_14default_configENS1_20scan_config_selectorIN3c108BFloat16EEEZZNS1_9scan_implILNS1_25lookback_scan_determinismE0ELb0ELb0ES3_PKS6_PS6_S6_ZZZN2at6native31launch_logcumsumexp_cuda_kernelERKNSD_10TensorBaseESH_lENKUlvE_clEvENKUlvE4_clEvEUlS6_S6_E_S6_EEDaPvRmT3_T4_T5_mT6_P12ihipStream_tbENKUlT_T0_E_clISt17integral_constantIbLb1EESY_EEDaST_SU_EUlST_E0_NS1_11comp_targetILNS1_3genE5ELNS1_11target_archE942ELNS1_3gpuE9ELNS1_3repE0EEENS1_30default_config_static_selectorELNS0_4arch9wavefront6targetE1EEEvT1_
; %bb.0:
	s_load_dwordx4 s[48:51], s[0:1], 0x0
	v_mov_b32_e32 v1, 0
	v_lshlrev_b32_e32 v14, 1, v0
	s_waitcnt lgkmcnt(0)
	global_load_ushort v1, v1, s[48:49]
	v_cmp_gt_u32_e64 s[4:5], s50, v0
	s_waitcnt vmcnt(0)
	v_mov_b32_e32 v2, v1
	s_mov_b64 s[2:3], exec
                                        ; implicit-def: $vgpr77 : SGPR spill to VGPR lane
	v_writelane_b32 v77, s4, 0
	s_nop 1
	v_writelane_b32 v77, s5, 1
	s_and_b64 s[4:5], s[2:3], s[4:5]
	s_mov_b64 exec, s[4:5]
	s_cbranch_execz .LBB489_2
; %bb.1:
	global_load_ushort v2, v14, s[48:49]
.LBB489_2:
	s_or_b64 exec, exec, s[2:3]
	v_or_b32_e32 v3, 0x100, v0
	v_cmp_gt_u32_e64 s[4:5], s50, v3
	v_mov_b32_e32 v3, v1
	s_mov_b64 s[2:3], exec
	v_writelane_b32 v77, s4, 2
	s_nop 1
	v_writelane_b32 v77, s5, 3
	s_and_b64 s[4:5], s[2:3], s[4:5]
	s_mov_b64 exec, s[4:5]
	s_cbranch_execz .LBB489_4
; %bb.3:
	global_load_ushort v3, v14, s[48:49] offset:512
.LBB489_4:
	s_or_b64 exec, exec, s[2:3]
	v_or_b32_e32 v4, 0x200, v0
	v_cmp_gt_u32_e64 s[2:3], s50, v4
	v_mov_b32_e32 v4, v1
	s_nop 0
	v_writelane_b32 v77, s2, 4
	s_nop 1
	v_writelane_b32 v77, s3, 5
	s_and_saveexec_b64 s[4:5], s[2:3]
	s_cbranch_execz .LBB489_6
; %bb.5:
	global_load_ushort v4, v14, s[48:49] offset:1024
.LBB489_6:
	s_or_b64 exec, exec, s[4:5]
	v_or_b32_e32 v5, 0x300, v0
	v_cmp_gt_u32_e64 s[4:5], s50, v5
	v_mov_b32_e32 v5, v1
	s_and_saveexec_b64 s[6:7], s[4:5]
	s_cbranch_execz .LBB489_8
; %bb.7:
	global_load_ushort v5, v14, s[48:49] offset:1536
.LBB489_8:
	s_or_b64 exec, exec, s[6:7]
	v_or_b32_e32 v6, 0x400, v0
	v_cmp_gt_u32_e64 s[6:7], s50, v6
	v_mov_b32_e32 v6, v1
	;; [unrolled: 9-line block ×6, first 2 shown]
	s_and_saveexec_b64 s[16:17], s[14:15]
	s_cbranch_execz .LBB489_18
; %bb.17:
	v_lshlrev_b32_e32 v10, 1, v11
	global_load_ushort v10, v10, s[48:49]
.LBB489_18:
	s_or_b64 exec, exec, s[16:17]
	v_or_b32_e32 v12, 0x900, v0
	v_cmp_gt_u32_e64 s[16:17], s50, v12
	v_mov_b32_e32 v11, v1
	s_and_saveexec_b64 s[18:19], s[16:17]
	s_cbranch_execz .LBB489_20
; %bb.19:
	v_lshlrev_b32_e32 v11, 1, v12
	global_load_ushort v11, v11, s[48:49]
.LBB489_20:
	s_or_b64 exec, exec, s[18:19]
	v_or_b32_e32 v13, 0xa00, v0
	v_cmp_gt_u32_e64 s[18:19], s50, v13
	v_mov_b32_e32 v12, v1
	;; [unrolled: 10-line block ×14, first 2 shown]
	s_and_saveexec_b64 s[46:47], s[44:45]
	s_cbranch_execz .LBB489_46
; %bb.45:
	v_lshlrev_b32_e32 v25, 1, v26
	global_load_ushort v25, v25, s[48:49]
.LBB489_46:
	s_or_b64 exec, exec, s[46:47]
	v_or_b32_e32 v26, 0x1700, v0
	v_cmp_gt_u32_e64 s[46:47], s50, v26
	s_and_saveexec_b64 s[50:51], s[46:47]
	s_cbranch_execz .LBB489_48
; %bb.47:
	v_lshlrev_b32_e32 v1, 1, v26
	global_load_ushort v1, v1, s[48:49]
.LBB489_48:
	s_or_b64 exec, exec, s[50:51]
	s_waitcnt vmcnt(0)
	ds_write_b16 v14, v2
	ds_write_b16 v14, v3 offset:512
	ds_write_b16 v14, v4 offset:1024
	;; [unrolled: 1-line block ×23, first 2 shown]
	v_mad_u32_u24 v1, v0, 46, v14
	s_waitcnt lgkmcnt(0)
	s_barrier
	ds_read_b128 v[2:5], v1
	ds_read_b128 v[10:13], v1 offset:16
	ds_read_b128 v[6:9], v1 offset:32
	s_movk_i32 s33, 0x1f8
	s_waitcnt lgkmcnt(0)
	v_lshlrev_b32_e32 v49, 16, v2
	v_and_b32_e32 v1, 0xffff0000, v2
	v_max_f32_e32 v24, v1, v1
	v_max_f32_e32 v51, v49, v49
	v_min_f32_e32 v50, v51, v24
	v_cmp_u_f32_e64 s[94:95], v49, v49
	v_cmp_u_f32_e64 s[48:49], v1, v1
	v_max_f32_e32 v52, v51, v24
	v_cndmask_b32_e64 v15, v50, v49, s[94:95]
	v_cndmask_b32_e64 v16, v15, v1, s[48:49]
	;; [unrolled: 1-line block ×4, first 2 shown]
	v_cmp_neq_f32_e64 s[50:51], v16, v15
	v_cmp_class_f32_e64 s[52:53], v16, s33
	s_or_b64 s[50:51], s[50:51], s[52:53]
	v_mov_b32_e32 v17, v49
	s_barrier
	s_and_saveexec_b64 s[52:53], s[50:51]
	s_cbranch_execz .LBB489_50
; %bb.49:
	v_sub_f32_e32 v16, v16, v15
	s_mov_b32 s2, 0x3fb8aa3b
	v_mul_f32_e32 v17, 0x3fb8aa3b, v16
	v_fma_f32 v18, v16, s2, -v17
	v_rndne_f32_e32 v19, v17
	v_fmamk_f32 v18, v16, 0x32a5705f, v18
	v_sub_f32_e32 v17, v17, v19
	v_add_f32_e32 v17, v17, v18
	v_exp_f32_e32 v17, v17
	v_cvt_i32_f32_e32 v18, v19
	s_mov_b32 s2, 0xc2ce8ed0
	v_cmp_ngt_f32_e64 s[50:51], s2, v16
	s_mov_b32 s2, 0x42b17218
	v_ldexp_f32 v17, v17, v18
	v_cndmask_b32_e64 v17, 0, v17, s[50:51]
	v_mov_b32_e32 v18, 0x7f800000
	v_cmp_nlt_f32_e64 s[50:51], s2, v16
	s_mov_b32 s2, 0x3f2aaaab
	s_mov_b32 s3, 0x7f800000
	v_cndmask_b32_e64 v25, v18, v17, s[50:51]
	v_add_f32_e32 v18, 1.0, v25
	v_add_f32_e32 v16, -1.0, v18
	v_sub_f32_e32 v17, v16, v18
	v_add_f32_e32 v17, 1.0, v17
	v_sub_f32_e32 v16, v25, v16
	v_add_f32_e32 v19, v16, v17
	v_frexp_mant_f32_e32 v20, v18
	v_cvt_f64_f32_e32 v[16:17], v18
	v_frexp_exp_i32_f64_e32 v16, v[16:17]
	v_cmp_gt_f32_e64 s[50:51], s2, v20
	s_mov_b32 s2, 0x3f317218
	s_nop 0
	v_subbrev_co_u32_e64 v26, s[50:51], 0, v16, s[50:51]
	v_sub_u32_e32 v16, 0, v26
	v_ldexp_f32 v17, v18, v16
	v_add_f32_e32 v18, -1.0, v17
	v_add_f32_e32 v20, 1.0, v17
	v_ldexp_f32 v16, v19, v16
	v_add_f32_e32 v19, 1.0, v18
	v_add_f32_e32 v21, -1.0, v20
	v_sub_f32_e32 v19, v17, v19
	v_sub_f32_e32 v17, v17, v21
	v_add_f32_e32 v19, v16, v19
	v_add_f32_e32 v16, v16, v17
	;; [unrolled: 1-line block ×3, first 2 shown]
	v_rcp_f32_e32 v29, v27
	v_sub_f32_e32 v17, v20, v27
	v_add_f32_e32 v28, v16, v17
	v_add_f32_e32 v17, v18, v19
	v_mul_f32_e32 v31, v17, v29
	v_sub_f32_e32 v16, v18, v17
	v_mul_f32_e32 v18, v27, v31
	v_fma_f32 v20, v31, v27, -v18
	v_fmac_f32_e32 v20, v31, v28
	v_add_f32_e32 v30, v19, v16
	v_add_f32_e32 v16, v18, v20
	v_sub_f32_e32 v19, v17, v16
	v_pk_add_f32 v[22:23], v[16:17], v[18:19] neg_lo:[0,1] neg_hi:[0,1]
	v_mov_b32_e32 v21, v16
	v_pk_add_f32 v[16:17], v[22:23], v[20:21] neg_lo:[0,1] neg_hi:[0,1]
	v_cmp_eq_f32_e64 s[50:51], s3, v25
	v_add_f32_e32 v17, v30, v17
	v_add_f32_e32 v16, v16, v17
	;; [unrolled: 1-line block ×3, first 2 shown]
	v_mul_f32_e32 v30, v29, v17
	v_mul_f32_e32 v18, v27, v30
	v_fma_f32 v20, v30, v27, -v18
	v_fmac_f32_e32 v20, v30, v28
	v_sub_f32_e32 v19, v19, v17
	v_add_f32_e32 v27, v16, v19
	v_add_f32_e32 v16, v18, v20
	v_sub_f32_e32 v19, v17, v16
	v_pk_add_f32 v[22:23], v[16:17], v[18:19] neg_lo:[0,1] neg_hi:[0,1]
	v_mov_b32_e32 v21, v16
	v_pk_add_f32 v[16:17], v[22:23], v[20:21] neg_lo:[0,1] neg_hi:[0,1]
	v_cvt_f32_i32_e32 v18, v26
	v_add_f32_e32 v17, v27, v17
	v_add_f32_e32 v16, v16, v17
	;; [unrolled: 1-line block ×4, first 2 shown]
	v_sub_f32_e32 v17, v19, v31
	v_mul_f32_e32 v16, v29, v16
	v_sub_f32_e32 v17, v30, v17
	v_add_f32_e32 v16, v17, v16
	v_add_f32_e32 v20, v19, v16
	v_mul_f32_e32 v22, v20, v20
	v_mov_b32_e32 v17, 0x3ecc95a3
	v_sub_f32_e32 v19, v20, v19
	v_fmac_f32_e32 v17, 0x3e9b6dac, v22
	v_sub_f32_e32 v16, v16, v19
	v_fmaak_f32 v17, v22, v17, 0x3f2aaada
	v_ldexp_f32 v23, v16, 1
	v_mul_f32_e32 v19, v20, v22
	v_mov_b32_e32 v16, 0x3f317218
	v_pk_mul_f32 v[16:17], v[18:19], v[16:17]
	v_ldexp_f32 v21, v20, 1
	v_fma_f32 v19, v18, s2, -v16
	v_fmamk_f32 v20, v18, 0xb102e308, v19
	v_pk_add_f32 v[18:19], v[16:17], v[20:21]
	v_mov_b32_e32 v22, v16
	v_sub_f32_e32 v21, v19, v21
	v_sub_f32_e32 v21, v17, v21
	v_add_f32_e32 v23, v23, v21
	v_pk_add_f32 v[16:17], v[18:19], v[16:17] neg_lo:[0,1] neg_hi:[0,1]
	v_pk_add_f32 v[26:27], v[18:19], v[22:23]
	v_mov_b32_e32 v21, v18
	v_mov_b32_e32 v17, v27
	v_pk_add_f32 v[28:29], v[20:21], v[16:17] neg_lo:[0,1] neg_hi:[0,1]
	v_pk_add_f32 v[16:17], v[20:21], v[16:17]
	v_mov_b32_e32 v22, v23
	v_mov_b32_e32 v20, v17
	v_pk_add_f32 v[30:31], v[20:21], v[18:19] neg_lo:[0,1] neg_hi:[0,1]
	v_mov_b32_e32 v16, v27
	v_mov_b32_e32 v21, v30
	v_pk_add_f32 v[32:33], v[26:27], v[20:21] neg_lo:[0,1] neg_hi:[0,1]
	v_mov_b32_e32 v26, v19
	v_mov_b32_e32 v27, v30
	;; [unrolled: 1-line block ×3, first 2 shown]
	v_pk_add_f32 v[16:17], v[16:17], v[26:27] neg_lo:[0,1] neg_hi:[0,1]
	v_mov_b32_e32 v23, v18
	v_pk_add_f32 v[16:17], v[22:23], v[16:17] neg_lo:[0,1] neg_hi:[0,1]
	v_mov_b32_e32 v32, v28
	v_pk_add_f32 v[18:19], v[32:33], v[16:17]
	s_mov_b32 s2, 0x33800000
	v_mov_b32_e32 v22, v19
	v_pk_add_f32 v[22:23], v[18:19], v[22:23]
	v_cmp_lt_f32_e64 s[54:55], |v25|, s2
	v_pk_add_f32 v[20:21], v[20:21], v[22:23]
	v_mov_b32_e32 v17, v22
	v_mov_b32_e32 v19, v20
	v_pk_add_f32 v[26:27], v[18:19], v[28:29] neg_lo:[0,1] neg_hi:[0,1]
	s_or_b64 s[50:51], s[50:51], s[54:55]
	v_sub_f32_e32 v18, v18, v26
	v_pk_add_f32 v[16:17], v[16:17], v[26:27] neg_lo:[0,1] neg_hi:[0,1]
	v_sub_f32_e32 v18, v28, v18
	v_add_f32_e32 v16, v16, v18
	v_add_f32_e32 v16, v16, v17
	;; [unrolled: 1-line block ×3, first 2 shown]
	v_cndmask_b32_e64 v16, v16, v25, s[50:51]
	v_add_f32_e32 v17, v15, v16
.LBB489_50:
	s_or_b64 exec, exec, s[52:53]
	v_bfe_u32 v15, v17, 16, 1
	s_movk_i32 s56, 0x7fff
	v_add3_u32 v15, v17, v15, s56
	v_and_b32_e32 v15, 0xffff0000, v15
	v_mov_b32_e32 v16, 0x7fc00000
	v_cmp_o_f32_e64 s[50:51], v17, v17
	s_nop 1
	v_cndmask_b32_e64 v19, v16, v15, s[50:51]
	v_lshlrev_b32_e32 v15, 16, v3
	v_max_f32_e32 v18, v19, v19
	v_max_f32_e32 v17, v15, v15
	v_min_f32_e32 v20, v18, v17
	v_cmp_u_f32_e64 s[52:53], v19, v19
	v_max_f32_e32 v18, v18, v17
	v_cmp_u_f32_e64 s[50:51], v15, v15
	v_cndmask_b32_e64 v20, v20, v19, s[52:53]
	v_cndmask_b32_e64 v18, v18, v19, s[52:53]
	;; [unrolled: 1-line block ×4, first 2 shown]
	v_cmp_neq_f32_e64 s[52:53], v20, v18
	v_cmp_class_f32_e64 s[54:55], v20, s33
	s_or_b64 s[52:53], s[52:53], s[54:55]
	s_and_saveexec_b64 s[54:55], s[52:53]
	s_cbranch_execz .LBB489_52
; %bb.51:
	v_sub_f32_e32 v19, v20, v18
	s_mov_b32 s2, 0x3fb8aa3b
	v_mul_f32_e32 v20, 0x3fb8aa3b, v19
	v_fma_f32 v21, v19, s2, -v20
	v_rndne_f32_e32 v22, v20
	v_fmamk_f32 v21, v19, 0x32a5705f, v21
	v_sub_f32_e32 v20, v20, v22
	v_add_f32_e32 v20, v20, v21
	v_exp_f32_e32 v20, v20
	v_cvt_i32_f32_e32 v21, v22
	s_mov_b32 s2, 0xc2ce8ed0
	v_cmp_ngt_f32_e64 s[52:53], s2, v19
	s_mov_b32 s2, 0x42b17218
	v_ldexp_f32 v20, v20, v21
	v_cndmask_b32_e64 v20, 0, v20, s[52:53]
	v_mov_b32_e32 v21, 0x7f800000
	v_cmp_nlt_f32_e64 s[52:53], s2, v19
	s_mov_b32 s2, 0x3f2aaaab
	s_mov_b32 s3, 0x7f800000
	v_cndmask_b32_e64 v25, v21, v20, s[52:53]
	v_add_f32_e32 v19, 1.0, v25
	v_add_f32_e32 v20, -1.0, v19
	v_sub_f32_e32 v21, v20, v19
	v_add_f32_e32 v21, 1.0, v21
	v_sub_f32_e32 v20, v25, v20
	v_add_f32_e32 v22, v20, v21
	v_frexp_mant_f32_e32 v23, v19
	v_cvt_f64_f32_e32 v[20:21], v19
	v_frexp_exp_i32_f64_e32 v20, v[20:21]
	v_cmp_gt_f32_e64 s[52:53], s2, v23
	s_mov_b32 s2, 0x3f317218
	s_nop 0
	v_subbrev_co_u32_e64 v30, s[52:53], 0, v20, s[52:53]
	v_sub_u32_e32 v20, 0, v30
	v_ldexp_f32 v19, v19, v20
	v_ldexp_f32 v20, v22, v20
	v_add_f32_e32 v22, -1.0, v19
	v_add_f32_e32 v21, 1.0, v22
	v_sub_f32_e32 v21, v19, v21
	v_add_f32_e32 v23, v20, v21
	v_add_f32_e32 v21, 1.0, v19
	v_add_f32_e32 v26, -1.0, v21
	v_sub_f32_e32 v19, v19, v26
	v_add_f32_e32 v19, v20, v19
	v_add_f32_e32 v31, v21, v19
	v_rcp_f32_e32 v32, v31
	v_sub_f32_e32 v20, v21, v31
	v_add_f32_e32 v21, v22, v23
	v_add_f32_e32 v19, v19, v20
	v_mul_f32_e32 v34, v21, v32
	v_sub_f32_e32 v20, v22, v21
	v_mul_f32_e32 v22, v31, v34
	v_fma_f32 v26, v34, v31, -v22
	v_fmac_f32_e32 v26, v34, v19
	v_add_f32_e32 v33, v23, v20
	v_add_f32_e32 v20, v22, v26
	v_sub_f32_e32 v23, v21, v20
	v_pk_add_f32 v[28:29], v[20:21], v[22:23] neg_lo:[0,1] neg_hi:[0,1]
	v_mov_b32_e32 v27, v20
	v_pk_add_f32 v[20:21], v[28:29], v[26:27] neg_lo:[0,1] neg_hi:[0,1]
	v_cmp_eq_f32_e64 s[52:53], s3, v25
	v_add_f32_e32 v21, v33, v21
	v_add_f32_e32 v20, v20, v21
	;; [unrolled: 1-line block ×3, first 2 shown]
	v_mul_f32_e32 v33, v32, v21
	v_mul_f32_e32 v22, v31, v33
	v_fma_f32 v26, v33, v31, -v22
	v_fmac_f32_e32 v26, v33, v19
	v_sub_f32_e32 v19, v23, v21
	v_add_f32_e32 v19, v20, v19
	v_add_f32_e32 v20, v22, v26
	v_sub_f32_e32 v23, v21, v20
	v_pk_add_f32 v[28:29], v[20:21], v[22:23] neg_lo:[0,1] neg_hi:[0,1]
	v_mov_b32_e32 v27, v20
	v_pk_add_f32 v[20:21], v[28:29], v[26:27] neg_lo:[0,1] neg_hi:[0,1]
	v_cvt_f32_i32_e32 v22, v30
	v_add_f32_e32 v19, v19, v21
	v_add_f32_e32 v19, v20, v19
	;; [unrolled: 1-line block ×4, first 2 shown]
	v_sub_f32_e32 v21, v20, v34
	v_mul_f32_e32 v19, v32, v19
	v_sub_f32_e32 v21, v33, v21
	v_add_f32_e32 v19, v21, v19
	v_add_f32_e32 v23, v20, v19
	v_mul_f32_e32 v26, v23, v23
	v_mov_b32_e32 v21, 0x3ecc95a3
	v_fmac_f32_e32 v21, 0x3e9b6dac, v26
	v_sub_f32_e32 v20, v23, v20
	v_fmaak_f32 v21, v26, v21, 0x3f2aaada
	v_sub_f32_e32 v19, v19, v20
	v_ldexp_f32 v27, v23, 1
	v_mul_f32_e32 v23, v23, v26
	v_mov_b32_e32 v20, 0x3f317218
	v_pk_mul_f32 v[20:21], v[22:23], v[20:21]
	v_ldexp_f32 v19, v19, 1
	v_fma_f32 v23, v22, s2, -v20
	v_fmamk_f32 v26, v22, 0xb102e308, v23
	v_pk_add_f32 v[22:23], v[20:21], v[26:27]
	v_mov_b32_e32 v28, v20
	v_sub_f32_e32 v27, v23, v27
	v_sub_f32_e32 v27, v21, v27
	v_add_f32_e32 v29, v19, v27
	v_pk_add_f32 v[20:21], v[22:23], v[20:21] neg_lo:[0,1] neg_hi:[0,1]
	v_pk_add_f32 v[30:31], v[22:23], v[28:29]
	v_mov_b32_e32 v27, v22
	v_mov_b32_e32 v21, v31
	v_pk_add_f32 v[32:33], v[26:27], v[20:21] neg_lo:[0,1] neg_hi:[0,1]
	v_pk_add_f32 v[20:21], v[26:27], v[20:21]
	v_mov_b32_e32 v28, v29
	v_mov_b32_e32 v26, v21
	v_pk_add_f32 v[34:35], v[26:27], v[22:23] neg_lo:[0,1] neg_hi:[0,1]
	v_mov_b32_e32 v20, v31
	v_mov_b32_e32 v19, v34
	v_pk_add_f32 v[36:37], v[30:31], v[18:19] neg_lo:[0,1] neg_hi:[0,1]
	v_mov_b32_e32 v30, v23
	v_mov_b32_e32 v31, v34
	;; [unrolled: 1-line block ×3, first 2 shown]
	v_pk_add_f32 v[20:21], v[20:21], v[30:31] neg_lo:[0,1] neg_hi:[0,1]
	v_mov_b32_e32 v29, v22
	v_pk_add_f32 v[20:21], v[28:29], v[20:21] neg_lo:[0,1] neg_hi:[0,1]
	v_mov_b32_e32 v36, v32
	v_pk_add_f32 v[22:23], v[36:37], v[20:21]
	s_mov_b32 s2, 0x33800000
	v_mov_b32_e32 v28, v23
	v_pk_add_f32 v[28:29], v[22:23], v[28:29]
	v_cmp_lt_f32_e64 s[58:59], |v25|, s2
	v_pk_add_f32 v[26:27], v[26:27], v[28:29]
	v_mov_b32_e32 v21, v28
	v_mov_b32_e32 v23, v26
	v_pk_add_f32 v[30:31], v[22:23], v[32:33] neg_lo:[0,1] neg_hi:[0,1]
	s_or_b64 s[52:53], s[52:53], s[58:59]
	v_sub_f32_e32 v19, v22, v30
	v_pk_add_f32 v[20:21], v[20:21], v[30:31] neg_lo:[0,1] neg_hi:[0,1]
	v_sub_f32_e32 v19, v32, v19
	v_add_f32_e32 v19, v20, v19
	v_add_f32_e32 v19, v19, v21
	;; [unrolled: 1-line block ×3, first 2 shown]
	v_cndmask_b32_e64 v19, v19, v25, s[52:53]
	v_add_f32_e32 v19, v18, v19
.LBB489_52:
	s_or_b64 exec, exec, s[54:55]
	v_bfe_u32 v18, v19, 16, 1
	v_add3_u32 v18, v19, v18, s56
	v_and_b32_e32 v18, 0xffff0000, v18
	v_cmp_o_f32_e64 s[52:53], v19, v19
	v_and_b32_e32 v3, 0xffff0000, v3
	s_nop 0
	v_cndmask_b32_e64 v20, v16, v18, s[52:53]
	v_max_f32_e32 v16, v20, v20
	v_max_f32_e32 v18, v3, v3
	v_min_f32_e32 v19, v16, v18
	v_cmp_u_f32_e64 s[54:55], v20, v20
	v_max_f32_e32 v16, v16, v18
	v_cmp_u_f32_e64 s[52:53], v3, v3
	v_cndmask_b32_e64 v19, v19, v20, s[54:55]
	v_cndmask_b32_e64 v16, v16, v20, s[54:55]
	;; [unrolled: 1-line block ×4, first 2 shown]
	v_cmp_neq_f32_e64 s[54:55], v19, v16
	v_cmp_class_f32_e64 s[56:57], v19, s33
	s_or_b64 s[54:55], s[54:55], s[56:57]
	s_and_saveexec_b64 s[56:57], s[54:55]
	s_cbranch_execz .LBB489_54
; %bb.53:
	v_sub_f32_e32 v19, v19, v16
	s_mov_b32 s2, 0x3fb8aa3b
	v_mul_f32_e32 v20, 0x3fb8aa3b, v19
	v_fma_f32 v21, v19, s2, -v20
	v_rndne_f32_e32 v22, v20
	v_fmamk_f32 v21, v19, 0x32a5705f, v21
	v_sub_f32_e32 v20, v20, v22
	v_add_f32_e32 v20, v20, v21
	v_exp_f32_e32 v20, v20
	v_cvt_i32_f32_e32 v21, v22
	s_mov_b32 s2, 0xc2ce8ed0
	v_cmp_ngt_f32_e64 s[54:55], s2, v19
	s_mov_b32 s2, 0x42b17218
	v_ldexp_f32 v20, v20, v21
	v_cndmask_b32_e64 v20, 0, v20, s[54:55]
	v_mov_b32_e32 v21, 0x7f800000
	v_cmp_nlt_f32_e64 s[54:55], s2, v19
	s_mov_b32 s2, 0x3f2aaaab
	s_mov_b32 s3, 0x7f800000
	v_cndmask_b32_e64 v25, v21, v20, s[54:55]
	v_add_f32_e32 v19, 1.0, v25
	v_add_f32_e32 v20, -1.0, v19
	v_sub_f32_e32 v21, v20, v19
	v_add_f32_e32 v21, 1.0, v21
	v_sub_f32_e32 v20, v25, v20
	v_add_f32_e32 v22, v20, v21
	v_frexp_mant_f32_e32 v23, v19
	v_cvt_f64_f32_e32 v[20:21], v19
	v_frexp_exp_i32_f64_e32 v20, v[20:21]
	v_cmp_gt_f32_e64 s[54:55], s2, v23
	s_mov_b32 s2, 0x3f317218
	s_nop 0
	v_subbrev_co_u32_e64 v30, s[54:55], 0, v20, s[54:55]
	v_sub_u32_e32 v20, 0, v30
	v_ldexp_f32 v19, v19, v20
	v_ldexp_f32 v20, v22, v20
	v_add_f32_e32 v22, -1.0, v19
	v_add_f32_e32 v21, 1.0, v22
	v_sub_f32_e32 v21, v19, v21
	v_add_f32_e32 v23, v20, v21
	v_add_f32_e32 v21, 1.0, v19
	v_add_f32_e32 v26, -1.0, v21
	v_sub_f32_e32 v19, v19, v26
	v_add_f32_e32 v19, v20, v19
	v_add_f32_e32 v31, v21, v19
	v_rcp_f32_e32 v32, v31
	v_sub_f32_e32 v20, v21, v31
	v_add_f32_e32 v21, v22, v23
	v_add_f32_e32 v19, v19, v20
	v_mul_f32_e32 v34, v21, v32
	v_sub_f32_e32 v20, v22, v21
	v_mul_f32_e32 v22, v31, v34
	v_fma_f32 v26, v34, v31, -v22
	v_fmac_f32_e32 v26, v34, v19
	v_add_f32_e32 v33, v23, v20
	v_add_f32_e32 v20, v22, v26
	v_sub_f32_e32 v23, v21, v20
	v_pk_add_f32 v[28:29], v[20:21], v[22:23] neg_lo:[0,1] neg_hi:[0,1]
	v_mov_b32_e32 v27, v20
	v_pk_add_f32 v[20:21], v[28:29], v[26:27] neg_lo:[0,1] neg_hi:[0,1]
	v_cmp_eq_f32_e64 s[54:55], s3, v25
	v_add_f32_e32 v21, v33, v21
	v_add_f32_e32 v20, v20, v21
	;; [unrolled: 1-line block ×3, first 2 shown]
	v_mul_f32_e32 v33, v32, v21
	v_mul_f32_e32 v22, v31, v33
	v_fma_f32 v26, v33, v31, -v22
	v_fmac_f32_e32 v26, v33, v19
	v_sub_f32_e32 v19, v23, v21
	v_add_f32_e32 v19, v20, v19
	v_add_f32_e32 v20, v22, v26
	v_sub_f32_e32 v23, v21, v20
	v_pk_add_f32 v[28:29], v[20:21], v[22:23] neg_lo:[0,1] neg_hi:[0,1]
	v_mov_b32_e32 v27, v20
	v_pk_add_f32 v[20:21], v[28:29], v[26:27] neg_lo:[0,1] neg_hi:[0,1]
	v_cvt_f32_i32_e32 v22, v30
	v_add_f32_e32 v19, v19, v21
	v_add_f32_e32 v19, v20, v19
	;; [unrolled: 1-line block ×4, first 2 shown]
	v_sub_f32_e32 v21, v20, v34
	v_mul_f32_e32 v19, v32, v19
	v_sub_f32_e32 v21, v33, v21
	v_add_f32_e32 v19, v21, v19
	v_add_f32_e32 v23, v20, v19
	v_mul_f32_e32 v26, v23, v23
	v_mov_b32_e32 v21, 0x3ecc95a3
	v_fmac_f32_e32 v21, 0x3e9b6dac, v26
	v_sub_f32_e32 v20, v23, v20
	v_fmaak_f32 v21, v26, v21, 0x3f2aaada
	v_sub_f32_e32 v19, v19, v20
	v_ldexp_f32 v27, v23, 1
	v_mul_f32_e32 v23, v23, v26
	v_mov_b32_e32 v20, 0x3f317218
	v_pk_mul_f32 v[20:21], v[22:23], v[20:21]
	v_ldexp_f32 v19, v19, 1
	v_fma_f32 v23, v22, s2, -v20
	v_fmamk_f32 v26, v22, 0xb102e308, v23
	v_pk_add_f32 v[22:23], v[20:21], v[26:27]
	v_mov_b32_e32 v28, v20
	v_sub_f32_e32 v27, v23, v27
	v_sub_f32_e32 v27, v21, v27
	v_add_f32_e32 v29, v19, v27
	v_pk_add_f32 v[20:21], v[22:23], v[20:21] neg_lo:[0,1] neg_hi:[0,1]
	v_pk_add_f32 v[30:31], v[22:23], v[28:29]
	v_mov_b32_e32 v27, v22
	v_mov_b32_e32 v21, v31
	v_pk_add_f32 v[32:33], v[26:27], v[20:21] neg_lo:[0,1] neg_hi:[0,1]
	v_pk_add_f32 v[20:21], v[26:27], v[20:21]
	v_mov_b32_e32 v28, v29
	v_mov_b32_e32 v26, v21
	v_pk_add_f32 v[34:35], v[26:27], v[22:23] neg_lo:[0,1] neg_hi:[0,1]
	v_mov_b32_e32 v20, v31
	v_mov_b32_e32 v19, v34
	v_pk_add_f32 v[36:37], v[30:31], v[18:19] neg_lo:[0,1] neg_hi:[0,1]
	v_mov_b32_e32 v30, v23
	v_mov_b32_e32 v31, v34
	;; [unrolled: 1-line block ×3, first 2 shown]
	v_pk_add_f32 v[20:21], v[20:21], v[30:31] neg_lo:[0,1] neg_hi:[0,1]
	v_mov_b32_e32 v29, v22
	v_pk_add_f32 v[20:21], v[28:29], v[20:21] neg_lo:[0,1] neg_hi:[0,1]
	v_mov_b32_e32 v36, v32
	v_pk_add_f32 v[22:23], v[36:37], v[20:21]
	s_mov_b32 s2, 0x33800000
	v_mov_b32_e32 v28, v23
	v_pk_add_f32 v[28:29], v[22:23], v[28:29]
	v_cmp_lt_f32_e64 s[58:59], |v25|, s2
	v_pk_add_f32 v[26:27], v[26:27], v[28:29]
	v_mov_b32_e32 v21, v28
	v_mov_b32_e32 v23, v26
	v_pk_add_f32 v[30:31], v[22:23], v[32:33] neg_lo:[0,1] neg_hi:[0,1]
	s_or_b64 s[54:55], s[54:55], s[58:59]
	v_sub_f32_e32 v19, v22, v30
	v_pk_add_f32 v[20:21], v[20:21], v[30:31] neg_lo:[0,1] neg_hi:[0,1]
	v_sub_f32_e32 v19, v32, v19
	v_add_f32_e32 v19, v20, v19
	v_add_f32_e32 v19, v19, v21
	;; [unrolled: 1-line block ×3, first 2 shown]
	v_cndmask_b32_e64 v19, v19, v25, s[54:55]
	v_add_f32_e32 v20, v16, v19
.LBB489_54:
	s_or_b64 exec, exec, s[56:57]
	v_bfe_u32 v16, v20, 16, 1
	s_movk_i32 s60, 0x7fff
	v_add3_u32 v16, v20, v16, s60
	v_and_b32_e32 v16, 0xffff0000, v16
	v_mov_b32_e32 v19, 0x7fc00000
	v_cmp_o_f32_e64 s[54:55], v20, v20
	s_nop 1
	v_cndmask_b32_e64 v22, v19, v16, s[54:55]
	v_lshlrev_b32_e32 v16, 16, v4
	v_max_f32_e32 v21, v22, v22
	v_max_f32_e32 v20, v16, v16
	v_min_f32_e32 v23, v21, v20
	v_cmp_u_f32_e64 s[56:57], v22, v22
	v_max_f32_e32 v21, v21, v20
	v_cmp_u_f32_e64 s[54:55], v16, v16
	v_cndmask_b32_e64 v23, v23, v22, s[56:57]
	v_cndmask_b32_e64 v21, v21, v22, s[56:57]
	;; [unrolled: 1-line block ×4, first 2 shown]
	v_cmp_neq_f32_e64 s[56:57], v23, v21
	v_cmp_class_f32_e64 s[58:59], v23, s33
	s_or_b64 s[56:57], s[56:57], s[58:59]
	s_and_saveexec_b64 s[58:59], s[56:57]
	s_cbranch_execz .LBB489_56
; %bb.55:
	v_sub_f32_e32 v22, v23, v21
	s_mov_b32 s2, 0x3fb8aa3b
	v_mul_f32_e32 v23, 0x3fb8aa3b, v22
	v_fma_f32 v25, v22, s2, -v23
	v_rndne_f32_e32 v26, v23
	v_fmamk_f32 v25, v22, 0x32a5705f, v25
	v_sub_f32_e32 v23, v23, v26
	v_add_f32_e32 v23, v23, v25
	v_exp_f32_e32 v23, v23
	v_cvt_i32_f32_e32 v25, v26
	s_mov_b32 s2, 0xc2ce8ed0
	v_cmp_ngt_f32_e64 s[56:57], s2, v22
	s_mov_b32 s2, 0x42b17218
	v_ldexp_f32 v23, v23, v25
	v_cndmask_b32_e64 v23, 0, v23, s[56:57]
	v_mov_b32_e32 v25, 0x7f800000
	v_cmp_nlt_f32_e64 s[56:57], s2, v22
	s_mov_b32 s2, 0x3f2aaaab
	s_mov_b32 s3, 0x7f800000
	v_cndmask_b32_e64 v40, v25, v23, s[56:57]
	v_add_f32_e32 v25, 1.0, v40
	v_add_f32_e32 v22, -1.0, v25
	v_sub_f32_e32 v23, v22, v25
	v_add_f32_e32 v23, 1.0, v23
	v_sub_f32_e32 v22, v40, v22
	v_add_f32_e32 v26, v22, v23
	v_frexp_mant_f32_e32 v27, v25
	v_cvt_f64_f32_e32 v[22:23], v25
	v_frexp_exp_i32_f64_e32 v22, v[22:23]
	v_cmp_gt_f32_e64 s[56:57], s2, v27
	s_mov_b32 s2, 0x3f317218
	s_nop 0
	v_subbrev_co_u32_e64 v32, s[56:57], 0, v22, s[56:57]
	v_sub_u32_e32 v22, 0, v32
	v_ldexp_f32 v23, v25, v22
	v_add_f32_e32 v25, -1.0, v23
	v_add_f32_e32 v27, 1.0, v23
	v_ldexp_f32 v22, v26, v22
	v_add_f32_e32 v26, 1.0, v25
	v_add_f32_e32 v28, -1.0, v27
	v_sub_f32_e32 v26, v23, v26
	v_sub_f32_e32 v23, v23, v28
	v_add_f32_e32 v26, v22, v26
	v_add_f32_e32 v22, v22, v23
	;; [unrolled: 1-line block ×3, first 2 shown]
	v_rcp_f32_e32 v35, v33
	v_sub_f32_e32 v23, v27, v33
	v_add_f32_e32 v34, v22, v23
	v_add_f32_e32 v23, v25, v26
	v_sub_f32_e32 v22, v25, v23
	v_mul_f32_e32 v36, v23, v35
	v_add_f32_e32 v25, v26, v22
	v_mul_f32_e32 v26, v33, v36
	v_fma_f32 v28, v36, v33, -v26
	v_fmac_f32_e32 v28, v36, v34
	v_add_f32_e32 v22, v26, v28
	v_sub_f32_e32 v27, v23, v22
	v_pk_add_f32 v[30:31], v[22:23], v[26:27] neg_lo:[0,1] neg_hi:[0,1]
	v_mov_b32_e32 v29, v22
	v_pk_add_f32 v[22:23], v[30:31], v[28:29] neg_lo:[0,1] neg_hi:[0,1]
	v_cmp_eq_f32_e64 s[56:57], s3, v40
	v_add_f32_e32 v23, v25, v23
	v_add_f32_e32 v22, v22, v23
	;; [unrolled: 1-line block ×3, first 2 shown]
	v_mul_f32_e32 v25, v35, v23
	v_mul_f32_e32 v26, v33, v25
	v_fma_f32 v28, v25, v33, -v26
	v_fmac_f32_e32 v28, v25, v34
	v_sub_f32_e32 v27, v27, v23
	v_add_f32_e32 v33, v22, v27
	v_add_f32_e32 v22, v26, v28
	v_sub_f32_e32 v27, v23, v22
	v_pk_add_f32 v[30:31], v[22:23], v[26:27] neg_lo:[0,1] neg_hi:[0,1]
	v_mov_b32_e32 v29, v22
	v_pk_add_f32 v[22:23], v[30:31], v[28:29] neg_lo:[0,1] neg_hi:[0,1]
	v_cvt_f32_i32_e32 v26, v32
	v_add_f32_e32 v23, v33, v23
	v_add_f32_e32 v22, v22, v23
	;; [unrolled: 1-line block ×4, first 2 shown]
	v_sub_f32_e32 v23, v27, v36
	v_mul_f32_e32 v22, v35, v22
	v_sub_f32_e32 v23, v25, v23
	v_add_f32_e32 v22, v23, v22
	v_add_f32_e32 v25, v27, v22
	v_mul_f32_e32 v28, v25, v25
	v_mov_b32_e32 v23, 0x3ecc95a3
	v_sub_f32_e32 v27, v25, v27
	v_fmac_f32_e32 v23, 0x3e9b6dac, v28
	v_sub_f32_e32 v22, v22, v27
	v_fmaak_f32 v23, v28, v23, 0x3f2aaada
	v_ldexp_f32 v30, v22, 1
	v_mul_f32_e32 v27, v25, v28
	v_mov_b32_e32 v22, 0x3f317218
	v_pk_mul_f32 v[22:23], v[26:27], v[22:23]
	v_ldexp_f32 v29, v25, 1
	v_fma_f32 v25, v26, s2, -v22
	v_fmamk_f32 v28, v26, 0xb102e308, v25
	v_pk_add_f32 v[26:27], v[22:23], v[28:29]
	s_mov_b32 s2, 0x33800000
	v_sub_f32_e32 v25, v27, v29
	v_sub_f32_e32 v25, v23, v25
	v_add_f32_e32 v31, v30, v25
	v_mov_b32_e32 v30, v22
	v_pk_add_f32 v[22:23], v[26:27], v[22:23] neg_lo:[0,1] neg_hi:[0,1]
	v_pk_add_f32 v[32:33], v[26:27], v[30:31]
	v_mov_b32_e32 v29, v26
	v_mov_b32_e32 v23, v33
	v_pk_add_f32 v[34:35], v[28:29], v[22:23] neg_lo:[0,1] neg_hi:[0,1]
	v_pk_add_f32 v[22:23], v[28:29], v[22:23]
	v_mov_b32_e32 v30, v31
	v_mov_b32_e32 v28, v23
	v_pk_add_f32 v[36:37], v[28:29], v[26:27] neg_lo:[0,1] neg_hi:[0,1]
	v_mov_b32_e32 v22, v33
	v_mov_b32_e32 v25, v36
	v_pk_add_f32 v[38:39], v[32:33], v[24:25] neg_lo:[0,1] neg_hi:[0,1]
	v_mov_b32_e32 v32, v27
	v_mov_b32_e32 v33, v36
	;; [unrolled: 1-line block ×3, first 2 shown]
	v_pk_add_f32 v[22:23], v[22:23], v[32:33] neg_lo:[0,1] neg_hi:[0,1]
	v_mov_b32_e32 v31, v26
	v_pk_add_f32 v[22:23], v[30:31], v[22:23] neg_lo:[0,1] neg_hi:[0,1]
	v_mov_b32_e32 v38, v34
	v_pk_add_f32 v[26:27], v[38:39], v[22:23]
	v_cmp_lt_f32_e64 s[62:63], |v40|, s2
	v_mov_b32_e32 v30, v27
	v_pk_add_f32 v[30:31], v[26:27], v[30:31]
	s_or_b64 s[56:57], s[56:57], s[62:63]
	v_pk_add_f32 v[28:29], v[28:29], v[30:31]
	v_mov_b32_e32 v23, v30
	v_mov_b32_e32 v27, v28
	v_pk_add_f32 v[32:33], v[26:27], v[34:35] neg_lo:[0,1] neg_hi:[0,1]
	s_nop 0
	v_sub_f32_e32 v25, v26, v32
	v_pk_add_f32 v[22:23], v[22:23], v[32:33] neg_lo:[0,1] neg_hi:[0,1]
	v_sub_f32_e32 v25, v34, v25
	v_add_f32_e32 v22, v22, v25
	v_add_f32_e32 v22, v22, v23
	;; [unrolled: 1-line block ×3, first 2 shown]
	v_cndmask_b32_e64 v22, v22, v40, s[56:57]
	v_add_f32_e32 v22, v21, v22
.LBB489_56:
	s_or_b64 exec, exec, s[58:59]
	v_bfe_u32 v21, v22, 16, 1
	v_add3_u32 v21, v22, v21, s60
	v_and_b32_e32 v21, 0xffff0000, v21
	v_cmp_o_f32_e64 s[56:57], v22, v22
	v_and_b32_e32 v4, 0xffff0000, v4
	s_nop 0
	v_cndmask_b32_e64 v23, v19, v21, s[56:57]
	v_max_f32_e32 v19, v23, v23
	v_max_f32_e32 v21, v4, v4
	v_min_f32_e32 v22, v19, v21
	v_cmp_u_f32_e64 s[58:59], v23, v23
	v_max_f32_e32 v19, v19, v21
	v_cmp_u_f32_e64 s[56:57], v4, v4
	v_cndmask_b32_e64 v22, v22, v23, s[58:59]
	v_cndmask_b32_e64 v19, v19, v23, s[58:59]
	;; [unrolled: 1-line block ×4, first 2 shown]
	v_cmp_neq_f32_e64 s[58:59], v22, v19
	v_cmp_class_f32_e64 s[60:61], v22, s33
	s_or_b64 s[58:59], s[58:59], s[60:61]
	s_and_saveexec_b64 s[60:61], s[58:59]
	s_cbranch_execz .LBB489_58
; %bb.57:
	v_sub_f32_e32 v22, v22, v19
	s_mov_b32 s2, 0x3fb8aa3b
	v_mul_f32_e32 v23, 0x3fb8aa3b, v22
	v_fma_f32 v25, v22, s2, -v23
	v_rndne_f32_e32 v26, v23
	v_fmamk_f32 v25, v22, 0x32a5705f, v25
	v_sub_f32_e32 v23, v23, v26
	v_add_f32_e32 v23, v23, v25
	v_exp_f32_e32 v23, v23
	v_cvt_i32_f32_e32 v25, v26
	s_mov_b32 s2, 0xc2ce8ed0
	v_cmp_ngt_f32_e64 s[58:59], s2, v22
	s_mov_b32 s2, 0x42b17218
	v_ldexp_f32 v23, v23, v25
	v_cndmask_b32_e64 v23, 0, v23, s[58:59]
	v_mov_b32_e32 v25, 0x7f800000
	v_cmp_nlt_f32_e64 s[58:59], s2, v22
	s_mov_b32 s2, 0x3f2aaaab
	s_mov_b32 s3, 0x7f800000
	v_cndmask_b32_e64 v40, v25, v23, s[58:59]
	v_add_f32_e32 v25, 1.0, v40
	v_add_f32_e32 v22, -1.0, v25
	v_sub_f32_e32 v23, v22, v25
	v_add_f32_e32 v23, 1.0, v23
	v_sub_f32_e32 v22, v40, v22
	v_add_f32_e32 v26, v22, v23
	v_frexp_mant_f32_e32 v27, v25
	v_cvt_f64_f32_e32 v[22:23], v25
	v_frexp_exp_i32_f64_e32 v22, v[22:23]
	v_cmp_gt_f32_e64 s[58:59], s2, v27
	s_mov_b32 s2, 0x3f317218
	s_nop 0
	v_subbrev_co_u32_e64 v32, s[58:59], 0, v22, s[58:59]
	v_sub_u32_e32 v22, 0, v32
	v_ldexp_f32 v23, v25, v22
	v_add_f32_e32 v25, -1.0, v23
	v_add_f32_e32 v27, 1.0, v23
	v_ldexp_f32 v22, v26, v22
	v_add_f32_e32 v26, 1.0, v25
	v_add_f32_e32 v28, -1.0, v27
	v_sub_f32_e32 v26, v23, v26
	v_sub_f32_e32 v23, v23, v28
	v_add_f32_e32 v26, v22, v26
	v_add_f32_e32 v22, v22, v23
	;; [unrolled: 1-line block ×3, first 2 shown]
	v_rcp_f32_e32 v35, v33
	v_sub_f32_e32 v23, v27, v33
	v_add_f32_e32 v34, v22, v23
	v_add_f32_e32 v23, v25, v26
	v_sub_f32_e32 v22, v25, v23
	v_mul_f32_e32 v36, v23, v35
	v_add_f32_e32 v25, v26, v22
	v_mul_f32_e32 v26, v33, v36
	v_fma_f32 v28, v36, v33, -v26
	v_fmac_f32_e32 v28, v36, v34
	v_add_f32_e32 v22, v26, v28
	v_sub_f32_e32 v27, v23, v22
	v_pk_add_f32 v[30:31], v[22:23], v[26:27] neg_lo:[0,1] neg_hi:[0,1]
	v_mov_b32_e32 v29, v22
	v_pk_add_f32 v[22:23], v[30:31], v[28:29] neg_lo:[0,1] neg_hi:[0,1]
	v_cmp_eq_f32_e64 s[58:59], s3, v40
	v_add_f32_e32 v23, v25, v23
	v_add_f32_e32 v22, v22, v23
	;; [unrolled: 1-line block ×3, first 2 shown]
	v_mul_f32_e32 v25, v35, v23
	v_mul_f32_e32 v26, v33, v25
	v_fma_f32 v28, v25, v33, -v26
	v_fmac_f32_e32 v28, v25, v34
	v_sub_f32_e32 v27, v27, v23
	v_add_f32_e32 v33, v22, v27
	v_add_f32_e32 v22, v26, v28
	v_sub_f32_e32 v27, v23, v22
	v_pk_add_f32 v[30:31], v[22:23], v[26:27] neg_lo:[0,1] neg_hi:[0,1]
	v_mov_b32_e32 v29, v22
	v_pk_add_f32 v[22:23], v[30:31], v[28:29] neg_lo:[0,1] neg_hi:[0,1]
	v_cvt_f32_i32_e32 v26, v32
	v_add_f32_e32 v23, v33, v23
	v_add_f32_e32 v22, v22, v23
	;; [unrolled: 1-line block ×4, first 2 shown]
	v_sub_f32_e32 v23, v27, v36
	v_mul_f32_e32 v22, v35, v22
	v_sub_f32_e32 v23, v25, v23
	v_add_f32_e32 v22, v23, v22
	v_add_f32_e32 v25, v27, v22
	v_mul_f32_e32 v28, v25, v25
	v_mov_b32_e32 v23, 0x3ecc95a3
	v_sub_f32_e32 v27, v25, v27
	v_fmac_f32_e32 v23, 0x3e9b6dac, v28
	v_sub_f32_e32 v22, v22, v27
	v_fmaak_f32 v23, v28, v23, 0x3f2aaada
	v_ldexp_f32 v30, v22, 1
	v_mul_f32_e32 v27, v25, v28
	v_mov_b32_e32 v22, 0x3f317218
	v_pk_mul_f32 v[22:23], v[26:27], v[22:23]
	v_ldexp_f32 v29, v25, 1
	v_fma_f32 v25, v26, s2, -v22
	v_fmamk_f32 v28, v26, 0xb102e308, v25
	v_pk_add_f32 v[26:27], v[22:23], v[28:29]
	s_mov_b32 s2, 0x33800000
	v_sub_f32_e32 v25, v27, v29
	v_sub_f32_e32 v25, v23, v25
	v_add_f32_e32 v31, v30, v25
	v_mov_b32_e32 v30, v22
	v_pk_add_f32 v[22:23], v[26:27], v[22:23] neg_lo:[0,1] neg_hi:[0,1]
	v_pk_add_f32 v[32:33], v[26:27], v[30:31]
	v_mov_b32_e32 v29, v26
	v_mov_b32_e32 v23, v33
	v_pk_add_f32 v[34:35], v[28:29], v[22:23] neg_lo:[0,1] neg_hi:[0,1]
	v_pk_add_f32 v[22:23], v[28:29], v[22:23]
	v_mov_b32_e32 v30, v31
	v_mov_b32_e32 v28, v23
	v_pk_add_f32 v[36:37], v[28:29], v[26:27] neg_lo:[0,1] neg_hi:[0,1]
	v_mov_b32_e32 v22, v33
	v_mov_b32_e32 v25, v36
	v_pk_add_f32 v[38:39], v[32:33], v[24:25] neg_lo:[0,1] neg_hi:[0,1]
	v_mov_b32_e32 v32, v27
	v_mov_b32_e32 v33, v36
	;; [unrolled: 1-line block ×3, first 2 shown]
	v_pk_add_f32 v[22:23], v[22:23], v[32:33] neg_lo:[0,1] neg_hi:[0,1]
	v_mov_b32_e32 v31, v26
	v_pk_add_f32 v[22:23], v[30:31], v[22:23] neg_lo:[0,1] neg_hi:[0,1]
	v_mov_b32_e32 v38, v34
	v_pk_add_f32 v[26:27], v[38:39], v[22:23]
	v_cmp_lt_f32_e64 s[62:63], |v40|, s2
	v_mov_b32_e32 v30, v27
	v_pk_add_f32 v[30:31], v[26:27], v[30:31]
	s_or_b64 s[58:59], s[58:59], s[62:63]
	v_pk_add_f32 v[28:29], v[28:29], v[30:31]
	v_mov_b32_e32 v23, v30
	v_mov_b32_e32 v27, v28
	v_pk_add_f32 v[32:33], v[26:27], v[34:35] neg_lo:[0,1] neg_hi:[0,1]
	s_nop 0
	v_sub_f32_e32 v25, v26, v32
	v_pk_add_f32 v[22:23], v[22:23], v[32:33] neg_lo:[0,1] neg_hi:[0,1]
	v_sub_f32_e32 v25, v34, v25
	v_add_f32_e32 v22, v22, v25
	v_add_f32_e32 v22, v22, v23
	;; [unrolled: 1-line block ×3, first 2 shown]
	v_cndmask_b32_e64 v22, v22, v40, s[58:59]
	v_add_f32_e32 v23, v19, v22
.LBB489_58:
	s_or_b64 exec, exec, s[60:61]
	v_bfe_u32 v19, v23, 16, 1
	s_movk_i32 s64, 0x7fff
	v_add3_u32 v19, v23, v19, s64
	v_and_b32_e32 v19, 0xffff0000, v19
	v_mov_b32_e32 v22, 0x7fc00000
	v_cmp_o_f32_e64 s[58:59], v23, v23
	s_nop 1
	v_cndmask_b32_e64 v26, v22, v19, s[58:59]
	v_lshlrev_b32_e32 v19, 16, v5
	v_max_f32_e32 v25, v26, v26
	v_max_f32_e32 v23, v19, v19
	v_min_f32_e32 v27, v25, v23
	v_cmp_u_f32_e64 s[60:61], v26, v26
	v_max_f32_e32 v25, v25, v23
	v_cmp_u_f32_e64 s[58:59], v19, v19
	v_cndmask_b32_e64 v27, v27, v26, s[60:61]
	v_cndmask_b32_e64 v25, v25, v26, s[60:61]
	;; [unrolled: 1-line block ×4, first 2 shown]
	v_cmp_neq_f32_e64 s[60:61], v27, v25
	v_cmp_class_f32_e64 s[62:63], v27, s33
	s_or_b64 s[60:61], s[60:61], s[62:63]
	s_and_saveexec_b64 s[62:63], s[60:61]
	s_cbranch_execz .LBB489_60
; %bb.59:
	v_sub_f32_e32 v26, v27, v25
	s_mov_b32 s2, 0x3fb8aa3b
	v_mul_f32_e32 v27, 0x3fb8aa3b, v26
	v_fma_f32 v28, v26, s2, -v27
	v_rndne_f32_e32 v29, v27
	v_fmamk_f32 v28, v26, 0x32a5705f, v28
	v_sub_f32_e32 v27, v27, v29
	v_add_f32_e32 v27, v27, v28
	v_exp_f32_e32 v27, v27
	v_cvt_i32_f32_e32 v28, v29
	s_mov_b32 s2, 0xc2ce8ed0
	v_cmp_ngt_f32_e64 s[60:61], s2, v26
	s_mov_b32 s2, 0x42b17218
	v_ldexp_f32 v27, v27, v28
	v_cndmask_b32_e64 v27, 0, v27, s[60:61]
	v_mov_b32_e32 v28, 0x7f800000
	v_cmp_nlt_f32_e64 s[60:61], s2, v26
	s_mov_b32 s2, 0x3f2aaaab
	s_mov_b32 s3, 0x7f800000
	v_cndmask_b32_e64 v42, v28, v27, s[60:61]
	v_add_f32_e32 v28, 1.0, v42
	v_add_f32_e32 v26, -1.0, v28
	v_sub_f32_e32 v27, v26, v28
	v_add_f32_e32 v27, 1.0, v27
	v_sub_f32_e32 v26, v42, v26
	v_add_f32_e32 v29, v26, v27
	v_frexp_mant_f32_e32 v30, v28
	v_cvt_f64_f32_e32 v[26:27], v28
	v_frexp_exp_i32_f64_e32 v26, v[26:27]
	v_cmp_gt_f32_e64 s[60:61], s2, v30
	s_mov_b32 s2, 0x3f317218
	s_nop 0
	v_subbrev_co_u32_e64 v34, s[60:61], 0, v26, s[60:61]
	v_sub_u32_e32 v26, 0, v34
	v_ldexp_f32 v27, v28, v26
	v_add_f32_e32 v28, -1.0, v27
	v_add_f32_e32 v30, 1.0, v27
	v_ldexp_f32 v26, v29, v26
	v_add_f32_e32 v29, 1.0, v28
	v_add_f32_e32 v31, -1.0, v30
	v_sub_f32_e32 v29, v27, v29
	v_sub_f32_e32 v27, v27, v31
	v_add_f32_e32 v29, v26, v29
	v_add_f32_e32 v26, v26, v27
	;; [unrolled: 1-line block ×3, first 2 shown]
	v_rcp_f32_e32 v37, v35
	v_sub_f32_e32 v27, v30, v35
	v_add_f32_e32 v36, v26, v27
	v_add_f32_e32 v27, v28, v29
	v_mul_f32_e32 v39, v27, v37
	v_sub_f32_e32 v26, v28, v27
	v_mul_f32_e32 v28, v35, v39
	v_fma_f32 v30, v39, v35, -v28
	v_fmac_f32_e32 v30, v39, v36
	v_add_f32_e32 v38, v29, v26
	v_add_f32_e32 v26, v28, v30
	v_sub_f32_e32 v29, v27, v26
	v_pk_add_f32 v[32:33], v[26:27], v[28:29] neg_lo:[0,1] neg_hi:[0,1]
	v_mov_b32_e32 v31, v26
	v_pk_add_f32 v[26:27], v[32:33], v[30:31] neg_lo:[0,1] neg_hi:[0,1]
	v_cmp_eq_f32_e64 s[60:61], s3, v42
	v_add_f32_e32 v27, v38, v27
	v_add_f32_e32 v26, v26, v27
	;; [unrolled: 1-line block ×3, first 2 shown]
	v_mul_f32_e32 v38, v37, v27
	v_mul_f32_e32 v28, v35, v38
	v_fma_f32 v30, v38, v35, -v28
	v_fmac_f32_e32 v30, v38, v36
	v_sub_f32_e32 v29, v29, v27
	v_add_f32_e32 v35, v26, v29
	v_add_f32_e32 v26, v28, v30
	v_sub_f32_e32 v29, v27, v26
	v_pk_add_f32 v[32:33], v[26:27], v[28:29] neg_lo:[0,1] neg_hi:[0,1]
	v_mov_b32_e32 v31, v26
	v_pk_add_f32 v[26:27], v[32:33], v[30:31] neg_lo:[0,1] neg_hi:[0,1]
	v_cvt_f32_i32_e32 v28, v34
	v_add_f32_e32 v27, v35, v27
	v_add_f32_e32 v26, v26, v27
	;; [unrolled: 1-line block ×4, first 2 shown]
	v_sub_f32_e32 v27, v29, v39
	v_mul_f32_e32 v26, v37, v26
	v_sub_f32_e32 v27, v38, v27
	v_add_f32_e32 v26, v27, v26
	v_add_f32_e32 v30, v29, v26
	v_mul_f32_e32 v32, v30, v30
	v_mov_b32_e32 v27, 0x3ecc95a3
	v_sub_f32_e32 v29, v30, v29
	v_fmac_f32_e32 v27, 0x3e9b6dac, v32
	v_sub_f32_e32 v26, v26, v29
	v_fmaak_f32 v27, v32, v27, 0x3f2aaada
	v_ldexp_f32 v33, v26, 1
	v_mul_f32_e32 v29, v30, v32
	v_mov_b32_e32 v26, 0x3f317218
	v_pk_mul_f32 v[26:27], v[28:29], v[26:27]
	v_ldexp_f32 v31, v30, 1
	v_fma_f32 v29, v28, s2, -v26
	v_fmamk_f32 v30, v28, 0xb102e308, v29
	v_pk_add_f32 v[28:29], v[26:27], v[30:31]
	v_mov_b32_e32 v32, v26
	v_sub_f32_e32 v31, v29, v31
	v_sub_f32_e32 v31, v27, v31
	v_add_f32_e32 v33, v33, v31
	v_pk_add_f32 v[26:27], v[28:29], v[26:27] neg_lo:[0,1] neg_hi:[0,1]
	v_pk_add_f32 v[34:35], v[28:29], v[32:33]
	v_mov_b32_e32 v31, v28
	v_mov_b32_e32 v27, v35
	v_pk_add_f32 v[36:37], v[30:31], v[26:27] neg_lo:[0,1] neg_hi:[0,1]
	v_pk_add_f32 v[26:27], v[30:31], v[26:27]
	v_mov_b32_e32 v32, v33
	v_mov_b32_e32 v30, v27
	v_pk_add_f32 v[38:39], v[30:31], v[28:29] neg_lo:[0,1] neg_hi:[0,1]
	v_mov_b32_e32 v26, v35
	v_mov_b32_e32 v31, v38
	v_pk_add_f32 v[40:41], v[34:35], v[30:31] neg_lo:[0,1] neg_hi:[0,1]
	v_mov_b32_e32 v34, v29
	v_mov_b32_e32 v35, v38
	v_mov_b32_e32 v37, v27
	v_pk_add_f32 v[26:27], v[26:27], v[34:35] neg_lo:[0,1] neg_hi:[0,1]
	v_mov_b32_e32 v33, v28
	v_pk_add_f32 v[26:27], v[32:33], v[26:27] neg_lo:[0,1] neg_hi:[0,1]
	v_mov_b32_e32 v40, v36
	v_pk_add_f32 v[28:29], v[40:41], v[26:27]
	s_mov_b32 s2, 0x33800000
	v_mov_b32_e32 v32, v29
	v_pk_add_f32 v[32:33], v[28:29], v[32:33]
	v_cmp_lt_f32_e64 s[66:67], |v42|, s2
	v_pk_add_f32 v[30:31], v[30:31], v[32:33]
	v_mov_b32_e32 v27, v32
	v_mov_b32_e32 v29, v30
	v_pk_add_f32 v[34:35], v[28:29], v[36:37] neg_lo:[0,1] neg_hi:[0,1]
	s_or_b64 s[60:61], s[60:61], s[66:67]
	v_sub_f32_e32 v28, v28, v34
	v_pk_add_f32 v[26:27], v[26:27], v[34:35] neg_lo:[0,1] neg_hi:[0,1]
	v_sub_f32_e32 v28, v36, v28
	v_add_f32_e32 v26, v26, v28
	v_add_f32_e32 v26, v26, v27
	;; [unrolled: 1-line block ×3, first 2 shown]
	v_cndmask_b32_e64 v26, v26, v42, s[60:61]
	v_add_f32_e32 v26, v25, v26
.LBB489_60:
	s_or_b64 exec, exec, s[62:63]
	v_bfe_u32 v25, v26, 16, 1
	v_add3_u32 v25, v26, v25, s64
	v_and_b32_e32 v25, 0xffff0000, v25
	v_cmp_o_f32_e64 s[60:61], v26, v26
	v_and_b32_e32 v5, 0xffff0000, v5
	s_nop 0
	v_cndmask_b32_e64 v27, v22, v25, s[60:61]
	v_max_f32_e32 v22, v27, v27
	v_max_f32_e32 v25, v5, v5
	v_min_f32_e32 v26, v22, v25
	v_cmp_u_f32_e64 s[62:63], v27, v27
	v_max_f32_e32 v22, v22, v25
	v_cmp_u_f32_e64 s[60:61], v5, v5
	v_cndmask_b32_e64 v26, v26, v27, s[62:63]
	v_cndmask_b32_e64 v22, v22, v27, s[62:63]
	;; [unrolled: 1-line block ×4, first 2 shown]
	v_cmp_neq_f32_e64 s[62:63], v26, v22
	v_cmp_class_f32_e64 s[64:65], v26, s33
	s_or_b64 s[62:63], s[62:63], s[64:65]
	s_and_saveexec_b64 s[64:65], s[62:63]
	s_cbranch_execz .LBB489_62
; %bb.61:
	v_sub_f32_e32 v26, v26, v22
	s_mov_b32 s2, 0x3fb8aa3b
	v_mul_f32_e32 v27, 0x3fb8aa3b, v26
	v_fma_f32 v28, v26, s2, -v27
	v_rndne_f32_e32 v29, v27
	v_fmamk_f32 v28, v26, 0x32a5705f, v28
	v_sub_f32_e32 v27, v27, v29
	v_add_f32_e32 v27, v27, v28
	v_exp_f32_e32 v27, v27
	v_cvt_i32_f32_e32 v28, v29
	s_mov_b32 s2, 0xc2ce8ed0
	v_cmp_ngt_f32_e64 s[62:63], s2, v26
	s_mov_b32 s2, 0x42b17218
	v_ldexp_f32 v27, v27, v28
	v_cndmask_b32_e64 v27, 0, v27, s[62:63]
	v_mov_b32_e32 v28, 0x7f800000
	v_cmp_nlt_f32_e64 s[62:63], s2, v26
	s_mov_b32 s2, 0x3f2aaaab
	s_mov_b32 s3, 0x7f800000
	v_cndmask_b32_e64 v42, v28, v27, s[62:63]
	v_add_f32_e32 v28, 1.0, v42
	v_add_f32_e32 v26, -1.0, v28
	v_sub_f32_e32 v27, v26, v28
	v_add_f32_e32 v27, 1.0, v27
	v_sub_f32_e32 v26, v42, v26
	v_add_f32_e32 v29, v26, v27
	v_frexp_mant_f32_e32 v30, v28
	v_cvt_f64_f32_e32 v[26:27], v28
	v_frexp_exp_i32_f64_e32 v26, v[26:27]
	v_cmp_gt_f32_e64 s[62:63], s2, v30
	s_mov_b32 s2, 0x3f317218
	s_nop 0
	v_subbrev_co_u32_e64 v34, s[62:63], 0, v26, s[62:63]
	v_sub_u32_e32 v26, 0, v34
	v_ldexp_f32 v27, v28, v26
	v_add_f32_e32 v28, -1.0, v27
	v_add_f32_e32 v30, 1.0, v27
	v_ldexp_f32 v26, v29, v26
	v_add_f32_e32 v29, 1.0, v28
	v_add_f32_e32 v31, -1.0, v30
	v_sub_f32_e32 v29, v27, v29
	v_sub_f32_e32 v27, v27, v31
	v_add_f32_e32 v29, v26, v29
	v_add_f32_e32 v26, v26, v27
	;; [unrolled: 1-line block ×3, first 2 shown]
	v_rcp_f32_e32 v37, v35
	v_sub_f32_e32 v27, v30, v35
	v_add_f32_e32 v36, v26, v27
	v_add_f32_e32 v27, v28, v29
	v_mul_f32_e32 v39, v27, v37
	v_sub_f32_e32 v26, v28, v27
	v_mul_f32_e32 v28, v35, v39
	v_fma_f32 v30, v39, v35, -v28
	v_fmac_f32_e32 v30, v39, v36
	v_add_f32_e32 v38, v29, v26
	v_add_f32_e32 v26, v28, v30
	v_sub_f32_e32 v29, v27, v26
	v_pk_add_f32 v[32:33], v[26:27], v[28:29] neg_lo:[0,1] neg_hi:[0,1]
	v_mov_b32_e32 v31, v26
	v_pk_add_f32 v[26:27], v[32:33], v[30:31] neg_lo:[0,1] neg_hi:[0,1]
	v_cmp_eq_f32_e64 s[62:63], s3, v42
	v_add_f32_e32 v27, v38, v27
	v_add_f32_e32 v26, v26, v27
	;; [unrolled: 1-line block ×3, first 2 shown]
	v_mul_f32_e32 v38, v37, v27
	v_mul_f32_e32 v28, v35, v38
	v_fma_f32 v30, v38, v35, -v28
	v_fmac_f32_e32 v30, v38, v36
	v_sub_f32_e32 v29, v29, v27
	v_add_f32_e32 v35, v26, v29
	v_add_f32_e32 v26, v28, v30
	v_sub_f32_e32 v29, v27, v26
	v_pk_add_f32 v[32:33], v[26:27], v[28:29] neg_lo:[0,1] neg_hi:[0,1]
	v_mov_b32_e32 v31, v26
	v_pk_add_f32 v[26:27], v[32:33], v[30:31] neg_lo:[0,1] neg_hi:[0,1]
	v_cvt_f32_i32_e32 v28, v34
	v_add_f32_e32 v27, v35, v27
	v_add_f32_e32 v26, v26, v27
	;; [unrolled: 1-line block ×4, first 2 shown]
	v_sub_f32_e32 v27, v29, v39
	v_mul_f32_e32 v26, v37, v26
	v_sub_f32_e32 v27, v38, v27
	v_add_f32_e32 v26, v27, v26
	v_add_f32_e32 v30, v29, v26
	v_mul_f32_e32 v32, v30, v30
	v_mov_b32_e32 v27, 0x3ecc95a3
	v_sub_f32_e32 v29, v30, v29
	v_fmac_f32_e32 v27, 0x3e9b6dac, v32
	v_sub_f32_e32 v26, v26, v29
	v_fmaak_f32 v27, v32, v27, 0x3f2aaada
	v_ldexp_f32 v33, v26, 1
	v_mul_f32_e32 v29, v30, v32
	v_mov_b32_e32 v26, 0x3f317218
	v_pk_mul_f32 v[26:27], v[28:29], v[26:27]
	v_ldexp_f32 v31, v30, 1
	v_fma_f32 v29, v28, s2, -v26
	v_fmamk_f32 v30, v28, 0xb102e308, v29
	v_pk_add_f32 v[28:29], v[26:27], v[30:31]
	v_mov_b32_e32 v32, v26
	v_sub_f32_e32 v31, v29, v31
	v_sub_f32_e32 v31, v27, v31
	v_add_f32_e32 v33, v33, v31
	v_pk_add_f32 v[26:27], v[28:29], v[26:27] neg_lo:[0,1] neg_hi:[0,1]
	v_pk_add_f32 v[34:35], v[28:29], v[32:33]
	v_mov_b32_e32 v31, v28
	v_mov_b32_e32 v27, v35
	v_pk_add_f32 v[36:37], v[30:31], v[26:27] neg_lo:[0,1] neg_hi:[0,1]
	v_pk_add_f32 v[26:27], v[30:31], v[26:27]
	v_mov_b32_e32 v32, v33
	v_mov_b32_e32 v30, v27
	v_pk_add_f32 v[38:39], v[30:31], v[28:29] neg_lo:[0,1] neg_hi:[0,1]
	v_mov_b32_e32 v26, v35
	v_mov_b32_e32 v31, v38
	v_pk_add_f32 v[40:41], v[34:35], v[30:31] neg_lo:[0,1] neg_hi:[0,1]
	v_mov_b32_e32 v34, v29
	v_mov_b32_e32 v35, v38
	;; [unrolled: 1-line block ×3, first 2 shown]
	v_pk_add_f32 v[26:27], v[26:27], v[34:35] neg_lo:[0,1] neg_hi:[0,1]
	v_mov_b32_e32 v33, v28
	v_pk_add_f32 v[26:27], v[32:33], v[26:27] neg_lo:[0,1] neg_hi:[0,1]
	v_mov_b32_e32 v40, v36
	v_pk_add_f32 v[28:29], v[40:41], v[26:27]
	s_mov_b32 s2, 0x33800000
	v_mov_b32_e32 v32, v29
	v_pk_add_f32 v[32:33], v[28:29], v[32:33]
	v_cmp_lt_f32_e64 s[66:67], |v42|, s2
	v_pk_add_f32 v[30:31], v[30:31], v[32:33]
	v_mov_b32_e32 v27, v32
	v_mov_b32_e32 v29, v30
	v_pk_add_f32 v[34:35], v[28:29], v[36:37] neg_lo:[0,1] neg_hi:[0,1]
	s_or_b64 s[62:63], s[62:63], s[66:67]
	v_sub_f32_e32 v28, v28, v34
	v_pk_add_f32 v[26:27], v[26:27], v[34:35] neg_lo:[0,1] neg_hi:[0,1]
	v_sub_f32_e32 v28, v36, v28
	v_add_f32_e32 v26, v26, v28
	v_add_f32_e32 v26, v26, v27
	v_add_f32_e32 v26, v30, v26
	v_cndmask_b32_e64 v26, v26, v42, s[62:63]
	v_add_f32_e32 v27, v22, v26
.LBB489_62:
	s_or_b64 exec, exec, s[64:65]
	v_bfe_u32 v22, v27, 16, 1
	s_movk_i32 s68, 0x7fff
	v_add3_u32 v22, v27, v22, s68
	v_and_b32_e32 v22, 0xffff0000, v22
	v_mov_b32_e32 v26, 0x7fc00000
	v_cmp_o_f32_e64 s[62:63], v27, v27
	s_nop 1
	v_cndmask_b32_e64 v29, v26, v22, s[62:63]
	v_lshlrev_b32_e32 v22, 16, v10
	v_max_f32_e32 v28, v29, v29
	v_max_f32_e32 v27, v22, v22
	v_min_f32_e32 v30, v28, v27
	v_cmp_u_f32_e64 s[64:65], v29, v29
	v_max_f32_e32 v28, v28, v27
	v_cmp_u_f32_e64 s[62:63], v22, v22
	v_cndmask_b32_e64 v30, v30, v29, s[64:65]
	v_cndmask_b32_e64 v28, v28, v29, s[64:65]
	;; [unrolled: 1-line block ×4, first 2 shown]
	v_cmp_neq_f32_e64 s[64:65], v30, v28
	v_cmp_class_f32_e64 s[66:67], v30, s33
	s_or_b64 s[64:65], s[64:65], s[66:67]
	s_and_saveexec_b64 s[66:67], s[64:65]
	s_cbranch_execz .LBB489_64
; %bb.63:
	v_sub_f32_e32 v29, v30, v28
	s_mov_b32 s2, 0x3fb8aa3b
	v_mul_f32_e32 v30, 0x3fb8aa3b, v29
	v_fma_f32 v31, v29, s2, -v30
	v_rndne_f32_e32 v32, v30
	v_fmamk_f32 v31, v29, 0x32a5705f, v31
	v_sub_f32_e32 v30, v30, v32
	v_add_f32_e32 v30, v30, v31
	v_exp_f32_e32 v30, v30
	v_cvt_i32_f32_e32 v31, v32
	s_mov_b32 s2, 0xc2ce8ed0
	v_cmp_ngt_f32_e64 s[64:65], s2, v29
	s_mov_b32 s2, 0x42b17218
	v_ldexp_f32 v30, v30, v31
	v_cndmask_b32_e64 v30, 0, v30, s[64:65]
	v_mov_b32_e32 v31, 0x7f800000
	v_cmp_nlt_f32_e64 s[64:65], s2, v29
	s_mov_b32 s2, 0x3f2aaaab
	s_mov_b32 s3, 0x7f800000
	v_cndmask_b32_e64 v46, v31, v30, s[64:65]
	v_add_f32_e32 v29, 1.0, v46
	v_add_f32_e32 v30, -1.0, v29
	v_sub_f32_e32 v31, v30, v29
	v_add_f32_e32 v31, 1.0, v31
	v_sub_f32_e32 v30, v46, v30
	v_add_f32_e32 v32, v30, v31
	v_frexp_mant_f32_e32 v33, v29
	v_cvt_f64_f32_e32 v[30:31], v29
	v_frexp_exp_i32_f64_e32 v30, v[30:31]
	v_cmp_gt_f32_e64 s[64:65], s2, v33
	s_mov_b32 s2, 0x3f317218
	s_nop 0
	v_subbrev_co_u32_e64 v38, s[64:65], 0, v30, s[64:65]
	v_sub_u32_e32 v30, 0, v38
	v_ldexp_f32 v29, v29, v30
	v_ldexp_f32 v30, v32, v30
	v_add_f32_e32 v32, -1.0, v29
	v_add_f32_e32 v31, 1.0, v32
	v_sub_f32_e32 v31, v29, v31
	v_add_f32_e32 v33, v30, v31
	v_add_f32_e32 v31, 1.0, v29
	v_add_f32_e32 v34, -1.0, v31
	v_sub_f32_e32 v29, v29, v34
	v_add_f32_e32 v29, v30, v29
	v_add_f32_e32 v39, v31, v29
	v_rcp_f32_e32 v40, v39
	v_sub_f32_e32 v30, v31, v39
	v_add_f32_e32 v31, v32, v33
	v_add_f32_e32 v29, v29, v30
	v_mul_f32_e32 v42, v31, v40
	v_sub_f32_e32 v30, v32, v31
	v_mul_f32_e32 v32, v39, v42
	v_fma_f32 v34, v42, v39, -v32
	v_fmac_f32_e32 v34, v42, v29
	v_add_f32_e32 v41, v33, v30
	v_add_f32_e32 v30, v32, v34
	v_sub_f32_e32 v33, v31, v30
	v_pk_add_f32 v[36:37], v[30:31], v[32:33] neg_lo:[0,1] neg_hi:[0,1]
	v_mov_b32_e32 v35, v30
	v_pk_add_f32 v[30:31], v[36:37], v[34:35] neg_lo:[0,1] neg_hi:[0,1]
	v_cmp_eq_f32_e64 s[64:65], s3, v46
	v_add_f32_e32 v31, v41, v31
	v_add_f32_e32 v30, v30, v31
	;; [unrolled: 1-line block ×3, first 2 shown]
	v_mul_f32_e32 v41, v40, v31
	v_mul_f32_e32 v32, v39, v41
	v_fma_f32 v34, v41, v39, -v32
	v_fmac_f32_e32 v34, v41, v29
	v_sub_f32_e32 v29, v33, v31
	v_add_f32_e32 v29, v30, v29
	v_add_f32_e32 v30, v32, v34
	v_sub_f32_e32 v33, v31, v30
	v_pk_add_f32 v[36:37], v[30:31], v[32:33] neg_lo:[0,1] neg_hi:[0,1]
	v_mov_b32_e32 v35, v30
	v_pk_add_f32 v[30:31], v[36:37], v[34:35] neg_lo:[0,1] neg_hi:[0,1]
	v_cvt_f32_i32_e32 v32, v38
	v_add_f32_e32 v29, v29, v31
	v_add_f32_e32 v29, v30, v29
	;; [unrolled: 1-line block ×4, first 2 shown]
	v_sub_f32_e32 v31, v30, v42
	v_mul_f32_e32 v29, v40, v29
	v_sub_f32_e32 v31, v41, v31
	v_add_f32_e32 v29, v31, v29
	v_add_f32_e32 v33, v30, v29
	v_mul_f32_e32 v34, v33, v33
	v_mov_b32_e32 v31, 0x3ecc95a3
	v_fmac_f32_e32 v31, 0x3e9b6dac, v34
	v_sub_f32_e32 v30, v33, v30
	v_fmaak_f32 v31, v34, v31, 0x3f2aaada
	v_sub_f32_e32 v29, v29, v30
	v_ldexp_f32 v35, v33, 1
	v_mul_f32_e32 v33, v33, v34
	v_mov_b32_e32 v30, 0x3f317218
	v_pk_mul_f32 v[30:31], v[32:33], v[30:31]
	v_ldexp_f32 v29, v29, 1
	v_fma_f32 v33, v32, s2, -v30
	v_fmamk_f32 v34, v32, 0xb102e308, v33
	v_pk_add_f32 v[32:33], v[30:31], v[34:35]
	v_mov_b32_e32 v36, v30
	v_sub_f32_e32 v35, v33, v35
	v_sub_f32_e32 v35, v31, v35
	v_add_f32_e32 v37, v29, v35
	v_pk_add_f32 v[30:31], v[32:33], v[30:31] neg_lo:[0,1] neg_hi:[0,1]
	v_pk_add_f32 v[38:39], v[32:33], v[36:37]
	v_mov_b32_e32 v35, v32
	v_mov_b32_e32 v31, v39
	v_pk_add_f32 v[40:41], v[34:35], v[30:31] neg_lo:[0,1] neg_hi:[0,1]
	v_pk_add_f32 v[30:31], v[34:35], v[30:31]
	v_mov_b32_e32 v36, v37
	v_mov_b32_e32 v34, v31
	v_pk_add_f32 v[42:43], v[34:35], v[32:33] neg_lo:[0,1] neg_hi:[0,1]
	v_mov_b32_e32 v30, v39
	v_mov_b32_e32 v29, v42
	v_pk_add_f32 v[44:45], v[38:39], v[28:29] neg_lo:[0,1] neg_hi:[0,1]
	v_mov_b32_e32 v38, v33
	v_mov_b32_e32 v39, v42
	;; [unrolled: 1-line block ×3, first 2 shown]
	v_pk_add_f32 v[30:31], v[30:31], v[38:39] neg_lo:[0,1] neg_hi:[0,1]
	v_mov_b32_e32 v37, v32
	v_pk_add_f32 v[30:31], v[36:37], v[30:31] neg_lo:[0,1] neg_hi:[0,1]
	v_mov_b32_e32 v44, v40
	v_pk_add_f32 v[32:33], v[44:45], v[30:31]
	s_mov_b32 s2, 0x33800000
	v_mov_b32_e32 v36, v33
	v_pk_add_f32 v[36:37], v[32:33], v[36:37]
	v_cmp_lt_f32_e64 s[70:71], |v46|, s2
	v_pk_add_f32 v[34:35], v[34:35], v[36:37]
	v_mov_b32_e32 v31, v36
	v_mov_b32_e32 v33, v34
	v_pk_add_f32 v[38:39], v[32:33], v[40:41] neg_lo:[0,1] neg_hi:[0,1]
	s_or_b64 s[64:65], s[64:65], s[70:71]
	v_sub_f32_e32 v29, v32, v38
	v_pk_add_f32 v[30:31], v[30:31], v[38:39] neg_lo:[0,1] neg_hi:[0,1]
	v_sub_f32_e32 v29, v40, v29
	v_add_f32_e32 v29, v30, v29
	v_add_f32_e32 v29, v29, v31
	;; [unrolled: 1-line block ×3, first 2 shown]
	v_cndmask_b32_e64 v29, v29, v46, s[64:65]
	v_add_f32_e32 v29, v28, v29
.LBB489_64:
	s_or_b64 exec, exec, s[66:67]
	v_bfe_u32 v28, v29, 16, 1
	v_add3_u32 v28, v29, v28, s68
	v_and_b32_e32 v28, 0xffff0000, v28
	v_cmp_o_f32_e64 s[64:65], v29, v29
	v_and_b32_e32 v10, 0xffff0000, v10
	s_nop 0
	v_cndmask_b32_e64 v30, v26, v28, s[64:65]
	v_max_f32_e32 v26, v30, v30
	v_max_f32_e32 v28, v10, v10
	v_min_f32_e32 v29, v26, v28
	v_cmp_u_f32_e64 s[66:67], v30, v30
	v_max_f32_e32 v26, v26, v28
	v_cmp_u_f32_e64 s[64:65], v10, v10
	v_cndmask_b32_e64 v29, v29, v30, s[66:67]
	v_cndmask_b32_e64 v26, v26, v30, s[66:67]
	;; [unrolled: 1-line block ×4, first 2 shown]
	v_cmp_neq_f32_e64 s[66:67], v29, v26
	v_cmp_class_f32_e64 s[68:69], v29, s33
	s_or_b64 s[66:67], s[66:67], s[68:69]
	s_and_saveexec_b64 s[68:69], s[66:67]
	s_cbranch_execz .LBB489_66
; %bb.65:
	v_sub_f32_e32 v29, v29, v26
	s_mov_b32 s2, 0x3fb8aa3b
	v_mul_f32_e32 v30, 0x3fb8aa3b, v29
	v_fma_f32 v31, v29, s2, -v30
	v_rndne_f32_e32 v32, v30
	v_fmamk_f32 v31, v29, 0x32a5705f, v31
	v_sub_f32_e32 v30, v30, v32
	v_add_f32_e32 v30, v30, v31
	v_exp_f32_e32 v30, v30
	v_cvt_i32_f32_e32 v31, v32
	s_mov_b32 s2, 0xc2ce8ed0
	v_cmp_ngt_f32_e64 s[66:67], s2, v29
	s_mov_b32 s2, 0x42b17218
	v_ldexp_f32 v30, v30, v31
	v_cndmask_b32_e64 v30, 0, v30, s[66:67]
	v_mov_b32_e32 v31, 0x7f800000
	v_cmp_nlt_f32_e64 s[66:67], s2, v29
	s_mov_b32 s2, 0x3f2aaaab
	s_mov_b32 s3, 0x7f800000
	v_cndmask_b32_e64 v46, v31, v30, s[66:67]
	v_add_f32_e32 v29, 1.0, v46
	v_add_f32_e32 v30, -1.0, v29
	v_sub_f32_e32 v31, v30, v29
	v_add_f32_e32 v31, 1.0, v31
	v_sub_f32_e32 v30, v46, v30
	v_add_f32_e32 v32, v30, v31
	v_frexp_mant_f32_e32 v33, v29
	v_cvt_f64_f32_e32 v[30:31], v29
	v_frexp_exp_i32_f64_e32 v30, v[30:31]
	v_cmp_gt_f32_e64 s[66:67], s2, v33
	s_mov_b32 s2, 0x3f317218
	s_nop 0
	v_subbrev_co_u32_e64 v38, s[66:67], 0, v30, s[66:67]
	v_sub_u32_e32 v30, 0, v38
	v_ldexp_f32 v29, v29, v30
	v_ldexp_f32 v30, v32, v30
	v_add_f32_e32 v32, -1.0, v29
	v_add_f32_e32 v31, 1.0, v32
	v_sub_f32_e32 v31, v29, v31
	v_add_f32_e32 v33, v30, v31
	v_add_f32_e32 v31, 1.0, v29
	v_add_f32_e32 v34, -1.0, v31
	v_sub_f32_e32 v29, v29, v34
	v_add_f32_e32 v29, v30, v29
	v_add_f32_e32 v39, v31, v29
	v_rcp_f32_e32 v40, v39
	v_sub_f32_e32 v30, v31, v39
	v_add_f32_e32 v31, v32, v33
	v_add_f32_e32 v29, v29, v30
	v_mul_f32_e32 v42, v31, v40
	v_sub_f32_e32 v30, v32, v31
	v_mul_f32_e32 v32, v39, v42
	v_fma_f32 v34, v42, v39, -v32
	v_fmac_f32_e32 v34, v42, v29
	v_add_f32_e32 v41, v33, v30
	v_add_f32_e32 v30, v32, v34
	v_sub_f32_e32 v33, v31, v30
	v_pk_add_f32 v[36:37], v[30:31], v[32:33] neg_lo:[0,1] neg_hi:[0,1]
	v_mov_b32_e32 v35, v30
	v_pk_add_f32 v[30:31], v[36:37], v[34:35] neg_lo:[0,1] neg_hi:[0,1]
	v_cmp_eq_f32_e64 s[66:67], s3, v46
	v_add_f32_e32 v31, v41, v31
	v_add_f32_e32 v30, v30, v31
	;; [unrolled: 1-line block ×3, first 2 shown]
	v_mul_f32_e32 v41, v40, v31
	v_mul_f32_e32 v32, v39, v41
	v_fma_f32 v34, v41, v39, -v32
	v_fmac_f32_e32 v34, v41, v29
	v_sub_f32_e32 v29, v33, v31
	v_add_f32_e32 v29, v30, v29
	v_add_f32_e32 v30, v32, v34
	v_sub_f32_e32 v33, v31, v30
	v_pk_add_f32 v[36:37], v[30:31], v[32:33] neg_lo:[0,1] neg_hi:[0,1]
	v_mov_b32_e32 v35, v30
	v_pk_add_f32 v[30:31], v[36:37], v[34:35] neg_lo:[0,1] neg_hi:[0,1]
	v_cvt_f32_i32_e32 v32, v38
	v_add_f32_e32 v29, v29, v31
	v_add_f32_e32 v29, v30, v29
	;; [unrolled: 1-line block ×4, first 2 shown]
	v_sub_f32_e32 v31, v30, v42
	v_mul_f32_e32 v29, v40, v29
	v_sub_f32_e32 v31, v41, v31
	v_add_f32_e32 v29, v31, v29
	v_add_f32_e32 v33, v30, v29
	v_mul_f32_e32 v34, v33, v33
	v_mov_b32_e32 v31, 0x3ecc95a3
	v_fmac_f32_e32 v31, 0x3e9b6dac, v34
	v_sub_f32_e32 v30, v33, v30
	v_fmaak_f32 v31, v34, v31, 0x3f2aaada
	v_sub_f32_e32 v29, v29, v30
	v_ldexp_f32 v35, v33, 1
	v_mul_f32_e32 v33, v33, v34
	v_mov_b32_e32 v30, 0x3f317218
	v_pk_mul_f32 v[30:31], v[32:33], v[30:31]
	v_ldexp_f32 v29, v29, 1
	v_fma_f32 v33, v32, s2, -v30
	v_fmamk_f32 v34, v32, 0xb102e308, v33
	v_pk_add_f32 v[32:33], v[30:31], v[34:35]
	v_mov_b32_e32 v36, v30
	v_sub_f32_e32 v35, v33, v35
	v_sub_f32_e32 v35, v31, v35
	v_add_f32_e32 v37, v29, v35
	v_pk_add_f32 v[30:31], v[32:33], v[30:31] neg_lo:[0,1] neg_hi:[0,1]
	v_pk_add_f32 v[38:39], v[32:33], v[36:37]
	v_mov_b32_e32 v35, v32
	v_mov_b32_e32 v31, v39
	v_pk_add_f32 v[40:41], v[34:35], v[30:31] neg_lo:[0,1] neg_hi:[0,1]
	v_pk_add_f32 v[30:31], v[34:35], v[30:31]
	v_mov_b32_e32 v36, v37
	v_mov_b32_e32 v34, v31
	v_pk_add_f32 v[42:43], v[34:35], v[32:33] neg_lo:[0,1] neg_hi:[0,1]
	v_mov_b32_e32 v30, v39
	v_mov_b32_e32 v29, v42
	v_pk_add_f32 v[44:45], v[38:39], v[28:29] neg_lo:[0,1] neg_hi:[0,1]
	v_mov_b32_e32 v38, v33
	v_mov_b32_e32 v39, v42
	;; [unrolled: 1-line block ×3, first 2 shown]
	v_pk_add_f32 v[30:31], v[30:31], v[38:39] neg_lo:[0,1] neg_hi:[0,1]
	v_mov_b32_e32 v37, v32
	v_pk_add_f32 v[30:31], v[36:37], v[30:31] neg_lo:[0,1] neg_hi:[0,1]
	v_mov_b32_e32 v44, v40
	v_pk_add_f32 v[32:33], v[44:45], v[30:31]
	s_mov_b32 s2, 0x33800000
	v_mov_b32_e32 v36, v33
	v_pk_add_f32 v[36:37], v[32:33], v[36:37]
	v_cmp_lt_f32_e64 s[70:71], |v46|, s2
	v_pk_add_f32 v[34:35], v[34:35], v[36:37]
	v_mov_b32_e32 v31, v36
	v_mov_b32_e32 v33, v34
	v_pk_add_f32 v[38:39], v[32:33], v[40:41] neg_lo:[0,1] neg_hi:[0,1]
	s_or_b64 s[66:67], s[66:67], s[70:71]
	v_sub_f32_e32 v29, v32, v38
	v_pk_add_f32 v[30:31], v[30:31], v[38:39] neg_lo:[0,1] neg_hi:[0,1]
	v_sub_f32_e32 v29, v40, v29
	v_add_f32_e32 v29, v30, v29
	v_add_f32_e32 v29, v29, v31
	;; [unrolled: 1-line block ×3, first 2 shown]
	v_cndmask_b32_e64 v29, v29, v46, s[66:67]
	v_add_f32_e32 v30, v26, v29
.LBB489_66:
	s_or_b64 exec, exec, s[68:69]
	v_bfe_u32 v26, v30, 16, 1
	s_movk_i32 s72, 0x7fff
	v_add3_u32 v26, v30, v26, s72
	v_and_b32_e32 v26, 0xffff0000, v26
	v_mov_b32_e32 v29, 0x7fc00000
	v_cmp_o_f32_e64 s[66:67], v30, v30
	s_nop 1
	v_cndmask_b32_e64 v32, v29, v26, s[66:67]
	v_lshlrev_b32_e32 v26, 16, v11
	v_max_f32_e32 v31, v32, v32
	v_max_f32_e32 v30, v26, v26
	v_min_f32_e32 v33, v31, v30
	v_cmp_u_f32_e64 s[68:69], v32, v32
	v_max_f32_e32 v31, v31, v30
	v_cmp_u_f32_e64 s[66:67], v26, v26
	v_cndmask_b32_e64 v33, v33, v32, s[68:69]
	v_cndmask_b32_e64 v31, v31, v32, s[68:69]
	;; [unrolled: 1-line block ×4, first 2 shown]
	v_cmp_neq_f32_e64 s[68:69], v33, v31
	v_cmp_class_f32_e64 s[70:71], v33, s33
	s_or_b64 s[68:69], s[68:69], s[70:71]
	s_and_saveexec_b64 s[70:71], s[68:69]
	s_cbranch_execz .LBB489_68
; %bb.67:
	v_sub_f32_e32 v32, v33, v31
	s_mov_b32 s2, 0x3fb8aa3b
	v_mul_f32_e32 v33, 0x3fb8aa3b, v32
	v_fma_f32 v34, v32, s2, -v33
	v_rndne_f32_e32 v35, v33
	v_fmamk_f32 v34, v32, 0x32a5705f, v34
	v_sub_f32_e32 v33, v33, v35
	v_add_f32_e32 v33, v33, v34
	v_exp_f32_e32 v33, v33
	v_cvt_i32_f32_e32 v34, v35
	s_mov_b32 s2, 0xc2ce8ed0
	v_cmp_ngt_f32_e64 s[68:69], s2, v32
	s_mov_b32 s2, 0x42b17218
	v_ldexp_f32 v33, v33, v34
	v_cndmask_b32_e64 v33, 0, v33, s[68:69]
	v_mov_b32_e32 v34, 0x7f800000
	v_cmp_nlt_f32_e64 s[68:69], s2, v32
	s_mov_b32 s2, 0x3f2aaaab
	s_mov_b32 s3, 0x7f800000
	v_cndmask_b32_e64 v48, v34, v33, s[68:69]
	v_add_f32_e32 v34, 1.0, v48
	v_add_f32_e32 v32, -1.0, v34
	v_sub_f32_e32 v33, v32, v34
	v_add_f32_e32 v33, 1.0, v33
	v_sub_f32_e32 v32, v48, v32
	v_add_f32_e32 v35, v32, v33
	v_frexp_mant_f32_e32 v36, v34
	v_cvt_f64_f32_e32 v[32:33], v34
	v_frexp_exp_i32_f64_e32 v32, v[32:33]
	v_cmp_gt_f32_e64 s[68:69], s2, v36
	s_mov_b32 s2, 0x3f317218
	s_nop 0
	v_subbrev_co_u32_e64 v40, s[68:69], 0, v32, s[68:69]
	v_sub_u32_e32 v32, 0, v40
	v_ldexp_f32 v33, v34, v32
	v_add_f32_e32 v34, -1.0, v33
	v_add_f32_e32 v36, 1.0, v33
	v_ldexp_f32 v32, v35, v32
	v_add_f32_e32 v35, 1.0, v34
	v_add_f32_e32 v37, -1.0, v36
	v_sub_f32_e32 v35, v33, v35
	v_sub_f32_e32 v33, v33, v37
	v_add_f32_e32 v35, v32, v35
	v_add_f32_e32 v32, v32, v33
	;; [unrolled: 1-line block ×3, first 2 shown]
	v_rcp_f32_e32 v43, v41
	v_sub_f32_e32 v33, v36, v41
	v_add_f32_e32 v42, v32, v33
	v_add_f32_e32 v33, v34, v35
	v_mul_f32_e32 v45, v33, v43
	v_sub_f32_e32 v32, v34, v33
	v_mul_f32_e32 v34, v41, v45
	v_fma_f32 v36, v45, v41, -v34
	v_fmac_f32_e32 v36, v45, v42
	v_add_f32_e32 v44, v35, v32
	v_add_f32_e32 v32, v34, v36
	v_sub_f32_e32 v35, v33, v32
	v_pk_add_f32 v[38:39], v[32:33], v[34:35] neg_lo:[0,1] neg_hi:[0,1]
	v_mov_b32_e32 v37, v32
	v_pk_add_f32 v[32:33], v[38:39], v[36:37] neg_lo:[0,1] neg_hi:[0,1]
	v_cmp_eq_f32_e64 s[68:69], s3, v48
	v_add_f32_e32 v33, v44, v33
	v_add_f32_e32 v32, v32, v33
	;; [unrolled: 1-line block ×3, first 2 shown]
	v_mul_f32_e32 v44, v43, v33
	v_mul_f32_e32 v34, v41, v44
	v_fma_f32 v36, v44, v41, -v34
	v_fmac_f32_e32 v36, v44, v42
	v_sub_f32_e32 v35, v35, v33
	v_add_f32_e32 v41, v32, v35
	v_add_f32_e32 v32, v34, v36
	v_sub_f32_e32 v35, v33, v32
	v_pk_add_f32 v[38:39], v[32:33], v[34:35] neg_lo:[0,1] neg_hi:[0,1]
	v_mov_b32_e32 v37, v32
	v_pk_add_f32 v[32:33], v[38:39], v[36:37] neg_lo:[0,1] neg_hi:[0,1]
	v_cvt_f32_i32_e32 v34, v40
	v_add_f32_e32 v33, v41, v33
	v_add_f32_e32 v32, v32, v33
	;; [unrolled: 1-line block ×4, first 2 shown]
	v_sub_f32_e32 v33, v35, v45
	v_mul_f32_e32 v32, v43, v32
	v_sub_f32_e32 v33, v44, v33
	v_add_f32_e32 v32, v33, v32
	v_add_f32_e32 v36, v35, v32
	v_mul_f32_e32 v38, v36, v36
	v_mov_b32_e32 v33, 0x3ecc95a3
	v_sub_f32_e32 v35, v36, v35
	v_fmac_f32_e32 v33, 0x3e9b6dac, v38
	v_sub_f32_e32 v32, v32, v35
	v_fmaak_f32 v33, v38, v33, 0x3f2aaada
	v_ldexp_f32 v39, v32, 1
	v_mul_f32_e32 v35, v36, v38
	v_mov_b32_e32 v32, 0x3f317218
	v_pk_mul_f32 v[32:33], v[34:35], v[32:33]
	v_ldexp_f32 v37, v36, 1
	v_fma_f32 v35, v34, s2, -v32
	v_fmamk_f32 v36, v34, 0xb102e308, v35
	v_pk_add_f32 v[34:35], v[32:33], v[36:37]
	v_mov_b32_e32 v38, v32
	v_sub_f32_e32 v37, v35, v37
	v_sub_f32_e32 v37, v33, v37
	v_add_f32_e32 v39, v39, v37
	v_pk_add_f32 v[32:33], v[34:35], v[32:33] neg_lo:[0,1] neg_hi:[0,1]
	v_pk_add_f32 v[40:41], v[34:35], v[38:39]
	v_mov_b32_e32 v37, v34
	v_mov_b32_e32 v33, v41
	v_pk_add_f32 v[42:43], v[36:37], v[32:33] neg_lo:[0,1] neg_hi:[0,1]
	v_pk_add_f32 v[32:33], v[36:37], v[32:33]
	v_mov_b32_e32 v38, v39
	v_mov_b32_e32 v36, v33
	v_pk_add_f32 v[44:45], v[36:37], v[34:35] neg_lo:[0,1] neg_hi:[0,1]
	v_mov_b32_e32 v32, v41
	v_mov_b32_e32 v37, v44
	v_pk_add_f32 v[46:47], v[40:41], v[36:37] neg_lo:[0,1] neg_hi:[0,1]
	v_mov_b32_e32 v40, v35
	v_mov_b32_e32 v41, v44
	;; [unrolled: 1-line block ×3, first 2 shown]
	v_pk_add_f32 v[32:33], v[32:33], v[40:41] neg_lo:[0,1] neg_hi:[0,1]
	v_mov_b32_e32 v39, v34
	v_pk_add_f32 v[32:33], v[38:39], v[32:33] neg_lo:[0,1] neg_hi:[0,1]
	v_mov_b32_e32 v46, v42
	v_pk_add_f32 v[34:35], v[46:47], v[32:33]
	s_mov_b32 s2, 0x33800000
	v_mov_b32_e32 v38, v35
	v_pk_add_f32 v[38:39], v[34:35], v[38:39]
	v_cmp_lt_f32_e64 s[74:75], |v48|, s2
	v_pk_add_f32 v[36:37], v[36:37], v[38:39]
	v_mov_b32_e32 v33, v38
	v_mov_b32_e32 v35, v36
	v_pk_add_f32 v[40:41], v[34:35], v[42:43] neg_lo:[0,1] neg_hi:[0,1]
	s_or_b64 s[68:69], s[68:69], s[74:75]
	v_sub_f32_e32 v34, v34, v40
	v_pk_add_f32 v[32:33], v[32:33], v[40:41] neg_lo:[0,1] neg_hi:[0,1]
	v_sub_f32_e32 v34, v42, v34
	v_add_f32_e32 v32, v32, v34
	v_add_f32_e32 v32, v32, v33
	;; [unrolled: 1-line block ×3, first 2 shown]
	v_cndmask_b32_e64 v32, v32, v48, s[68:69]
	v_add_f32_e32 v32, v31, v32
.LBB489_68:
	s_or_b64 exec, exec, s[70:71]
	v_bfe_u32 v31, v32, 16, 1
	v_add3_u32 v31, v32, v31, s72
	v_and_b32_e32 v31, 0xffff0000, v31
	v_cmp_o_f32_e64 s[68:69], v32, v32
	v_and_b32_e32 v11, 0xffff0000, v11
	s_nop 0
	v_cndmask_b32_e64 v33, v29, v31, s[68:69]
	v_max_f32_e32 v29, v33, v33
	v_max_f32_e32 v31, v11, v11
	v_min_f32_e32 v32, v29, v31
	v_cmp_u_f32_e64 s[70:71], v33, v33
	v_max_f32_e32 v29, v29, v31
	v_cmp_u_f32_e64 s[68:69], v11, v11
	v_cndmask_b32_e64 v32, v32, v33, s[70:71]
	v_cndmask_b32_e64 v29, v29, v33, s[70:71]
	v_cndmask_b32_e64 v32, v32, v11, s[68:69]
	v_cndmask_b32_e64 v29, v29, v11, s[68:69]
	v_cmp_neq_f32_e64 s[70:71], v32, v29
	v_cmp_class_f32_e64 s[72:73], v32, s33
	s_or_b64 s[70:71], s[70:71], s[72:73]
	s_and_saveexec_b64 s[72:73], s[70:71]
	s_cbranch_execz .LBB489_70
; %bb.69:
	v_sub_f32_e32 v32, v32, v29
	s_mov_b32 s2, 0x3fb8aa3b
	v_mul_f32_e32 v33, 0x3fb8aa3b, v32
	v_fma_f32 v34, v32, s2, -v33
	v_rndne_f32_e32 v35, v33
	v_fmamk_f32 v34, v32, 0x32a5705f, v34
	v_sub_f32_e32 v33, v33, v35
	v_add_f32_e32 v33, v33, v34
	v_exp_f32_e32 v33, v33
	v_cvt_i32_f32_e32 v34, v35
	s_mov_b32 s2, 0xc2ce8ed0
	v_cmp_ngt_f32_e64 s[70:71], s2, v32
	s_mov_b32 s2, 0x42b17218
	v_ldexp_f32 v33, v33, v34
	v_cndmask_b32_e64 v33, 0, v33, s[70:71]
	v_mov_b32_e32 v34, 0x7f800000
	v_cmp_nlt_f32_e64 s[70:71], s2, v32
	s_mov_b32 s2, 0x3f2aaaab
	s_mov_b32 s3, 0x7f800000
	v_cndmask_b32_e64 v48, v34, v33, s[70:71]
	v_add_f32_e32 v34, 1.0, v48
	v_add_f32_e32 v32, -1.0, v34
	v_sub_f32_e32 v33, v32, v34
	v_add_f32_e32 v33, 1.0, v33
	v_sub_f32_e32 v32, v48, v32
	v_add_f32_e32 v35, v32, v33
	v_frexp_mant_f32_e32 v36, v34
	v_cvt_f64_f32_e32 v[32:33], v34
	v_frexp_exp_i32_f64_e32 v32, v[32:33]
	v_cmp_gt_f32_e64 s[70:71], s2, v36
	s_mov_b32 s2, 0x3f317218
	s_nop 0
	v_subbrev_co_u32_e64 v40, s[70:71], 0, v32, s[70:71]
	v_sub_u32_e32 v32, 0, v40
	v_ldexp_f32 v33, v34, v32
	v_add_f32_e32 v34, -1.0, v33
	v_add_f32_e32 v36, 1.0, v33
	v_ldexp_f32 v32, v35, v32
	v_add_f32_e32 v35, 1.0, v34
	v_add_f32_e32 v37, -1.0, v36
	v_sub_f32_e32 v35, v33, v35
	v_sub_f32_e32 v33, v33, v37
	v_add_f32_e32 v35, v32, v35
	v_add_f32_e32 v32, v32, v33
	;; [unrolled: 1-line block ×3, first 2 shown]
	v_rcp_f32_e32 v43, v41
	v_sub_f32_e32 v33, v36, v41
	v_add_f32_e32 v42, v32, v33
	v_add_f32_e32 v33, v34, v35
	v_mul_f32_e32 v45, v33, v43
	v_sub_f32_e32 v32, v34, v33
	v_mul_f32_e32 v34, v41, v45
	v_fma_f32 v36, v45, v41, -v34
	v_fmac_f32_e32 v36, v45, v42
	v_add_f32_e32 v44, v35, v32
	v_add_f32_e32 v32, v34, v36
	v_sub_f32_e32 v35, v33, v32
	v_pk_add_f32 v[38:39], v[32:33], v[34:35] neg_lo:[0,1] neg_hi:[0,1]
	v_mov_b32_e32 v37, v32
	v_pk_add_f32 v[32:33], v[38:39], v[36:37] neg_lo:[0,1] neg_hi:[0,1]
	v_cmp_eq_f32_e64 s[70:71], s3, v48
	v_add_f32_e32 v33, v44, v33
	v_add_f32_e32 v32, v32, v33
	;; [unrolled: 1-line block ×3, first 2 shown]
	v_mul_f32_e32 v44, v43, v33
	v_mul_f32_e32 v34, v41, v44
	v_fma_f32 v36, v44, v41, -v34
	v_fmac_f32_e32 v36, v44, v42
	v_sub_f32_e32 v35, v35, v33
	v_add_f32_e32 v41, v32, v35
	v_add_f32_e32 v32, v34, v36
	v_sub_f32_e32 v35, v33, v32
	v_pk_add_f32 v[38:39], v[32:33], v[34:35] neg_lo:[0,1] neg_hi:[0,1]
	v_mov_b32_e32 v37, v32
	v_pk_add_f32 v[32:33], v[38:39], v[36:37] neg_lo:[0,1] neg_hi:[0,1]
	v_cvt_f32_i32_e32 v34, v40
	v_add_f32_e32 v33, v41, v33
	v_add_f32_e32 v32, v32, v33
	;; [unrolled: 1-line block ×4, first 2 shown]
	v_sub_f32_e32 v33, v35, v45
	v_mul_f32_e32 v32, v43, v32
	v_sub_f32_e32 v33, v44, v33
	v_add_f32_e32 v32, v33, v32
	v_add_f32_e32 v36, v35, v32
	v_mul_f32_e32 v38, v36, v36
	v_mov_b32_e32 v33, 0x3ecc95a3
	v_sub_f32_e32 v35, v36, v35
	v_fmac_f32_e32 v33, 0x3e9b6dac, v38
	v_sub_f32_e32 v32, v32, v35
	v_fmaak_f32 v33, v38, v33, 0x3f2aaada
	v_ldexp_f32 v39, v32, 1
	v_mul_f32_e32 v35, v36, v38
	v_mov_b32_e32 v32, 0x3f317218
	v_pk_mul_f32 v[32:33], v[34:35], v[32:33]
	v_ldexp_f32 v37, v36, 1
	v_fma_f32 v35, v34, s2, -v32
	v_fmamk_f32 v36, v34, 0xb102e308, v35
	v_pk_add_f32 v[34:35], v[32:33], v[36:37]
	v_mov_b32_e32 v38, v32
	v_sub_f32_e32 v37, v35, v37
	v_sub_f32_e32 v37, v33, v37
	v_add_f32_e32 v39, v39, v37
	v_pk_add_f32 v[32:33], v[34:35], v[32:33] neg_lo:[0,1] neg_hi:[0,1]
	v_pk_add_f32 v[40:41], v[34:35], v[38:39]
	v_mov_b32_e32 v37, v34
	v_mov_b32_e32 v33, v41
	v_pk_add_f32 v[42:43], v[36:37], v[32:33] neg_lo:[0,1] neg_hi:[0,1]
	v_pk_add_f32 v[32:33], v[36:37], v[32:33]
	v_mov_b32_e32 v38, v39
	v_mov_b32_e32 v36, v33
	v_pk_add_f32 v[44:45], v[36:37], v[34:35] neg_lo:[0,1] neg_hi:[0,1]
	v_mov_b32_e32 v32, v41
	v_mov_b32_e32 v37, v44
	v_pk_add_f32 v[46:47], v[40:41], v[36:37] neg_lo:[0,1] neg_hi:[0,1]
	v_mov_b32_e32 v40, v35
	v_mov_b32_e32 v41, v44
	;; [unrolled: 1-line block ×3, first 2 shown]
	v_pk_add_f32 v[32:33], v[32:33], v[40:41] neg_lo:[0,1] neg_hi:[0,1]
	v_mov_b32_e32 v39, v34
	v_pk_add_f32 v[32:33], v[38:39], v[32:33] neg_lo:[0,1] neg_hi:[0,1]
	v_mov_b32_e32 v46, v42
	v_pk_add_f32 v[34:35], v[46:47], v[32:33]
	s_mov_b32 s2, 0x33800000
	v_mov_b32_e32 v38, v35
	v_pk_add_f32 v[38:39], v[34:35], v[38:39]
	v_cmp_lt_f32_e64 s[74:75], |v48|, s2
	v_pk_add_f32 v[36:37], v[36:37], v[38:39]
	v_mov_b32_e32 v33, v38
	v_mov_b32_e32 v35, v36
	v_pk_add_f32 v[40:41], v[34:35], v[42:43] neg_lo:[0,1] neg_hi:[0,1]
	s_or_b64 s[70:71], s[70:71], s[74:75]
	v_sub_f32_e32 v34, v34, v40
	v_pk_add_f32 v[32:33], v[32:33], v[40:41] neg_lo:[0,1] neg_hi:[0,1]
	v_sub_f32_e32 v34, v42, v34
	v_add_f32_e32 v32, v32, v34
	v_add_f32_e32 v32, v32, v33
	;; [unrolled: 1-line block ×3, first 2 shown]
	v_cndmask_b32_e64 v32, v32, v48, s[70:71]
	v_add_f32_e32 v33, v29, v32
.LBB489_70:
	s_or_b64 exec, exec, s[72:73]
	v_bfe_u32 v29, v33, 16, 1
	s_movk_i32 s76, 0x7fff
	v_add3_u32 v29, v33, v29, s76
	v_and_b32_e32 v29, 0xffff0000, v29
	v_mov_b32_e32 v32, 0x7fc00000
	v_cmp_o_f32_e64 s[70:71], v33, v33
	s_nop 1
	v_cndmask_b32_e64 v35, v32, v29, s[70:71]
	v_lshlrev_b32_e32 v29, 16, v12
	v_max_f32_e32 v34, v35, v35
	v_max_f32_e32 v33, v29, v29
	v_min_f32_e32 v36, v34, v33
	v_cmp_u_f32_e64 s[72:73], v35, v35
	v_max_f32_e32 v34, v34, v33
	v_cmp_u_f32_e64 s[70:71], v29, v29
	v_cndmask_b32_e64 v36, v36, v35, s[72:73]
	v_cndmask_b32_e64 v34, v34, v35, s[72:73]
	;; [unrolled: 1-line block ×4, first 2 shown]
	v_cmp_neq_f32_e64 s[72:73], v36, v34
	v_cmp_class_f32_e64 s[74:75], v36, s33
	s_or_b64 s[72:73], s[72:73], s[74:75]
	s_and_saveexec_b64 s[74:75], s[72:73]
	s_cbranch_execz .LBB489_72
; %bb.71:
	v_sub_f32_e32 v35, v36, v34
	s_mov_b32 s2, 0x3fb8aa3b
	v_mul_f32_e32 v36, 0x3fb8aa3b, v35
	v_fma_f32 v37, v35, s2, -v36
	v_rndne_f32_e32 v38, v36
	v_fmamk_f32 v37, v35, 0x32a5705f, v37
	v_sub_f32_e32 v36, v36, v38
	v_add_f32_e32 v36, v36, v37
	v_exp_f32_e32 v36, v36
	v_cvt_i32_f32_e32 v37, v38
	s_mov_b32 s2, 0xc2ce8ed0
	v_cmp_ngt_f32_e64 s[72:73], s2, v35
	s_mov_b32 s2, 0x42b17218
	v_ldexp_f32 v36, v36, v37
	v_cndmask_b32_e64 v36, 0, v36, s[72:73]
	v_mov_b32_e32 v37, 0x7f800000
	v_cmp_nlt_f32_e64 s[72:73], s2, v35
	s_mov_b32 s2, 0x3f2aaaab
	s_mov_b32 s3, 0x7f800000
	v_cndmask_b32_e64 v48, v37, v36, s[72:73]
	v_add_f32_e32 v35, 1.0, v48
	v_add_f32_e32 v36, -1.0, v35
	v_sub_f32_e32 v37, v36, v35
	v_add_f32_e32 v37, 1.0, v37
	v_sub_f32_e32 v36, v48, v36
	v_add_f32_e32 v38, v36, v37
	v_frexp_mant_f32_e32 v39, v35
	v_cvt_f64_f32_e32 v[36:37], v35
	v_frexp_exp_i32_f64_e32 v36, v[36:37]
	v_cmp_gt_f32_e64 s[72:73], s2, v39
	s_mov_b32 s2, 0x3f317218
	s_nop 0
	v_subbrev_co_u32_e64 v44, s[72:73], 0, v36, s[72:73]
	v_sub_u32_e32 v36, 0, v44
	v_ldexp_f32 v35, v35, v36
	v_ldexp_f32 v36, v38, v36
	v_add_f32_e32 v38, -1.0, v35
	v_add_f32_e32 v37, 1.0, v38
	v_sub_f32_e32 v37, v35, v37
	v_add_f32_e32 v39, v36, v37
	v_add_f32_e32 v37, 1.0, v35
	v_add_f32_e32 v40, -1.0, v37
	v_sub_f32_e32 v35, v35, v40
	v_add_f32_e32 v35, v36, v35
	v_add_f32_e32 v45, v37, v35
	v_rcp_f32_e32 v46, v45
	v_sub_f32_e32 v36, v37, v45
	v_add_f32_e32 v37, v38, v39
	v_add_f32_e32 v35, v35, v36
	v_mul_f32_e32 v53, v37, v46
	v_sub_f32_e32 v36, v38, v37
	v_mul_f32_e32 v38, v45, v53
	v_fma_f32 v40, v53, v45, -v38
	v_fmac_f32_e32 v40, v53, v35
	v_add_f32_e32 v47, v39, v36
	v_add_f32_e32 v36, v38, v40
	v_sub_f32_e32 v39, v37, v36
	v_pk_add_f32 v[42:43], v[36:37], v[38:39] neg_lo:[0,1] neg_hi:[0,1]
	v_mov_b32_e32 v41, v36
	v_pk_add_f32 v[36:37], v[42:43], v[40:41] neg_lo:[0,1] neg_hi:[0,1]
	v_cmp_eq_f32_e64 s[72:73], s3, v48
	v_add_f32_e32 v37, v47, v37
	v_add_f32_e32 v36, v36, v37
	;; [unrolled: 1-line block ×3, first 2 shown]
	v_mul_f32_e32 v47, v46, v37
	v_mul_f32_e32 v38, v45, v47
	v_fma_f32 v40, v47, v45, -v38
	v_fmac_f32_e32 v40, v47, v35
	v_sub_f32_e32 v35, v39, v37
	v_add_f32_e32 v35, v36, v35
	v_add_f32_e32 v36, v38, v40
	v_sub_f32_e32 v39, v37, v36
	v_pk_add_f32 v[42:43], v[36:37], v[38:39] neg_lo:[0,1] neg_hi:[0,1]
	v_mov_b32_e32 v41, v36
	v_pk_add_f32 v[36:37], v[42:43], v[40:41] neg_lo:[0,1] neg_hi:[0,1]
	v_cvt_f32_i32_e32 v38, v44
	v_add_f32_e32 v35, v35, v37
	v_add_f32_e32 v35, v36, v35
	;; [unrolled: 1-line block ×4, first 2 shown]
	v_sub_f32_e32 v37, v36, v53
	v_mul_f32_e32 v35, v46, v35
	v_sub_f32_e32 v37, v47, v37
	v_add_f32_e32 v35, v37, v35
	v_add_f32_e32 v39, v36, v35
	v_mul_f32_e32 v40, v39, v39
	v_mov_b32_e32 v37, 0x3ecc95a3
	v_fmac_f32_e32 v37, 0x3e9b6dac, v40
	v_sub_f32_e32 v36, v39, v36
	v_fmaak_f32 v37, v40, v37, 0x3f2aaada
	v_sub_f32_e32 v35, v35, v36
	v_ldexp_f32 v41, v39, 1
	v_mul_f32_e32 v39, v39, v40
	v_mov_b32_e32 v36, 0x3f317218
	v_pk_mul_f32 v[36:37], v[38:39], v[36:37]
	v_ldexp_f32 v35, v35, 1
	v_fma_f32 v39, v38, s2, -v36
	v_fmamk_f32 v40, v38, 0xb102e308, v39
	v_pk_add_f32 v[38:39], v[36:37], v[40:41]
	v_mov_b32_e32 v42, v36
	v_sub_f32_e32 v41, v39, v41
	v_sub_f32_e32 v41, v37, v41
	v_add_f32_e32 v43, v35, v41
	v_pk_add_f32 v[36:37], v[38:39], v[36:37] neg_lo:[0,1] neg_hi:[0,1]
	v_pk_add_f32 v[44:45], v[38:39], v[42:43]
	v_mov_b32_e32 v41, v38
	v_mov_b32_e32 v37, v45
	v_pk_add_f32 v[46:47], v[40:41], v[36:37] neg_lo:[0,1] neg_hi:[0,1]
	v_pk_add_f32 v[36:37], v[40:41], v[36:37]
	v_mov_b32_e32 v42, v43
	v_mov_b32_e32 v40, v37
	v_pk_add_f32 v[54:55], v[40:41], v[38:39] neg_lo:[0,1] neg_hi:[0,1]
	v_mov_b32_e32 v36, v45
	v_mov_b32_e32 v35, v54
	v_pk_add_f32 v[56:57], v[44:45], v[34:35] neg_lo:[0,1] neg_hi:[0,1]
	v_mov_b32_e32 v44, v39
	v_mov_b32_e32 v45, v54
	;; [unrolled: 1-line block ×3, first 2 shown]
	v_pk_add_f32 v[36:37], v[36:37], v[44:45] neg_lo:[0,1] neg_hi:[0,1]
	v_mov_b32_e32 v43, v38
	v_pk_add_f32 v[36:37], v[42:43], v[36:37] neg_lo:[0,1] neg_hi:[0,1]
	v_mov_b32_e32 v56, v46
	v_pk_add_f32 v[38:39], v[56:57], v[36:37]
	s_mov_b32 s2, 0x33800000
	v_mov_b32_e32 v42, v39
	v_pk_add_f32 v[42:43], v[38:39], v[42:43]
	v_cmp_lt_f32_e64 s[78:79], |v48|, s2
	v_pk_add_f32 v[40:41], v[40:41], v[42:43]
	v_mov_b32_e32 v37, v42
	v_mov_b32_e32 v39, v40
	v_pk_add_f32 v[44:45], v[38:39], v[46:47] neg_lo:[0,1] neg_hi:[0,1]
	s_or_b64 s[72:73], s[72:73], s[78:79]
	v_sub_f32_e32 v35, v38, v44
	v_pk_add_f32 v[36:37], v[36:37], v[44:45] neg_lo:[0,1] neg_hi:[0,1]
	v_sub_f32_e32 v35, v46, v35
	v_add_f32_e32 v35, v36, v35
	v_add_f32_e32 v35, v35, v37
	;; [unrolled: 1-line block ×3, first 2 shown]
	v_cndmask_b32_e64 v35, v35, v48, s[72:73]
	v_add_f32_e32 v35, v34, v35
.LBB489_72:
	s_or_b64 exec, exec, s[74:75]
	v_bfe_u32 v34, v35, 16, 1
	v_add3_u32 v34, v35, v34, s76
	v_and_b32_e32 v34, 0xffff0000, v34
	v_cmp_o_f32_e64 s[72:73], v35, v35
	v_and_b32_e32 v12, 0xffff0000, v12
	s_nop 0
	v_cndmask_b32_e64 v36, v32, v34, s[72:73]
	v_max_f32_e32 v32, v36, v36
	v_max_f32_e32 v34, v12, v12
	v_min_f32_e32 v35, v32, v34
	v_cmp_u_f32_e64 s[74:75], v36, v36
	v_max_f32_e32 v32, v32, v34
	v_cmp_u_f32_e64 s[72:73], v12, v12
	v_cndmask_b32_e64 v35, v35, v36, s[74:75]
	v_cndmask_b32_e64 v32, v32, v36, s[74:75]
	;; [unrolled: 1-line block ×4, first 2 shown]
	v_cmp_neq_f32_e64 s[74:75], v35, v32
	v_cmp_class_f32_e64 s[76:77], v35, s33
	s_or_b64 s[74:75], s[74:75], s[76:77]
	s_and_saveexec_b64 s[76:77], s[74:75]
	s_cbranch_execz .LBB489_74
; %bb.73:
	v_sub_f32_e32 v35, v35, v32
	s_mov_b32 s2, 0x3fb8aa3b
	v_mul_f32_e32 v36, 0x3fb8aa3b, v35
	v_fma_f32 v37, v35, s2, -v36
	v_rndne_f32_e32 v38, v36
	v_fmamk_f32 v37, v35, 0x32a5705f, v37
	v_sub_f32_e32 v36, v36, v38
	v_add_f32_e32 v36, v36, v37
	v_exp_f32_e32 v36, v36
	v_cvt_i32_f32_e32 v37, v38
	s_mov_b32 s2, 0xc2ce8ed0
	v_cmp_ngt_f32_e64 s[74:75], s2, v35
	s_mov_b32 s2, 0x42b17218
	v_ldexp_f32 v36, v36, v37
	v_cndmask_b32_e64 v36, 0, v36, s[74:75]
	v_mov_b32_e32 v37, 0x7f800000
	v_cmp_nlt_f32_e64 s[74:75], s2, v35
	s_mov_b32 s2, 0x3f2aaaab
	s_mov_b32 s3, 0x7f800000
	v_cndmask_b32_e64 v48, v37, v36, s[74:75]
	v_add_f32_e32 v35, 1.0, v48
	v_add_f32_e32 v36, -1.0, v35
	v_sub_f32_e32 v37, v36, v35
	v_add_f32_e32 v37, 1.0, v37
	v_sub_f32_e32 v36, v48, v36
	v_add_f32_e32 v38, v36, v37
	v_frexp_mant_f32_e32 v39, v35
	v_cvt_f64_f32_e32 v[36:37], v35
	v_frexp_exp_i32_f64_e32 v36, v[36:37]
	v_cmp_gt_f32_e64 s[74:75], s2, v39
	s_mov_b32 s2, 0x3f317218
	s_nop 0
	v_subbrev_co_u32_e64 v44, s[74:75], 0, v36, s[74:75]
	v_sub_u32_e32 v36, 0, v44
	v_ldexp_f32 v35, v35, v36
	v_ldexp_f32 v36, v38, v36
	v_add_f32_e32 v38, -1.0, v35
	v_add_f32_e32 v37, 1.0, v38
	v_sub_f32_e32 v37, v35, v37
	v_add_f32_e32 v39, v36, v37
	v_add_f32_e32 v37, 1.0, v35
	v_add_f32_e32 v40, -1.0, v37
	v_sub_f32_e32 v35, v35, v40
	v_add_f32_e32 v35, v36, v35
	v_add_f32_e32 v45, v37, v35
	v_rcp_f32_e32 v46, v45
	v_sub_f32_e32 v36, v37, v45
	v_add_f32_e32 v37, v38, v39
	v_add_f32_e32 v35, v35, v36
	v_mul_f32_e32 v53, v37, v46
	v_sub_f32_e32 v36, v38, v37
	v_mul_f32_e32 v38, v45, v53
	v_fma_f32 v40, v53, v45, -v38
	v_fmac_f32_e32 v40, v53, v35
	v_add_f32_e32 v47, v39, v36
	v_add_f32_e32 v36, v38, v40
	v_sub_f32_e32 v39, v37, v36
	v_pk_add_f32 v[42:43], v[36:37], v[38:39] neg_lo:[0,1] neg_hi:[0,1]
	v_mov_b32_e32 v41, v36
	v_pk_add_f32 v[36:37], v[42:43], v[40:41] neg_lo:[0,1] neg_hi:[0,1]
	v_cmp_eq_f32_e64 s[74:75], s3, v48
	v_add_f32_e32 v37, v47, v37
	v_add_f32_e32 v36, v36, v37
	;; [unrolled: 1-line block ×3, first 2 shown]
	v_mul_f32_e32 v47, v46, v37
	v_mul_f32_e32 v38, v45, v47
	v_fma_f32 v40, v47, v45, -v38
	v_fmac_f32_e32 v40, v47, v35
	v_sub_f32_e32 v35, v39, v37
	v_add_f32_e32 v35, v36, v35
	v_add_f32_e32 v36, v38, v40
	v_sub_f32_e32 v39, v37, v36
	v_pk_add_f32 v[42:43], v[36:37], v[38:39] neg_lo:[0,1] neg_hi:[0,1]
	v_mov_b32_e32 v41, v36
	v_pk_add_f32 v[36:37], v[42:43], v[40:41] neg_lo:[0,1] neg_hi:[0,1]
	v_cvt_f32_i32_e32 v38, v44
	v_add_f32_e32 v35, v35, v37
	v_add_f32_e32 v35, v36, v35
	;; [unrolled: 1-line block ×4, first 2 shown]
	v_sub_f32_e32 v37, v36, v53
	v_mul_f32_e32 v35, v46, v35
	v_sub_f32_e32 v37, v47, v37
	v_add_f32_e32 v35, v37, v35
	v_add_f32_e32 v39, v36, v35
	v_mul_f32_e32 v40, v39, v39
	v_mov_b32_e32 v37, 0x3ecc95a3
	v_fmac_f32_e32 v37, 0x3e9b6dac, v40
	v_sub_f32_e32 v36, v39, v36
	v_fmaak_f32 v37, v40, v37, 0x3f2aaada
	v_sub_f32_e32 v35, v35, v36
	v_ldexp_f32 v41, v39, 1
	v_mul_f32_e32 v39, v39, v40
	v_mov_b32_e32 v36, 0x3f317218
	v_pk_mul_f32 v[36:37], v[38:39], v[36:37]
	v_ldexp_f32 v35, v35, 1
	v_fma_f32 v39, v38, s2, -v36
	v_fmamk_f32 v40, v38, 0xb102e308, v39
	v_pk_add_f32 v[38:39], v[36:37], v[40:41]
	v_mov_b32_e32 v42, v36
	v_sub_f32_e32 v41, v39, v41
	v_sub_f32_e32 v41, v37, v41
	v_add_f32_e32 v43, v35, v41
	v_pk_add_f32 v[36:37], v[38:39], v[36:37] neg_lo:[0,1] neg_hi:[0,1]
	v_pk_add_f32 v[44:45], v[38:39], v[42:43]
	v_mov_b32_e32 v41, v38
	v_mov_b32_e32 v37, v45
	v_pk_add_f32 v[46:47], v[40:41], v[36:37] neg_lo:[0,1] neg_hi:[0,1]
	v_pk_add_f32 v[36:37], v[40:41], v[36:37]
	v_mov_b32_e32 v42, v43
	v_mov_b32_e32 v40, v37
	v_pk_add_f32 v[54:55], v[40:41], v[38:39] neg_lo:[0,1] neg_hi:[0,1]
	v_mov_b32_e32 v36, v45
	v_mov_b32_e32 v35, v54
	v_pk_add_f32 v[56:57], v[44:45], v[34:35] neg_lo:[0,1] neg_hi:[0,1]
	v_mov_b32_e32 v44, v39
	v_mov_b32_e32 v45, v54
	;; [unrolled: 1-line block ×3, first 2 shown]
	v_pk_add_f32 v[36:37], v[36:37], v[44:45] neg_lo:[0,1] neg_hi:[0,1]
	v_mov_b32_e32 v43, v38
	v_pk_add_f32 v[36:37], v[42:43], v[36:37] neg_lo:[0,1] neg_hi:[0,1]
	v_mov_b32_e32 v56, v46
	v_pk_add_f32 v[38:39], v[56:57], v[36:37]
	s_mov_b32 s2, 0x33800000
	v_mov_b32_e32 v42, v39
	v_pk_add_f32 v[42:43], v[38:39], v[42:43]
	v_cmp_lt_f32_e64 s[78:79], |v48|, s2
	v_pk_add_f32 v[40:41], v[40:41], v[42:43]
	v_mov_b32_e32 v37, v42
	v_mov_b32_e32 v39, v40
	v_pk_add_f32 v[44:45], v[38:39], v[46:47] neg_lo:[0,1] neg_hi:[0,1]
	s_or_b64 s[74:75], s[74:75], s[78:79]
	v_sub_f32_e32 v35, v38, v44
	v_pk_add_f32 v[36:37], v[36:37], v[44:45] neg_lo:[0,1] neg_hi:[0,1]
	v_sub_f32_e32 v35, v46, v35
	v_add_f32_e32 v35, v36, v35
	v_add_f32_e32 v35, v35, v37
	;; [unrolled: 1-line block ×3, first 2 shown]
	v_cndmask_b32_e64 v35, v35, v48, s[74:75]
	v_add_f32_e32 v36, v32, v35
.LBB489_74:
	s_or_b64 exec, exec, s[76:77]
	v_bfe_u32 v32, v36, 16, 1
	s_movk_i32 s80, 0x7fff
	v_add3_u32 v32, v36, v32, s80
	v_and_b32_e32 v32, 0xffff0000, v32
	v_mov_b32_e32 v35, 0x7fc00000
	v_cmp_o_f32_e64 s[74:75], v36, v36
	s_nop 1
	v_cndmask_b32_e64 v38, v35, v32, s[74:75]
	v_lshlrev_b32_e32 v32, 16, v13
	v_max_f32_e32 v37, v38, v38
	v_max_f32_e32 v36, v32, v32
	v_min_f32_e32 v39, v37, v36
	v_cmp_u_f32_e64 s[76:77], v38, v38
	v_max_f32_e32 v37, v37, v36
	v_cmp_u_f32_e64 s[74:75], v32, v32
	v_cndmask_b32_e64 v39, v39, v38, s[76:77]
	v_cndmask_b32_e64 v37, v37, v38, s[76:77]
	;; [unrolled: 1-line block ×4, first 2 shown]
	v_cmp_neq_f32_e64 s[76:77], v39, v37
	v_cmp_class_f32_e64 s[78:79], v39, s33
	s_or_b64 s[76:77], s[76:77], s[78:79]
	s_and_saveexec_b64 s[78:79], s[76:77]
	s_cbranch_execz .LBB489_76
; %bb.75:
	v_sub_f32_e32 v38, v39, v37
	s_mov_b32 s2, 0x3fb8aa3b
	v_mul_f32_e32 v39, 0x3fb8aa3b, v38
	v_fma_f32 v40, v38, s2, -v39
	v_rndne_f32_e32 v41, v39
	v_fmamk_f32 v40, v38, 0x32a5705f, v40
	v_sub_f32_e32 v39, v39, v41
	v_add_f32_e32 v39, v39, v40
	v_exp_f32_e32 v39, v39
	v_cvt_i32_f32_e32 v40, v41
	s_mov_b32 s2, 0xc2ce8ed0
	v_cmp_ngt_f32_e64 s[76:77], s2, v38
	s_mov_b32 s2, 0x42b17218
	v_ldexp_f32 v39, v39, v40
	v_cndmask_b32_e64 v39, 0, v39, s[76:77]
	v_mov_b32_e32 v40, 0x7f800000
	v_cmp_nlt_f32_e64 s[76:77], s2, v38
	s_mov_b32 s2, 0x3f2aaaab
	s_mov_b32 s3, 0x7f800000
	v_cndmask_b32_e64 v48, v40, v39, s[76:77]
	v_add_f32_e32 v40, 1.0, v48
	v_add_f32_e32 v38, -1.0, v40
	v_sub_f32_e32 v39, v38, v40
	v_add_f32_e32 v39, 1.0, v39
	v_sub_f32_e32 v38, v48, v38
	v_add_f32_e32 v41, v38, v39
	v_frexp_mant_f32_e32 v42, v40
	v_cvt_f64_f32_e32 v[38:39], v40
	v_frexp_exp_i32_f64_e32 v38, v[38:39]
	v_cmp_gt_f32_e64 s[76:77], s2, v42
	s_mov_b32 s2, 0x3f317218
	s_nop 0
	v_subbrev_co_u32_e64 v46, s[76:77], 0, v38, s[76:77]
	v_sub_u32_e32 v38, 0, v46
	v_ldexp_f32 v39, v40, v38
	v_add_f32_e32 v40, -1.0, v39
	v_add_f32_e32 v42, 1.0, v39
	v_ldexp_f32 v38, v41, v38
	v_add_f32_e32 v41, 1.0, v40
	v_add_f32_e32 v43, -1.0, v42
	v_sub_f32_e32 v41, v39, v41
	v_sub_f32_e32 v39, v39, v43
	v_add_f32_e32 v41, v38, v41
	v_add_f32_e32 v38, v38, v39
	v_add_f32_e32 v47, v42, v38
	v_rcp_f32_e32 v54, v47
	v_sub_f32_e32 v39, v42, v47
	v_add_f32_e32 v53, v38, v39
	v_add_f32_e32 v39, v40, v41
	v_mul_f32_e32 v56, v39, v54
	v_sub_f32_e32 v38, v40, v39
	v_mul_f32_e32 v40, v47, v56
	v_fma_f32 v42, v56, v47, -v40
	v_fmac_f32_e32 v42, v56, v53
	v_add_f32_e32 v55, v41, v38
	v_add_f32_e32 v38, v40, v42
	v_sub_f32_e32 v41, v39, v38
	v_pk_add_f32 v[44:45], v[38:39], v[40:41] neg_lo:[0,1] neg_hi:[0,1]
	v_mov_b32_e32 v43, v38
	v_pk_add_f32 v[38:39], v[44:45], v[42:43] neg_lo:[0,1] neg_hi:[0,1]
	v_cmp_eq_f32_e64 s[76:77], s3, v48
	v_add_f32_e32 v39, v55, v39
	v_add_f32_e32 v38, v38, v39
	;; [unrolled: 1-line block ×3, first 2 shown]
	v_mul_f32_e32 v55, v54, v39
	v_mul_f32_e32 v40, v47, v55
	v_fma_f32 v42, v55, v47, -v40
	v_fmac_f32_e32 v42, v55, v53
	v_sub_f32_e32 v41, v41, v39
	v_add_f32_e32 v47, v38, v41
	v_add_f32_e32 v38, v40, v42
	v_sub_f32_e32 v41, v39, v38
	v_pk_add_f32 v[44:45], v[38:39], v[40:41] neg_lo:[0,1] neg_hi:[0,1]
	v_mov_b32_e32 v43, v38
	v_pk_add_f32 v[38:39], v[44:45], v[42:43] neg_lo:[0,1] neg_hi:[0,1]
	v_cvt_f32_i32_e32 v40, v46
	v_add_f32_e32 v39, v47, v39
	v_add_f32_e32 v38, v38, v39
	v_add_f32_e32 v38, v41, v38
	v_add_f32_e32 v41, v56, v55
	v_sub_f32_e32 v39, v41, v56
	v_mul_f32_e32 v38, v54, v38
	v_sub_f32_e32 v39, v55, v39
	v_add_f32_e32 v38, v39, v38
	v_add_f32_e32 v42, v41, v38
	v_mul_f32_e32 v44, v42, v42
	v_mov_b32_e32 v39, 0x3ecc95a3
	v_sub_f32_e32 v41, v42, v41
	v_fmac_f32_e32 v39, 0x3e9b6dac, v44
	v_sub_f32_e32 v38, v38, v41
	v_fmaak_f32 v39, v44, v39, 0x3f2aaada
	v_ldexp_f32 v45, v38, 1
	v_mul_f32_e32 v41, v42, v44
	v_mov_b32_e32 v38, 0x3f317218
	v_pk_mul_f32 v[38:39], v[40:41], v[38:39]
	v_ldexp_f32 v43, v42, 1
	v_fma_f32 v41, v40, s2, -v38
	v_fmamk_f32 v42, v40, 0xb102e308, v41
	v_pk_add_f32 v[40:41], v[38:39], v[42:43]
	v_mov_b32_e32 v44, v38
	v_sub_f32_e32 v43, v41, v43
	v_sub_f32_e32 v43, v39, v43
	v_add_f32_e32 v45, v45, v43
	v_pk_add_f32 v[38:39], v[40:41], v[38:39] neg_lo:[0,1] neg_hi:[0,1]
	v_pk_add_f32 v[46:47], v[40:41], v[44:45]
	v_mov_b32_e32 v43, v40
	v_mov_b32_e32 v39, v47
	v_pk_add_f32 v[54:55], v[42:43], v[38:39] neg_lo:[0,1] neg_hi:[0,1]
	v_pk_add_f32 v[38:39], v[42:43], v[38:39]
	v_mov_b32_e32 v44, v45
	v_mov_b32_e32 v42, v39
	v_pk_add_f32 v[56:57], v[42:43], v[40:41] neg_lo:[0,1] neg_hi:[0,1]
	v_mov_b32_e32 v38, v47
	v_mov_b32_e32 v43, v56
	v_pk_add_f32 v[58:59], v[46:47], v[42:43] neg_lo:[0,1] neg_hi:[0,1]
	v_mov_b32_e32 v46, v41
	v_mov_b32_e32 v47, v56
	;; [unrolled: 1-line block ×3, first 2 shown]
	v_pk_add_f32 v[38:39], v[38:39], v[46:47] neg_lo:[0,1] neg_hi:[0,1]
	v_mov_b32_e32 v45, v40
	v_pk_add_f32 v[38:39], v[44:45], v[38:39] neg_lo:[0,1] neg_hi:[0,1]
	v_mov_b32_e32 v58, v54
	v_pk_add_f32 v[40:41], v[58:59], v[38:39]
	s_mov_b32 s2, 0x33800000
	v_mov_b32_e32 v44, v41
	v_pk_add_f32 v[44:45], v[40:41], v[44:45]
	v_cmp_lt_f32_e64 s[82:83], |v48|, s2
	v_pk_add_f32 v[42:43], v[42:43], v[44:45]
	v_mov_b32_e32 v39, v44
	v_mov_b32_e32 v41, v42
	v_pk_add_f32 v[46:47], v[40:41], v[54:55] neg_lo:[0,1] neg_hi:[0,1]
	s_or_b64 s[76:77], s[76:77], s[82:83]
	v_sub_f32_e32 v40, v40, v46
	v_pk_add_f32 v[38:39], v[38:39], v[46:47] neg_lo:[0,1] neg_hi:[0,1]
	v_sub_f32_e32 v40, v54, v40
	v_add_f32_e32 v38, v38, v40
	v_add_f32_e32 v38, v38, v39
	;; [unrolled: 1-line block ×3, first 2 shown]
	v_cndmask_b32_e64 v38, v38, v48, s[76:77]
	v_add_f32_e32 v38, v37, v38
.LBB489_76:
	s_or_b64 exec, exec, s[78:79]
	v_bfe_u32 v37, v38, 16, 1
	v_add3_u32 v37, v38, v37, s80
	v_and_b32_e32 v37, 0xffff0000, v37
	v_cmp_o_f32_e64 s[76:77], v38, v38
	v_and_b32_e32 v13, 0xffff0000, v13
	s_nop 0
	v_cndmask_b32_e64 v39, v35, v37, s[76:77]
	v_max_f32_e32 v35, v39, v39
	v_max_f32_e32 v37, v13, v13
	v_min_f32_e32 v38, v35, v37
	v_cmp_u_f32_e64 s[78:79], v39, v39
	v_max_f32_e32 v35, v35, v37
	v_cmp_u_f32_e64 s[76:77], v13, v13
	v_cndmask_b32_e64 v38, v38, v39, s[78:79]
	v_cndmask_b32_e64 v35, v35, v39, s[78:79]
	;; [unrolled: 1-line block ×4, first 2 shown]
	v_cmp_neq_f32_e64 s[78:79], v38, v35
	v_cmp_class_f32_e64 s[80:81], v38, s33
	s_or_b64 s[78:79], s[78:79], s[80:81]
	s_and_saveexec_b64 s[80:81], s[78:79]
	s_cbranch_execz .LBB489_78
; %bb.77:
	v_sub_f32_e32 v38, v38, v35
	s_mov_b32 s2, 0x3fb8aa3b
	v_mul_f32_e32 v39, 0x3fb8aa3b, v38
	v_fma_f32 v40, v38, s2, -v39
	v_rndne_f32_e32 v41, v39
	v_fmamk_f32 v40, v38, 0x32a5705f, v40
	v_sub_f32_e32 v39, v39, v41
	v_add_f32_e32 v39, v39, v40
	v_exp_f32_e32 v39, v39
	v_cvt_i32_f32_e32 v40, v41
	s_mov_b32 s2, 0xc2ce8ed0
	v_cmp_ngt_f32_e64 s[78:79], s2, v38
	s_mov_b32 s2, 0x42b17218
	v_ldexp_f32 v39, v39, v40
	v_cndmask_b32_e64 v39, 0, v39, s[78:79]
	v_mov_b32_e32 v40, 0x7f800000
	v_cmp_nlt_f32_e64 s[78:79], s2, v38
	s_mov_b32 s2, 0x3f2aaaab
	s_mov_b32 s3, 0x7f800000
	v_cndmask_b32_e64 v48, v40, v39, s[78:79]
	v_add_f32_e32 v40, 1.0, v48
	v_add_f32_e32 v38, -1.0, v40
	v_sub_f32_e32 v39, v38, v40
	v_add_f32_e32 v39, 1.0, v39
	v_sub_f32_e32 v38, v48, v38
	v_add_f32_e32 v41, v38, v39
	v_frexp_mant_f32_e32 v42, v40
	v_cvt_f64_f32_e32 v[38:39], v40
	v_frexp_exp_i32_f64_e32 v38, v[38:39]
	v_cmp_gt_f32_e64 s[78:79], s2, v42
	s_mov_b32 s2, 0x3f317218
	s_nop 0
	v_subbrev_co_u32_e64 v46, s[78:79], 0, v38, s[78:79]
	v_sub_u32_e32 v38, 0, v46
	v_ldexp_f32 v39, v40, v38
	v_add_f32_e32 v40, -1.0, v39
	v_add_f32_e32 v42, 1.0, v39
	v_ldexp_f32 v38, v41, v38
	v_add_f32_e32 v41, 1.0, v40
	v_add_f32_e32 v43, -1.0, v42
	v_sub_f32_e32 v41, v39, v41
	v_sub_f32_e32 v39, v39, v43
	v_add_f32_e32 v41, v38, v41
	v_add_f32_e32 v38, v38, v39
	;; [unrolled: 1-line block ×3, first 2 shown]
	v_rcp_f32_e32 v54, v47
	v_sub_f32_e32 v39, v42, v47
	v_add_f32_e32 v53, v38, v39
	v_add_f32_e32 v39, v40, v41
	v_mul_f32_e32 v56, v39, v54
	v_sub_f32_e32 v38, v40, v39
	v_mul_f32_e32 v40, v47, v56
	v_fma_f32 v42, v56, v47, -v40
	v_fmac_f32_e32 v42, v56, v53
	v_add_f32_e32 v55, v41, v38
	v_add_f32_e32 v38, v40, v42
	v_sub_f32_e32 v41, v39, v38
	v_pk_add_f32 v[44:45], v[38:39], v[40:41] neg_lo:[0,1] neg_hi:[0,1]
	v_mov_b32_e32 v43, v38
	v_pk_add_f32 v[38:39], v[44:45], v[42:43] neg_lo:[0,1] neg_hi:[0,1]
	v_cmp_eq_f32_e64 s[78:79], s3, v48
	v_add_f32_e32 v39, v55, v39
	v_add_f32_e32 v38, v38, v39
	;; [unrolled: 1-line block ×3, first 2 shown]
	v_mul_f32_e32 v55, v54, v39
	v_mul_f32_e32 v40, v47, v55
	v_fma_f32 v42, v55, v47, -v40
	v_fmac_f32_e32 v42, v55, v53
	v_sub_f32_e32 v41, v41, v39
	v_add_f32_e32 v47, v38, v41
	v_add_f32_e32 v38, v40, v42
	v_sub_f32_e32 v41, v39, v38
	v_pk_add_f32 v[44:45], v[38:39], v[40:41] neg_lo:[0,1] neg_hi:[0,1]
	v_mov_b32_e32 v43, v38
	v_pk_add_f32 v[38:39], v[44:45], v[42:43] neg_lo:[0,1] neg_hi:[0,1]
	v_cvt_f32_i32_e32 v40, v46
	v_add_f32_e32 v39, v47, v39
	v_add_f32_e32 v38, v38, v39
	;; [unrolled: 1-line block ×4, first 2 shown]
	v_sub_f32_e32 v39, v41, v56
	v_mul_f32_e32 v38, v54, v38
	v_sub_f32_e32 v39, v55, v39
	v_add_f32_e32 v38, v39, v38
	v_add_f32_e32 v42, v41, v38
	v_mul_f32_e32 v44, v42, v42
	v_mov_b32_e32 v39, 0x3ecc95a3
	v_sub_f32_e32 v41, v42, v41
	v_fmac_f32_e32 v39, 0x3e9b6dac, v44
	v_sub_f32_e32 v38, v38, v41
	v_fmaak_f32 v39, v44, v39, 0x3f2aaada
	v_ldexp_f32 v45, v38, 1
	v_mul_f32_e32 v41, v42, v44
	v_mov_b32_e32 v38, 0x3f317218
	v_pk_mul_f32 v[38:39], v[40:41], v[38:39]
	v_ldexp_f32 v43, v42, 1
	v_fma_f32 v41, v40, s2, -v38
	v_fmamk_f32 v42, v40, 0xb102e308, v41
	v_pk_add_f32 v[40:41], v[38:39], v[42:43]
	v_mov_b32_e32 v44, v38
	v_sub_f32_e32 v43, v41, v43
	v_sub_f32_e32 v43, v39, v43
	v_add_f32_e32 v45, v45, v43
	v_pk_add_f32 v[38:39], v[40:41], v[38:39] neg_lo:[0,1] neg_hi:[0,1]
	v_pk_add_f32 v[46:47], v[40:41], v[44:45]
	v_mov_b32_e32 v43, v40
	v_mov_b32_e32 v39, v47
	v_pk_add_f32 v[54:55], v[42:43], v[38:39] neg_lo:[0,1] neg_hi:[0,1]
	v_pk_add_f32 v[38:39], v[42:43], v[38:39]
	v_mov_b32_e32 v44, v45
	v_mov_b32_e32 v42, v39
	v_pk_add_f32 v[56:57], v[42:43], v[40:41] neg_lo:[0,1] neg_hi:[0,1]
	v_mov_b32_e32 v38, v47
	v_mov_b32_e32 v43, v56
	v_pk_add_f32 v[58:59], v[46:47], v[42:43] neg_lo:[0,1] neg_hi:[0,1]
	v_mov_b32_e32 v46, v41
	v_mov_b32_e32 v47, v56
	;; [unrolled: 1-line block ×3, first 2 shown]
	v_pk_add_f32 v[38:39], v[38:39], v[46:47] neg_lo:[0,1] neg_hi:[0,1]
	v_mov_b32_e32 v45, v40
	v_pk_add_f32 v[38:39], v[44:45], v[38:39] neg_lo:[0,1] neg_hi:[0,1]
	v_mov_b32_e32 v58, v54
	v_pk_add_f32 v[40:41], v[58:59], v[38:39]
	s_mov_b32 s2, 0x33800000
	v_mov_b32_e32 v44, v41
	v_pk_add_f32 v[44:45], v[40:41], v[44:45]
	v_cmp_lt_f32_e64 s[82:83], |v48|, s2
	v_pk_add_f32 v[42:43], v[42:43], v[44:45]
	v_mov_b32_e32 v39, v44
	v_mov_b32_e32 v41, v42
	v_pk_add_f32 v[46:47], v[40:41], v[54:55] neg_lo:[0,1] neg_hi:[0,1]
	s_or_b64 s[78:79], s[78:79], s[82:83]
	v_sub_f32_e32 v40, v40, v46
	v_pk_add_f32 v[38:39], v[38:39], v[46:47] neg_lo:[0,1] neg_hi:[0,1]
	v_sub_f32_e32 v40, v54, v40
	v_add_f32_e32 v38, v38, v40
	v_add_f32_e32 v38, v38, v39
	;; [unrolled: 1-line block ×3, first 2 shown]
	v_cndmask_b32_e64 v38, v38, v48, s[78:79]
	v_add_f32_e32 v39, v35, v38
.LBB489_78:
	s_or_b64 exec, exec, s[80:81]
	v_bfe_u32 v35, v39, 16, 1
	s_movk_i32 s84, 0x7fff
	v_add3_u32 v35, v39, v35, s84
	v_and_b32_e32 v35, 0xffff0000, v35
	v_mov_b32_e32 v38, 0x7fc00000
	v_cmp_o_f32_e64 s[78:79], v39, v39
	s_nop 1
	v_cndmask_b32_e64 v41, v38, v35, s[78:79]
	v_lshlrev_b32_e32 v35, 16, v6
	v_max_f32_e32 v40, v41, v41
	v_max_f32_e32 v39, v35, v35
	v_min_f32_e32 v42, v40, v39
	v_cmp_u_f32_e64 s[80:81], v41, v41
	v_max_f32_e32 v40, v40, v39
	v_cmp_u_f32_e64 s[78:79], v35, v35
	v_cndmask_b32_e64 v42, v42, v41, s[80:81]
	v_cndmask_b32_e64 v40, v40, v41, s[80:81]
	;; [unrolled: 1-line block ×4, first 2 shown]
	v_cmp_neq_f32_e64 s[80:81], v42, v40
	v_cmp_class_f32_e64 s[82:83], v42, s33
	s_or_b64 s[80:81], s[80:81], s[82:83]
	s_and_saveexec_b64 s[82:83], s[80:81]
	s_cbranch_execz .LBB489_80
; %bb.79:
	v_sub_f32_e32 v41, v42, v40
	s_mov_b32 s2, 0x3fb8aa3b
	v_mul_f32_e32 v42, 0x3fb8aa3b, v41
	v_fma_f32 v43, v41, s2, -v42
	v_rndne_f32_e32 v44, v42
	v_fmamk_f32 v43, v41, 0x32a5705f, v43
	v_sub_f32_e32 v42, v42, v44
	v_add_f32_e32 v42, v42, v43
	v_exp_f32_e32 v42, v42
	v_cvt_i32_f32_e32 v43, v44
	s_mov_b32 s2, 0xc2ce8ed0
	v_cmp_ngt_f32_e64 s[80:81], s2, v41
	s_mov_b32 s2, 0x42b17218
	v_ldexp_f32 v42, v42, v43
	v_cndmask_b32_e64 v42, 0, v42, s[80:81]
	v_mov_b32_e32 v43, 0x7f800000
	v_cmp_nlt_f32_e64 s[80:81], s2, v41
	s_mov_b32 s2, 0x3f2aaaab
	s_mov_b32 s3, 0x7f800000
	v_cndmask_b32_e64 v53, v43, v42, s[80:81]
	v_add_f32_e32 v41, 1.0, v53
	v_add_f32_e32 v42, -1.0, v41
	v_sub_f32_e32 v43, v42, v41
	v_add_f32_e32 v43, 1.0, v43
	v_sub_f32_e32 v42, v53, v42
	v_add_f32_e32 v44, v42, v43
	v_frexp_mant_f32_e32 v45, v41
	v_cvt_f64_f32_e32 v[42:43], v41
	v_frexp_exp_i32_f64_e32 v42, v[42:43]
	v_cmp_gt_f32_e64 s[80:81], s2, v45
	s_mov_b32 s2, 0x3f317218
	s_nop 0
	v_subbrev_co_u32_e64 v48, s[80:81], 0, v42, s[80:81]
	v_sub_u32_e32 v42, 0, v48
	v_ldexp_f32 v41, v41, v42
	v_ldexp_f32 v42, v44, v42
	v_add_f32_e32 v44, -1.0, v41
	v_add_f32_e32 v43, 1.0, v44
	v_sub_f32_e32 v43, v41, v43
	v_add_f32_e32 v45, v42, v43
	v_add_f32_e32 v43, 1.0, v41
	v_add_f32_e32 v46, -1.0, v43
	v_sub_f32_e32 v41, v41, v46
	v_add_f32_e32 v41, v42, v41
	v_add_f32_e32 v56, v43, v41
	v_rcp_f32_e32 v57, v56
	v_sub_f32_e32 v42, v43, v56
	v_add_f32_e32 v43, v44, v45
	v_add_f32_e32 v41, v41, v42
	v_mul_f32_e32 v59, v43, v57
	v_sub_f32_e32 v42, v44, v43
	v_mul_f32_e32 v44, v56, v59
	v_fma_f32 v46, v59, v56, -v44
	v_fmac_f32_e32 v46, v59, v41
	v_add_f32_e32 v58, v45, v42
	v_add_f32_e32 v42, v44, v46
	v_sub_f32_e32 v45, v43, v42
	v_pk_add_f32 v[54:55], v[42:43], v[44:45] neg_lo:[0,1] neg_hi:[0,1]
	v_mov_b32_e32 v47, v42
	v_pk_add_f32 v[42:43], v[54:55], v[46:47] neg_lo:[0,1] neg_hi:[0,1]
	v_cmp_eq_f32_e64 s[80:81], s3, v53
	v_add_f32_e32 v43, v58, v43
	v_add_f32_e32 v42, v42, v43
	;; [unrolled: 1-line block ×3, first 2 shown]
	v_mul_f32_e32 v58, v57, v43
	v_mul_f32_e32 v44, v56, v58
	v_fma_f32 v46, v58, v56, -v44
	v_fmac_f32_e32 v46, v58, v41
	v_sub_f32_e32 v41, v45, v43
	v_add_f32_e32 v41, v42, v41
	v_add_f32_e32 v42, v44, v46
	v_sub_f32_e32 v45, v43, v42
	v_pk_add_f32 v[54:55], v[42:43], v[44:45] neg_lo:[0,1] neg_hi:[0,1]
	v_mov_b32_e32 v47, v42
	v_pk_add_f32 v[42:43], v[54:55], v[46:47] neg_lo:[0,1] neg_hi:[0,1]
	v_cvt_f32_i32_e32 v44, v48
	v_add_f32_e32 v41, v41, v43
	v_add_f32_e32 v41, v42, v41
	;; [unrolled: 1-line block ×4, first 2 shown]
	v_sub_f32_e32 v43, v42, v59
	v_mul_f32_e32 v41, v57, v41
	v_sub_f32_e32 v43, v58, v43
	v_add_f32_e32 v41, v43, v41
	v_add_f32_e32 v45, v42, v41
	v_mul_f32_e32 v46, v45, v45
	v_mov_b32_e32 v43, 0x3ecc95a3
	v_fmac_f32_e32 v43, 0x3e9b6dac, v46
	v_sub_f32_e32 v42, v45, v42
	v_fmaak_f32 v43, v46, v43, 0x3f2aaada
	v_sub_f32_e32 v41, v41, v42
	v_ldexp_f32 v47, v45, 1
	v_mul_f32_e32 v45, v45, v46
	v_mov_b32_e32 v42, 0x3f317218
	v_pk_mul_f32 v[42:43], v[44:45], v[42:43]
	v_ldexp_f32 v41, v41, 1
	v_fma_f32 v45, v44, s2, -v42
	v_fmamk_f32 v46, v44, 0xb102e308, v45
	v_pk_add_f32 v[44:45], v[42:43], v[46:47]
	v_mov_b32_e32 v54, v42
	v_sub_f32_e32 v47, v45, v47
	v_sub_f32_e32 v47, v43, v47
	v_add_f32_e32 v55, v41, v47
	v_pk_add_f32 v[42:43], v[44:45], v[42:43] neg_lo:[0,1] neg_hi:[0,1]
	v_pk_add_f32 v[56:57], v[44:45], v[54:55]
	v_mov_b32_e32 v47, v44
	v_mov_b32_e32 v43, v57
	v_pk_add_f32 v[58:59], v[46:47], v[42:43] neg_lo:[0,1] neg_hi:[0,1]
	v_pk_add_f32 v[42:43], v[46:47], v[42:43]
	v_mov_b32_e32 v54, v55
	v_mov_b32_e32 v46, v43
	v_pk_add_f32 v[60:61], v[46:47], v[44:45] neg_lo:[0,1] neg_hi:[0,1]
	v_mov_b32_e32 v42, v57
	v_mov_b32_e32 v41, v60
	v_pk_add_f32 v[62:63], v[56:57], v[40:41] neg_lo:[0,1] neg_hi:[0,1]
	v_mov_b32_e32 v56, v45
	v_mov_b32_e32 v57, v60
	;; [unrolled: 1-line block ×3, first 2 shown]
	v_pk_add_f32 v[42:43], v[42:43], v[56:57] neg_lo:[0,1] neg_hi:[0,1]
	v_mov_b32_e32 v55, v44
	v_pk_add_f32 v[42:43], v[54:55], v[42:43] neg_lo:[0,1] neg_hi:[0,1]
	v_mov_b32_e32 v62, v58
	v_pk_add_f32 v[44:45], v[62:63], v[42:43]
	s_mov_b32 s2, 0x33800000
	v_mov_b32_e32 v48, v45
	v_pk_add_f32 v[54:55], v[44:45], v[48:49]
	v_cmp_lt_f32_e64 s[86:87], |v53|, s2
	v_pk_add_f32 v[46:47], v[46:47], v[54:55]
	v_mov_b32_e32 v43, v54
	v_mov_b32_e32 v45, v46
	v_pk_add_f32 v[56:57], v[44:45], v[58:59] neg_lo:[0,1] neg_hi:[0,1]
	s_or_b64 s[80:81], s[80:81], s[86:87]
	v_sub_f32_e32 v41, v44, v56
	v_pk_add_f32 v[42:43], v[42:43], v[56:57] neg_lo:[0,1] neg_hi:[0,1]
	v_sub_f32_e32 v41, v58, v41
	v_add_f32_e32 v41, v42, v41
	v_add_f32_e32 v41, v41, v43
	;; [unrolled: 1-line block ×3, first 2 shown]
	v_cndmask_b32_e64 v41, v41, v53, s[80:81]
	v_add_f32_e32 v41, v40, v41
.LBB489_80:
	s_or_b64 exec, exec, s[82:83]
	v_bfe_u32 v40, v41, 16, 1
	v_add3_u32 v40, v41, v40, s84
	v_and_b32_e32 v40, 0xffff0000, v40
	v_cmp_o_f32_e64 s[80:81], v41, v41
	v_and_b32_e32 v6, 0xffff0000, v6
	s_nop 0
	v_cndmask_b32_e64 v42, v38, v40, s[80:81]
	v_max_f32_e32 v38, v42, v42
	v_max_f32_e32 v40, v6, v6
	v_min_f32_e32 v41, v38, v40
	v_cmp_u_f32_e64 s[82:83], v42, v42
	v_max_f32_e32 v38, v38, v40
	v_cmp_u_f32_e64 s[80:81], v6, v6
	v_cndmask_b32_e64 v41, v41, v42, s[82:83]
	v_cndmask_b32_e64 v38, v38, v42, s[82:83]
	;; [unrolled: 1-line block ×4, first 2 shown]
	v_cmp_neq_f32_e64 s[82:83], v41, v38
	v_cmp_class_f32_e64 s[84:85], v41, s33
	s_or_b64 s[82:83], s[82:83], s[84:85]
	s_and_saveexec_b64 s[84:85], s[82:83]
	s_cbranch_execz .LBB489_82
; %bb.81:
	v_sub_f32_e32 v41, v41, v38
	s_mov_b32 s2, 0x3fb8aa3b
	v_mul_f32_e32 v42, 0x3fb8aa3b, v41
	v_fma_f32 v43, v41, s2, -v42
	v_rndne_f32_e32 v44, v42
	v_fmamk_f32 v43, v41, 0x32a5705f, v43
	v_sub_f32_e32 v42, v42, v44
	v_add_f32_e32 v42, v42, v43
	v_exp_f32_e32 v42, v42
	v_cvt_i32_f32_e32 v43, v44
	s_mov_b32 s2, 0xc2ce8ed0
	v_cmp_ngt_f32_e64 s[82:83], s2, v41
	s_mov_b32 s2, 0x42b17218
	v_ldexp_f32 v42, v42, v43
	v_cndmask_b32_e64 v42, 0, v42, s[82:83]
	v_mov_b32_e32 v43, 0x7f800000
	v_cmp_nlt_f32_e64 s[82:83], s2, v41
	s_mov_b32 s2, 0x3f2aaaab
	s_mov_b32 s3, 0x7f800000
	v_cndmask_b32_e64 v53, v43, v42, s[82:83]
	v_add_f32_e32 v41, 1.0, v53
	v_add_f32_e32 v42, -1.0, v41
	v_sub_f32_e32 v43, v42, v41
	v_add_f32_e32 v43, 1.0, v43
	v_sub_f32_e32 v42, v53, v42
	v_add_f32_e32 v44, v42, v43
	v_frexp_mant_f32_e32 v45, v41
	v_cvt_f64_f32_e32 v[42:43], v41
	v_frexp_exp_i32_f64_e32 v42, v[42:43]
	v_cmp_gt_f32_e64 s[82:83], s2, v45
	s_mov_b32 s2, 0x3f317218
	s_nop 0
	v_subbrev_co_u32_e64 v48, s[82:83], 0, v42, s[82:83]
	v_sub_u32_e32 v42, 0, v48
	v_ldexp_f32 v41, v41, v42
	v_ldexp_f32 v42, v44, v42
	v_add_f32_e32 v44, -1.0, v41
	v_add_f32_e32 v43, 1.0, v44
	v_sub_f32_e32 v43, v41, v43
	v_add_f32_e32 v45, v42, v43
	v_add_f32_e32 v43, 1.0, v41
	v_add_f32_e32 v46, -1.0, v43
	v_sub_f32_e32 v41, v41, v46
	v_add_f32_e32 v41, v42, v41
	v_add_f32_e32 v56, v43, v41
	v_rcp_f32_e32 v57, v56
	v_sub_f32_e32 v42, v43, v56
	v_add_f32_e32 v43, v44, v45
	v_add_f32_e32 v41, v41, v42
	v_mul_f32_e32 v59, v43, v57
	v_sub_f32_e32 v42, v44, v43
	v_mul_f32_e32 v44, v56, v59
	v_fma_f32 v46, v59, v56, -v44
	v_fmac_f32_e32 v46, v59, v41
	v_add_f32_e32 v58, v45, v42
	v_add_f32_e32 v42, v44, v46
	v_sub_f32_e32 v45, v43, v42
	v_pk_add_f32 v[54:55], v[42:43], v[44:45] neg_lo:[0,1] neg_hi:[0,1]
	v_mov_b32_e32 v47, v42
	v_pk_add_f32 v[42:43], v[54:55], v[46:47] neg_lo:[0,1] neg_hi:[0,1]
	v_cmp_eq_f32_e64 s[82:83], s3, v53
	v_add_f32_e32 v43, v58, v43
	v_add_f32_e32 v42, v42, v43
	v_add_f32_e32 v43, v45, v42
	v_mul_f32_e32 v58, v57, v43
	v_mul_f32_e32 v44, v56, v58
	v_fma_f32 v46, v58, v56, -v44
	v_fmac_f32_e32 v46, v58, v41
	v_sub_f32_e32 v41, v45, v43
	v_add_f32_e32 v41, v42, v41
	v_add_f32_e32 v42, v44, v46
	v_sub_f32_e32 v45, v43, v42
	v_pk_add_f32 v[54:55], v[42:43], v[44:45] neg_lo:[0,1] neg_hi:[0,1]
	v_mov_b32_e32 v47, v42
	v_pk_add_f32 v[42:43], v[54:55], v[46:47] neg_lo:[0,1] neg_hi:[0,1]
	v_cvt_f32_i32_e32 v44, v48
	v_add_f32_e32 v41, v41, v43
	v_add_f32_e32 v41, v42, v41
	;; [unrolled: 1-line block ×4, first 2 shown]
	v_sub_f32_e32 v43, v42, v59
	v_mul_f32_e32 v41, v57, v41
	v_sub_f32_e32 v43, v58, v43
	v_add_f32_e32 v41, v43, v41
	v_add_f32_e32 v45, v42, v41
	v_mul_f32_e32 v46, v45, v45
	v_mov_b32_e32 v43, 0x3ecc95a3
	v_fmac_f32_e32 v43, 0x3e9b6dac, v46
	v_sub_f32_e32 v42, v45, v42
	v_fmaak_f32 v43, v46, v43, 0x3f2aaada
	v_sub_f32_e32 v41, v41, v42
	v_ldexp_f32 v47, v45, 1
	v_mul_f32_e32 v45, v45, v46
	v_mov_b32_e32 v42, 0x3f317218
	v_pk_mul_f32 v[42:43], v[44:45], v[42:43]
	v_ldexp_f32 v41, v41, 1
	v_fma_f32 v45, v44, s2, -v42
	v_fmamk_f32 v46, v44, 0xb102e308, v45
	v_pk_add_f32 v[44:45], v[42:43], v[46:47]
	v_mov_b32_e32 v54, v42
	v_sub_f32_e32 v47, v45, v47
	v_sub_f32_e32 v47, v43, v47
	v_add_f32_e32 v55, v41, v47
	v_pk_add_f32 v[42:43], v[44:45], v[42:43] neg_lo:[0,1] neg_hi:[0,1]
	v_pk_add_f32 v[56:57], v[44:45], v[54:55]
	v_mov_b32_e32 v47, v44
	v_mov_b32_e32 v43, v57
	v_pk_add_f32 v[58:59], v[46:47], v[42:43] neg_lo:[0,1] neg_hi:[0,1]
	v_pk_add_f32 v[42:43], v[46:47], v[42:43]
	v_mov_b32_e32 v54, v55
	v_mov_b32_e32 v46, v43
	v_pk_add_f32 v[60:61], v[46:47], v[44:45] neg_lo:[0,1] neg_hi:[0,1]
	v_mov_b32_e32 v42, v57
	v_mov_b32_e32 v41, v60
	v_pk_add_f32 v[62:63], v[56:57], v[40:41] neg_lo:[0,1] neg_hi:[0,1]
	v_mov_b32_e32 v56, v45
	v_mov_b32_e32 v57, v60
	v_mov_b32_e32 v59, v43
	v_pk_add_f32 v[42:43], v[42:43], v[56:57] neg_lo:[0,1] neg_hi:[0,1]
	v_mov_b32_e32 v55, v44
	v_pk_add_f32 v[42:43], v[54:55], v[42:43] neg_lo:[0,1] neg_hi:[0,1]
	v_mov_b32_e32 v62, v58
	v_pk_add_f32 v[44:45], v[62:63], v[42:43]
	s_mov_b32 s2, 0x33800000
	v_mov_b32_e32 v48, v45
	v_pk_add_f32 v[54:55], v[44:45], v[48:49]
	v_cmp_lt_f32_e64 s[86:87], |v53|, s2
	v_pk_add_f32 v[46:47], v[46:47], v[54:55]
	v_mov_b32_e32 v43, v54
	v_mov_b32_e32 v45, v46
	v_pk_add_f32 v[56:57], v[44:45], v[58:59] neg_lo:[0,1] neg_hi:[0,1]
	s_or_b64 s[82:83], s[82:83], s[86:87]
	v_sub_f32_e32 v41, v44, v56
	v_pk_add_f32 v[42:43], v[42:43], v[56:57] neg_lo:[0,1] neg_hi:[0,1]
	v_sub_f32_e32 v41, v58, v41
	v_add_f32_e32 v41, v42, v41
	v_add_f32_e32 v41, v41, v43
	v_add_f32_e32 v41, v46, v41
	v_cndmask_b32_e64 v41, v41, v53, s[82:83]
	v_add_f32_e32 v42, v38, v41
.LBB489_82:
	s_or_b64 exec, exec, s[84:85]
	v_bfe_u32 v38, v42, 16, 1
	s_movk_i32 s88, 0x7fff
	v_add3_u32 v38, v42, v38, s88
	v_and_b32_e32 v38, 0xffff0000, v38
	v_mov_b32_e32 v41, 0x7fc00000
	v_cmp_o_f32_e64 s[82:83], v42, v42
	s_nop 1
	v_cndmask_b32_e64 v44, v41, v38, s[82:83]
	v_lshlrev_b32_e32 v38, 16, v7
	v_max_f32_e32 v43, v44, v44
	v_max_f32_e32 v42, v38, v38
	v_min_f32_e32 v45, v43, v42
	v_cmp_u_f32_e64 s[84:85], v44, v44
	v_max_f32_e32 v43, v43, v42
	v_cmp_u_f32_e64 s[82:83], v38, v38
	v_cndmask_b32_e64 v45, v45, v44, s[84:85]
	v_cndmask_b32_e64 v43, v43, v44, s[84:85]
	;; [unrolled: 1-line block ×4, first 2 shown]
	v_cmp_neq_f32_e64 s[84:85], v45, v43
	v_cmp_class_f32_e64 s[86:87], v45, s33
	s_or_b64 s[84:85], s[84:85], s[86:87]
	s_and_saveexec_b64 s[86:87], s[84:85]
	s_cbranch_execz .LBB489_84
; %bb.83:
	v_sub_f32_e32 v44, v45, v43
	s_mov_b32 s2, 0x3fb8aa3b
	v_mul_f32_e32 v45, 0x3fb8aa3b, v44
	v_fma_f32 v46, v44, s2, -v45
	v_rndne_f32_e32 v47, v45
	v_fmamk_f32 v46, v44, 0x32a5705f, v46
	v_sub_f32_e32 v45, v45, v47
	v_add_f32_e32 v45, v45, v46
	v_exp_f32_e32 v45, v45
	v_cvt_i32_f32_e32 v46, v47
	s_mov_b32 s2, 0xc2ce8ed0
	v_cmp_ngt_f32_e64 s[84:85], s2, v44
	s_mov_b32 s2, 0x42b17218
	v_ldexp_f32 v45, v45, v46
	v_cndmask_b32_e64 v45, 0, v45, s[84:85]
	v_mov_b32_e32 v46, 0x7f800000
	v_cmp_nlt_f32_e64 s[84:85], s2, v44
	s_mov_b32 s2, 0x3f2aaaab
	s_mov_b32 s3, 0x7f800000
	v_cndmask_b32_e64 v64, v46, v45, s[84:85]
	v_add_f32_e32 v46, 1.0, v64
	v_add_f32_e32 v44, -1.0, v46
	v_sub_f32_e32 v45, v44, v46
	v_add_f32_e32 v45, 1.0, v45
	v_sub_f32_e32 v44, v64, v44
	v_add_f32_e32 v47, v44, v45
	v_frexp_mant_f32_e32 v48, v46
	v_cvt_f64_f32_e32 v[44:45], v46
	v_frexp_exp_i32_f64_e32 v44, v[44:45]
	v_cmp_gt_f32_e64 s[84:85], s2, v48
	s_mov_b32 s2, 0x3f317218
	s_nop 0
	v_subbrev_co_u32_e64 v48, s[84:85], 0, v44, s[84:85]
	v_sub_u32_e32 v44, 0, v48
	v_ldexp_f32 v45, v46, v44
	v_add_f32_e32 v46, -1.0, v45
	v_add_f32_e32 v53, 1.0, v45
	v_ldexp_f32 v44, v47, v44
	v_add_f32_e32 v47, 1.0, v46
	v_add_f32_e32 v54, -1.0, v53
	v_sub_f32_e32 v47, v45, v47
	v_sub_f32_e32 v45, v45, v54
	v_add_f32_e32 v47, v44, v47
	v_add_f32_e32 v44, v44, v45
	;; [unrolled: 1-line block ×3, first 2 shown]
	v_rcp_f32_e32 v59, v58
	v_sub_f32_e32 v45, v53, v58
	v_add_f32_e32 v53, v44, v45
	v_add_f32_e32 v45, v46, v47
	v_mul_f32_e32 v61, v45, v59
	v_sub_f32_e32 v44, v46, v45
	v_mul_f32_e32 v46, v58, v61
	v_fma_f32 v54, v61, v58, -v46
	v_fmac_f32_e32 v54, v61, v53
	v_add_f32_e32 v60, v47, v44
	v_add_f32_e32 v44, v46, v54
	v_sub_f32_e32 v47, v45, v44
	v_pk_add_f32 v[56:57], v[44:45], v[46:47] neg_lo:[0,1] neg_hi:[0,1]
	v_mov_b32_e32 v55, v44
	v_pk_add_f32 v[44:45], v[56:57], v[54:55] neg_lo:[0,1] neg_hi:[0,1]
	v_cmp_eq_f32_e64 s[84:85], s3, v64
	v_add_f32_e32 v45, v60, v45
	v_add_f32_e32 v44, v44, v45
	v_add_f32_e32 v45, v47, v44
	v_mul_f32_e32 v60, v59, v45
	v_mul_f32_e32 v46, v58, v60
	v_fma_f32 v54, v60, v58, -v46
	v_fmac_f32_e32 v54, v60, v53
	v_sub_f32_e32 v47, v47, v45
	v_add_f32_e32 v53, v44, v47
	v_add_f32_e32 v44, v46, v54
	v_sub_f32_e32 v47, v45, v44
	v_pk_add_f32 v[56:57], v[44:45], v[46:47] neg_lo:[0,1] neg_hi:[0,1]
	v_mov_b32_e32 v55, v44
	v_pk_add_f32 v[44:45], v[56:57], v[54:55] neg_lo:[0,1] neg_hi:[0,1]
	v_cvt_f32_i32_e32 v46, v48
	v_add_f32_e32 v45, v53, v45
	v_add_f32_e32 v44, v44, v45
	;; [unrolled: 1-line block ×4, first 2 shown]
	v_sub_f32_e32 v45, v47, v61
	v_mul_f32_e32 v44, v59, v44
	v_sub_f32_e32 v45, v60, v45
	v_add_f32_e32 v44, v45, v44
	v_add_f32_e32 v53, v47, v44
	v_mul_f32_e32 v54, v53, v53
	v_mov_b32_e32 v45, 0x3ecc95a3
	v_sub_f32_e32 v47, v53, v47
	v_fmac_f32_e32 v45, 0x3e9b6dac, v54
	v_sub_f32_e32 v44, v44, v47
	v_fmaak_f32 v45, v54, v45, 0x3f2aaada
	v_ldexp_f32 v48, v44, 1
	v_mul_f32_e32 v47, v53, v54
	v_mov_b32_e32 v44, 0x3f317218
	v_pk_mul_f32 v[44:45], v[46:47], v[44:45]
	v_ldexp_f32 v55, v53, 1
	v_fma_f32 v47, v46, s2, -v44
	v_fmamk_f32 v54, v46, 0xb102e308, v47
	v_pk_add_f32 v[46:47], v[44:45], v[54:55]
	v_mov_b32_e32 v56, v44
	v_sub_f32_e32 v53, v47, v55
	v_sub_f32_e32 v53, v45, v53
	v_add_f32_e32 v57, v48, v53
	v_pk_add_f32 v[44:45], v[46:47], v[44:45] neg_lo:[0,1] neg_hi:[0,1]
	v_pk_add_f32 v[58:59], v[46:47], v[56:57]
	v_mov_b32_e32 v55, v46
	v_mov_b32_e32 v45, v59
	v_pk_add_f32 v[60:61], v[54:55], v[44:45] neg_lo:[0,1] neg_hi:[0,1]
	v_pk_add_f32 v[44:45], v[54:55], v[44:45]
	s_mov_b32 s2, 0x33800000
	v_mov_b32_e32 v48, v45
	v_pk_add_f32 v[54:55], v[48:49], v[46:47] neg_lo:[0,1] neg_hi:[0,1]
	v_mov_b32_e32 v44, v59
	v_mov_b32_e32 v53, v54
	v_pk_add_f32 v[62:63], v[58:59], v[52:53] neg_lo:[0,1] neg_hi:[0,1]
	v_mov_b32_e32 v58, v47
	v_mov_b32_e32 v59, v54
	;; [unrolled: 1-line block ×3, first 2 shown]
	v_pk_add_f32 v[44:45], v[44:45], v[58:59] neg_lo:[0,1] neg_hi:[0,1]
	v_mov_b32_e32 v54, v57
	v_mov_b32_e32 v55, v46
	v_pk_add_f32 v[44:45], v[54:55], v[44:45] neg_lo:[0,1] neg_hi:[0,1]
	v_mov_b32_e32 v62, v60
	v_pk_add_f32 v[46:47], v[62:63], v[44:45]
	v_cmp_lt_f32_e64 s[90:91], |v64|, s2
	v_mov_b32_e32 v54, v47
	v_pk_add_f32 v[54:55], v[46:47], v[54:55]
	s_or_b64 s[84:85], s[84:85], s[90:91]
	v_pk_add_f32 v[56:57], v[48:49], v[54:55]
	v_mov_b32_e32 v45, v54
	v_mov_b32_e32 v47, v56
	v_pk_add_f32 v[58:59], v[46:47], v[60:61] neg_lo:[0,1] neg_hi:[0,1]
	s_nop 0
	v_sub_f32_e32 v46, v46, v58
	v_pk_add_f32 v[44:45], v[44:45], v[58:59] neg_lo:[0,1] neg_hi:[0,1]
	v_sub_f32_e32 v46, v60, v46
	v_add_f32_e32 v44, v44, v46
	v_add_f32_e32 v44, v44, v45
	;; [unrolled: 1-line block ×3, first 2 shown]
	v_cndmask_b32_e64 v44, v44, v64, s[84:85]
	v_add_f32_e32 v44, v43, v44
.LBB489_84:
	s_or_b64 exec, exec, s[86:87]
	v_bfe_u32 v43, v44, 16, 1
	v_add3_u32 v43, v44, v43, s88
	v_and_b32_e32 v43, 0xffff0000, v43
	v_cmp_o_f32_e64 s[84:85], v44, v44
	v_and_b32_e32 v7, 0xffff0000, v7
	s_nop 0
	v_cndmask_b32_e64 v45, v41, v43, s[84:85]
	v_max_f32_e32 v41, v45, v45
	v_max_f32_e32 v43, v7, v7
	v_min_f32_e32 v44, v41, v43
	v_cmp_u_f32_e64 s[86:87], v45, v45
	v_max_f32_e32 v41, v41, v43
	v_cmp_u_f32_e64 s[84:85], v7, v7
	v_cndmask_b32_e64 v44, v44, v45, s[86:87]
	v_cndmask_b32_e64 v41, v41, v45, s[86:87]
	;; [unrolled: 1-line block ×4, first 2 shown]
	v_cmp_neq_f32_e64 s[86:87], v44, v41
	v_cmp_class_f32_e64 s[88:89], v44, s33
	s_or_b64 s[86:87], s[86:87], s[88:89]
	s_and_saveexec_b64 s[88:89], s[86:87]
	s_cbranch_execz .LBB489_86
; %bb.85:
	v_sub_f32_e32 v44, v44, v41
	s_mov_b32 s2, 0x3fb8aa3b
	v_mul_f32_e32 v45, 0x3fb8aa3b, v44
	v_fma_f32 v46, v44, s2, -v45
	v_rndne_f32_e32 v47, v45
	v_fmamk_f32 v46, v44, 0x32a5705f, v46
	v_sub_f32_e32 v45, v45, v47
	v_add_f32_e32 v45, v45, v46
	v_exp_f32_e32 v45, v45
	v_cvt_i32_f32_e32 v46, v47
	s_mov_b32 s2, 0xc2ce8ed0
	v_cmp_ngt_f32_e64 s[86:87], s2, v44
	s_mov_b32 s2, 0x42b17218
	v_ldexp_f32 v45, v45, v46
	v_cndmask_b32_e64 v45, 0, v45, s[86:87]
	v_mov_b32_e32 v46, 0x7f800000
	v_cmp_nlt_f32_e64 s[86:87], s2, v44
	s_mov_b32 s2, 0x3f2aaaab
	s_mov_b32 s3, 0x7f800000
	v_cndmask_b32_e64 v64, v46, v45, s[86:87]
	v_add_f32_e32 v46, 1.0, v64
	v_add_f32_e32 v44, -1.0, v46
	v_sub_f32_e32 v45, v44, v46
	v_add_f32_e32 v45, 1.0, v45
	v_sub_f32_e32 v44, v64, v44
	v_add_f32_e32 v47, v44, v45
	v_frexp_mant_f32_e32 v48, v46
	v_cvt_f64_f32_e32 v[44:45], v46
	v_frexp_exp_i32_f64_e32 v44, v[44:45]
	v_cmp_gt_f32_e64 s[86:87], s2, v48
	s_mov_b32 s2, 0x3f317218
	s_nop 0
	v_subbrev_co_u32_e64 v48, s[86:87], 0, v44, s[86:87]
	v_sub_u32_e32 v44, 0, v48
	v_ldexp_f32 v45, v46, v44
	v_add_f32_e32 v46, -1.0, v45
	v_add_f32_e32 v53, 1.0, v45
	v_ldexp_f32 v44, v47, v44
	v_add_f32_e32 v47, 1.0, v46
	v_add_f32_e32 v54, -1.0, v53
	v_sub_f32_e32 v47, v45, v47
	v_sub_f32_e32 v45, v45, v54
	v_add_f32_e32 v47, v44, v47
	v_add_f32_e32 v44, v44, v45
	;; [unrolled: 1-line block ×3, first 2 shown]
	v_rcp_f32_e32 v59, v58
	v_sub_f32_e32 v45, v53, v58
	v_add_f32_e32 v53, v44, v45
	v_add_f32_e32 v45, v46, v47
	v_mul_f32_e32 v61, v45, v59
	v_sub_f32_e32 v44, v46, v45
	v_mul_f32_e32 v46, v58, v61
	v_fma_f32 v54, v61, v58, -v46
	v_fmac_f32_e32 v54, v61, v53
	v_add_f32_e32 v60, v47, v44
	v_add_f32_e32 v44, v46, v54
	v_sub_f32_e32 v47, v45, v44
	v_pk_add_f32 v[56:57], v[44:45], v[46:47] neg_lo:[0,1] neg_hi:[0,1]
	v_mov_b32_e32 v55, v44
	v_pk_add_f32 v[44:45], v[56:57], v[54:55] neg_lo:[0,1] neg_hi:[0,1]
	v_cmp_eq_f32_e64 s[86:87], s3, v64
	v_add_f32_e32 v45, v60, v45
	v_add_f32_e32 v44, v44, v45
	;; [unrolled: 1-line block ×3, first 2 shown]
	v_mul_f32_e32 v60, v59, v45
	v_mul_f32_e32 v46, v58, v60
	v_fma_f32 v54, v60, v58, -v46
	v_fmac_f32_e32 v54, v60, v53
	v_sub_f32_e32 v47, v47, v45
	v_add_f32_e32 v53, v44, v47
	v_add_f32_e32 v44, v46, v54
	v_sub_f32_e32 v47, v45, v44
	v_pk_add_f32 v[56:57], v[44:45], v[46:47] neg_lo:[0,1] neg_hi:[0,1]
	v_mov_b32_e32 v55, v44
	v_pk_add_f32 v[44:45], v[56:57], v[54:55] neg_lo:[0,1] neg_hi:[0,1]
	v_cvt_f32_i32_e32 v46, v48
	v_add_f32_e32 v45, v53, v45
	v_add_f32_e32 v44, v44, v45
	;; [unrolled: 1-line block ×4, first 2 shown]
	v_sub_f32_e32 v45, v47, v61
	v_mul_f32_e32 v44, v59, v44
	v_sub_f32_e32 v45, v60, v45
	v_add_f32_e32 v44, v45, v44
	v_add_f32_e32 v53, v47, v44
	v_mul_f32_e32 v54, v53, v53
	v_mov_b32_e32 v45, 0x3ecc95a3
	v_sub_f32_e32 v47, v53, v47
	v_fmac_f32_e32 v45, 0x3e9b6dac, v54
	v_sub_f32_e32 v44, v44, v47
	v_fmaak_f32 v45, v54, v45, 0x3f2aaada
	v_ldexp_f32 v48, v44, 1
	v_mul_f32_e32 v47, v53, v54
	v_mov_b32_e32 v44, 0x3f317218
	v_pk_mul_f32 v[44:45], v[46:47], v[44:45]
	v_ldexp_f32 v55, v53, 1
	v_fma_f32 v47, v46, s2, -v44
	v_fmamk_f32 v54, v46, 0xb102e308, v47
	v_pk_add_f32 v[46:47], v[44:45], v[54:55]
	v_mov_b32_e32 v56, v44
	v_sub_f32_e32 v53, v47, v55
	v_sub_f32_e32 v53, v45, v53
	v_add_f32_e32 v57, v48, v53
	v_pk_add_f32 v[44:45], v[46:47], v[44:45] neg_lo:[0,1] neg_hi:[0,1]
	v_pk_add_f32 v[58:59], v[46:47], v[56:57]
	v_mov_b32_e32 v55, v46
	v_mov_b32_e32 v45, v59
	v_pk_add_f32 v[60:61], v[54:55], v[44:45] neg_lo:[0,1] neg_hi:[0,1]
	v_pk_add_f32 v[44:45], v[54:55], v[44:45]
	s_mov_b32 s2, 0x33800000
	v_mov_b32_e32 v48, v45
	v_pk_add_f32 v[54:55], v[48:49], v[46:47] neg_lo:[0,1] neg_hi:[0,1]
	v_mov_b32_e32 v44, v59
	v_mov_b32_e32 v53, v54
	v_pk_add_f32 v[62:63], v[58:59], v[52:53] neg_lo:[0,1] neg_hi:[0,1]
	v_mov_b32_e32 v58, v47
	v_mov_b32_e32 v59, v54
	;; [unrolled: 1-line block ×3, first 2 shown]
	v_pk_add_f32 v[44:45], v[44:45], v[58:59] neg_lo:[0,1] neg_hi:[0,1]
	v_mov_b32_e32 v54, v57
	v_mov_b32_e32 v55, v46
	v_pk_add_f32 v[44:45], v[54:55], v[44:45] neg_lo:[0,1] neg_hi:[0,1]
	v_mov_b32_e32 v62, v60
	v_pk_add_f32 v[46:47], v[62:63], v[44:45]
	v_cmp_lt_f32_e64 s[90:91], |v64|, s2
	v_mov_b32_e32 v54, v47
	v_pk_add_f32 v[54:55], v[46:47], v[54:55]
	s_or_b64 s[86:87], s[86:87], s[90:91]
	v_pk_add_f32 v[56:57], v[48:49], v[54:55]
	v_mov_b32_e32 v45, v54
	v_mov_b32_e32 v47, v56
	v_pk_add_f32 v[58:59], v[46:47], v[60:61] neg_lo:[0,1] neg_hi:[0,1]
	s_nop 0
	v_sub_f32_e32 v46, v46, v58
	v_pk_add_f32 v[44:45], v[44:45], v[58:59] neg_lo:[0,1] neg_hi:[0,1]
	v_sub_f32_e32 v46, v60, v46
	v_add_f32_e32 v44, v44, v46
	v_add_f32_e32 v44, v44, v45
	;; [unrolled: 1-line block ×3, first 2 shown]
	v_cndmask_b32_e64 v44, v44, v64, s[86:87]
	v_add_f32_e32 v45, v41, v44
.LBB489_86:
	s_or_b64 exec, exec, s[88:89]
	v_bfe_u32 v41, v45, 16, 1
	s_movk_i32 s92, 0x7fff
	v_add3_u32 v41, v45, v41, s92
	v_and_b32_e32 v41, 0xffff0000, v41
	v_mov_b32_e32 v44, 0x7fc00000
	v_cmp_o_f32_e64 s[86:87], v45, v45
	s_nop 1
	v_cndmask_b32_e64 v47, v44, v41, s[86:87]
	v_lshlrev_b32_e32 v41, 16, v8
	v_max_f32_e32 v46, v47, v47
	v_max_f32_e32 v45, v41, v41
	v_min_f32_e32 v48, v46, v45
	v_cmp_u_f32_e64 s[88:89], v47, v47
	v_max_f32_e32 v46, v46, v45
	v_cmp_u_f32_e64 s[86:87], v41, v41
	v_cndmask_b32_e64 v48, v48, v47, s[88:89]
	v_cndmask_b32_e64 v46, v46, v47, s[88:89]
	;; [unrolled: 1-line block ×4, first 2 shown]
	v_cmp_neq_f32_e64 s[88:89], v48, v46
	v_cmp_class_f32_e64 s[90:91], v48, s33
	s_or_b64 s[88:89], s[88:89], s[90:91]
	s_and_saveexec_b64 s[90:91], s[88:89]
	s_cbranch_execz .LBB489_88
; %bb.87:
	v_sub_f32_e32 v47, v48, v46
	s_mov_b32 s2, 0x3fb8aa3b
	v_mul_f32_e32 v48, 0x3fb8aa3b, v47
	v_fma_f32 v53, v47, s2, -v48
	v_rndne_f32_e32 v54, v48
	v_fmamk_f32 v53, v47, 0x32a5705f, v53
	v_sub_f32_e32 v48, v48, v54
	v_add_f32_e32 v48, v48, v53
	v_exp_f32_e32 v48, v48
	v_cvt_i32_f32_e32 v53, v54
	s_mov_b32 s2, 0xc2ce8ed0
	v_cmp_ngt_f32_e64 s[88:89], s2, v47
	s_mov_b32 s2, 0x42b17218
	v_ldexp_f32 v48, v48, v53
	v_cndmask_b32_e64 v48, 0, v48, s[88:89]
	v_mov_b32_e32 v53, 0x7f800000
	v_cmp_nlt_f32_e64 s[88:89], s2, v47
	s_mov_b32 s2, 0x3f2aaaab
	s_mov_b32 s3, 0x7f800000
	v_cndmask_b32_e64 v53, v53, v48, s[88:89]
	v_add_f32_e32 v47, 1.0, v53
	v_add_f32_e32 v48, -1.0, v47
	v_sub_f32_e32 v54, v48, v47
	v_add_f32_e32 v54, 1.0, v54
	v_sub_f32_e32 v48, v53, v48
	v_add_f32_e32 v48, v48, v54
	v_frexp_mant_f32_e32 v56, v47
	v_cvt_f64_f32_e32 v[54:55], v47
	v_frexp_exp_i32_f64_e32 v54, v[54:55]
	v_cmp_gt_f32_e64 s[88:89], s2, v56
	s_mov_b32 s2, 0x3f317218
	s_nop 0
	v_subbrev_co_u32_e64 v62, s[88:89], 0, v54, s[88:89]
	v_sub_u32_e32 v54, 0, v62
	v_ldexp_f32 v47, v47, v54
	v_ldexp_f32 v48, v48, v54
	v_add_f32_e32 v54, -1.0, v47
	v_add_f32_e32 v55, 1.0, v54
	v_sub_f32_e32 v55, v47, v55
	v_add_f32_e32 v56, v48, v55
	v_add_f32_e32 v55, 1.0, v47
	v_add_f32_e32 v57, -1.0, v55
	v_sub_f32_e32 v47, v47, v57
	v_add_f32_e32 v47, v48, v47
	v_add_f32_e32 v48, v55, v47
	v_rcp_f32_e32 v63, v48
	v_sub_f32_e32 v55, v55, v48
	v_add_f32_e32 v47, v47, v55
	v_add_f32_e32 v55, v54, v56
	v_sub_f32_e32 v54, v54, v55
	v_mul_f32_e32 v65, v55, v63
	v_add_f32_e32 v64, v56, v54
	v_mul_f32_e32 v56, v48, v65
	v_fma_f32 v58, v65, v48, -v56
	v_fmac_f32_e32 v58, v65, v47
	v_add_f32_e32 v54, v56, v58
	v_sub_f32_e32 v57, v55, v54
	v_pk_add_f32 v[60:61], v[54:55], v[56:57] neg_lo:[0,1] neg_hi:[0,1]
	v_mov_b32_e32 v59, v54
	v_pk_add_f32 v[54:55], v[60:61], v[58:59] neg_lo:[0,1] neg_hi:[0,1]
	v_cmp_eq_f32_e64 s[88:89], s3, v53
	v_add_f32_e32 v55, v64, v55
	v_add_f32_e32 v54, v54, v55
	;; [unrolled: 1-line block ×3, first 2 shown]
	v_mul_f32_e32 v64, v63, v55
	v_mul_f32_e32 v56, v48, v64
	v_fma_f32 v58, v64, v48, -v56
	v_fmac_f32_e32 v58, v64, v47
	v_sub_f32_e32 v47, v57, v55
	v_add_f32_e32 v47, v54, v47
	v_add_f32_e32 v54, v56, v58
	v_sub_f32_e32 v57, v55, v54
	v_pk_add_f32 v[60:61], v[54:55], v[56:57] neg_lo:[0,1] neg_hi:[0,1]
	v_mov_b32_e32 v59, v54
	v_pk_add_f32 v[54:55], v[60:61], v[58:59] neg_lo:[0,1] neg_hi:[0,1]
	v_add_f32_e32 v48, v65, v64
	v_add_f32_e32 v47, v47, v55
	;; [unrolled: 1-line block ×4, first 2 shown]
	v_sub_f32_e32 v54, v48, v65
	v_mul_f32_e32 v47, v63, v47
	v_sub_f32_e32 v54, v64, v54
	v_add_f32_e32 v47, v54, v47
	v_add_f32_e32 v54, v48, v47
	v_cvt_f32_i32_e32 v56, v62
	v_mul_f32_e32 v57, v54, v54
	v_mov_b32_e32 v55, 0x3ecc95a3
	v_fmac_f32_e32 v55, 0x3e9b6dac, v57
	v_fmaak_f32 v55, v57, v55, 0x3f2aaada
	v_sub_f32_e32 v48, v54, v48
	v_ldexp_f32 v59, v54, 1
	v_mul_f32_e32 v57, v54, v57
	v_mov_b32_e32 v54, 0x3f317218
	v_pk_mul_f32 v[54:55], v[56:57], v[54:55]
	v_sub_f32_e32 v47, v47, v48
	v_fma_f32 v48, v56, s2, -v54
	v_fmamk_f32 v58, v56, 0xb102e308, v48
	v_pk_add_f32 v[56:57], v[54:55], v[58:59]
	v_ldexp_f32 v47, v47, 1
	v_sub_f32_e32 v48, v57, v59
	v_sub_f32_e32 v48, v55, v48
	v_add_f32_e32 v61, v47, v48
	v_mov_b32_e32 v60, v54
	v_pk_add_f32 v[54:55], v[56:57], v[54:55] neg_lo:[0,1] neg_hi:[0,1]
	v_pk_add_f32 v[62:63], v[56:57], v[60:61]
	v_mov_b32_e32 v59, v56
	v_mov_b32_e32 v55, v63
	v_pk_add_f32 v[64:65], v[58:59], v[54:55] neg_lo:[0,1] neg_hi:[0,1]
	v_pk_add_f32 v[54:55], v[58:59], v[54:55]
	s_mov_b32 s2, 0x33800000
	v_mov_b32_e32 v48, v55
	v_pk_add_f32 v[58:59], v[48:49], v[56:57] neg_lo:[0,1] neg_hi:[0,1]
	v_mov_b32_e32 v54, v63
	v_mov_b32_e32 v47, v58
	v_pk_add_f32 v[66:67], v[62:63], v[46:47] neg_lo:[0,1] neg_hi:[0,1]
	v_mov_b32_e32 v62, v57
	v_mov_b32_e32 v63, v58
	;; [unrolled: 1-line block ×3, first 2 shown]
	v_pk_add_f32 v[54:55], v[54:55], v[62:63] neg_lo:[0,1] neg_hi:[0,1]
	v_mov_b32_e32 v58, v61
	v_mov_b32_e32 v59, v56
	v_pk_add_f32 v[54:55], v[58:59], v[54:55] neg_lo:[0,1] neg_hi:[0,1]
	v_mov_b32_e32 v66, v64
	v_pk_add_f32 v[56:57], v[66:67], v[54:55]
	v_cmp_lt_f32_e64 s[96:97], |v53|, s2
	v_mov_b32_e32 v58, v57
	v_pk_add_f32 v[58:59], v[56:57], v[58:59]
	s_or_b64 s[88:89], s[88:89], s[96:97]
	v_pk_add_f32 v[60:61], v[48:49], v[58:59]
	v_mov_b32_e32 v55, v58
	v_mov_b32_e32 v57, v60
	v_pk_add_f32 v[62:63], v[56:57], v[64:65] neg_lo:[0,1] neg_hi:[0,1]
	s_nop 0
	v_sub_f32_e32 v47, v56, v62
	v_pk_add_f32 v[54:55], v[54:55], v[62:63] neg_lo:[0,1] neg_hi:[0,1]
	v_sub_f32_e32 v47, v64, v47
	v_add_f32_e32 v47, v54, v47
	v_add_f32_e32 v47, v47, v55
	;; [unrolled: 1-line block ×3, first 2 shown]
	v_cndmask_b32_e64 v47, v47, v53, s[88:89]
	v_add_f32_e32 v47, v46, v47
.LBB489_88:
	s_or_b64 exec, exec, s[90:91]
	v_bfe_u32 v46, v47, 16, 1
	v_add3_u32 v46, v47, v46, s92
	v_and_b32_e32 v46, 0xffff0000, v46
	v_cmp_o_f32_e64 s[88:89], v47, v47
	v_and_b32_e32 v8, 0xffff0000, v8
	s_nop 0
	v_cndmask_b32_e64 v47, v44, v46, s[88:89]
	v_max_f32_e32 v44, v47, v47
	v_max_f32_e32 v46, v8, v8
	v_min_f32_e32 v48, v44, v46
	v_cmp_u_f32_e64 s[90:91], v47, v47
	v_max_f32_e32 v44, v44, v46
	v_cmp_u_f32_e64 s[88:89], v8, v8
	v_cndmask_b32_e64 v48, v48, v47, s[90:91]
	v_cndmask_b32_e64 v44, v44, v47, s[90:91]
	v_cndmask_b32_e64 v48, v48, v8, s[88:89]
	v_cndmask_b32_e64 v44, v44, v8, s[88:89]
	v_cmp_neq_f32_e64 s[90:91], v48, v44
	v_cmp_class_f32_e64 s[92:93], v48, s33
	s_or_b64 s[90:91], s[90:91], s[92:93]
	s_and_saveexec_b64 s[92:93], s[90:91]
	s_cbranch_execz .LBB489_90
; %bb.89:
	v_sub_f32_e32 v47, v48, v44
	s_mov_b32 s2, 0x3fb8aa3b
	v_mul_f32_e32 v48, 0x3fb8aa3b, v47
	v_fma_f32 v53, v47, s2, -v48
	v_rndne_f32_e32 v54, v48
	v_fmamk_f32 v53, v47, 0x32a5705f, v53
	v_sub_f32_e32 v48, v48, v54
	v_add_f32_e32 v48, v48, v53
	v_exp_f32_e32 v48, v48
	v_cvt_i32_f32_e32 v53, v54
	s_mov_b32 s2, 0xc2ce8ed0
	v_cmp_ngt_f32_e64 s[90:91], s2, v47
	s_mov_b32 s2, 0x42b17218
	v_ldexp_f32 v48, v48, v53
	v_cndmask_b32_e64 v48, 0, v48, s[90:91]
	v_mov_b32_e32 v53, 0x7f800000
	v_cmp_nlt_f32_e64 s[90:91], s2, v47
	s_mov_b32 s2, 0x3f2aaaab
	s_mov_b32 s3, 0x7f800000
	v_cndmask_b32_e64 v53, v53, v48, s[90:91]
	v_add_f32_e32 v47, 1.0, v53
	v_add_f32_e32 v48, -1.0, v47
	v_sub_f32_e32 v54, v48, v47
	v_add_f32_e32 v54, 1.0, v54
	v_sub_f32_e32 v48, v53, v48
	v_add_f32_e32 v48, v48, v54
	v_frexp_mant_f32_e32 v56, v47
	v_cvt_f64_f32_e32 v[54:55], v47
	v_frexp_exp_i32_f64_e32 v54, v[54:55]
	v_cmp_gt_f32_e64 s[90:91], s2, v56
	s_mov_b32 s2, 0x3f317218
	s_nop 0
	v_subbrev_co_u32_e64 v62, s[90:91], 0, v54, s[90:91]
	v_sub_u32_e32 v54, 0, v62
	v_ldexp_f32 v47, v47, v54
	v_ldexp_f32 v48, v48, v54
	v_add_f32_e32 v54, -1.0, v47
	v_add_f32_e32 v55, 1.0, v54
	v_sub_f32_e32 v55, v47, v55
	v_add_f32_e32 v56, v48, v55
	v_add_f32_e32 v55, 1.0, v47
	v_add_f32_e32 v57, -1.0, v55
	v_sub_f32_e32 v47, v47, v57
	v_add_f32_e32 v47, v48, v47
	v_add_f32_e32 v48, v55, v47
	v_rcp_f32_e32 v63, v48
	v_sub_f32_e32 v55, v55, v48
	v_add_f32_e32 v47, v47, v55
	v_add_f32_e32 v55, v54, v56
	v_sub_f32_e32 v54, v54, v55
	v_mul_f32_e32 v65, v55, v63
	v_add_f32_e32 v64, v56, v54
	v_mul_f32_e32 v56, v48, v65
	v_fma_f32 v58, v65, v48, -v56
	v_fmac_f32_e32 v58, v65, v47
	v_add_f32_e32 v54, v56, v58
	v_sub_f32_e32 v57, v55, v54
	v_pk_add_f32 v[60:61], v[54:55], v[56:57] neg_lo:[0,1] neg_hi:[0,1]
	v_mov_b32_e32 v59, v54
	v_pk_add_f32 v[54:55], v[60:61], v[58:59] neg_lo:[0,1] neg_hi:[0,1]
	v_cmp_eq_f32_e64 s[90:91], s3, v53
	v_add_f32_e32 v55, v64, v55
	v_add_f32_e32 v54, v54, v55
	;; [unrolled: 1-line block ×3, first 2 shown]
	v_mul_f32_e32 v64, v63, v55
	v_mul_f32_e32 v56, v48, v64
	v_fma_f32 v58, v64, v48, -v56
	v_fmac_f32_e32 v58, v64, v47
	v_sub_f32_e32 v47, v57, v55
	v_add_f32_e32 v47, v54, v47
	v_add_f32_e32 v54, v56, v58
	v_sub_f32_e32 v57, v55, v54
	v_pk_add_f32 v[60:61], v[54:55], v[56:57] neg_lo:[0,1] neg_hi:[0,1]
	v_mov_b32_e32 v59, v54
	v_pk_add_f32 v[54:55], v[60:61], v[58:59] neg_lo:[0,1] neg_hi:[0,1]
	v_add_f32_e32 v48, v65, v64
	v_add_f32_e32 v47, v47, v55
	;; [unrolled: 1-line block ×4, first 2 shown]
	v_sub_f32_e32 v54, v48, v65
	v_mul_f32_e32 v47, v63, v47
	v_sub_f32_e32 v54, v64, v54
	v_add_f32_e32 v47, v54, v47
	v_add_f32_e32 v54, v48, v47
	v_cvt_f32_i32_e32 v56, v62
	v_mul_f32_e32 v57, v54, v54
	v_mov_b32_e32 v55, 0x3ecc95a3
	v_fmac_f32_e32 v55, 0x3e9b6dac, v57
	v_fmaak_f32 v55, v57, v55, 0x3f2aaada
	v_sub_f32_e32 v48, v54, v48
	v_ldexp_f32 v59, v54, 1
	v_mul_f32_e32 v57, v54, v57
	v_mov_b32_e32 v54, 0x3f317218
	v_pk_mul_f32 v[54:55], v[56:57], v[54:55]
	v_sub_f32_e32 v47, v47, v48
	v_fma_f32 v48, v56, s2, -v54
	v_fmamk_f32 v58, v56, 0xb102e308, v48
	v_pk_add_f32 v[56:57], v[54:55], v[58:59]
	v_ldexp_f32 v47, v47, 1
	v_sub_f32_e32 v48, v57, v59
	v_sub_f32_e32 v48, v55, v48
	v_add_f32_e32 v61, v47, v48
	v_mov_b32_e32 v60, v54
	v_pk_add_f32 v[54:55], v[56:57], v[54:55] neg_lo:[0,1] neg_hi:[0,1]
	v_pk_add_f32 v[62:63], v[56:57], v[60:61]
	v_mov_b32_e32 v59, v56
	v_mov_b32_e32 v55, v63
	v_pk_add_f32 v[64:65], v[58:59], v[54:55] neg_lo:[0,1] neg_hi:[0,1]
	v_pk_add_f32 v[54:55], v[58:59], v[54:55]
	s_mov_b32 s2, 0x33800000
	v_mov_b32_e32 v48, v55
	v_pk_add_f32 v[58:59], v[48:49], v[56:57] neg_lo:[0,1] neg_hi:[0,1]
	v_mov_b32_e32 v54, v63
	v_mov_b32_e32 v47, v58
	v_pk_add_f32 v[66:67], v[62:63], v[46:47] neg_lo:[0,1] neg_hi:[0,1]
	v_mov_b32_e32 v62, v57
	v_mov_b32_e32 v63, v58
	;; [unrolled: 1-line block ×3, first 2 shown]
	v_pk_add_f32 v[54:55], v[54:55], v[62:63] neg_lo:[0,1] neg_hi:[0,1]
	v_mov_b32_e32 v58, v61
	v_mov_b32_e32 v59, v56
	v_pk_add_f32 v[54:55], v[58:59], v[54:55] neg_lo:[0,1] neg_hi:[0,1]
	v_mov_b32_e32 v66, v64
	v_pk_add_f32 v[56:57], v[66:67], v[54:55]
	v_cmp_lt_f32_e64 s[96:97], |v53|, s2
	v_mov_b32_e32 v58, v57
	v_pk_add_f32 v[58:59], v[56:57], v[58:59]
	s_or_b64 s[90:91], s[90:91], s[96:97]
	v_pk_add_f32 v[60:61], v[48:49], v[58:59]
	v_mov_b32_e32 v55, v58
	v_mov_b32_e32 v57, v60
	v_pk_add_f32 v[62:63], v[56:57], v[64:65] neg_lo:[0,1] neg_hi:[0,1]
	s_nop 0
	v_sub_f32_e32 v47, v56, v62
	v_pk_add_f32 v[54:55], v[54:55], v[62:63] neg_lo:[0,1] neg_hi:[0,1]
	v_sub_f32_e32 v47, v64, v47
	v_add_f32_e32 v47, v54, v47
	v_add_f32_e32 v47, v47, v55
	;; [unrolled: 1-line block ×3, first 2 shown]
	v_cndmask_b32_e64 v47, v47, v53, s[90:91]
	v_add_f32_e32 v47, v44, v47
.LBB489_90:
	s_or_b64 exec, exec, s[92:93]
	v_bfe_u32 v44, v47, 16, 1
	s_movk_i32 s98, 0x7fff
	v_add3_u32 v44, v47, v44, s98
	v_and_b32_e32 v44, 0xffff0000, v44
	v_mov_b32_e32 v48, 0x7fc00000
	v_cmp_o_f32_e64 s[90:91], v47, v47
	s_nop 1
	v_cndmask_b32_e64 v54, v48, v44, s[90:91]
	v_lshlrev_b32_e32 v44, 16, v9
	v_max_f32_e32 v53, v54, v54
	v_max_f32_e32 v47, v44, v44
	v_min_f32_e32 v55, v53, v47
	v_cmp_u_f32_e64 s[92:93], v54, v54
	v_max_f32_e32 v53, v53, v47
	v_cmp_u_f32_e64 s[90:91], v44, v44
	v_cndmask_b32_e64 v55, v55, v54, s[92:93]
	v_cndmask_b32_e64 v53, v53, v54, s[92:93]
	v_cndmask_b32_e64 v55, v55, v44, s[90:91]
	v_cndmask_b32_e64 v53, v53, v44, s[90:91]
	v_cmp_neq_f32_e64 s[92:93], v55, v53
	v_cmp_class_f32_e64 s[96:97], v55, s33
	s_or_b64 s[92:93], s[92:93], s[96:97]
	s_and_saveexec_b64 s[96:97], s[92:93]
	s_cbranch_execz .LBB489_92
; %bb.91:
	v_sub_f32_e32 v54, v55, v53
	s_mov_b32 s2, 0x3fb8aa3b
	v_mul_f32_e32 v55, 0x3fb8aa3b, v54
	v_fma_f32 v56, v54, s2, -v55
	v_rndne_f32_e32 v57, v55
	v_fmamk_f32 v56, v54, 0x32a5705f, v56
	v_sub_f32_e32 v55, v55, v57
	v_add_f32_e32 v55, v55, v56
	v_exp_f32_e32 v55, v55
	v_cvt_i32_f32_e32 v56, v57
	s_mov_b32 s2, 0xc2ce8ed0
	v_cmp_ngt_f32_e64 s[92:93], s2, v54
	s_mov_b32 s2, 0x42b17218
	v_ldexp_f32 v55, v55, v56
	v_cndmask_b32_e64 v55, 0, v55, s[92:93]
	v_mov_b32_e32 v56, 0x7f800000
	v_cmp_nlt_f32_e64 s[92:93], s2, v54
	s_mov_b32 s2, 0x3f2aaaab
	s_mov_b32 s3, 0x7f800000
	v_cndmask_b32_e64 v70, v56, v55, s[92:93]
	v_add_f32_e32 v56, 1.0, v70
	v_add_f32_e32 v54, -1.0, v56
	v_sub_f32_e32 v55, v54, v56
	v_add_f32_e32 v55, 1.0, v55
	v_sub_f32_e32 v54, v70, v54
	v_add_f32_e32 v57, v54, v55
	v_frexp_mant_f32_e32 v58, v56
	v_cvt_f64_f32_e32 v[54:55], v56
	v_frexp_exp_i32_f64_e32 v54, v[54:55]
	v_cmp_gt_f32_e64 s[92:93], s2, v58
	s_mov_b32 s2, 0x3f317218
	s_nop 0
	v_subbrev_co_u32_e64 v62, s[92:93], 0, v54, s[92:93]
	v_sub_u32_e32 v54, 0, v62
	v_ldexp_f32 v55, v56, v54
	v_add_f32_e32 v56, -1.0, v55
	v_add_f32_e32 v58, 1.0, v55
	v_ldexp_f32 v54, v57, v54
	v_add_f32_e32 v57, 1.0, v56
	v_add_f32_e32 v59, -1.0, v58
	v_sub_f32_e32 v57, v55, v57
	v_sub_f32_e32 v55, v55, v59
	v_add_f32_e32 v57, v54, v57
	v_add_f32_e32 v54, v54, v55
	;; [unrolled: 1-line block ×3, first 2 shown]
	v_rcp_f32_e32 v65, v63
	v_sub_f32_e32 v55, v58, v63
	v_add_f32_e32 v64, v54, v55
	v_add_f32_e32 v55, v56, v57
	v_mul_f32_e32 v67, v55, v65
	v_sub_f32_e32 v54, v56, v55
	v_mul_f32_e32 v56, v63, v67
	v_fma_f32 v58, v67, v63, -v56
	v_fmac_f32_e32 v58, v67, v64
	v_add_f32_e32 v66, v57, v54
	v_add_f32_e32 v54, v56, v58
	v_sub_f32_e32 v57, v55, v54
	v_pk_add_f32 v[60:61], v[54:55], v[56:57] neg_lo:[0,1] neg_hi:[0,1]
	v_mov_b32_e32 v59, v54
	v_pk_add_f32 v[54:55], v[60:61], v[58:59] neg_lo:[0,1] neg_hi:[0,1]
	v_cmp_eq_f32_e64 s[92:93], s3, v70
	v_add_f32_e32 v55, v66, v55
	v_add_f32_e32 v54, v54, v55
	;; [unrolled: 1-line block ×3, first 2 shown]
	v_mul_f32_e32 v66, v65, v55
	v_mul_f32_e32 v56, v63, v66
	v_fma_f32 v58, v66, v63, -v56
	v_fmac_f32_e32 v58, v66, v64
	v_sub_f32_e32 v57, v57, v55
	v_add_f32_e32 v63, v54, v57
	v_add_f32_e32 v54, v56, v58
	v_sub_f32_e32 v57, v55, v54
	v_pk_add_f32 v[60:61], v[54:55], v[56:57] neg_lo:[0,1] neg_hi:[0,1]
	v_mov_b32_e32 v59, v54
	v_pk_add_f32 v[54:55], v[60:61], v[58:59] neg_lo:[0,1] neg_hi:[0,1]
	v_cvt_f32_i32_e32 v56, v62
	v_add_f32_e32 v55, v63, v55
	v_add_f32_e32 v54, v54, v55
	;; [unrolled: 1-line block ×4, first 2 shown]
	v_sub_f32_e32 v55, v57, v67
	v_mul_f32_e32 v54, v65, v54
	v_sub_f32_e32 v55, v66, v55
	v_add_f32_e32 v54, v55, v54
	v_add_f32_e32 v58, v57, v54
	v_mul_f32_e32 v60, v58, v58
	v_mov_b32_e32 v55, 0x3ecc95a3
	v_sub_f32_e32 v57, v58, v57
	v_fmac_f32_e32 v55, 0x3e9b6dac, v60
	v_sub_f32_e32 v54, v54, v57
	v_fmaak_f32 v55, v60, v55, 0x3f2aaada
	v_ldexp_f32 v61, v54, 1
	v_mul_f32_e32 v57, v58, v60
	v_mov_b32_e32 v54, 0x3f317218
	v_pk_mul_f32 v[54:55], v[56:57], v[54:55]
	v_ldexp_f32 v59, v58, 1
	v_fma_f32 v57, v56, s2, -v54
	v_fmamk_f32 v58, v56, 0xb102e308, v57
	v_pk_add_f32 v[56:57], v[54:55], v[58:59]
	v_mov_b32_e32 v60, v54
	v_sub_f32_e32 v59, v57, v59
	v_sub_f32_e32 v59, v55, v59
	v_add_f32_e32 v61, v61, v59
	v_pk_add_f32 v[54:55], v[56:57], v[54:55] neg_lo:[0,1] neg_hi:[0,1]
	v_pk_add_f32 v[62:63], v[56:57], v[60:61]
	v_mov_b32_e32 v59, v56
	v_mov_b32_e32 v55, v63
	v_pk_add_f32 v[64:65], v[58:59], v[54:55] neg_lo:[0,1] neg_hi:[0,1]
	v_pk_add_f32 v[54:55], v[58:59], v[54:55]
	v_mov_b32_e32 v60, v61
	v_mov_b32_e32 v58, v55
	v_pk_add_f32 v[66:67], v[58:59], v[56:57] neg_lo:[0,1] neg_hi:[0,1]
	v_mov_b32_e32 v54, v63
	v_mov_b32_e32 v59, v66
	v_pk_add_f32 v[68:69], v[62:63], v[58:59] neg_lo:[0,1] neg_hi:[0,1]
	v_mov_b32_e32 v62, v57
	v_mov_b32_e32 v63, v66
	;; [unrolled: 1-line block ×3, first 2 shown]
	v_pk_add_f32 v[54:55], v[54:55], v[62:63] neg_lo:[0,1] neg_hi:[0,1]
	v_mov_b32_e32 v61, v56
	v_pk_add_f32 v[54:55], v[60:61], v[54:55] neg_lo:[0,1] neg_hi:[0,1]
	v_mov_b32_e32 v68, v64
	v_pk_add_f32 v[56:57], v[68:69], v[54:55]
	s_mov_b32 s2, 0x33800000
	v_mov_b32_e32 v60, v57
	v_pk_add_f32 v[60:61], v[56:57], v[60:61]
	v_cmp_lt_f32_e64 vcc, |v70|, s2
	v_pk_add_f32 v[58:59], v[58:59], v[60:61]
	v_mov_b32_e32 v55, v60
	v_mov_b32_e32 v57, v58
	v_pk_add_f32 v[62:63], v[56:57], v[64:65] neg_lo:[0,1] neg_hi:[0,1]
	s_or_b64 s[92:93], s[92:93], vcc
	v_sub_f32_e32 v56, v56, v62
	v_pk_add_f32 v[54:55], v[54:55], v[62:63] neg_lo:[0,1] neg_hi:[0,1]
	v_sub_f32_e32 v56, v64, v56
	v_add_f32_e32 v54, v54, v56
	v_add_f32_e32 v54, v54, v55
	v_add_f32_e32 v54, v58, v54
	v_cndmask_b32_e64 v54, v54, v70, s[92:93]
	v_add_f32_e32 v54, v53, v54
.LBB489_92:
	s_or_b64 exec, exec, s[96:97]
	v_bfe_u32 v53, v54, 16, 1
	v_add3_u32 v53, v54, v53, s98
	v_and_b32_e32 v53, 0xffff0000, v53
	v_cmp_o_f32_e64 s[92:93], v54, v54
	v_and_b32_e32 v9, 0xffff0000, v9
	s_movk_i32 s2, 0x1f8
	v_cndmask_b32_e64 v54, v48, v53, s[92:93]
	v_max_f32_e32 v53, v54, v54
	v_max_f32_e32 v48, v9, v9
	v_min_f32_e32 v55, v53, v48
	v_cmp_u_f32_e64 s[98:99], v54, v54
	v_max_f32_e32 v53, v53, v48
	v_cmp_u_f32_e64 s[92:93], v9, v9
	v_cndmask_b32_e64 v55, v55, v54, s[98:99]
	v_cndmask_b32_e64 v53, v53, v54, s[98:99]
	;; [unrolled: 1-line block ×4, first 2 shown]
	v_cmp_neq_f32_e64 s[98:99], v55, v53
	v_cmp_class_f32_e64 s[96:97], v55, s2
	s_or_b64 s[98:99], s[98:99], s[96:97]
	s_and_saveexec_b64 s[96:97], s[98:99]
	s_cbranch_execz .LBB489_94
; %bb.93:
	v_sub_f32_e32 v54, v55, v53
	s_mov_b32 s2, 0x3fb8aa3b
	v_mul_f32_e32 v55, 0x3fb8aa3b, v54
	v_fma_f32 v56, v54, s2, -v55
	v_rndne_f32_e32 v57, v55
	v_fmamk_f32 v56, v54, 0x32a5705f, v56
	v_sub_f32_e32 v55, v55, v57
	v_add_f32_e32 v55, v55, v56
	v_exp_f32_e32 v55, v55
	v_cvt_i32_f32_e32 v56, v57
	s_mov_b32 s2, 0xc2ce8ed0
	v_cmp_ngt_f32_e64 s[98:99], s2, v54
	s_mov_b32 s2, 0x42b17218
	v_ldexp_f32 v55, v55, v56
	v_cndmask_b32_e64 v55, 0, v55, s[98:99]
	v_mov_b32_e32 v56, 0x7f800000
	v_cmp_nlt_f32_e64 s[98:99], s2, v54
	s_mov_b32 s2, 0x3f2aaaab
	s_mov_b32 s3, 0x7f800000
	v_cndmask_b32_e64 v70, v56, v55, s[98:99]
	v_add_f32_e32 v56, 1.0, v70
	v_add_f32_e32 v54, -1.0, v56
	v_sub_f32_e32 v55, v54, v56
	v_add_f32_e32 v55, 1.0, v55
	v_sub_f32_e32 v54, v70, v54
	v_add_f32_e32 v57, v54, v55
	v_frexp_mant_f32_e32 v58, v56
	v_cvt_f64_f32_e32 v[54:55], v56
	v_frexp_exp_i32_f64_e32 v54, v[54:55]
	v_cmp_gt_f32_e64 s[98:99], s2, v58
	s_mov_b32 s2, 0x3f317218
	s_nop 0
	v_subbrev_co_u32_e64 v62, s[98:99], 0, v54, s[98:99]
	v_sub_u32_e32 v54, 0, v62
	v_ldexp_f32 v55, v56, v54
	v_add_f32_e32 v56, -1.0, v55
	v_add_f32_e32 v58, 1.0, v55
	v_ldexp_f32 v54, v57, v54
	v_add_f32_e32 v57, 1.0, v56
	v_add_f32_e32 v59, -1.0, v58
	v_sub_f32_e32 v57, v55, v57
	v_sub_f32_e32 v55, v55, v59
	v_add_f32_e32 v57, v54, v57
	v_add_f32_e32 v54, v54, v55
	;; [unrolled: 1-line block ×3, first 2 shown]
	v_rcp_f32_e32 v65, v63
	v_sub_f32_e32 v55, v58, v63
	v_add_f32_e32 v64, v54, v55
	v_add_f32_e32 v55, v56, v57
	v_mul_f32_e32 v67, v55, v65
	v_sub_f32_e32 v54, v56, v55
	v_mul_f32_e32 v56, v63, v67
	v_fma_f32 v58, v67, v63, -v56
	v_fmac_f32_e32 v58, v67, v64
	v_add_f32_e32 v66, v57, v54
	v_add_f32_e32 v54, v56, v58
	v_sub_f32_e32 v57, v55, v54
	v_pk_add_f32 v[60:61], v[54:55], v[56:57] neg_lo:[0,1] neg_hi:[0,1]
	v_mov_b32_e32 v59, v54
	v_pk_add_f32 v[54:55], v[60:61], v[58:59] neg_lo:[0,1] neg_hi:[0,1]
	v_cmp_eq_f32_e64 s[98:99], s3, v70
	v_add_f32_e32 v55, v66, v55
	v_add_f32_e32 v54, v54, v55
	;; [unrolled: 1-line block ×3, first 2 shown]
	v_mul_f32_e32 v66, v65, v55
	v_mul_f32_e32 v56, v63, v66
	v_fma_f32 v58, v66, v63, -v56
	v_fmac_f32_e32 v58, v66, v64
	v_sub_f32_e32 v57, v57, v55
	v_add_f32_e32 v63, v54, v57
	v_add_f32_e32 v54, v56, v58
	v_sub_f32_e32 v57, v55, v54
	v_pk_add_f32 v[60:61], v[54:55], v[56:57] neg_lo:[0,1] neg_hi:[0,1]
	v_mov_b32_e32 v59, v54
	v_pk_add_f32 v[54:55], v[60:61], v[58:59] neg_lo:[0,1] neg_hi:[0,1]
	v_cvt_f32_i32_e32 v56, v62
	v_add_f32_e32 v55, v63, v55
	v_add_f32_e32 v54, v54, v55
	;; [unrolled: 1-line block ×4, first 2 shown]
	v_sub_f32_e32 v55, v57, v67
	v_mul_f32_e32 v54, v65, v54
	v_sub_f32_e32 v55, v66, v55
	v_add_f32_e32 v54, v55, v54
	v_add_f32_e32 v58, v57, v54
	v_mul_f32_e32 v60, v58, v58
	v_mov_b32_e32 v55, 0x3ecc95a3
	v_sub_f32_e32 v57, v58, v57
	v_fmac_f32_e32 v55, 0x3e9b6dac, v60
	v_sub_f32_e32 v54, v54, v57
	v_fmaak_f32 v55, v60, v55, 0x3f2aaada
	v_ldexp_f32 v61, v54, 1
	v_mul_f32_e32 v57, v58, v60
	v_mov_b32_e32 v54, 0x3f317218
	v_pk_mul_f32 v[54:55], v[56:57], v[54:55]
	v_ldexp_f32 v59, v58, 1
	v_fma_f32 v57, v56, s2, -v54
	v_fmamk_f32 v58, v56, 0xb102e308, v57
	v_pk_add_f32 v[56:57], v[54:55], v[58:59]
	v_mov_b32_e32 v60, v54
	v_sub_f32_e32 v59, v57, v59
	v_sub_f32_e32 v59, v55, v59
	v_add_f32_e32 v61, v61, v59
	v_pk_add_f32 v[54:55], v[56:57], v[54:55] neg_lo:[0,1] neg_hi:[0,1]
	v_pk_add_f32 v[62:63], v[56:57], v[60:61]
	v_mov_b32_e32 v59, v56
	v_mov_b32_e32 v55, v63
	v_pk_add_f32 v[64:65], v[58:59], v[54:55] neg_lo:[0,1] neg_hi:[0,1]
	v_pk_add_f32 v[54:55], v[58:59], v[54:55]
	v_mov_b32_e32 v60, v61
	v_mov_b32_e32 v58, v55
	v_pk_add_f32 v[66:67], v[58:59], v[56:57] neg_lo:[0,1] neg_hi:[0,1]
	v_mov_b32_e32 v54, v63
	v_mov_b32_e32 v59, v66
	v_pk_add_f32 v[68:69], v[62:63], v[58:59] neg_lo:[0,1] neg_hi:[0,1]
	v_mov_b32_e32 v62, v57
	v_mov_b32_e32 v63, v66
	;; [unrolled: 1-line block ×3, first 2 shown]
	v_pk_add_f32 v[54:55], v[54:55], v[62:63] neg_lo:[0,1] neg_hi:[0,1]
	v_mov_b32_e32 v61, v56
	v_pk_add_f32 v[54:55], v[60:61], v[54:55] neg_lo:[0,1] neg_hi:[0,1]
	v_mov_b32_e32 v68, v64
	v_pk_add_f32 v[56:57], v[68:69], v[54:55]
	s_mov_b32 s2, 0x33800000
	v_mov_b32_e32 v60, v57
	v_pk_add_f32 v[60:61], v[56:57], v[60:61]
	v_cmp_lt_f32_e64 vcc, |v70|, s2
	v_pk_add_f32 v[58:59], v[58:59], v[60:61]
	v_mov_b32_e32 v55, v60
	v_mov_b32_e32 v57, v58
	v_pk_add_f32 v[62:63], v[56:57], v[64:65] neg_lo:[0,1] neg_hi:[0,1]
	s_or_b64 s[98:99], s[98:99], vcc
	v_sub_f32_e32 v56, v56, v62
	v_pk_add_f32 v[54:55], v[54:55], v[62:63] neg_lo:[0,1] neg_hi:[0,1]
	v_sub_f32_e32 v56, v64, v56
	v_add_f32_e32 v54, v54, v56
	v_add_f32_e32 v54, v54, v55
	;; [unrolled: 1-line block ×3, first 2 shown]
	v_cndmask_b32_e64 v54, v54, v70, s[98:99]
	v_add_f32_e32 v54, v53, v54
.LBB489_94:
	s_or_b64 exec, exec, s[96:97]
	v_bfe_u32 v53, v54, 16, 1
	s_movk_i32 s2, 0x7fff
	v_add3_u32 v53, v54, v53, s2
	v_lshrrev_b32_e32 v53, 16, v53
	v_mov_b32_e32 v55, 0x7fc0
	v_cmp_o_f32_e64 s[98:99], v54, v54
	s_nop 1
	v_cndmask_b32_e64 v56, v55, v53, s[98:99]
	v_mbcnt_lo_u32_b32 v53, -1, 0
	v_mbcnt_hi_u32_b32 v54, -1, v53
	v_and_b32_e32 v55, 15, v54
	v_and_b32_e32 v57, 0xffff, v56
	v_cmp_ne_u32_e64 s[98:99], 0, v55
	s_nop 0
	v_mov_b32_dpp v53, v57 row_shr:1 row_mask:0xf bank_mask:0xf
	s_and_saveexec_b64 s[96:97], s[98:99]
	s_cbranch_execz .LBB489_98
; %bb.95:
	v_lshlrev_b32_e32 v56, 16, v53
	v_lshlrev_b32_e32 v53, 16, v57
	v_max_f32_e32 v58, v53, v53
	v_max_f32_e32 v59, v56, v56
	v_min_f32_e32 v57, v59, v58
	v_cmp_u_f32_e64 s[98:99], v56, v56
	v_max_f32_e32 v58, v59, v58
	v_cmp_u_f32_e32 vcc, v53, v53
	v_cndmask_b32_e64 v57, v57, v56, s[98:99]
	v_cndmask_b32_e64 v58, v58, v56, s[98:99]
	v_cndmask_b32_e32 v57, v57, v53, vcc
	v_cndmask_b32_e32 v53, v58, v53, vcc
	s_movk_i32 s2, 0x1f8
	v_cmp_neq_f32_e32 vcc, v57, v53
	v_cmp_class_f32_e64 s[98:99], v57, s2
	s_or_b64 vcc, vcc, s[98:99]
	s_and_saveexec_b64 s[98:99], vcc
	s_cbranch_execz .LBB489_97
; %bb.96:
	v_sub_f32_e32 v56, v57, v53
	s_mov_b32 s2, 0x3fb8aa3b
	v_mul_f32_e32 v57, 0x3fb8aa3b, v56
	v_fma_f32 v58, v56, s2, -v57
	v_rndne_f32_e32 v59, v57
	v_fmamk_f32 v58, v56, 0x32a5705f, v58
	v_sub_f32_e32 v57, v57, v59
	v_add_f32_e32 v57, v57, v58
	v_exp_f32_e32 v57, v57
	v_cvt_i32_f32_e32 v58, v59
	s_mov_b32 s2, 0xc2ce8ed0
	v_cmp_ngt_f32_e32 vcc, s2, v56
	s_mov_b32 s2, 0x42b17218
	v_ldexp_f32 v57, v57, v58
	v_cndmask_b32_e32 v57, 0, v57, vcc
	v_mov_b32_e32 v58, 0x7f800000
	v_cmp_nlt_f32_e32 vcc, s2, v56
	s_mov_b32 s2, 0x3f2aaaab
	s_mov_b32 s3, 0x7f800000
	v_cndmask_b32_e32 v72, v58, v57, vcc
	v_add_f32_e32 v58, 1.0, v72
	v_add_f32_e32 v56, -1.0, v58
	v_sub_f32_e32 v57, v56, v58
	v_add_f32_e32 v57, 1.0, v57
	v_sub_f32_e32 v56, v72, v56
	v_add_f32_e32 v59, v56, v57
	v_frexp_mant_f32_e32 v60, v58
	v_cvt_f64_f32_e32 v[56:57], v58
	v_frexp_exp_i32_f64_e32 v56, v[56:57]
	v_cmp_gt_f32_e32 vcc, s2, v60
	s_mov_b32 s2, 0x3f317218
	s_nop 0
	v_subbrev_co_u32_e32 v64, vcc, 0, v56, vcc
	v_sub_u32_e32 v56, 0, v64
	v_ldexp_f32 v57, v58, v56
	v_add_f32_e32 v58, -1.0, v57
	v_add_f32_e32 v60, 1.0, v57
	v_ldexp_f32 v56, v59, v56
	v_add_f32_e32 v59, 1.0, v58
	v_add_f32_e32 v61, -1.0, v60
	v_sub_f32_e32 v59, v57, v59
	v_sub_f32_e32 v57, v57, v61
	v_add_f32_e32 v59, v56, v59
	v_add_f32_e32 v56, v56, v57
	;; [unrolled: 1-line block ×3, first 2 shown]
	v_rcp_f32_e32 v67, v65
	v_sub_f32_e32 v57, v60, v65
	v_add_f32_e32 v66, v56, v57
	v_add_f32_e32 v57, v58, v59
	v_mul_f32_e32 v69, v57, v67
	v_sub_f32_e32 v56, v58, v57
	v_mul_f32_e32 v58, v65, v69
	v_fma_f32 v60, v69, v65, -v58
	v_fmac_f32_e32 v60, v69, v66
	v_add_f32_e32 v68, v59, v56
	v_add_f32_e32 v56, v58, v60
	v_sub_f32_e32 v59, v57, v56
	v_pk_add_f32 v[62:63], v[56:57], v[58:59] neg_lo:[0,1] neg_hi:[0,1]
	v_mov_b32_e32 v61, v56
	v_pk_add_f32 v[56:57], v[62:63], v[60:61] neg_lo:[0,1] neg_hi:[0,1]
	v_cmp_eq_f32_e32 vcc, s3, v72
	v_add_f32_e32 v57, v68, v57
	v_add_f32_e32 v56, v56, v57
	;; [unrolled: 1-line block ×3, first 2 shown]
	v_mul_f32_e32 v68, v67, v57
	v_mul_f32_e32 v58, v65, v68
	v_fma_f32 v60, v68, v65, -v58
	v_fmac_f32_e32 v60, v68, v66
	v_sub_f32_e32 v59, v59, v57
	v_add_f32_e32 v65, v56, v59
	v_add_f32_e32 v56, v58, v60
	v_sub_f32_e32 v59, v57, v56
	v_pk_add_f32 v[62:63], v[56:57], v[58:59] neg_lo:[0,1] neg_hi:[0,1]
	v_mov_b32_e32 v61, v56
	v_pk_add_f32 v[56:57], v[62:63], v[60:61] neg_lo:[0,1] neg_hi:[0,1]
	v_cvt_f32_i32_e32 v58, v64
	v_add_f32_e32 v57, v65, v57
	v_add_f32_e32 v56, v56, v57
	;; [unrolled: 1-line block ×4, first 2 shown]
	v_sub_f32_e32 v57, v59, v69
	v_mul_f32_e32 v56, v67, v56
	v_sub_f32_e32 v57, v68, v57
	v_add_f32_e32 v56, v57, v56
	v_add_f32_e32 v60, v59, v56
	v_mul_f32_e32 v62, v60, v60
	v_mov_b32_e32 v57, 0x3ecc95a3
	v_sub_f32_e32 v59, v60, v59
	v_fmac_f32_e32 v57, 0x3e9b6dac, v62
	v_sub_f32_e32 v56, v56, v59
	v_fmaak_f32 v57, v62, v57, 0x3f2aaada
	v_ldexp_f32 v63, v56, 1
	v_mul_f32_e32 v59, v60, v62
	v_mov_b32_e32 v56, 0x3f317218
	v_pk_mul_f32 v[56:57], v[58:59], v[56:57]
	v_ldexp_f32 v61, v60, 1
	v_fma_f32 v59, v58, s2, -v56
	v_fmamk_f32 v60, v58, 0xb102e308, v59
	v_pk_add_f32 v[58:59], v[56:57], v[60:61]
	v_mov_b32_e32 v62, v56
	v_sub_f32_e32 v61, v59, v61
	v_sub_f32_e32 v61, v57, v61
	v_add_f32_e32 v63, v63, v61
	v_pk_add_f32 v[56:57], v[58:59], v[56:57] neg_lo:[0,1] neg_hi:[0,1]
	v_pk_add_f32 v[64:65], v[58:59], v[62:63]
	v_mov_b32_e32 v61, v58
	v_mov_b32_e32 v57, v65
	v_pk_add_f32 v[66:67], v[60:61], v[56:57] neg_lo:[0,1] neg_hi:[0,1]
	v_pk_add_f32 v[56:57], v[60:61], v[56:57]
	v_mov_b32_e32 v62, v63
	v_mov_b32_e32 v60, v57
	v_pk_add_f32 v[68:69], v[60:61], v[58:59] neg_lo:[0,1] neg_hi:[0,1]
	v_mov_b32_e32 v56, v65
	v_mov_b32_e32 v61, v68
	v_pk_add_f32 v[70:71], v[64:65], v[60:61] neg_lo:[0,1] neg_hi:[0,1]
	v_mov_b32_e32 v64, v59
	v_mov_b32_e32 v65, v68
	;; [unrolled: 1-line block ×3, first 2 shown]
	v_pk_add_f32 v[56:57], v[56:57], v[64:65] neg_lo:[0,1] neg_hi:[0,1]
	v_mov_b32_e32 v63, v58
	v_pk_add_f32 v[56:57], v[62:63], v[56:57] neg_lo:[0,1] neg_hi:[0,1]
	v_mov_b32_e32 v70, v66
	v_pk_add_f32 v[58:59], v[70:71], v[56:57]
	s_mov_b32 s2, 0x33800000
	v_mov_b32_e32 v62, v59
	v_pk_add_f32 v[62:63], v[58:59], v[62:63]
	v_cmp_lt_f32_e64 s[2:3], |v72|, s2
	v_pk_add_f32 v[60:61], v[60:61], v[62:63]
	v_mov_b32_e32 v57, v62
	v_mov_b32_e32 v59, v60
	v_pk_add_f32 v[64:65], v[58:59], v[66:67] neg_lo:[0,1] neg_hi:[0,1]
	s_or_b64 vcc, vcc, s[2:3]
	v_sub_f32_e32 v58, v58, v64
	v_pk_add_f32 v[56:57], v[56:57], v[64:65] neg_lo:[0,1] neg_hi:[0,1]
	v_sub_f32_e32 v58, v66, v58
	v_add_f32_e32 v56, v56, v58
	v_add_f32_e32 v56, v56, v57
	;; [unrolled: 1-line block ×3, first 2 shown]
	v_cndmask_b32_e32 v56, v56, v72, vcc
	v_add_f32_e32 v56, v53, v56
.LBB489_97:
	s_or_b64 exec, exec, s[98:99]
	v_bfe_u32 v53, v56, 16, 1
	s_movk_i32 s2, 0x7fff
	v_add3_u32 v53, v56, v53, s2
	v_lshrrev_b32_e32 v53, 16, v53
	v_mov_b32_e32 v57, 0x7fc0
	v_cmp_o_f32_e32 vcc, v56, v56
	s_nop 1
	v_cndmask_b32_e32 v56, v57, v53, vcc
	v_and_b32_e32 v57, 0xffff, v56
.LBB489_98:
	s_or_b64 exec, exec, s[96:97]
	s_load_dwordx2 s[0:1], s[0:1], 0x18
	v_mul_u32_u24_e32 v53, 46, v0
	v_mov_b32_dpp v58, v57 row_shr:2 row_mask:0xf bank_mask:0xf
	v_cmp_lt_u32_e32 vcc, 1, v55
	s_waitcnt lgkmcnt(0)
	v_writelane_b32 v77, s0, 6
	s_nop 1
	v_writelane_b32 v77, s1, 7
	s_and_saveexec_b64 s[96:97], vcc
	s_cbranch_execz .LBB489_102
; %bb.99:
	v_lshlrev_b32_e32 v58, 16, v58
	v_lshlrev_b32_e32 v56, 16, v57
	v_max_f32_e32 v59, v56, v56
	v_max_f32_e32 v60, v58, v58
	v_min_f32_e32 v57, v60, v59
	v_cmp_u_f32_e32 vcc, v58, v58
	v_max_f32_e32 v59, v60, v59
	v_cmp_u_f32_e64 s[0:1], v56, v56
	v_cndmask_b32_e32 v57, v57, v58, vcc
	v_cndmask_b32_e32 v59, v59, v58, vcc
	v_cndmask_b32_e64 v57, v57, v56, s[0:1]
	v_cndmask_b32_e64 v56, v59, v56, s[0:1]
	s_movk_i32 s0, 0x1f8
	v_cmp_neq_f32_e32 vcc, v57, v56
	v_cmp_class_f32_e64 s[0:1], v57, s0
	s_or_b64 s[2:3], vcc, s[0:1]
	s_and_saveexec_b64 s[0:1], s[2:3]
	s_cbranch_execz .LBB489_101
; %bb.100:
	v_sub_f32_e32 v57, v57, v56
	s_mov_b32 s2, 0x3fb8aa3b
	v_mul_f32_e32 v58, 0x3fb8aa3b, v57
	v_fma_f32 v59, v57, s2, -v58
	v_rndne_f32_e32 v60, v58
	v_fmamk_f32 v59, v57, 0x32a5705f, v59
	v_sub_f32_e32 v58, v58, v60
	v_add_f32_e32 v58, v58, v59
	v_exp_f32_e32 v58, v58
	v_cvt_i32_f32_e32 v59, v60
	s_mov_b32 s2, 0xc2ce8ed0
	v_cmp_ngt_f32_e32 vcc, s2, v57
	s_mov_b32 s2, 0x42b17218
	v_ldexp_f32 v58, v58, v59
	v_cndmask_b32_e32 v58, 0, v58, vcc
	v_mov_b32_e32 v59, 0x7f800000
	v_cmp_nlt_f32_e32 vcc, s2, v57
	s_mov_b32 s2, 0x3f2aaaab
	s_mov_b32 s3, 0x7f800000
	v_cndmask_b32_e32 v74, v59, v58, vcc
	v_add_f32_e32 v57, 1.0, v74
	v_add_f32_e32 v58, -1.0, v57
	v_sub_f32_e32 v59, v58, v57
	v_add_f32_e32 v59, 1.0, v59
	v_sub_f32_e32 v58, v74, v58
	v_add_f32_e32 v60, v58, v59
	v_frexp_mant_f32_e32 v61, v57
	v_cvt_f64_f32_e32 v[58:59], v57
	v_frexp_exp_i32_f64_e32 v58, v[58:59]
	v_cmp_gt_f32_e32 vcc, s2, v61
	s_mov_b32 s2, 0x3f317218
	s_nop 0
	v_subbrev_co_u32_e32 v66, vcc, 0, v58, vcc
	v_sub_u32_e32 v58, 0, v66
	v_ldexp_f32 v57, v57, v58
	v_ldexp_f32 v58, v60, v58
	v_add_f32_e32 v60, -1.0, v57
	v_add_f32_e32 v59, 1.0, v60
	v_sub_f32_e32 v59, v57, v59
	v_add_f32_e32 v61, v58, v59
	v_add_f32_e32 v59, 1.0, v57
	v_add_f32_e32 v62, -1.0, v59
	v_sub_f32_e32 v57, v57, v62
	v_add_f32_e32 v57, v58, v57
	v_add_f32_e32 v67, v59, v57
	v_rcp_f32_e32 v68, v67
	v_sub_f32_e32 v58, v59, v67
	v_add_f32_e32 v59, v60, v61
	v_add_f32_e32 v57, v57, v58
	v_mul_f32_e32 v70, v59, v68
	v_sub_f32_e32 v58, v60, v59
	v_mul_f32_e32 v60, v67, v70
	v_fma_f32 v62, v70, v67, -v60
	v_fmac_f32_e32 v62, v70, v57
	v_add_f32_e32 v69, v61, v58
	v_add_f32_e32 v58, v60, v62
	v_sub_f32_e32 v61, v59, v58
	v_pk_add_f32 v[64:65], v[58:59], v[60:61] neg_lo:[0,1] neg_hi:[0,1]
	v_mov_b32_e32 v63, v58
	v_pk_add_f32 v[58:59], v[64:65], v[62:63] neg_lo:[0,1] neg_hi:[0,1]
	v_cmp_eq_f32_e32 vcc, s3, v74
	v_add_f32_e32 v59, v69, v59
	v_add_f32_e32 v58, v58, v59
	;; [unrolled: 1-line block ×3, first 2 shown]
	v_mul_f32_e32 v69, v68, v59
	v_mul_f32_e32 v60, v67, v69
	v_fma_f32 v62, v69, v67, -v60
	v_fmac_f32_e32 v62, v69, v57
	v_sub_f32_e32 v57, v61, v59
	v_add_f32_e32 v57, v58, v57
	v_add_f32_e32 v58, v60, v62
	v_sub_f32_e32 v61, v59, v58
	v_pk_add_f32 v[64:65], v[58:59], v[60:61] neg_lo:[0,1] neg_hi:[0,1]
	v_mov_b32_e32 v63, v58
	v_pk_add_f32 v[58:59], v[64:65], v[62:63] neg_lo:[0,1] neg_hi:[0,1]
	v_cvt_f32_i32_e32 v60, v66
	v_add_f32_e32 v57, v57, v59
	v_add_f32_e32 v57, v58, v57
	;; [unrolled: 1-line block ×4, first 2 shown]
	v_sub_f32_e32 v59, v58, v70
	v_mul_f32_e32 v57, v68, v57
	v_sub_f32_e32 v59, v69, v59
	v_add_f32_e32 v57, v59, v57
	v_add_f32_e32 v61, v58, v57
	v_mul_f32_e32 v62, v61, v61
	v_mov_b32_e32 v59, 0x3ecc95a3
	v_fmac_f32_e32 v59, 0x3e9b6dac, v62
	v_sub_f32_e32 v58, v61, v58
	v_fmaak_f32 v59, v62, v59, 0x3f2aaada
	v_sub_f32_e32 v57, v57, v58
	v_ldexp_f32 v63, v61, 1
	v_mul_f32_e32 v61, v61, v62
	v_mov_b32_e32 v58, 0x3f317218
	v_pk_mul_f32 v[58:59], v[60:61], v[58:59]
	v_ldexp_f32 v57, v57, 1
	v_fma_f32 v61, v60, s2, -v58
	v_fmamk_f32 v62, v60, 0xb102e308, v61
	v_pk_add_f32 v[60:61], v[58:59], v[62:63]
	v_mov_b32_e32 v64, v58
	v_sub_f32_e32 v63, v61, v63
	v_sub_f32_e32 v63, v59, v63
	v_add_f32_e32 v65, v57, v63
	v_pk_add_f32 v[58:59], v[60:61], v[58:59] neg_lo:[0,1] neg_hi:[0,1]
	v_pk_add_f32 v[66:67], v[60:61], v[64:65]
	v_mov_b32_e32 v63, v60
	v_mov_b32_e32 v59, v67
	v_pk_add_f32 v[68:69], v[62:63], v[58:59] neg_lo:[0,1] neg_hi:[0,1]
	v_pk_add_f32 v[58:59], v[62:63], v[58:59]
	v_mov_b32_e32 v64, v65
	v_mov_b32_e32 v62, v59
	v_pk_add_f32 v[70:71], v[62:63], v[60:61] neg_lo:[0,1] neg_hi:[0,1]
	v_mov_b32_e32 v58, v67
	v_mov_b32_e32 v57, v70
	v_pk_add_f32 v[72:73], v[66:67], v[56:57] neg_lo:[0,1] neg_hi:[0,1]
	v_mov_b32_e32 v66, v61
	v_mov_b32_e32 v67, v70
	;; [unrolled: 1-line block ×3, first 2 shown]
	v_pk_add_f32 v[58:59], v[58:59], v[66:67] neg_lo:[0,1] neg_hi:[0,1]
	v_mov_b32_e32 v65, v60
	v_pk_add_f32 v[58:59], v[64:65], v[58:59] neg_lo:[0,1] neg_hi:[0,1]
	v_mov_b32_e32 v72, v68
	v_pk_add_f32 v[60:61], v[72:73], v[58:59]
	s_mov_b32 s2, 0x33800000
	v_mov_b32_e32 v64, v61
	v_pk_add_f32 v[64:65], v[60:61], v[64:65]
	v_cmp_lt_f32_e64 s[2:3], |v74|, s2
	v_pk_add_f32 v[62:63], v[62:63], v[64:65]
	v_mov_b32_e32 v59, v64
	v_mov_b32_e32 v61, v62
	v_pk_add_f32 v[66:67], v[60:61], v[68:69] neg_lo:[0,1] neg_hi:[0,1]
	s_or_b64 vcc, vcc, s[2:3]
	v_sub_f32_e32 v57, v60, v66
	v_pk_add_f32 v[58:59], v[58:59], v[66:67] neg_lo:[0,1] neg_hi:[0,1]
	v_sub_f32_e32 v57, v68, v57
	v_add_f32_e32 v57, v58, v57
	v_add_f32_e32 v57, v57, v59
	;; [unrolled: 1-line block ×3, first 2 shown]
	v_cndmask_b32_e32 v57, v57, v74, vcc
	v_add_f32_e32 v58, v56, v57
.LBB489_101:
	s_or_b64 exec, exec, s[0:1]
	v_bfe_u32 v56, v58, 16, 1
	s_movk_i32 s0, 0x7fff
	v_add3_u32 v56, v58, v56, s0
	v_lshrrev_b32_e32 v56, 16, v56
	v_mov_b32_e32 v57, 0x7fc0
	v_cmp_o_f32_e32 vcc, v58, v58
	s_nop 1
	v_cndmask_b32_e32 v56, v57, v56, vcc
	v_and_b32_e32 v57, 0xffff, v56
.LBB489_102:
	s_or_b64 exec, exec, s[96:97]
	s_nop 0
	v_mov_b32_dpp v58, v57 row_shr:4 row_mask:0xf bank_mask:0xf
	v_cmp_lt_u32_e32 vcc, 3, v55
	s_and_saveexec_b64 s[96:97], vcc
	s_cbranch_execz .LBB489_106
; %bb.103:
	v_lshlrev_b32_e32 v58, 16, v58
	v_lshlrev_b32_e32 v56, 16, v57
	v_max_f32_e32 v59, v56, v56
	v_max_f32_e32 v60, v58, v58
	v_min_f32_e32 v57, v60, v59
	v_cmp_u_f32_e32 vcc, v58, v58
	v_max_f32_e32 v59, v60, v59
	v_cmp_u_f32_e64 s[0:1], v56, v56
	v_cndmask_b32_e32 v57, v57, v58, vcc
	v_cndmask_b32_e32 v59, v59, v58, vcc
	v_cndmask_b32_e64 v57, v57, v56, s[0:1]
	v_cndmask_b32_e64 v56, v59, v56, s[0:1]
	s_movk_i32 s0, 0x1f8
	v_cmp_neq_f32_e32 vcc, v57, v56
	v_cmp_class_f32_e64 s[0:1], v57, s0
	s_or_b64 s[2:3], vcc, s[0:1]
	s_and_saveexec_b64 s[0:1], s[2:3]
	s_cbranch_execz .LBB489_105
; %bb.104:
	v_sub_f32_e32 v57, v57, v56
	s_mov_b32 s2, 0x3fb8aa3b
	v_mul_f32_e32 v58, 0x3fb8aa3b, v57
	v_fma_f32 v59, v57, s2, -v58
	v_rndne_f32_e32 v60, v58
	v_fmamk_f32 v59, v57, 0x32a5705f, v59
	v_sub_f32_e32 v58, v58, v60
	v_add_f32_e32 v58, v58, v59
	v_exp_f32_e32 v58, v58
	v_cvt_i32_f32_e32 v59, v60
	s_mov_b32 s2, 0xc2ce8ed0
	v_cmp_ngt_f32_e32 vcc, s2, v57
	s_mov_b32 s2, 0x42b17218
	v_ldexp_f32 v58, v58, v59
	v_cndmask_b32_e32 v58, 0, v58, vcc
	v_mov_b32_e32 v59, 0x7f800000
	v_cmp_nlt_f32_e32 vcc, s2, v57
	s_mov_b32 s2, 0x3f2aaaab
	s_mov_b32 s3, 0x7f800000
	v_cndmask_b32_e32 v74, v59, v58, vcc
	v_add_f32_e32 v57, 1.0, v74
	v_add_f32_e32 v58, -1.0, v57
	v_sub_f32_e32 v59, v58, v57
	v_add_f32_e32 v59, 1.0, v59
	v_sub_f32_e32 v58, v74, v58
	v_add_f32_e32 v60, v58, v59
	v_frexp_mant_f32_e32 v61, v57
	v_cvt_f64_f32_e32 v[58:59], v57
	v_frexp_exp_i32_f64_e32 v58, v[58:59]
	v_cmp_gt_f32_e32 vcc, s2, v61
	s_mov_b32 s2, 0x3f317218
	s_nop 0
	v_subbrev_co_u32_e32 v66, vcc, 0, v58, vcc
	v_sub_u32_e32 v58, 0, v66
	v_ldexp_f32 v57, v57, v58
	v_ldexp_f32 v58, v60, v58
	v_add_f32_e32 v60, -1.0, v57
	v_add_f32_e32 v59, 1.0, v60
	v_sub_f32_e32 v59, v57, v59
	v_add_f32_e32 v61, v58, v59
	v_add_f32_e32 v59, 1.0, v57
	v_add_f32_e32 v62, -1.0, v59
	v_sub_f32_e32 v57, v57, v62
	v_add_f32_e32 v57, v58, v57
	v_add_f32_e32 v67, v59, v57
	v_rcp_f32_e32 v68, v67
	v_sub_f32_e32 v58, v59, v67
	v_add_f32_e32 v59, v60, v61
	v_add_f32_e32 v57, v57, v58
	v_mul_f32_e32 v70, v59, v68
	v_sub_f32_e32 v58, v60, v59
	v_mul_f32_e32 v60, v67, v70
	v_fma_f32 v62, v70, v67, -v60
	v_fmac_f32_e32 v62, v70, v57
	v_add_f32_e32 v69, v61, v58
	v_add_f32_e32 v58, v60, v62
	v_sub_f32_e32 v61, v59, v58
	v_pk_add_f32 v[64:65], v[58:59], v[60:61] neg_lo:[0,1] neg_hi:[0,1]
	v_mov_b32_e32 v63, v58
	v_pk_add_f32 v[58:59], v[64:65], v[62:63] neg_lo:[0,1] neg_hi:[0,1]
	v_cmp_eq_f32_e32 vcc, s3, v74
	v_add_f32_e32 v59, v69, v59
	v_add_f32_e32 v58, v58, v59
	v_add_f32_e32 v59, v61, v58
	v_mul_f32_e32 v69, v68, v59
	v_mul_f32_e32 v60, v67, v69
	v_fma_f32 v62, v69, v67, -v60
	v_fmac_f32_e32 v62, v69, v57
	v_sub_f32_e32 v57, v61, v59
	v_add_f32_e32 v57, v58, v57
	v_add_f32_e32 v58, v60, v62
	v_sub_f32_e32 v61, v59, v58
	v_pk_add_f32 v[64:65], v[58:59], v[60:61] neg_lo:[0,1] neg_hi:[0,1]
	v_mov_b32_e32 v63, v58
	v_pk_add_f32 v[58:59], v[64:65], v[62:63] neg_lo:[0,1] neg_hi:[0,1]
	v_cvt_f32_i32_e32 v60, v66
	v_add_f32_e32 v57, v57, v59
	v_add_f32_e32 v57, v58, v57
	;; [unrolled: 1-line block ×4, first 2 shown]
	v_sub_f32_e32 v59, v58, v70
	v_mul_f32_e32 v57, v68, v57
	v_sub_f32_e32 v59, v69, v59
	v_add_f32_e32 v57, v59, v57
	v_add_f32_e32 v61, v58, v57
	v_mul_f32_e32 v62, v61, v61
	v_mov_b32_e32 v59, 0x3ecc95a3
	v_fmac_f32_e32 v59, 0x3e9b6dac, v62
	v_sub_f32_e32 v58, v61, v58
	v_fmaak_f32 v59, v62, v59, 0x3f2aaada
	v_sub_f32_e32 v57, v57, v58
	v_ldexp_f32 v63, v61, 1
	v_mul_f32_e32 v61, v61, v62
	v_mov_b32_e32 v58, 0x3f317218
	v_pk_mul_f32 v[58:59], v[60:61], v[58:59]
	v_ldexp_f32 v57, v57, 1
	v_fma_f32 v61, v60, s2, -v58
	v_fmamk_f32 v62, v60, 0xb102e308, v61
	v_pk_add_f32 v[60:61], v[58:59], v[62:63]
	v_mov_b32_e32 v64, v58
	v_sub_f32_e32 v63, v61, v63
	v_sub_f32_e32 v63, v59, v63
	v_add_f32_e32 v65, v57, v63
	v_pk_add_f32 v[58:59], v[60:61], v[58:59] neg_lo:[0,1] neg_hi:[0,1]
	v_pk_add_f32 v[66:67], v[60:61], v[64:65]
	v_mov_b32_e32 v63, v60
	v_mov_b32_e32 v59, v67
	v_pk_add_f32 v[68:69], v[62:63], v[58:59] neg_lo:[0,1] neg_hi:[0,1]
	v_pk_add_f32 v[58:59], v[62:63], v[58:59]
	v_mov_b32_e32 v64, v65
	v_mov_b32_e32 v62, v59
	v_pk_add_f32 v[70:71], v[62:63], v[60:61] neg_lo:[0,1] neg_hi:[0,1]
	v_mov_b32_e32 v58, v67
	v_mov_b32_e32 v57, v70
	v_pk_add_f32 v[72:73], v[66:67], v[56:57] neg_lo:[0,1] neg_hi:[0,1]
	v_mov_b32_e32 v66, v61
	v_mov_b32_e32 v67, v70
	;; [unrolled: 1-line block ×3, first 2 shown]
	v_pk_add_f32 v[58:59], v[58:59], v[66:67] neg_lo:[0,1] neg_hi:[0,1]
	v_mov_b32_e32 v65, v60
	v_pk_add_f32 v[58:59], v[64:65], v[58:59] neg_lo:[0,1] neg_hi:[0,1]
	v_mov_b32_e32 v72, v68
	v_pk_add_f32 v[60:61], v[72:73], v[58:59]
	s_mov_b32 s2, 0x33800000
	v_mov_b32_e32 v64, v61
	v_pk_add_f32 v[64:65], v[60:61], v[64:65]
	v_cmp_lt_f32_e64 s[2:3], |v74|, s2
	v_pk_add_f32 v[62:63], v[62:63], v[64:65]
	v_mov_b32_e32 v59, v64
	v_mov_b32_e32 v61, v62
	v_pk_add_f32 v[66:67], v[60:61], v[68:69] neg_lo:[0,1] neg_hi:[0,1]
	s_or_b64 vcc, vcc, s[2:3]
	v_sub_f32_e32 v57, v60, v66
	v_pk_add_f32 v[58:59], v[58:59], v[66:67] neg_lo:[0,1] neg_hi:[0,1]
	v_sub_f32_e32 v57, v68, v57
	v_add_f32_e32 v57, v58, v57
	v_add_f32_e32 v57, v57, v59
	;; [unrolled: 1-line block ×3, first 2 shown]
	v_cndmask_b32_e32 v57, v57, v74, vcc
	v_add_f32_e32 v58, v56, v57
.LBB489_105:
	s_or_b64 exec, exec, s[0:1]
	v_bfe_u32 v56, v58, 16, 1
	s_movk_i32 s0, 0x7fff
	v_add3_u32 v56, v58, v56, s0
	v_lshrrev_b32_e32 v56, 16, v56
	v_mov_b32_e32 v57, 0x7fc0
	v_cmp_o_f32_e32 vcc, v58, v58
	s_nop 1
	v_cndmask_b32_e32 v56, v57, v56, vcc
	v_and_b32_e32 v57, 0xffff, v56
.LBB489_106:
	s_or_b64 exec, exec, s[96:97]
	s_nop 0
	v_mov_b32_dpp v58, v57 row_shr:8 row_mask:0xf bank_mask:0xf
	v_cmp_lt_u32_e32 vcc, 7, v55
	s_and_saveexec_b64 s[96:97], vcc
	s_cbranch_execz .LBB489_110
; %bb.107:
	v_lshlrev_b32_e32 v56, 16, v58
	v_lshlrev_b32_e32 v55, 16, v57
	v_max_f32_e32 v58, v55, v55
	v_max_f32_e32 v59, v56, v56
	v_min_f32_e32 v57, v59, v58
	v_cmp_u_f32_e32 vcc, v56, v56
	v_max_f32_e32 v58, v59, v58
	v_cmp_u_f32_e64 s[0:1], v55, v55
	v_cndmask_b32_e32 v57, v57, v56, vcc
	v_cndmask_b32_e32 v58, v58, v56, vcc
	v_cndmask_b32_e64 v57, v57, v55, s[0:1]
	v_cndmask_b32_e64 v55, v58, v55, s[0:1]
	s_movk_i32 s0, 0x1f8
	v_cmp_neq_f32_e32 vcc, v57, v55
	v_cmp_class_f32_e64 s[0:1], v57, s0
	s_or_b64 s[2:3], vcc, s[0:1]
	s_and_saveexec_b64 s[0:1], s[2:3]
	s_cbranch_execz .LBB489_109
; %bb.108:
	v_sub_f32_e32 v56, v57, v55
	s_mov_b32 s2, 0x3fb8aa3b
	v_mul_f32_e32 v57, 0x3fb8aa3b, v56
	v_fma_f32 v58, v56, s2, -v57
	v_rndne_f32_e32 v59, v57
	v_fmamk_f32 v58, v56, 0x32a5705f, v58
	v_sub_f32_e32 v57, v57, v59
	v_add_f32_e32 v57, v57, v58
	v_exp_f32_e32 v57, v57
	v_cvt_i32_f32_e32 v58, v59
	s_mov_b32 s2, 0xc2ce8ed0
	v_cmp_ngt_f32_e32 vcc, s2, v56
	s_mov_b32 s2, 0x42b17218
	v_ldexp_f32 v57, v57, v58
	v_cndmask_b32_e32 v57, 0, v57, vcc
	v_mov_b32_e32 v58, 0x7f800000
	v_cmp_nlt_f32_e32 vcc, s2, v56
	s_mov_b32 s2, 0x3f2aaaab
	s_mov_b32 s3, 0x7f800000
	v_cndmask_b32_e32 v72, v58, v57, vcc
	v_add_f32_e32 v58, 1.0, v72
	v_add_f32_e32 v56, -1.0, v58
	v_sub_f32_e32 v57, v56, v58
	v_add_f32_e32 v57, 1.0, v57
	v_sub_f32_e32 v56, v72, v56
	v_add_f32_e32 v59, v56, v57
	v_frexp_mant_f32_e32 v60, v58
	v_cvt_f64_f32_e32 v[56:57], v58
	v_frexp_exp_i32_f64_e32 v56, v[56:57]
	v_cmp_gt_f32_e32 vcc, s2, v60
	s_mov_b32 s2, 0x3f317218
	s_nop 0
	v_subbrev_co_u32_e32 v64, vcc, 0, v56, vcc
	v_sub_u32_e32 v56, 0, v64
	v_ldexp_f32 v57, v58, v56
	v_add_f32_e32 v58, -1.0, v57
	v_add_f32_e32 v60, 1.0, v57
	v_ldexp_f32 v56, v59, v56
	v_add_f32_e32 v59, 1.0, v58
	v_add_f32_e32 v61, -1.0, v60
	v_sub_f32_e32 v59, v57, v59
	v_sub_f32_e32 v57, v57, v61
	v_add_f32_e32 v59, v56, v59
	v_add_f32_e32 v56, v56, v57
	;; [unrolled: 1-line block ×3, first 2 shown]
	v_rcp_f32_e32 v67, v65
	v_sub_f32_e32 v57, v60, v65
	v_add_f32_e32 v66, v56, v57
	v_add_f32_e32 v57, v58, v59
	v_mul_f32_e32 v69, v57, v67
	v_sub_f32_e32 v56, v58, v57
	v_mul_f32_e32 v58, v65, v69
	v_fma_f32 v60, v69, v65, -v58
	v_fmac_f32_e32 v60, v69, v66
	v_add_f32_e32 v68, v59, v56
	v_add_f32_e32 v56, v58, v60
	v_sub_f32_e32 v59, v57, v56
	v_pk_add_f32 v[62:63], v[56:57], v[58:59] neg_lo:[0,1] neg_hi:[0,1]
	v_mov_b32_e32 v61, v56
	v_pk_add_f32 v[56:57], v[62:63], v[60:61] neg_lo:[0,1] neg_hi:[0,1]
	v_cmp_eq_f32_e32 vcc, s3, v72
	v_add_f32_e32 v57, v68, v57
	v_add_f32_e32 v56, v56, v57
	v_add_f32_e32 v57, v59, v56
	v_mul_f32_e32 v68, v67, v57
	v_mul_f32_e32 v58, v65, v68
	v_fma_f32 v60, v68, v65, -v58
	v_fmac_f32_e32 v60, v68, v66
	v_sub_f32_e32 v59, v59, v57
	v_add_f32_e32 v65, v56, v59
	v_add_f32_e32 v56, v58, v60
	v_sub_f32_e32 v59, v57, v56
	v_pk_add_f32 v[62:63], v[56:57], v[58:59] neg_lo:[0,1] neg_hi:[0,1]
	v_mov_b32_e32 v61, v56
	v_pk_add_f32 v[56:57], v[62:63], v[60:61] neg_lo:[0,1] neg_hi:[0,1]
	v_cvt_f32_i32_e32 v58, v64
	v_add_f32_e32 v57, v65, v57
	v_add_f32_e32 v56, v56, v57
	;; [unrolled: 1-line block ×4, first 2 shown]
	v_sub_f32_e32 v57, v59, v69
	v_mul_f32_e32 v56, v67, v56
	v_sub_f32_e32 v57, v68, v57
	v_add_f32_e32 v56, v57, v56
	v_add_f32_e32 v60, v59, v56
	v_mul_f32_e32 v62, v60, v60
	v_mov_b32_e32 v57, 0x3ecc95a3
	v_sub_f32_e32 v59, v60, v59
	v_fmac_f32_e32 v57, 0x3e9b6dac, v62
	v_sub_f32_e32 v56, v56, v59
	v_fmaak_f32 v57, v62, v57, 0x3f2aaada
	v_ldexp_f32 v63, v56, 1
	v_mul_f32_e32 v59, v60, v62
	v_mov_b32_e32 v56, 0x3f317218
	v_pk_mul_f32 v[56:57], v[58:59], v[56:57]
	v_ldexp_f32 v61, v60, 1
	v_fma_f32 v59, v58, s2, -v56
	v_fmamk_f32 v60, v58, 0xb102e308, v59
	v_pk_add_f32 v[58:59], v[56:57], v[60:61]
	v_mov_b32_e32 v62, v56
	v_sub_f32_e32 v61, v59, v61
	v_sub_f32_e32 v61, v57, v61
	v_add_f32_e32 v63, v63, v61
	v_pk_add_f32 v[56:57], v[58:59], v[56:57] neg_lo:[0,1] neg_hi:[0,1]
	v_pk_add_f32 v[64:65], v[58:59], v[62:63]
	v_mov_b32_e32 v61, v58
	v_mov_b32_e32 v57, v65
	v_pk_add_f32 v[66:67], v[60:61], v[56:57] neg_lo:[0,1] neg_hi:[0,1]
	v_pk_add_f32 v[56:57], v[60:61], v[56:57]
	v_mov_b32_e32 v62, v63
	v_mov_b32_e32 v60, v57
	v_pk_add_f32 v[68:69], v[60:61], v[58:59] neg_lo:[0,1] neg_hi:[0,1]
	v_mov_b32_e32 v56, v65
	v_mov_b32_e32 v61, v68
	v_pk_add_f32 v[70:71], v[64:65], v[60:61] neg_lo:[0,1] neg_hi:[0,1]
	v_mov_b32_e32 v64, v59
	v_mov_b32_e32 v65, v68
	;; [unrolled: 1-line block ×3, first 2 shown]
	v_pk_add_f32 v[56:57], v[56:57], v[64:65] neg_lo:[0,1] neg_hi:[0,1]
	v_mov_b32_e32 v63, v58
	v_pk_add_f32 v[56:57], v[62:63], v[56:57] neg_lo:[0,1] neg_hi:[0,1]
	v_mov_b32_e32 v70, v66
	v_pk_add_f32 v[58:59], v[70:71], v[56:57]
	s_mov_b32 s2, 0x33800000
	v_mov_b32_e32 v62, v59
	v_pk_add_f32 v[62:63], v[58:59], v[62:63]
	v_cmp_lt_f32_e64 s[2:3], |v72|, s2
	v_pk_add_f32 v[60:61], v[60:61], v[62:63]
	v_mov_b32_e32 v57, v62
	v_mov_b32_e32 v59, v60
	v_pk_add_f32 v[64:65], v[58:59], v[66:67] neg_lo:[0,1] neg_hi:[0,1]
	s_or_b64 vcc, vcc, s[2:3]
	v_sub_f32_e32 v58, v58, v64
	v_pk_add_f32 v[56:57], v[56:57], v[64:65] neg_lo:[0,1] neg_hi:[0,1]
	v_sub_f32_e32 v58, v66, v58
	v_add_f32_e32 v56, v56, v58
	v_add_f32_e32 v56, v56, v57
	;; [unrolled: 1-line block ×3, first 2 shown]
	v_cndmask_b32_e32 v56, v56, v72, vcc
	v_add_f32_e32 v56, v55, v56
.LBB489_109:
	s_or_b64 exec, exec, s[0:1]
	v_bfe_u32 v55, v56, 16, 1
	s_movk_i32 s0, 0x7fff
	v_add3_u32 v55, v56, v55, s0
	v_lshrrev_b32_e32 v55, 16, v55
	v_mov_b32_e32 v57, 0x7fc0
	v_cmp_o_f32_e32 vcc, v56, v56
	s_nop 1
	v_cndmask_b32_e32 v56, v57, v55, vcc
	v_and_b32_e32 v57, 0xffff, v56
.LBB489_110:
	s_or_b64 exec, exec, s[96:97]
	v_and_b32_e32 v58, 16, v54
	v_mov_b32_dpp v55, v57 row_bcast:15 row_mask:0xf bank_mask:0xf
	v_cmp_ne_u32_e32 vcc, 0, v58
	s_and_saveexec_b64 s[96:97], vcc
	s_cbranch_execz .LBB489_114
; %bb.111:
	v_lshlrev_b32_e32 v56, 16, v55
	v_lshlrev_b32_e32 v55, 16, v57
	v_max_f32_e32 v58, v55, v55
	v_max_f32_e32 v59, v56, v56
	v_min_f32_e32 v57, v59, v58
	v_cmp_u_f32_e32 vcc, v56, v56
	v_max_f32_e32 v58, v59, v58
	v_cmp_u_f32_e64 s[0:1], v55, v55
	v_cndmask_b32_e32 v57, v57, v56, vcc
	v_cndmask_b32_e32 v58, v58, v56, vcc
	v_cndmask_b32_e64 v57, v57, v55, s[0:1]
	v_cndmask_b32_e64 v55, v58, v55, s[0:1]
	s_movk_i32 s0, 0x1f8
	v_cmp_neq_f32_e32 vcc, v57, v55
	v_cmp_class_f32_e64 s[0:1], v57, s0
	s_or_b64 s[2:3], vcc, s[0:1]
	s_and_saveexec_b64 s[0:1], s[2:3]
	s_cbranch_execz .LBB489_113
; %bb.112:
	v_sub_f32_e32 v56, v57, v55
	s_mov_b32 s2, 0x3fb8aa3b
	v_mul_f32_e32 v57, 0x3fb8aa3b, v56
	v_fma_f32 v58, v56, s2, -v57
	v_rndne_f32_e32 v59, v57
	v_fmamk_f32 v58, v56, 0x32a5705f, v58
	v_sub_f32_e32 v57, v57, v59
	v_add_f32_e32 v57, v57, v58
	v_exp_f32_e32 v57, v57
	v_cvt_i32_f32_e32 v58, v59
	s_mov_b32 s2, 0xc2ce8ed0
	v_cmp_ngt_f32_e32 vcc, s2, v56
	s_mov_b32 s2, 0x42b17218
	v_ldexp_f32 v57, v57, v58
	v_cndmask_b32_e32 v57, 0, v57, vcc
	v_mov_b32_e32 v58, 0x7f800000
	v_cmp_nlt_f32_e32 vcc, s2, v56
	s_mov_b32 s2, 0x3f2aaaab
	s_mov_b32 s3, 0x7f800000
	v_cndmask_b32_e32 v72, v58, v57, vcc
	v_add_f32_e32 v58, 1.0, v72
	v_add_f32_e32 v56, -1.0, v58
	v_sub_f32_e32 v57, v56, v58
	v_add_f32_e32 v57, 1.0, v57
	v_sub_f32_e32 v56, v72, v56
	v_add_f32_e32 v59, v56, v57
	v_frexp_mant_f32_e32 v60, v58
	v_cvt_f64_f32_e32 v[56:57], v58
	v_frexp_exp_i32_f64_e32 v56, v[56:57]
	v_cmp_gt_f32_e32 vcc, s2, v60
	s_mov_b32 s2, 0x3f317218
	s_nop 0
	v_subbrev_co_u32_e32 v64, vcc, 0, v56, vcc
	v_sub_u32_e32 v56, 0, v64
	v_ldexp_f32 v57, v58, v56
	v_add_f32_e32 v58, -1.0, v57
	v_add_f32_e32 v60, 1.0, v57
	v_ldexp_f32 v56, v59, v56
	v_add_f32_e32 v59, 1.0, v58
	v_add_f32_e32 v61, -1.0, v60
	v_sub_f32_e32 v59, v57, v59
	v_sub_f32_e32 v57, v57, v61
	v_add_f32_e32 v59, v56, v59
	v_add_f32_e32 v56, v56, v57
	;; [unrolled: 1-line block ×3, first 2 shown]
	v_rcp_f32_e32 v67, v65
	v_sub_f32_e32 v57, v60, v65
	v_add_f32_e32 v66, v56, v57
	v_add_f32_e32 v57, v58, v59
	v_mul_f32_e32 v69, v57, v67
	v_sub_f32_e32 v56, v58, v57
	v_mul_f32_e32 v58, v65, v69
	v_fma_f32 v60, v69, v65, -v58
	v_fmac_f32_e32 v60, v69, v66
	v_add_f32_e32 v68, v59, v56
	v_add_f32_e32 v56, v58, v60
	v_sub_f32_e32 v59, v57, v56
	v_pk_add_f32 v[62:63], v[56:57], v[58:59] neg_lo:[0,1] neg_hi:[0,1]
	v_mov_b32_e32 v61, v56
	v_pk_add_f32 v[56:57], v[62:63], v[60:61] neg_lo:[0,1] neg_hi:[0,1]
	v_cmp_eq_f32_e32 vcc, s3, v72
	v_add_f32_e32 v57, v68, v57
	v_add_f32_e32 v56, v56, v57
	;; [unrolled: 1-line block ×3, first 2 shown]
	v_mul_f32_e32 v68, v67, v57
	v_mul_f32_e32 v58, v65, v68
	v_fma_f32 v60, v68, v65, -v58
	v_fmac_f32_e32 v60, v68, v66
	v_sub_f32_e32 v59, v59, v57
	v_add_f32_e32 v65, v56, v59
	v_add_f32_e32 v56, v58, v60
	v_sub_f32_e32 v59, v57, v56
	v_pk_add_f32 v[62:63], v[56:57], v[58:59] neg_lo:[0,1] neg_hi:[0,1]
	v_mov_b32_e32 v61, v56
	v_pk_add_f32 v[56:57], v[62:63], v[60:61] neg_lo:[0,1] neg_hi:[0,1]
	v_cvt_f32_i32_e32 v58, v64
	v_add_f32_e32 v57, v65, v57
	v_add_f32_e32 v56, v56, v57
	;; [unrolled: 1-line block ×4, first 2 shown]
	v_sub_f32_e32 v57, v59, v69
	v_mul_f32_e32 v56, v67, v56
	v_sub_f32_e32 v57, v68, v57
	v_add_f32_e32 v56, v57, v56
	v_add_f32_e32 v60, v59, v56
	v_mul_f32_e32 v62, v60, v60
	v_mov_b32_e32 v57, 0x3ecc95a3
	v_sub_f32_e32 v59, v60, v59
	v_fmac_f32_e32 v57, 0x3e9b6dac, v62
	v_sub_f32_e32 v56, v56, v59
	v_fmaak_f32 v57, v62, v57, 0x3f2aaada
	v_ldexp_f32 v63, v56, 1
	v_mul_f32_e32 v59, v60, v62
	v_mov_b32_e32 v56, 0x3f317218
	v_pk_mul_f32 v[56:57], v[58:59], v[56:57]
	v_ldexp_f32 v61, v60, 1
	v_fma_f32 v59, v58, s2, -v56
	v_fmamk_f32 v60, v58, 0xb102e308, v59
	v_pk_add_f32 v[58:59], v[56:57], v[60:61]
	v_mov_b32_e32 v62, v56
	v_sub_f32_e32 v61, v59, v61
	v_sub_f32_e32 v61, v57, v61
	v_add_f32_e32 v63, v63, v61
	v_pk_add_f32 v[56:57], v[58:59], v[56:57] neg_lo:[0,1] neg_hi:[0,1]
	v_pk_add_f32 v[64:65], v[58:59], v[62:63]
	v_mov_b32_e32 v61, v58
	v_mov_b32_e32 v57, v65
	v_pk_add_f32 v[66:67], v[60:61], v[56:57] neg_lo:[0,1] neg_hi:[0,1]
	v_pk_add_f32 v[56:57], v[60:61], v[56:57]
	v_mov_b32_e32 v62, v63
	v_mov_b32_e32 v60, v57
	v_pk_add_f32 v[68:69], v[60:61], v[58:59] neg_lo:[0,1] neg_hi:[0,1]
	v_mov_b32_e32 v56, v65
	v_mov_b32_e32 v61, v68
	v_pk_add_f32 v[70:71], v[64:65], v[60:61] neg_lo:[0,1] neg_hi:[0,1]
	v_mov_b32_e32 v64, v59
	v_mov_b32_e32 v65, v68
	;; [unrolled: 1-line block ×3, first 2 shown]
	v_pk_add_f32 v[56:57], v[56:57], v[64:65] neg_lo:[0,1] neg_hi:[0,1]
	v_mov_b32_e32 v63, v58
	v_pk_add_f32 v[56:57], v[62:63], v[56:57] neg_lo:[0,1] neg_hi:[0,1]
	v_mov_b32_e32 v70, v66
	v_pk_add_f32 v[58:59], v[70:71], v[56:57]
	s_mov_b32 s2, 0x33800000
	v_mov_b32_e32 v62, v59
	v_pk_add_f32 v[62:63], v[58:59], v[62:63]
	v_cmp_lt_f32_e64 s[2:3], |v72|, s2
	v_pk_add_f32 v[60:61], v[60:61], v[62:63]
	v_mov_b32_e32 v57, v62
	v_mov_b32_e32 v59, v60
	v_pk_add_f32 v[64:65], v[58:59], v[66:67] neg_lo:[0,1] neg_hi:[0,1]
	s_or_b64 vcc, vcc, s[2:3]
	v_sub_f32_e32 v58, v58, v64
	v_pk_add_f32 v[56:57], v[56:57], v[64:65] neg_lo:[0,1] neg_hi:[0,1]
	v_sub_f32_e32 v58, v66, v58
	v_add_f32_e32 v56, v56, v58
	v_add_f32_e32 v56, v56, v57
	;; [unrolled: 1-line block ×3, first 2 shown]
	v_cndmask_b32_e32 v56, v56, v72, vcc
	v_add_f32_e32 v56, v55, v56
.LBB489_113:
	s_or_b64 exec, exec, s[0:1]
	v_bfe_u32 v55, v56, 16, 1
	s_movk_i32 s0, 0x7fff
	v_add3_u32 v55, v56, v55, s0
	v_lshrrev_b32_e32 v55, 16, v55
	v_mov_b32_e32 v57, 0x7fc0
	v_cmp_o_f32_e32 vcc, v56, v56
	s_nop 1
	v_cndmask_b32_e32 v56, v57, v55, vcc
	v_and_b32_e32 v57, 0xffff, v56
.LBB489_114:
	s_or_b64 exec, exec, s[96:97]
	s_nop 0
	v_mov_b32_dpp v55, v57 row_bcast:31 row_mask:0xf bank_mask:0xf
	v_cmp_lt_u32_e32 vcc, 31, v54
	s_and_saveexec_b64 s[96:97], vcc
	s_cbranch_execz .LBB489_118
; %bb.115:
	v_lshlrev_b32_e32 v56, 16, v55
	v_lshlrev_b32_e32 v55, 16, v57
	v_max_f32_e32 v58, v55, v55
	v_max_f32_e32 v59, v56, v56
	v_min_f32_e32 v57, v59, v58
	v_cmp_u_f32_e32 vcc, v56, v56
	v_max_f32_e32 v58, v59, v58
	v_cmp_u_f32_e64 s[0:1], v55, v55
	v_cndmask_b32_e32 v57, v57, v56, vcc
	v_cndmask_b32_e32 v58, v58, v56, vcc
	v_cndmask_b32_e64 v57, v57, v55, s[0:1]
	v_cndmask_b32_e64 v55, v58, v55, s[0:1]
	s_movk_i32 s0, 0x1f8
	v_cmp_neq_f32_e32 vcc, v57, v55
	v_cmp_class_f32_e64 s[0:1], v57, s0
	s_or_b64 s[2:3], vcc, s[0:1]
	s_and_saveexec_b64 s[0:1], s[2:3]
	s_cbranch_execz .LBB489_117
; %bb.116:
	v_sub_f32_e32 v56, v57, v55
	s_mov_b32 s2, 0x3fb8aa3b
	v_mul_f32_e32 v57, 0x3fb8aa3b, v56
	v_fma_f32 v58, v56, s2, -v57
	v_rndne_f32_e32 v59, v57
	v_fmamk_f32 v58, v56, 0x32a5705f, v58
	v_sub_f32_e32 v57, v57, v59
	v_add_f32_e32 v57, v57, v58
	v_exp_f32_e32 v57, v57
	v_cvt_i32_f32_e32 v58, v59
	s_mov_b32 s2, 0xc2ce8ed0
	v_cmp_ngt_f32_e32 vcc, s2, v56
	s_mov_b32 s2, 0x42b17218
	v_ldexp_f32 v57, v57, v58
	v_cndmask_b32_e32 v57, 0, v57, vcc
	v_mov_b32_e32 v58, 0x7f800000
	v_cmp_nlt_f32_e32 vcc, s2, v56
	s_mov_b32 s2, 0x3f2aaaab
	s_mov_b32 s3, 0x7f800000
	v_cndmask_b32_e32 v72, v58, v57, vcc
	v_add_f32_e32 v58, 1.0, v72
	v_add_f32_e32 v56, -1.0, v58
	v_sub_f32_e32 v57, v56, v58
	v_add_f32_e32 v57, 1.0, v57
	v_sub_f32_e32 v56, v72, v56
	v_add_f32_e32 v59, v56, v57
	v_frexp_mant_f32_e32 v60, v58
	v_cvt_f64_f32_e32 v[56:57], v58
	v_frexp_exp_i32_f64_e32 v56, v[56:57]
	v_cmp_gt_f32_e32 vcc, s2, v60
	s_mov_b32 s2, 0x3f317218
	s_nop 0
	v_subbrev_co_u32_e32 v64, vcc, 0, v56, vcc
	v_sub_u32_e32 v56, 0, v64
	v_ldexp_f32 v57, v58, v56
	v_add_f32_e32 v58, -1.0, v57
	v_add_f32_e32 v60, 1.0, v57
	v_ldexp_f32 v56, v59, v56
	v_add_f32_e32 v59, 1.0, v58
	v_add_f32_e32 v61, -1.0, v60
	v_sub_f32_e32 v59, v57, v59
	v_sub_f32_e32 v57, v57, v61
	v_add_f32_e32 v59, v56, v59
	v_add_f32_e32 v56, v56, v57
	;; [unrolled: 1-line block ×3, first 2 shown]
	v_rcp_f32_e32 v67, v65
	v_sub_f32_e32 v57, v60, v65
	v_add_f32_e32 v66, v56, v57
	v_add_f32_e32 v57, v58, v59
	v_mul_f32_e32 v69, v57, v67
	v_sub_f32_e32 v56, v58, v57
	v_mul_f32_e32 v58, v65, v69
	v_fma_f32 v60, v69, v65, -v58
	v_fmac_f32_e32 v60, v69, v66
	v_add_f32_e32 v68, v59, v56
	v_add_f32_e32 v56, v58, v60
	v_sub_f32_e32 v59, v57, v56
	v_pk_add_f32 v[62:63], v[56:57], v[58:59] neg_lo:[0,1] neg_hi:[0,1]
	v_mov_b32_e32 v61, v56
	v_pk_add_f32 v[56:57], v[62:63], v[60:61] neg_lo:[0,1] neg_hi:[0,1]
	v_cmp_eq_f32_e32 vcc, s3, v72
	v_add_f32_e32 v57, v68, v57
	v_add_f32_e32 v56, v56, v57
	;; [unrolled: 1-line block ×3, first 2 shown]
	v_mul_f32_e32 v68, v67, v57
	v_mul_f32_e32 v58, v65, v68
	v_fma_f32 v60, v68, v65, -v58
	v_fmac_f32_e32 v60, v68, v66
	v_sub_f32_e32 v59, v59, v57
	v_add_f32_e32 v65, v56, v59
	v_add_f32_e32 v56, v58, v60
	v_sub_f32_e32 v59, v57, v56
	v_pk_add_f32 v[62:63], v[56:57], v[58:59] neg_lo:[0,1] neg_hi:[0,1]
	v_mov_b32_e32 v61, v56
	v_pk_add_f32 v[56:57], v[62:63], v[60:61] neg_lo:[0,1] neg_hi:[0,1]
	v_cvt_f32_i32_e32 v58, v64
	v_add_f32_e32 v57, v65, v57
	v_add_f32_e32 v56, v56, v57
	v_add_f32_e32 v56, v59, v56
	v_add_f32_e32 v59, v69, v68
	v_sub_f32_e32 v57, v59, v69
	v_mul_f32_e32 v56, v67, v56
	v_sub_f32_e32 v57, v68, v57
	v_add_f32_e32 v56, v57, v56
	v_add_f32_e32 v60, v59, v56
	v_mul_f32_e32 v62, v60, v60
	v_mov_b32_e32 v57, 0x3ecc95a3
	v_sub_f32_e32 v59, v60, v59
	v_fmac_f32_e32 v57, 0x3e9b6dac, v62
	v_sub_f32_e32 v56, v56, v59
	v_fmaak_f32 v57, v62, v57, 0x3f2aaada
	v_ldexp_f32 v63, v56, 1
	v_mul_f32_e32 v59, v60, v62
	v_mov_b32_e32 v56, 0x3f317218
	v_pk_mul_f32 v[56:57], v[58:59], v[56:57]
	v_ldexp_f32 v61, v60, 1
	v_fma_f32 v59, v58, s2, -v56
	v_fmamk_f32 v60, v58, 0xb102e308, v59
	v_pk_add_f32 v[58:59], v[56:57], v[60:61]
	v_mov_b32_e32 v62, v56
	v_sub_f32_e32 v61, v59, v61
	v_sub_f32_e32 v61, v57, v61
	v_add_f32_e32 v63, v63, v61
	v_pk_add_f32 v[56:57], v[58:59], v[56:57] neg_lo:[0,1] neg_hi:[0,1]
	v_pk_add_f32 v[64:65], v[58:59], v[62:63]
	v_mov_b32_e32 v61, v58
	v_mov_b32_e32 v57, v65
	v_pk_add_f32 v[66:67], v[60:61], v[56:57] neg_lo:[0,1] neg_hi:[0,1]
	v_pk_add_f32 v[56:57], v[60:61], v[56:57]
	v_mov_b32_e32 v62, v63
	v_mov_b32_e32 v60, v57
	v_pk_add_f32 v[68:69], v[60:61], v[58:59] neg_lo:[0,1] neg_hi:[0,1]
	v_mov_b32_e32 v56, v65
	v_mov_b32_e32 v61, v68
	v_pk_add_f32 v[70:71], v[64:65], v[60:61] neg_lo:[0,1] neg_hi:[0,1]
	v_mov_b32_e32 v64, v59
	v_mov_b32_e32 v65, v68
	;; [unrolled: 1-line block ×3, first 2 shown]
	v_pk_add_f32 v[56:57], v[56:57], v[64:65] neg_lo:[0,1] neg_hi:[0,1]
	v_mov_b32_e32 v63, v58
	v_pk_add_f32 v[56:57], v[62:63], v[56:57] neg_lo:[0,1] neg_hi:[0,1]
	v_mov_b32_e32 v70, v66
	v_pk_add_f32 v[58:59], v[70:71], v[56:57]
	s_mov_b32 s2, 0x33800000
	v_mov_b32_e32 v62, v59
	v_pk_add_f32 v[62:63], v[58:59], v[62:63]
	v_cmp_lt_f32_e64 s[2:3], |v72|, s2
	v_pk_add_f32 v[60:61], v[60:61], v[62:63]
	v_mov_b32_e32 v57, v62
	v_mov_b32_e32 v59, v60
	v_pk_add_f32 v[64:65], v[58:59], v[66:67] neg_lo:[0,1] neg_hi:[0,1]
	s_or_b64 vcc, vcc, s[2:3]
	v_sub_f32_e32 v58, v58, v64
	v_pk_add_f32 v[56:57], v[56:57], v[64:65] neg_lo:[0,1] neg_hi:[0,1]
	v_sub_f32_e32 v58, v66, v58
	v_add_f32_e32 v56, v56, v58
	v_add_f32_e32 v56, v56, v57
	;; [unrolled: 1-line block ×3, first 2 shown]
	v_cndmask_b32_e32 v56, v56, v72, vcc
	v_add_f32_e32 v56, v55, v56
.LBB489_117:
	s_or_b64 exec, exec, s[0:1]
	v_bfe_u32 v55, v56, 16, 1
	s_movk_i32 s0, 0x7fff
	v_add3_u32 v55, v56, v55, s0
	v_lshrrev_b32_e32 v55, 16, v55
	v_mov_b32_e32 v57, 0x7fc0
	v_cmp_o_f32_e32 vcc, v56, v56
	s_nop 1
	v_cndmask_b32_e32 v56, v57, v55, vcc
.LBB489_118:
	s_or_b64 exec, exec, s[96:97]
	v_or_b32_e32 v57, 63, v0
	v_lshrrev_b32_e32 v55, 6, v0
	v_cmp_eq_u32_e32 vcc, v57, v0
	s_and_saveexec_b64 s[0:1], vcc
	s_cbranch_execz .LBB489_120
; %bb.119:
	v_lshlrev_b32_e32 v57, 1, v55
	ds_write_b16 v57, v56
.LBB489_120:
	s_or_b64 exec, exec, s[0:1]
	v_cmp_gt_u32_e32 vcc, 4, v0
	s_waitcnt lgkmcnt(0)
	s_barrier
	s_and_saveexec_b64 s[98:99], vcc
	s_cbranch_execz .LBB489_130
; %bb.121:
	ds_read_u16 v58, v14
	v_and_b32_e32 v57, 3, v54
	v_cmp_ne_u32_e32 vcc, 0, v57
	s_waitcnt lgkmcnt(0)
	v_and_b32_e32 v60, 0xffff, v58
	s_nop 1
	v_mov_b32_dpp v59, v60 row_shr:1 row_mask:0xf bank_mask:0xf
	s_and_saveexec_b64 s[96:97], vcc
	s_cbranch_execz .LBB489_125
; %bb.122:
	v_lshlrev_b32_e32 v59, 16, v59
	v_lshlrev_b32_e32 v58, 16, v60
	v_max_f32_e32 v61, v58, v58
	v_max_f32_e32 v62, v59, v59
	v_min_f32_e32 v60, v62, v61
	v_cmp_u_f32_e32 vcc, v59, v59
	v_max_f32_e32 v61, v62, v61
	v_cmp_u_f32_e64 s[0:1], v58, v58
	v_cndmask_b32_e32 v60, v60, v59, vcc
	v_cndmask_b32_e32 v61, v61, v59, vcc
	v_cndmask_b32_e64 v60, v60, v58, s[0:1]
	v_cndmask_b32_e64 v58, v61, v58, s[0:1]
	s_movk_i32 s0, 0x1f8
	v_cmp_neq_f32_e32 vcc, v60, v58
	v_cmp_class_f32_e64 s[0:1], v60, s0
	s_or_b64 s[2:3], vcc, s[0:1]
	s_and_saveexec_b64 s[0:1], s[2:3]
	s_cbranch_execz .LBB489_124
; %bb.123:
	v_sub_f32_e32 v59, v60, v58
	s_mov_b32 s2, 0x3fb8aa3b
	v_mul_f32_e32 v60, 0x3fb8aa3b, v59
	v_fma_f32 v61, v59, s2, -v60
	v_rndne_f32_e32 v62, v60
	v_fmamk_f32 v61, v59, 0x32a5705f, v61
	v_sub_f32_e32 v60, v60, v62
	v_add_f32_e32 v60, v60, v61
	v_exp_f32_e32 v60, v60
	v_cvt_i32_f32_e32 v61, v62
	s_mov_b32 s2, 0xc2ce8ed0
	v_cmp_ngt_f32_e32 vcc, s2, v59
	s_mov_b32 s2, 0x42b17218
	v_ldexp_f32 v60, v60, v61
	v_cndmask_b32_e32 v60, 0, v60, vcc
	v_mov_b32_e32 v61, 0x7f800000
	v_cmp_nlt_f32_e32 vcc, s2, v59
	s_mov_b32 s2, 0x3f2aaaab
	s_mov_b32 s3, 0x7f800000
	v_cndmask_b32_e32 v76, v61, v60, vcc
	v_add_f32_e32 v59, 1.0, v76
	v_add_f32_e32 v60, -1.0, v59
	v_sub_f32_e32 v61, v60, v59
	v_add_f32_e32 v61, 1.0, v61
	v_sub_f32_e32 v60, v76, v60
	v_add_f32_e32 v62, v60, v61
	v_frexp_mant_f32_e32 v63, v59
	v_cvt_f64_f32_e32 v[60:61], v59
	v_frexp_exp_i32_f64_e32 v60, v[60:61]
	v_cmp_gt_f32_e32 vcc, s2, v63
	s_mov_b32 s2, 0x3f317218
	s_nop 0
	v_subbrev_co_u32_e32 v68, vcc, 0, v60, vcc
	v_sub_u32_e32 v60, 0, v68
	v_ldexp_f32 v59, v59, v60
	v_ldexp_f32 v60, v62, v60
	v_add_f32_e32 v62, -1.0, v59
	v_add_f32_e32 v61, 1.0, v62
	v_sub_f32_e32 v61, v59, v61
	v_add_f32_e32 v63, v60, v61
	v_add_f32_e32 v61, 1.0, v59
	v_add_f32_e32 v64, -1.0, v61
	v_sub_f32_e32 v59, v59, v64
	v_add_f32_e32 v59, v60, v59
	v_add_f32_e32 v69, v61, v59
	v_rcp_f32_e32 v70, v69
	v_sub_f32_e32 v60, v61, v69
	v_add_f32_e32 v61, v62, v63
	v_add_f32_e32 v59, v59, v60
	v_mul_f32_e32 v72, v61, v70
	v_sub_f32_e32 v60, v62, v61
	v_mul_f32_e32 v62, v69, v72
	v_fma_f32 v64, v72, v69, -v62
	v_fmac_f32_e32 v64, v72, v59
	v_add_f32_e32 v71, v63, v60
	v_add_f32_e32 v60, v62, v64
	v_sub_f32_e32 v63, v61, v60
	v_pk_add_f32 v[66:67], v[60:61], v[62:63] neg_lo:[0,1] neg_hi:[0,1]
	v_mov_b32_e32 v65, v60
	v_pk_add_f32 v[60:61], v[66:67], v[64:65] neg_lo:[0,1] neg_hi:[0,1]
	v_cmp_eq_f32_e32 vcc, s3, v76
	v_add_f32_e32 v61, v71, v61
	v_add_f32_e32 v60, v60, v61
	;; [unrolled: 1-line block ×3, first 2 shown]
	v_mul_f32_e32 v71, v70, v61
	v_mul_f32_e32 v62, v69, v71
	v_fma_f32 v64, v71, v69, -v62
	v_fmac_f32_e32 v64, v71, v59
	v_sub_f32_e32 v59, v63, v61
	v_add_f32_e32 v59, v60, v59
	v_add_f32_e32 v60, v62, v64
	v_sub_f32_e32 v63, v61, v60
	v_pk_add_f32 v[66:67], v[60:61], v[62:63] neg_lo:[0,1] neg_hi:[0,1]
	v_mov_b32_e32 v65, v60
	v_pk_add_f32 v[60:61], v[66:67], v[64:65] neg_lo:[0,1] neg_hi:[0,1]
	v_cvt_f32_i32_e32 v62, v68
	v_add_f32_e32 v59, v59, v61
	v_add_f32_e32 v59, v60, v59
	;; [unrolled: 1-line block ×4, first 2 shown]
	v_sub_f32_e32 v61, v60, v72
	v_mul_f32_e32 v59, v70, v59
	v_sub_f32_e32 v61, v71, v61
	v_add_f32_e32 v59, v61, v59
	v_add_f32_e32 v63, v60, v59
	v_mul_f32_e32 v64, v63, v63
	v_mov_b32_e32 v61, 0x3ecc95a3
	v_fmac_f32_e32 v61, 0x3e9b6dac, v64
	v_sub_f32_e32 v60, v63, v60
	v_fmaak_f32 v61, v64, v61, 0x3f2aaada
	v_sub_f32_e32 v59, v59, v60
	v_ldexp_f32 v65, v63, 1
	v_mul_f32_e32 v63, v63, v64
	v_mov_b32_e32 v60, 0x3f317218
	v_pk_mul_f32 v[60:61], v[62:63], v[60:61]
	v_ldexp_f32 v59, v59, 1
	v_fma_f32 v63, v62, s2, -v60
	v_fmamk_f32 v64, v62, 0xb102e308, v63
	v_pk_add_f32 v[62:63], v[60:61], v[64:65]
	v_mov_b32_e32 v66, v60
	v_sub_f32_e32 v65, v63, v65
	v_sub_f32_e32 v65, v61, v65
	v_add_f32_e32 v67, v59, v65
	v_pk_add_f32 v[60:61], v[62:63], v[60:61] neg_lo:[0,1] neg_hi:[0,1]
	v_pk_add_f32 v[68:69], v[62:63], v[66:67]
	v_mov_b32_e32 v65, v62
	v_mov_b32_e32 v61, v69
	v_pk_add_f32 v[70:71], v[64:65], v[60:61] neg_lo:[0,1] neg_hi:[0,1]
	v_pk_add_f32 v[60:61], v[64:65], v[60:61]
	v_mov_b32_e32 v66, v67
	v_mov_b32_e32 v64, v61
	v_pk_add_f32 v[72:73], v[64:65], v[62:63] neg_lo:[0,1] neg_hi:[0,1]
	v_mov_b32_e32 v60, v69
	v_mov_b32_e32 v59, v72
	v_pk_add_f32 v[74:75], v[68:69], v[58:59] neg_lo:[0,1] neg_hi:[0,1]
	v_mov_b32_e32 v68, v63
	v_mov_b32_e32 v69, v72
	;; [unrolled: 1-line block ×3, first 2 shown]
	v_pk_add_f32 v[60:61], v[60:61], v[68:69] neg_lo:[0,1] neg_hi:[0,1]
	v_mov_b32_e32 v67, v62
	v_pk_add_f32 v[60:61], v[66:67], v[60:61] neg_lo:[0,1] neg_hi:[0,1]
	v_mov_b32_e32 v74, v70
	v_pk_add_f32 v[62:63], v[74:75], v[60:61]
	s_mov_b32 s2, 0x33800000
	v_mov_b32_e32 v66, v63
	v_pk_add_f32 v[66:67], v[62:63], v[66:67]
	v_cmp_lt_f32_e64 s[2:3], |v76|, s2
	v_pk_add_f32 v[64:65], v[64:65], v[66:67]
	v_mov_b32_e32 v61, v66
	v_mov_b32_e32 v63, v64
	v_pk_add_f32 v[68:69], v[62:63], v[70:71] neg_lo:[0,1] neg_hi:[0,1]
	s_or_b64 vcc, vcc, s[2:3]
	v_sub_f32_e32 v59, v62, v68
	v_pk_add_f32 v[60:61], v[60:61], v[68:69] neg_lo:[0,1] neg_hi:[0,1]
	v_sub_f32_e32 v59, v70, v59
	v_add_f32_e32 v59, v60, v59
	v_add_f32_e32 v59, v59, v61
	;; [unrolled: 1-line block ×3, first 2 shown]
	v_cndmask_b32_e32 v59, v59, v76, vcc
	v_add_f32_e32 v59, v58, v59
.LBB489_124:
	s_or_b64 exec, exec, s[0:1]
	v_bfe_u32 v58, v59, 16, 1
	s_movk_i32 s0, 0x7fff
	v_add3_u32 v58, v59, v58, s0
	v_lshrrev_b32_e32 v58, 16, v58
	v_mov_b32_e32 v60, 0x7fc0
	v_cmp_o_f32_e32 vcc, v59, v59
	s_nop 1
	v_cndmask_b32_e32 v58, v60, v58, vcc
	v_and_b32_e32 v60, 0xffff, v58
.LBB489_125:
	s_or_b64 exec, exec, s[96:97]
	s_nop 0
	v_mov_b32_dpp v59, v60 row_shr:2 row_mask:0xf bank_mask:0xf
	v_cmp_lt_u32_e32 vcc, 1, v57
	s_and_saveexec_b64 s[96:97], vcc
	s_cbranch_execz .LBB489_129
; %bb.126:
	v_lshlrev_b32_e32 v58, 16, v59
	v_lshlrev_b32_e32 v57, 16, v60
	v_max_f32_e32 v60, v57, v57
	v_max_f32_e32 v61, v58, v58
	v_min_f32_e32 v59, v61, v60
	v_cmp_u_f32_e32 vcc, v58, v58
	v_max_f32_e32 v60, v61, v60
	v_cmp_u_f32_e64 s[0:1], v57, v57
	v_cndmask_b32_e32 v59, v59, v58, vcc
	v_cndmask_b32_e32 v60, v60, v58, vcc
	v_cndmask_b32_e64 v59, v59, v57, s[0:1]
	v_cndmask_b32_e64 v57, v60, v57, s[0:1]
	s_movk_i32 s0, 0x1f8
	v_cmp_neq_f32_e32 vcc, v59, v57
	v_cmp_class_f32_e64 s[0:1], v59, s0
	s_or_b64 s[2:3], vcc, s[0:1]
	s_and_saveexec_b64 s[0:1], s[2:3]
	s_cbranch_execz .LBB489_128
; %bb.127:
	v_sub_f32_e32 v58, v59, v57
	s_mov_b32 s2, 0x3fb8aa3b
	v_mul_f32_e32 v59, 0x3fb8aa3b, v58
	v_fma_f32 v60, v58, s2, -v59
	v_rndne_f32_e32 v61, v59
	v_fmamk_f32 v60, v58, 0x32a5705f, v60
	v_sub_f32_e32 v59, v59, v61
	v_add_f32_e32 v59, v59, v60
	v_exp_f32_e32 v59, v59
	v_cvt_i32_f32_e32 v60, v61
	s_mov_b32 s2, 0xc2ce8ed0
	v_cmp_ngt_f32_e32 vcc, s2, v58
	s_mov_b32 s2, 0x42b17218
	v_ldexp_f32 v59, v59, v60
	v_cndmask_b32_e32 v59, 0, v59, vcc
	v_mov_b32_e32 v60, 0x7f800000
	v_cmp_nlt_f32_e32 vcc, s2, v58
	s_mov_b32 s2, 0x3f2aaaab
	s_mov_b32 s3, 0x7f800000
	v_cndmask_b32_e32 v74, v60, v59, vcc
	v_add_f32_e32 v60, 1.0, v74
	v_add_f32_e32 v58, -1.0, v60
	v_sub_f32_e32 v59, v58, v60
	v_add_f32_e32 v59, 1.0, v59
	v_sub_f32_e32 v58, v74, v58
	v_add_f32_e32 v61, v58, v59
	v_frexp_mant_f32_e32 v62, v60
	v_cvt_f64_f32_e32 v[58:59], v60
	v_frexp_exp_i32_f64_e32 v58, v[58:59]
	v_cmp_gt_f32_e32 vcc, s2, v62
	s_mov_b32 s2, 0x3f317218
	s_nop 0
	v_subbrev_co_u32_e32 v66, vcc, 0, v58, vcc
	v_sub_u32_e32 v58, 0, v66
	v_ldexp_f32 v59, v60, v58
	v_add_f32_e32 v60, -1.0, v59
	v_add_f32_e32 v62, 1.0, v59
	v_ldexp_f32 v58, v61, v58
	v_add_f32_e32 v61, 1.0, v60
	v_add_f32_e32 v63, -1.0, v62
	v_sub_f32_e32 v61, v59, v61
	v_sub_f32_e32 v59, v59, v63
	v_add_f32_e32 v61, v58, v61
	v_add_f32_e32 v58, v58, v59
	;; [unrolled: 1-line block ×3, first 2 shown]
	v_rcp_f32_e32 v69, v67
	v_sub_f32_e32 v59, v62, v67
	v_add_f32_e32 v68, v58, v59
	v_add_f32_e32 v59, v60, v61
	v_mul_f32_e32 v71, v59, v69
	v_sub_f32_e32 v58, v60, v59
	v_mul_f32_e32 v60, v67, v71
	v_fma_f32 v62, v71, v67, -v60
	v_fmac_f32_e32 v62, v71, v68
	v_add_f32_e32 v70, v61, v58
	v_add_f32_e32 v58, v60, v62
	v_sub_f32_e32 v61, v59, v58
	v_pk_add_f32 v[64:65], v[58:59], v[60:61] neg_lo:[0,1] neg_hi:[0,1]
	v_mov_b32_e32 v63, v58
	v_pk_add_f32 v[58:59], v[64:65], v[62:63] neg_lo:[0,1] neg_hi:[0,1]
	v_cmp_eq_f32_e32 vcc, s3, v74
	v_add_f32_e32 v59, v70, v59
	v_add_f32_e32 v58, v58, v59
	;; [unrolled: 1-line block ×3, first 2 shown]
	v_mul_f32_e32 v70, v69, v59
	v_mul_f32_e32 v60, v67, v70
	v_fma_f32 v62, v70, v67, -v60
	v_fmac_f32_e32 v62, v70, v68
	v_sub_f32_e32 v61, v61, v59
	v_add_f32_e32 v67, v58, v61
	v_add_f32_e32 v58, v60, v62
	v_sub_f32_e32 v61, v59, v58
	v_pk_add_f32 v[64:65], v[58:59], v[60:61] neg_lo:[0,1] neg_hi:[0,1]
	v_mov_b32_e32 v63, v58
	v_pk_add_f32 v[58:59], v[64:65], v[62:63] neg_lo:[0,1] neg_hi:[0,1]
	v_cvt_f32_i32_e32 v60, v66
	v_add_f32_e32 v59, v67, v59
	v_add_f32_e32 v58, v58, v59
	;; [unrolled: 1-line block ×4, first 2 shown]
	v_sub_f32_e32 v59, v61, v71
	v_mul_f32_e32 v58, v69, v58
	v_sub_f32_e32 v59, v70, v59
	v_add_f32_e32 v58, v59, v58
	v_add_f32_e32 v62, v61, v58
	v_mul_f32_e32 v64, v62, v62
	v_mov_b32_e32 v59, 0x3ecc95a3
	v_sub_f32_e32 v61, v62, v61
	v_fmac_f32_e32 v59, 0x3e9b6dac, v64
	v_sub_f32_e32 v58, v58, v61
	v_fmaak_f32 v59, v64, v59, 0x3f2aaada
	v_ldexp_f32 v65, v58, 1
	v_mul_f32_e32 v61, v62, v64
	v_mov_b32_e32 v58, 0x3f317218
	v_pk_mul_f32 v[58:59], v[60:61], v[58:59]
	v_ldexp_f32 v63, v62, 1
	v_fma_f32 v61, v60, s2, -v58
	v_fmamk_f32 v62, v60, 0xb102e308, v61
	v_pk_add_f32 v[60:61], v[58:59], v[62:63]
	v_mov_b32_e32 v64, v58
	v_sub_f32_e32 v63, v61, v63
	v_sub_f32_e32 v63, v59, v63
	v_add_f32_e32 v65, v65, v63
	v_pk_add_f32 v[58:59], v[60:61], v[58:59] neg_lo:[0,1] neg_hi:[0,1]
	v_pk_add_f32 v[66:67], v[60:61], v[64:65]
	v_mov_b32_e32 v63, v60
	v_mov_b32_e32 v59, v67
	v_pk_add_f32 v[68:69], v[62:63], v[58:59] neg_lo:[0,1] neg_hi:[0,1]
	v_pk_add_f32 v[58:59], v[62:63], v[58:59]
	v_mov_b32_e32 v64, v65
	v_mov_b32_e32 v62, v59
	v_pk_add_f32 v[70:71], v[62:63], v[60:61] neg_lo:[0,1] neg_hi:[0,1]
	v_mov_b32_e32 v58, v67
	v_mov_b32_e32 v63, v70
	v_pk_add_f32 v[72:73], v[66:67], v[62:63] neg_lo:[0,1] neg_hi:[0,1]
	v_mov_b32_e32 v66, v61
	v_mov_b32_e32 v67, v70
	;; [unrolled: 1-line block ×3, first 2 shown]
	v_pk_add_f32 v[58:59], v[58:59], v[66:67] neg_lo:[0,1] neg_hi:[0,1]
	v_mov_b32_e32 v65, v60
	v_pk_add_f32 v[58:59], v[64:65], v[58:59] neg_lo:[0,1] neg_hi:[0,1]
	v_mov_b32_e32 v72, v68
	v_pk_add_f32 v[60:61], v[72:73], v[58:59]
	s_mov_b32 s2, 0x33800000
	v_mov_b32_e32 v64, v61
	v_pk_add_f32 v[64:65], v[60:61], v[64:65]
	v_cmp_lt_f32_e64 s[2:3], |v74|, s2
	v_pk_add_f32 v[62:63], v[62:63], v[64:65]
	v_mov_b32_e32 v59, v64
	v_mov_b32_e32 v61, v62
	v_pk_add_f32 v[66:67], v[60:61], v[68:69] neg_lo:[0,1] neg_hi:[0,1]
	s_or_b64 vcc, vcc, s[2:3]
	v_sub_f32_e32 v60, v60, v66
	v_pk_add_f32 v[58:59], v[58:59], v[66:67] neg_lo:[0,1] neg_hi:[0,1]
	v_sub_f32_e32 v60, v68, v60
	v_add_f32_e32 v58, v58, v60
	v_add_f32_e32 v58, v58, v59
	;; [unrolled: 1-line block ×3, first 2 shown]
	v_cndmask_b32_e32 v58, v58, v74, vcc
	v_add_f32_e32 v58, v57, v58
.LBB489_128:
	s_or_b64 exec, exec, s[0:1]
	v_bfe_u32 v57, v58, 16, 1
	s_movk_i32 s0, 0x7fff
	v_add3_u32 v57, v58, v57, s0
	v_lshrrev_b32_e32 v57, 16, v57
	v_mov_b32_e32 v59, 0x7fc0
	v_cmp_o_f32_e32 vcc, v58, v58
	s_nop 1
	v_cndmask_b32_e32 v58, v59, v57, vcc
.LBB489_129:
	s_or_b64 exec, exec, s[96:97]
	ds_write_b16 v14, v58
.LBB489_130:
	s_or_b64 exec, exec, s[98:99]
	v_cmp_lt_u32_e32 vcc, 63, v0
	s_waitcnt lgkmcnt(0)
	s_barrier
	s_waitcnt lgkmcnt(0)
                                        ; implicit-def: $vgpr57
	s_and_saveexec_b64 s[98:99], vcc
	s_cbranch_execz .LBB489_134
; %bb.131:
	v_lshl_add_u32 v55, v55, 1, -2
	ds_read_u16 v57, v55
	v_lshlrev_b32_e32 v55, 16, v56
	v_max_f32_e32 v59, v55, v55
	v_cmp_u_f32_e32 vcc, v55, v55
	s_waitcnt lgkmcnt(0)
	v_lshlrev_b32_e32 v56, 16, v57
	v_max_f32_e32 v60, v56, v56
	v_cmp_u_f32_e64 s[0:1], v56, v56
	v_min_f32_e32 v58, v60, v59
	v_max_f32_e32 v59, v60, v59
	v_cndmask_b32_e64 v58, v58, v56, s[0:1]
	v_cndmask_b32_e64 v59, v59, v56, s[0:1]
	v_cndmask_b32_e32 v58, v58, v55, vcc
	v_cndmask_b32_e32 v55, v59, v55, vcc
	s_movk_i32 s0, 0x1f8
	v_cmp_neq_f32_e32 vcc, v58, v55
	v_cmp_class_f32_e64 s[0:1], v58, s0
	s_or_b64 s[2:3], vcc, s[0:1]
	s_and_saveexec_b64 s[0:1], s[2:3]
	s_cbranch_execz .LBB489_133
; %bb.132:
	v_sub_f32_e32 v56, v58, v55
	s_mov_b32 s2, 0x3fb8aa3b
	v_mul_f32_e32 v58, 0x3fb8aa3b, v56
	v_fma_f32 v59, v56, s2, -v58
	v_rndne_f32_e32 v60, v58
	v_fmamk_f32 v59, v56, 0x32a5705f, v59
	v_sub_f32_e32 v58, v58, v60
	v_add_f32_e32 v58, v58, v59
	v_exp_f32_e32 v58, v58
	v_cvt_i32_f32_e32 v59, v60
	s_mov_b32 s2, 0xc2ce8ed0
	v_cmp_ngt_f32_e32 vcc, s2, v56
	s_mov_b32 s2, 0x42b17218
	v_ldexp_f32 v58, v58, v59
	v_cndmask_b32_e32 v58, 0, v58, vcc
	v_mov_b32_e32 v59, 0x7f800000
	v_cmp_nlt_f32_e32 vcc, s2, v56
	s_mov_b32 s2, 0x3f2aaaab
	s_mov_b32 s3, 0x7f800000
	v_cndmask_b32_e32 v72, v59, v58, vcc
	v_add_f32_e32 v56, 1.0, v72
	v_add_f32_e32 v58, -1.0, v56
	v_sub_f32_e32 v59, v58, v56
	v_add_f32_e32 v59, 1.0, v59
	v_sub_f32_e32 v58, v72, v58
	v_add_f32_e32 v60, v58, v59
	v_frexp_mant_f32_e32 v61, v56
	v_cvt_f64_f32_e32 v[58:59], v56
	v_frexp_exp_i32_f64_e32 v58, v[58:59]
	v_cmp_gt_f32_e32 vcc, s2, v61
	s_mov_b32 s2, 0x3f317218
	s_nop 0
	v_subbrev_co_u32_e32 v66, vcc, 0, v58, vcc
	v_sub_u32_e32 v58, 0, v66
	v_ldexp_f32 v56, v56, v58
	v_ldexp_f32 v58, v60, v58
	v_add_f32_e32 v60, -1.0, v56
	v_add_f32_e32 v59, 1.0, v60
	v_sub_f32_e32 v59, v56, v59
	v_add_f32_e32 v61, v58, v59
	v_add_f32_e32 v59, 1.0, v56
	v_add_f32_e32 v62, -1.0, v59
	v_sub_f32_e32 v56, v56, v62
	v_add_f32_e32 v56, v58, v56
	v_add_f32_e32 v67, v59, v56
	v_rcp_f32_e32 v68, v67
	v_sub_f32_e32 v58, v59, v67
	v_add_f32_e32 v59, v60, v61
	v_add_f32_e32 v56, v56, v58
	v_mul_f32_e32 v70, v59, v68
	v_sub_f32_e32 v58, v60, v59
	v_mul_f32_e32 v60, v67, v70
	v_fma_f32 v62, v70, v67, -v60
	v_fmac_f32_e32 v62, v70, v56
	v_add_f32_e32 v69, v61, v58
	v_add_f32_e32 v58, v60, v62
	v_sub_f32_e32 v61, v59, v58
	v_pk_add_f32 v[64:65], v[58:59], v[60:61] neg_lo:[0,1] neg_hi:[0,1]
	v_mov_b32_e32 v63, v58
	v_pk_add_f32 v[58:59], v[64:65], v[62:63] neg_lo:[0,1] neg_hi:[0,1]
	v_cmp_eq_f32_e32 vcc, s3, v72
	v_add_f32_e32 v59, v69, v59
	v_add_f32_e32 v58, v58, v59
	;; [unrolled: 1-line block ×3, first 2 shown]
	v_mul_f32_e32 v69, v68, v59
	v_mul_f32_e32 v60, v67, v69
	v_fma_f32 v62, v69, v67, -v60
	v_fmac_f32_e32 v62, v69, v56
	v_sub_f32_e32 v56, v61, v59
	v_add_f32_e32 v56, v58, v56
	v_add_f32_e32 v58, v60, v62
	v_sub_f32_e32 v61, v59, v58
	v_pk_add_f32 v[64:65], v[58:59], v[60:61] neg_lo:[0,1] neg_hi:[0,1]
	v_mov_b32_e32 v63, v58
	v_pk_add_f32 v[58:59], v[64:65], v[62:63] neg_lo:[0,1] neg_hi:[0,1]
	v_cvt_f32_i32_e32 v60, v66
	v_add_f32_e32 v56, v56, v59
	v_add_f32_e32 v56, v58, v56
	;; [unrolled: 1-line block ×4, first 2 shown]
	v_sub_f32_e32 v59, v58, v70
	v_mul_f32_e32 v56, v68, v56
	v_sub_f32_e32 v59, v69, v59
	v_add_f32_e32 v56, v59, v56
	v_add_f32_e32 v61, v58, v56
	v_mul_f32_e32 v62, v61, v61
	v_mov_b32_e32 v59, 0x3ecc95a3
	v_fmac_f32_e32 v59, 0x3e9b6dac, v62
	v_sub_f32_e32 v58, v61, v58
	v_fmaak_f32 v59, v62, v59, 0x3f2aaada
	v_sub_f32_e32 v56, v56, v58
	v_ldexp_f32 v63, v61, 1
	v_mul_f32_e32 v61, v61, v62
	v_mov_b32_e32 v58, 0x3f317218
	v_pk_mul_f32 v[58:59], v[60:61], v[58:59]
	v_ldexp_f32 v56, v56, 1
	v_fma_f32 v61, v60, s2, -v58
	v_fmamk_f32 v62, v60, 0xb102e308, v61
	v_pk_add_f32 v[60:61], v[58:59], v[62:63]
	v_mov_b32_e32 v64, v58
	v_sub_f32_e32 v63, v61, v63
	v_sub_f32_e32 v63, v59, v63
	v_add_f32_e32 v65, v56, v63
	v_pk_add_f32 v[58:59], v[60:61], v[58:59] neg_lo:[0,1] neg_hi:[0,1]
	v_pk_add_f32 v[66:67], v[60:61], v[64:65]
	v_mov_b32_e32 v63, v60
	v_mov_b32_e32 v59, v67
	v_pk_add_f32 v[68:69], v[62:63], v[58:59] neg_lo:[0,1] neg_hi:[0,1]
	v_pk_add_f32 v[58:59], v[62:63], v[58:59]
	s_mov_b32 s2, 0x33800000
	v_mov_b32_e32 v56, v59
	v_pk_add_f32 v[62:63], v[56:57], v[60:61] neg_lo:[0,1] neg_hi:[0,1]
	v_mov_b32_e32 v58, v67
	v_mov_b32_e32 v63, v62
	v_pk_add_f32 v[70:71], v[66:67], v[62:63] neg_lo:[0,1] neg_hi:[0,1]
	v_mov_b32_e32 v66, v61
	v_mov_b32_e32 v67, v62
	v_mov_b32_e32 v69, v59
	v_pk_add_f32 v[58:59], v[58:59], v[66:67] neg_lo:[0,1] neg_hi:[0,1]
	v_mov_b32_e32 v62, v65
	v_mov_b32_e32 v63, v60
	v_pk_add_f32 v[58:59], v[62:63], v[58:59] neg_lo:[0,1] neg_hi:[0,1]
	v_mov_b32_e32 v70, v68
	v_pk_add_f32 v[60:61], v[70:71], v[58:59]
	v_cmp_lt_f32_e64 s[2:3], |v72|, s2
	v_mov_b32_e32 v62, v61
	v_pk_add_f32 v[62:63], v[60:61], v[62:63]
	s_or_b64 vcc, vcc, s[2:3]
	v_pk_add_f32 v[64:65], v[56:57], v[62:63]
	v_mov_b32_e32 v59, v62
	v_mov_b32_e32 v61, v64
	v_pk_add_f32 v[66:67], v[60:61], v[68:69] neg_lo:[0,1] neg_hi:[0,1]
	s_nop 0
	v_sub_f32_e32 v56, v60, v66
	v_pk_add_f32 v[58:59], v[58:59], v[66:67] neg_lo:[0,1] neg_hi:[0,1]
	v_sub_f32_e32 v56, v68, v56
	v_add_f32_e32 v56, v58, v56
	v_add_f32_e32 v56, v56, v59
	;; [unrolled: 1-line block ×3, first 2 shown]
	v_cndmask_b32_e32 v56, v56, v72, vcc
	v_add_f32_e32 v56, v55, v56
.LBB489_133:
	s_or_b64 exec, exec, s[0:1]
	v_bfe_u32 v55, v56, 16, 1
	s_movk_i32 s0, 0x7fff
	v_add3_u32 v55, v56, v55, s0
	v_lshrrev_b32_e32 v55, 16, v55
	v_mov_b32_e32 v58, 0x7fc0
	v_cmp_o_f32_e32 vcc, v56, v56
	s_nop 1
	v_cndmask_b32_e32 v56, v58, v55, vcc
.LBB489_134:
	s_or_b64 exec, exec, s[98:99]
	v_and_b32_e32 v55, 0xffff, v56
	v_add_u32_e32 v56, -1, v54
	v_and_b32_e32 v58, 64, v54
	v_cmp_lt_i32_e32 vcc, v56, v58
	s_nop 1
	v_cndmask_b32_e32 v56, v56, v54, vcc
	v_lshlrev_b32_e32 v56, 2, v56
	ds_bpermute_b32 v55, v56, v55
	v_cmp_ne_u32_e32 vcc, 0, v0
	s_and_saveexec_b64 s[0:1], vcc
	s_cbranch_execz .LBB489_138
; %bb.135:
	v_cmp_eq_u32_e32 vcc, 0, v54
	s_movk_i32 s2, 0x1f8
	s_waitcnt lgkmcnt(0)
	v_cndmask_b32_e32 v0, v55, v57, vcc
	v_lshlrev_b32_e32 v2, 16, v0
	v_max_f32_e32 v0, v2, v2
	v_min_f32_e32 v50, v0, v51
	v_cmp_u_f32_e32 vcc, v2, v2
	v_max_f32_e32 v0, v0, v51
	s_nop 0
	v_cndmask_b32_e32 v50, v50, v2, vcc
	v_cndmask_b32_e32 v0, v0, v2, vcc
	v_cndmask_b32_e64 v50, v50, v49, s[94:95]
	v_cndmask_b32_e64 v0, v0, v49, s[94:95]
	v_cmp_neq_f32_e32 vcc, v50, v0
	v_cmp_class_f32_e64 s[2:3], v50, s2
	s_or_b64 s[2:3], vcc, s[2:3]
	s_and_saveexec_b64 s[94:95], s[2:3]
	s_cbranch_execz .LBB489_137
; %bb.136:
	v_sub_f32_e32 v2, v50, v0
	s_mov_b32 s2, 0x3fb8aa3b
	v_mul_f32_e32 v49, 0x3fb8aa3b, v2
	v_fma_f32 v50, v2, s2, -v49
	v_rndne_f32_e32 v51, v49
	v_fmamk_f32 v50, v2, 0x32a5705f, v50
	v_sub_f32_e32 v49, v49, v51
	v_add_f32_e32 v49, v49, v50
	v_exp_f32_e32 v49, v49
	v_cvt_i32_f32_e32 v50, v51
	s_mov_b32 s2, 0xc2ce8ed0
	v_cmp_ngt_f32_e32 vcc, s2, v2
	s_mov_b32 s2, 0x42b17218
	v_ldexp_f32 v49, v49, v50
	v_cndmask_b32_e32 v49, 0, v49, vcc
	v_mov_b32_e32 v50, 0x7f800000
	v_cmp_nlt_f32_e32 vcc, s2, v2
	s_mov_b32 s2, 0x3f2aaaab
	s_mov_b32 s3, 0x7f800000
	v_cndmask_b32_e32 v66, v50, v49, vcc
	v_add_f32_e32 v2, 1.0, v66
	v_add_f32_e32 v49, -1.0, v2
	v_sub_f32_e32 v50, v49, v2
	v_add_f32_e32 v50, 1.0, v50
	v_sub_f32_e32 v49, v66, v49
	v_add_f32_e32 v49, v49, v50
	v_frexp_mant_f32_e32 v52, v2
	v_cvt_f64_f32_e32 v[50:51], v2
	v_frexp_exp_i32_f64_e32 v50, v[50:51]
	v_cmp_gt_f32_e32 vcc, s2, v52
	s_mov_b32 s2, 0x3f317218
	s_nop 0
	v_subbrev_co_u32_e32 v52, vcc, 0, v50, vcc
	v_sub_u32_e32 v50, 0, v52
	v_ldexp_f32 v2, v2, v50
	v_ldexp_f32 v49, v49, v50
	v_add_f32_e32 v50, -1.0, v2
	v_add_f32_e32 v51, 1.0, v50
	v_sub_f32_e32 v51, v2, v51
	v_add_f32_e32 v54, v49, v51
	v_add_f32_e32 v51, 1.0, v2
	v_add_f32_e32 v55, -1.0, v51
	v_sub_f32_e32 v2, v2, v55
	v_add_f32_e32 v2, v49, v2
	v_add_f32_e32 v49, v51, v2
	v_rcp_f32_e32 v60, v49
	v_sub_f32_e32 v51, v51, v49
	v_add_f32_e32 v2, v2, v51
	v_add_f32_e32 v51, v50, v54
	v_sub_f32_e32 v50, v50, v51
	v_mul_f32_e32 v62, v51, v60
	v_add_f32_e32 v61, v54, v50
	v_mul_f32_e32 v54, v49, v62
	v_fma_f32 v56, v62, v49, -v54
	v_fmac_f32_e32 v56, v62, v2
	v_add_f32_e32 v50, v54, v56
	v_sub_f32_e32 v55, v51, v50
	v_pk_add_f32 v[58:59], v[50:51], v[54:55] neg_lo:[0,1] neg_hi:[0,1]
	v_mov_b32_e32 v57, v50
	v_pk_add_f32 v[50:51], v[58:59], v[56:57] neg_lo:[0,1] neg_hi:[0,1]
	v_cmp_eq_f32_e32 vcc, s3, v66
	v_add_f32_e32 v51, v61, v51
	v_add_f32_e32 v50, v50, v51
	;; [unrolled: 1-line block ×3, first 2 shown]
	v_mul_f32_e32 v61, v60, v51
	v_mul_f32_e32 v54, v49, v61
	v_fma_f32 v56, v61, v49, -v54
	v_fmac_f32_e32 v56, v61, v2
	v_sub_f32_e32 v2, v55, v51
	v_add_f32_e32 v2, v50, v2
	v_add_f32_e32 v50, v54, v56
	v_sub_f32_e32 v55, v51, v50
	v_pk_add_f32 v[58:59], v[50:51], v[54:55] neg_lo:[0,1] neg_hi:[0,1]
	v_mov_b32_e32 v57, v50
	v_pk_add_f32 v[50:51], v[58:59], v[56:57] neg_lo:[0,1] neg_hi:[0,1]
	v_add_f32_e32 v49, v62, v61
	v_add_f32_e32 v2, v2, v51
	;; [unrolled: 1-line block ×4, first 2 shown]
	v_sub_f32_e32 v50, v49, v62
	v_mul_f32_e32 v2, v60, v2
	v_sub_f32_e32 v50, v61, v50
	v_add_f32_e32 v2, v50, v2
	v_add_f32_e32 v50, v49, v2
	v_cvt_f32_i32_e32 v54, v52
	v_mul_f32_e32 v55, v50, v50
	v_mov_b32_e32 v51, 0x3ecc95a3
	v_fmac_f32_e32 v51, 0x3e9b6dac, v55
	v_fmaak_f32 v51, v55, v51, 0x3f2aaada
	v_sub_f32_e32 v49, v50, v49
	v_ldexp_f32 v57, v50, 1
	v_mul_f32_e32 v55, v50, v55
	v_mov_b32_e32 v50, 0x3f317218
	v_pk_mul_f32 v[50:51], v[54:55], v[50:51]
	v_sub_f32_e32 v2, v2, v49
	v_fma_f32 v49, v54, s2, -v50
	v_fmamk_f32 v56, v54, 0xb102e308, v49
	v_pk_add_f32 v[54:55], v[50:51], v[56:57]
	v_ldexp_f32 v2, v2, 1
	v_sub_f32_e32 v49, v55, v57
	v_sub_f32_e32 v49, v51, v49
	v_add_f32_e32 v59, v2, v49
	v_mov_b32_e32 v58, v50
	v_pk_add_f32 v[50:51], v[54:55], v[50:51] neg_lo:[0,1] neg_hi:[0,1]
	v_pk_add_f32 v[60:61], v[54:55], v[58:59]
	v_mov_b32_e32 v57, v54
	v_mov_b32_e32 v51, v61
	v_pk_add_f32 v[62:63], v[56:57], v[50:51] neg_lo:[0,1] neg_hi:[0,1]
	v_pk_add_f32 v[50:51], v[56:57], v[50:51]
	s_mov_b32 s2, 0x33800000
	v_mov_b32_e32 v2, v51
	v_pk_add_f32 v[56:57], v[2:3], v[54:55] neg_lo:[0,1] neg_hi:[0,1]
	v_mov_b32_e32 v50, v61
	v_mov_b32_e32 v49, v56
	v_pk_add_f32 v[64:65], v[60:61], v[48:49] neg_lo:[0,1] neg_hi:[0,1]
	v_mov_b32_e32 v60, v55
	v_mov_b32_e32 v61, v56
	;; [unrolled: 1-line block ×3, first 2 shown]
	v_pk_add_f32 v[50:51], v[50:51], v[60:61] neg_lo:[0,1] neg_hi:[0,1]
	v_mov_b32_e32 v56, v59
	v_mov_b32_e32 v57, v54
	v_pk_add_f32 v[50:51], v[56:57], v[50:51] neg_lo:[0,1] neg_hi:[0,1]
	v_mov_b32_e32 v64, v62
	v_pk_add_f32 v[54:55], v[64:65], v[50:51]
	v_cmp_lt_f32_e64 s[2:3], |v66|, s2
	v_mov_b32_e32 v52, v55
	v_pk_add_f32 v[56:57], v[54:55], v[52:53]
	s_or_b64 vcc, vcc, s[2:3]
	v_pk_add_f32 v[58:59], v[2:3], v[56:57]
	v_mov_b32_e32 v51, v56
	v_mov_b32_e32 v55, v58
	v_pk_add_f32 v[60:61], v[54:55], v[62:63] neg_lo:[0,1] neg_hi:[0,1]
	s_nop 0
	v_sub_f32_e32 v2, v54, v60
	v_pk_add_f32 v[50:51], v[50:51], v[60:61] neg_lo:[0,1] neg_hi:[0,1]
	v_sub_f32_e32 v2, v62, v2
	v_add_f32_e32 v2, v50, v2
	v_add_f32_e32 v2, v2, v51
	;; [unrolled: 1-line block ×3, first 2 shown]
	v_cndmask_b32_e32 v2, v2, v66, vcc
	v_add_f32_e32 v2, v0, v2
.LBB489_137:
	s_or_b64 exec, exec, s[94:95]
	v_bfe_u32 v0, v2, 16, 1
	s_movk_i32 s2, 0x7fff
	v_add3_u32 v0, v2, v0, s2
	v_lshrrev_b32_e32 v0, 16, v0
	v_mov_b32_e32 v49, 0x7fc0
	v_cmp_o_f32_e32 vcc, v2, v2
	;;#ASMSTART
	;;#ASMEND
	s_nop 1
	v_cndmask_b32_e32 v2, v49, v0, vcc
	v_lshlrev_b32_e32 v49, 16, v2
	v_max_f32_e32 v0, v49, v49
	v_min_f32_e32 v50, v0, v24
	v_max_f32_e32 v52, v0, v24
.LBB489_138:
	s_or_b64 exec, exec, s[0:1]
	v_cmp_u_f32_e32 vcc, v49, v49
	s_nop 1
	v_cndmask_b32_e32 v0, v50, v49, vcc
	v_cndmask_b32_e64 v24, v0, v1, s[48:49]
	v_cndmask_b32_e32 v0, v52, v49, vcc
	v_cndmask_b32_e64 v0, v0, v1, s[48:49]
	v_cmp_neq_f32_e32 vcc, v24, v0
	v_cmp_class_f32_e64 s[0:1], v24, s33
	s_or_b64 s[2:3], vcc, s[0:1]
	s_and_saveexec_b64 s[0:1], s[2:3]
	s_cbranch_execz .LBB489_140
; %bb.139:
	v_sub_f32_e32 v1, v24, v0
	s_mov_b32 s2, 0x3fb8aa3b
	v_mul_f32_e32 v24, 0x3fb8aa3b, v1
	v_fma_f32 v49, v1, s2, -v24
	v_rndne_f32_e32 v50, v24
	v_fmamk_f32 v49, v1, 0x32a5705f, v49
	v_sub_f32_e32 v24, v24, v50
	v_add_f32_e32 v24, v24, v49
	v_exp_f32_e32 v24, v24
	v_cvt_i32_f32_e32 v49, v50
	s_mov_b32 s2, 0xc2ce8ed0
	v_cmp_ngt_f32_e32 vcc, s2, v1
	s_mov_b32 s2, 0x42b17218
	v_ldexp_f32 v24, v24, v49
	v_cndmask_b32_e32 v24, 0, v24, vcc
	v_mov_b32_e32 v49, 0x7f800000
	v_cmp_nlt_f32_e32 vcc, s2, v1
	s_mov_b32 s2, 0x3f2aaaab
	s_mov_b32 s3, 0x7f800000
	v_cndmask_b32_e32 v49, v49, v24, vcc
	v_add_f32_e32 v1, 1.0, v49
	v_add_f32_e32 v24, -1.0, v1
	v_sub_f32_e32 v50, v24, v1
	v_add_f32_e32 v50, 1.0, v50
	v_sub_f32_e32 v24, v49, v24
	v_add_f32_e32 v24, v24, v50
	v_frexp_mant_f32_e32 v52, v1
	v_cvt_f64_f32_e32 v[50:51], v1
	v_frexp_exp_i32_f64_e32 v50, v[50:51]
	v_cmp_gt_f32_e32 vcc, s2, v52
	s_mov_b32 s2, 0x3f317218
	s_nop 0
	v_subbrev_co_u32_e32 v52, vcc, 0, v50, vcc
	v_sub_u32_e32 v50, 0, v52
	v_ldexp_f32 v1, v1, v50
	v_ldexp_f32 v24, v24, v50
	v_add_f32_e32 v50, -1.0, v1
	v_add_f32_e32 v51, 1.0, v50
	v_sub_f32_e32 v51, v1, v51
	v_add_f32_e32 v54, v24, v51
	v_add_f32_e32 v51, 1.0, v1
	s_waitcnt lgkmcnt(0)
	v_add_f32_e32 v55, -1.0, v51
	v_sub_f32_e32 v1, v1, v55
	v_add_f32_e32 v1, v24, v1
	v_add_f32_e32 v24, v51, v1
	v_rcp_f32_e32 v60, v24
	v_sub_f32_e32 v51, v51, v24
	v_add_f32_e32 v1, v1, v51
	v_add_f32_e32 v51, v50, v54
	v_sub_f32_e32 v50, v50, v51
	v_mul_f32_e32 v62, v51, v60
	v_add_f32_e32 v61, v54, v50
	v_mul_f32_e32 v54, v24, v62
	v_fma_f32 v56, v62, v24, -v54
	v_fmac_f32_e32 v56, v62, v1
	v_add_f32_e32 v50, v54, v56
	v_sub_f32_e32 v55, v51, v50
	v_pk_add_f32 v[58:59], v[50:51], v[54:55] neg_lo:[0,1] neg_hi:[0,1]
	v_mov_b32_e32 v57, v50
	v_pk_add_f32 v[50:51], v[58:59], v[56:57] neg_lo:[0,1] neg_hi:[0,1]
	v_cmp_eq_f32_e32 vcc, s3, v49
	v_add_f32_e32 v51, v61, v51
	v_add_f32_e32 v50, v50, v51
	;; [unrolled: 1-line block ×3, first 2 shown]
	v_mul_f32_e32 v61, v60, v51
	v_mul_f32_e32 v54, v24, v61
	v_fma_f32 v56, v61, v24, -v54
	v_fmac_f32_e32 v56, v61, v1
	v_sub_f32_e32 v1, v55, v51
	v_add_f32_e32 v1, v50, v1
	v_add_f32_e32 v50, v54, v56
	v_sub_f32_e32 v55, v51, v50
	v_pk_add_f32 v[58:59], v[50:51], v[54:55] neg_lo:[0,1] neg_hi:[0,1]
	v_mov_b32_e32 v57, v50
	v_pk_add_f32 v[50:51], v[58:59], v[56:57] neg_lo:[0,1] neg_hi:[0,1]
	v_add_f32_e32 v24, v62, v61
	v_add_f32_e32 v1, v1, v51
	;; [unrolled: 1-line block ×4, first 2 shown]
	v_sub_f32_e32 v50, v24, v62
	v_mul_f32_e32 v1, v60, v1
	v_sub_f32_e32 v50, v61, v50
	v_add_f32_e32 v1, v50, v1
	v_add_f32_e32 v50, v24, v1
	v_cvt_f32_i32_e32 v54, v52
	v_mul_f32_e32 v55, v50, v50
	v_mov_b32_e32 v51, 0x3ecc95a3
	v_fmac_f32_e32 v51, 0x3e9b6dac, v55
	v_fmaak_f32 v51, v55, v51, 0x3f2aaada
	v_sub_f32_e32 v24, v50, v24
	v_ldexp_f32 v57, v50, 1
	v_mul_f32_e32 v55, v50, v55
	v_mov_b32_e32 v50, 0x3f317218
	v_pk_mul_f32 v[50:51], v[54:55], v[50:51]
	v_sub_f32_e32 v1, v1, v24
	v_fma_f32 v24, v54, s2, -v50
	v_fmamk_f32 v56, v54, 0xb102e308, v24
	v_pk_add_f32 v[54:55], v[50:51], v[56:57]
	v_ldexp_f32 v1, v1, 1
	v_sub_f32_e32 v24, v55, v57
	v_sub_f32_e32 v24, v51, v24
	v_add_f32_e32 v59, v1, v24
	v_mov_b32_e32 v58, v50
	v_pk_add_f32 v[50:51], v[54:55], v[50:51] neg_lo:[0,1] neg_hi:[0,1]
	v_pk_add_f32 v[60:61], v[54:55], v[58:59]
	v_mov_b32_e32 v57, v54
	v_mov_b32_e32 v51, v61
	v_pk_add_f32 v[62:63], v[56:57], v[50:51] neg_lo:[0,1] neg_hi:[0,1]
	v_pk_add_f32 v[50:51], v[56:57], v[50:51]
	s_mov_b32 s2, 0x33800000
	v_mov_b32_e32 v24, v51
	v_pk_add_f32 v[56:57], v[24:25], v[54:55] neg_lo:[0,1] neg_hi:[0,1]
	v_mov_b32_e32 v50, v61
	v_mov_b32_e32 v1, v56
	v_pk_add_f32 v[64:65], v[60:61], v[0:1] neg_lo:[0,1] neg_hi:[0,1]
	v_mov_b32_e32 v60, v55
	v_mov_b32_e32 v61, v56
	;; [unrolled: 1-line block ×3, first 2 shown]
	v_pk_add_f32 v[50:51], v[50:51], v[60:61] neg_lo:[0,1] neg_hi:[0,1]
	v_mov_b32_e32 v56, v59
	v_mov_b32_e32 v57, v54
	v_pk_add_f32 v[50:51], v[56:57], v[50:51] neg_lo:[0,1] neg_hi:[0,1]
	v_mov_b32_e32 v64, v62
	v_pk_add_f32 v[54:55], v[64:65], v[50:51]
	v_cmp_lt_f32_e64 s[2:3], |v49|, s2
	v_mov_b32_e32 v52, v55
	v_pk_add_f32 v[56:57], v[54:55], v[52:53]
	s_or_b64 vcc, vcc, s[2:3]
	v_pk_add_f32 v[58:59], v[24:25], v[56:57]
	v_mov_b32_e32 v51, v56
	v_mov_b32_e32 v55, v58
	v_pk_add_f32 v[60:61], v[54:55], v[62:63] neg_lo:[0,1] neg_hi:[0,1]
	s_nop 0
	v_sub_f32_e32 v1, v54, v60
	v_pk_add_f32 v[50:51], v[50:51], v[60:61] neg_lo:[0,1] neg_hi:[0,1]
	v_sub_f32_e32 v1, v62, v1
	v_add_f32_e32 v1, v50, v1
	v_add_f32_e32 v1, v1, v51
	;; [unrolled: 1-line block ×3, first 2 shown]
	v_cndmask_b32_e32 v1, v1, v49, vcc
	v_add_f32_e32 v49, v0, v1
.LBB489_140:
	s_or_b64 exec, exec, s[0:1]
	v_bfe_u32 v0, v49, 16, 1
	s_movk_i32 s48, 0x7fff
	v_add3_u32 v0, v49, v0, s48
	v_lshrrev_b32_e32 v0, 16, v0
	v_mov_b32_e32 v1, 0x7fc0
	v_cmp_o_f32_e32 vcc, v49, v49
	s_nop 1
	v_cndmask_b32_e32 v0, v1, v0, vcc
	v_lshlrev_b32_e32 v24, 16, v0
	v_max_f32_e32 v50, v24, v24
	v_min_f32_e32 v49, v50, v17
	v_cmp_u_f32_e32 vcc, v24, v24
	v_max_f32_e32 v17, v50, v17
	s_nop 0
	v_cndmask_b32_e32 v49, v49, v24, vcc
	v_cndmask_b32_e32 v17, v17, v24, vcc
	v_cndmask_b32_e64 v49, v49, v15, s[50:51]
	v_cndmask_b32_e64 v15, v17, v15, s[50:51]
	v_cmp_neq_f32_e32 vcc, v49, v15
	v_cmp_class_f32_e64 s[0:1], v49, s33
	s_or_b64 s[2:3], vcc, s[0:1]
	s_and_saveexec_b64 s[0:1], s[2:3]
	s_cbranch_execz .LBB489_142
; %bb.141:
	v_sub_f32_e32 v17, v49, v15
	s_mov_b32 s2, 0x3fb8aa3b
	v_mul_f32_e32 v24, 0x3fb8aa3b, v17
	v_fma_f32 v49, v17, s2, -v24
	v_rndne_f32_e32 v50, v24
	v_fmamk_f32 v49, v17, 0x32a5705f, v49
	v_sub_f32_e32 v24, v24, v50
	v_add_f32_e32 v24, v24, v49
	v_exp_f32_e32 v24, v24
	v_cvt_i32_f32_e32 v49, v50
	s_mov_b32 s2, 0xc2ce8ed0
	v_cmp_ngt_f32_e32 vcc, s2, v17
	s_mov_b32 s2, 0x42b17218
	v_ldexp_f32 v24, v24, v49
	v_cndmask_b32_e32 v24, 0, v24, vcc
	v_mov_b32_e32 v49, 0x7f800000
	v_cmp_nlt_f32_e32 vcc, s2, v17
	s_mov_b32 s2, 0x3f2aaaab
	s_mov_b32 s3, 0x7f800000
	v_cndmask_b32_e32 v49, v49, v24, vcc
	v_add_f32_e32 v17, 1.0, v49
	v_add_f32_e32 v24, -1.0, v17
	v_sub_f32_e32 v50, v24, v17
	v_add_f32_e32 v50, 1.0, v50
	v_sub_f32_e32 v24, v49, v24
	v_add_f32_e32 v24, v24, v50
	v_frexp_mant_f32_e32 v52, v17
	v_cvt_f64_f32_e32 v[50:51], v17
	v_frexp_exp_i32_f64_e32 v50, v[50:51]
	v_cmp_gt_f32_e32 vcc, s2, v52
	s_mov_b32 s2, 0x3f317218
	s_nop 0
	v_subbrev_co_u32_e32 v52, vcc, 0, v50, vcc
	v_sub_u32_e32 v50, 0, v52
	v_ldexp_f32 v17, v17, v50
	v_ldexp_f32 v24, v24, v50
	v_add_f32_e32 v50, -1.0, v17
	v_add_f32_e32 v51, 1.0, v50
	v_sub_f32_e32 v51, v17, v51
	v_add_f32_e32 v54, v24, v51
	v_add_f32_e32 v51, 1.0, v17
	s_waitcnt lgkmcnt(0)
	v_add_f32_e32 v55, -1.0, v51
	v_sub_f32_e32 v17, v17, v55
	v_add_f32_e32 v17, v24, v17
	v_add_f32_e32 v24, v51, v17
	v_rcp_f32_e32 v60, v24
	v_sub_f32_e32 v51, v51, v24
	v_add_f32_e32 v17, v17, v51
	v_add_f32_e32 v51, v50, v54
	v_sub_f32_e32 v50, v50, v51
	v_mul_f32_e32 v62, v51, v60
	v_add_f32_e32 v61, v54, v50
	v_mul_f32_e32 v54, v24, v62
	v_fma_f32 v56, v62, v24, -v54
	v_fmac_f32_e32 v56, v62, v17
	v_add_f32_e32 v50, v54, v56
	v_sub_f32_e32 v55, v51, v50
	v_pk_add_f32 v[58:59], v[50:51], v[54:55] neg_lo:[0,1] neg_hi:[0,1]
	v_mov_b32_e32 v57, v50
	v_pk_add_f32 v[50:51], v[58:59], v[56:57] neg_lo:[0,1] neg_hi:[0,1]
	v_cmp_eq_f32_e32 vcc, s3, v49
	v_add_f32_e32 v51, v61, v51
	v_add_f32_e32 v50, v50, v51
	;; [unrolled: 1-line block ×3, first 2 shown]
	v_mul_f32_e32 v61, v60, v51
	v_mul_f32_e32 v54, v24, v61
	v_fma_f32 v56, v61, v24, -v54
	v_fmac_f32_e32 v56, v61, v17
	v_sub_f32_e32 v17, v55, v51
	v_add_f32_e32 v17, v50, v17
	v_add_f32_e32 v50, v54, v56
	v_sub_f32_e32 v55, v51, v50
	v_pk_add_f32 v[58:59], v[50:51], v[54:55] neg_lo:[0,1] neg_hi:[0,1]
	v_mov_b32_e32 v57, v50
	v_pk_add_f32 v[50:51], v[58:59], v[56:57] neg_lo:[0,1] neg_hi:[0,1]
	v_add_f32_e32 v24, v62, v61
	v_add_f32_e32 v17, v17, v51
	;; [unrolled: 1-line block ×4, first 2 shown]
	v_sub_f32_e32 v50, v24, v62
	v_mul_f32_e32 v17, v60, v17
	v_sub_f32_e32 v50, v61, v50
	v_add_f32_e32 v17, v50, v17
	v_add_f32_e32 v50, v24, v17
	v_cvt_f32_i32_e32 v54, v52
	v_mul_f32_e32 v55, v50, v50
	v_mov_b32_e32 v51, 0x3ecc95a3
	v_fmac_f32_e32 v51, 0x3e9b6dac, v55
	v_fmaak_f32 v51, v55, v51, 0x3f2aaada
	v_sub_f32_e32 v24, v50, v24
	v_ldexp_f32 v57, v50, 1
	v_mul_f32_e32 v55, v50, v55
	v_mov_b32_e32 v50, 0x3f317218
	v_pk_mul_f32 v[50:51], v[54:55], v[50:51]
	v_sub_f32_e32 v17, v17, v24
	v_fma_f32 v24, v54, s2, -v50
	v_fmamk_f32 v56, v54, 0xb102e308, v24
	v_pk_add_f32 v[54:55], v[50:51], v[56:57]
	v_ldexp_f32 v17, v17, 1
	v_sub_f32_e32 v24, v55, v57
	v_sub_f32_e32 v24, v51, v24
	v_add_f32_e32 v59, v17, v24
	v_mov_b32_e32 v58, v50
	v_pk_add_f32 v[50:51], v[54:55], v[50:51] neg_lo:[0,1] neg_hi:[0,1]
	v_pk_add_f32 v[60:61], v[54:55], v[58:59]
	v_mov_b32_e32 v57, v54
	v_mov_b32_e32 v51, v61
	v_pk_add_f32 v[62:63], v[56:57], v[50:51] neg_lo:[0,1] neg_hi:[0,1]
	v_pk_add_f32 v[50:51], v[56:57], v[50:51]
	s_mov_b32 s2, 0x33800000
	v_mov_b32_e32 v24, v51
	v_pk_add_f32 v[56:57], v[24:25], v[54:55] neg_lo:[0,1] neg_hi:[0,1]
	v_mov_b32_e32 v50, v61
	v_mov_b32_e32 v17, v56
	v_pk_add_f32 v[64:65], v[60:61], v[16:17] neg_lo:[0,1] neg_hi:[0,1]
	v_mov_b32_e32 v60, v55
	v_mov_b32_e32 v61, v56
	v_mov_b32_e32 v63, v51
	v_pk_add_f32 v[50:51], v[50:51], v[60:61] neg_lo:[0,1] neg_hi:[0,1]
	v_mov_b32_e32 v56, v59
	v_mov_b32_e32 v57, v54
	v_pk_add_f32 v[50:51], v[56:57], v[50:51] neg_lo:[0,1] neg_hi:[0,1]
	v_mov_b32_e32 v64, v62
	v_pk_add_f32 v[54:55], v[64:65], v[50:51]
	v_cmp_lt_f32_e64 s[2:3], |v49|, s2
	v_mov_b32_e32 v52, v55
	v_pk_add_f32 v[56:57], v[54:55], v[52:53]
	s_or_b64 vcc, vcc, s[2:3]
	v_pk_add_f32 v[58:59], v[24:25], v[56:57]
	v_mov_b32_e32 v51, v56
	v_mov_b32_e32 v55, v58
	v_pk_add_f32 v[60:61], v[54:55], v[62:63] neg_lo:[0,1] neg_hi:[0,1]
	s_nop 0
	v_sub_f32_e32 v17, v54, v60
	v_pk_add_f32 v[50:51], v[50:51], v[60:61] neg_lo:[0,1] neg_hi:[0,1]
	v_sub_f32_e32 v17, v62, v17
	v_add_f32_e32 v17, v50, v17
	v_add_f32_e32 v17, v17, v51
	v_add_f32_e32 v17, v58, v17
	v_cndmask_b32_e32 v17, v17, v49, vcc
	v_add_f32_e32 v24, v15, v17
.LBB489_142:
	s_or_b64 exec, exec, s[0:1]
	v_bfe_u32 v15, v24, 16, 1
	v_add3_u32 v15, v24, v15, s48
	v_lshrrev_b32_e32 v15, 16, v15
	v_cmp_o_f32_e32 vcc, v24, v24
	s_nop 1
	v_cndmask_b32_e32 v1, v1, v15, vcc
	v_lshlrev_b32_e32 v17, 16, v1
	v_max_f32_e32 v24, v17, v17
	v_min_f32_e32 v15, v24, v18
	v_cmp_u_f32_e32 vcc, v17, v17
	v_max_f32_e32 v18, v24, v18
	s_nop 0
	v_cndmask_b32_e32 v15, v15, v17, vcc
	v_cndmask_b32_e32 v18, v18, v17, vcc
	v_cndmask_b32_e64 v15, v15, v3, s[52:53]
	v_cndmask_b32_e64 v3, v18, v3, s[52:53]
	v_cmp_neq_f32_e32 vcc, v15, v3
	v_cmp_class_f32_e64 s[0:1], v15, s33
	s_or_b64 s[2:3], vcc, s[0:1]
	s_and_saveexec_b64 s[0:1], s[2:3]
	s_cbranch_execz .LBB489_144
; %bb.143:
	v_sub_f32_e32 v15, v15, v3
	s_mov_b32 s2, 0x3fb8aa3b
	v_mul_f32_e32 v17, 0x3fb8aa3b, v15
	v_fma_f32 v18, v15, s2, -v17
	v_rndne_f32_e32 v24, v17
	v_fmamk_f32 v18, v15, 0x32a5705f, v18
	v_sub_f32_e32 v17, v17, v24
	v_add_f32_e32 v17, v17, v18
	v_exp_f32_e32 v17, v17
	v_cvt_i32_f32_e32 v18, v24
	s_mov_b32 s2, 0xc2ce8ed0
	v_cmp_ngt_f32_e32 vcc, s2, v15
	s_mov_b32 s2, 0x42b17218
	v_ldexp_f32 v17, v17, v18
	v_cndmask_b32_e32 v17, 0, v17, vcc
	v_mov_b32_e32 v18, 0x7f800000
	v_cmp_nlt_f32_e32 vcc, s2, v15
	s_mov_b32 s2, 0x3f2aaaab
	s_mov_b32 s3, 0x7f800000
	v_cndmask_b32_e32 v17, v18, v17, vcc
	v_add_f32_e32 v15, 1.0, v17
	v_add_f32_e32 v18, -1.0, v15
	v_sub_f32_e32 v24, v18, v15
	v_add_f32_e32 v24, 1.0, v24
	v_sub_f32_e32 v18, v17, v18
	v_add_f32_e32 v18, v18, v24
	v_frexp_mant_f32_e32 v24, v15
	v_cvt_f64_f32_e32 v[50:51], v15
	v_frexp_exp_i32_f64_e32 v49, v[50:51]
	v_cmp_gt_f32_e32 vcc, s2, v24
	s_mov_b32 s2, 0x3f317218
	s_nop 0
	v_subbrev_co_u32_e32 v24, vcc, 0, v49, vcc
	v_sub_u32_e32 v49, 0, v24
	v_ldexp_f32 v15, v15, v49
	v_ldexp_f32 v18, v18, v49
	v_add_f32_e32 v49, -1.0, v15
	v_add_f32_e32 v51, 1.0, v15
	v_add_f32_e32 v50, 1.0, v49
	v_add_f32_e32 v52, -1.0, v51
	v_sub_f32_e32 v50, v15, v50
	v_sub_f32_e32 v15, v15, v52
	v_add_f32_e32 v15, v18, v15
	v_add_f32_e32 v50, v18, v50
	;; [unrolled: 1-line block ×3, first 2 shown]
	v_rcp_f32_e32 v52, v18
	v_sub_f32_e32 v51, v51, v18
	v_add_f32_e32 v15, v15, v51
	v_add_f32_e32 v51, v49, v50
	v_mul_f32_e32 v60, v51, v52
	v_mul_f32_e32 v54, v18, v60
	v_fma_f32 v56, v60, v18, -v54
	v_sub_f32_e32 v49, v49, v51
	v_fmac_f32_e32 v56, v60, v15
	v_add_f32_e32 v49, v50, v49
	v_add_f32_e32 v50, v54, v56
	s_waitcnt lgkmcnt(0)
	v_sub_f32_e32 v55, v51, v50
	v_pk_add_f32 v[58:59], v[50:51], v[54:55] neg_lo:[0,1] neg_hi:[0,1]
	v_mov_b32_e32 v57, v50
	v_pk_add_f32 v[50:51], v[58:59], v[56:57] neg_lo:[0,1] neg_hi:[0,1]
	v_cmp_eq_f32_e32 vcc, s3, v17
	v_add_f32_e32 v49, v49, v51
	v_add_f32_e32 v49, v50, v49
	;; [unrolled: 1-line block ×3, first 2 shown]
	v_mul_f32_e32 v61, v52, v51
	v_mul_f32_e32 v54, v18, v61
	v_fma_f32 v56, v61, v18, -v54
	v_fmac_f32_e32 v56, v61, v15
	v_add_f32_e32 v50, v54, v56
	v_sub_f32_e32 v15, v55, v51
	v_sub_f32_e32 v55, v51, v50
	v_pk_add_f32 v[58:59], v[50:51], v[54:55] neg_lo:[0,1] neg_hi:[0,1]
	v_mov_b32_e32 v57, v50
	v_add_f32_e32 v15, v49, v15
	v_pk_add_f32 v[50:51], v[58:59], v[56:57] neg_lo:[0,1] neg_hi:[0,1]
	v_add_f32_e32 v18, v60, v61
	v_add_f32_e32 v15, v15, v51
	v_add_f32_e32 v15, v50, v15
	v_add_f32_e32 v15, v55, v15
	v_sub_f32_e32 v49, v18, v60
	v_mul_f32_e32 v15, v52, v15
	v_sub_f32_e32 v49, v61, v49
	v_add_f32_e32 v15, v49, v15
	v_add_f32_e32 v49, v18, v15
	v_cvt_f32_i32_e32 v54, v24
	v_mul_f32_e32 v50, v49, v49
	v_mov_b32_e32 v51, 0x3ecc95a3
	v_fmac_f32_e32 v51, 0x3e9b6dac, v50
	v_fmaak_f32 v51, v50, v51, 0x3f2aaada
	v_mul_f32_e32 v55, v49, v50
	v_mov_b32_e32 v50, 0x3f317218
	v_sub_f32_e32 v18, v49, v18
	v_pk_mul_f32 v[50:51], v[54:55], v[50:51]
	v_sub_f32_e32 v15, v15, v18
	v_fma_f32 v18, v54, s2, -v50
	v_ldexp_f32 v57, v49, 1
	v_fmamk_f32 v56, v54, 0xb102e308, v18
	v_pk_add_f32 v[54:55], v[50:51], v[56:57]
	v_ldexp_f32 v15, v15, 1
	v_sub_f32_e32 v18, v55, v57
	v_sub_f32_e32 v18, v51, v18
	v_add_f32_e32 v59, v15, v18
	v_mov_b32_e32 v58, v50
	v_pk_add_f32 v[50:51], v[54:55], v[50:51] neg_lo:[0,1] neg_hi:[0,1]
	v_pk_add_f32 v[60:61], v[54:55], v[58:59]
	v_mov_b32_e32 v57, v54
	v_mov_b32_e32 v51, v61
	v_pk_add_f32 v[62:63], v[56:57], v[50:51] neg_lo:[0,1] neg_hi:[0,1]
	v_pk_add_f32 v[50:51], v[56:57], v[50:51]
	s_mov_b32 s2, 0x33800000
	v_mov_b32_e32 v18, v51
	v_pk_add_f32 v[56:57], v[18:19], v[54:55] neg_lo:[0,1] neg_hi:[0,1]
	v_mov_b32_e32 v50, v61
	v_mov_b32_e32 v15, v56
	v_pk_add_f32 v[64:65], v[60:61], v[14:15] neg_lo:[0,1] neg_hi:[0,1]
	v_mov_b32_e32 v60, v55
	v_mov_b32_e32 v61, v56
	;; [unrolled: 1-line block ×3, first 2 shown]
	v_pk_add_f32 v[50:51], v[50:51], v[60:61] neg_lo:[0,1] neg_hi:[0,1]
	v_mov_b32_e32 v56, v59
	v_mov_b32_e32 v57, v54
	v_pk_add_f32 v[50:51], v[56:57], v[50:51] neg_lo:[0,1] neg_hi:[0,1]
	v_mov_b32_e32 v64, v62
	v_pk_add_f32 v[54:55], v[64:65], v[50:51]
	v_cmp_lt_f32_e64 s[2:3], |v17|, s2
	v_mov_b32_e32 v24, v55
	v_pk_add_f32 v[56:57], v[54:55], v[24:25]
	s_or_b64 vcc, vcc, s[2:3]
	v_pk_add_f32 v[58:59], v[18:19], v[56:57]
	v_mov_b32_e32 v51, v56
	v_mov_b32_e32 v55, v58
	v_pk_add_f32 v[60:61], v[54:55], v[62:63] neg_lo:[0,1] neg_hi:[0,1]
	s_nop 0
	v_sub_f32_e32 v15, v54, v60
	v_pk_add_f32 v[50:51], v[50:51], v[60:61] neg_lo:[0,1] neg_hi:[0,1]
	v_sub_f32_e32 v15, v62, v15
	v_add_f32_e32 v15, v50, v15
	v_add_f32_e32 v15, v15, v51
	v_add_f32_e32 v15, v58, v15
	v_cndmask_b32_e32 v15, v15, v17, vcc
	v_add_f32_e32 v17, v3, v15
.LBB489_144:
	s_or_b64 exec, exec, s[0:1]
	v_bfe_u32 v3, v17, 16, 1
	v_add3_u32 v3, v17, v3, s48
	v_lshrrev_b32_e32 v3, 16, v3
	v_mov_b32_e32 v15, 0x7fc0
	v_cmp_o_f32_e32 vcc, v17, v17
	s_nop 1
	v_cndmask_b32_e32 v3, v15, v3, vcc
	v_lshlrev_b32_e32 v17, 16, v3
	v_max_f32_e32 v24, v17, v17
	v_min_f32_e32 v18, v24, v20
	v_cmp_u_f32_e32 vcc, v17, v17
	v_max_f32_e32 v20, v24, v20
	s_nop 0
	v_cndmask_b32_e32 v18, v18, v17, vcc
	v_cndmask_b32_e32 v20, v20, v17, vcc
	v_cndmask_b32_e64 v18, v18, v16, s[54:55]
	v_cndmask_b32_e64 v16, v20, v16, s[54:55]
	v_cmp_neq_f32_e32 vcc, v18, v16
	v_cmp_class_f32_e64 s[0:1], v18, s33
	s_or_b64 s[2:3], vcc, s[0:1]
	s_and_saveexec_b64 s[0:1], s[2:3]
	s_cbranch_execz .LBB489_146
; %bb.145:
	v_sub_f32_e32 v17, v18, v16
	s_mov_b32 s2, 0x3fb8aa3b
	v_mul_f32_e32 v18, 0x3fb8aa3b, v17
	v_fma_f32 v20, v17, s2, -v18
	v_rndne_f32_e32 v24, v18
	v_fmamk_f32 v20, v17, 0x32a5705f, v20
	v_sub_f32_e32 v18, v18, v24
	v_add_f32_e32 v18, v18, v20
	v_exp_f32_e32 v18, v18
	v_cvt_i32_f32_e32 v20, v24
	s_mov_b32 s2, 0xc2ce8ed0
	v_cmp_ngt_f32_e32 vcc, s2, v17
	s_mov_b32 s2, 0x42b17218
	v_ldexp_f32 v18, v18, v20
	v_cndmask_b32_e32 v18, 0, v18, vcc
	v_mov_b32_e32 v20, 0x7f800000
	v_cmp_nlt_f32_e32 vcc, s2, v17
	s_mov_b32 s2, 0x3f2aaaab
	s_mov_b32 s3, 0x7f800000
	v_cndmask_b32_e32 v24, v20, v18, vcc
	v_add_f32_e32 v17, 1.0, v24
	v_add_f32_e32 v18, -1.0, v17
	v_sub_f32_e32 v20, v18, v17
	v_add_f32_e32 v20, 1.0, v20
	v_sub_f32_e32 v18, v24, v18
	v_add_f32_e32 v18, v18, v20
	v_frexp_mant_f32_e32 v20, v17
	v_cvt_f64_f32_e32 v[50:51], v17
	v_frexp_exp_i32_f64_e32 v49, v[50:51]
	v_cmp_gt_f32_e32 vcc, s2, v20
	s_mov_b32 s2, 0x3f317218
	s_nop 0
	v_subbrev_co_u32_e32 v20, vcc, 0, v49, vcc
	v_sub_u32_e32 v49, 0, v20
	v_ldexp_f32 v17, v17, v49
	v_ldexp_f32 v18, v18, v49
	v_add_f32_e32 v49, -1.0, v17
	v_add_f32_e32 v51, 1.0, v17
	v_add_f32_e32 v50, 1.0, v49
	v_add_f32_e32 v52, -1.0, v51
	v_sub_f32_e32 v50, v17, v50
	v_sub_f32_e32 v17, v17, v52
	v_add_f32_e32 v17, v18, v17
	v_add_f32_e32 v50, v18, v50
	;; [unrolled: 1-line block ×3, first 2 shown]
	v_rcp_f32_e32 v52, v18
	v_sub_f32_e32 v51, v51, v18
	v_add_f32_e32 v17, v17, v51
	v_add_f32_e32 v51, v49, v50
	v_mul_f32_e32 v60, v51, v52
	v_mul_f32_e32 v54, v18, v60
	v_fma_f32 v56, v60, v18, -v54
	v_sub_f32_e32 v49, v49, v51
	v_fmac_f32_e32 v56, v60, v17
	v_add_f32_e32 v49, v50, v49
	v_add_f32_e32 v50, v54, v56
	s_waitcnt lgkmcnt(0)
	v_sub_f32_e32 v55, v51, v50
	v_pk_add_f32 v[58:59], v[50:51], v[54:55] neg_lo:[0,1] neg_hi:[0,1]
	v_mov_b32_e32 v57, v50
	v_pk_add_f32 v[50:51], v[58:59], v[56:57] neg_lo:[0,1] neg_hi:[0,1]
	v_cmp_eq_f32_e32 vcc, s3, v24
	v_add_f32_e32 v49, v49, v51
	v_add_f32_e32 v49, v50, v49
	;; [unrolled: 1-line block ×3, first 2 shown]
	v_mul_f32_e32 v61, v52, v51
	v_mul_f32_e32 v54, v18, v61
	v_fma_f32 v56, v61, v18, -v54
	v_fmac_f32_e32 v56, v61, v17
	v_add_f32_e32 v50, v54, v56
	v_sub_f32_e32 v17, v55, v51
	v_sub_f32_e32 v55, v51, v50
	v_pk_add_f32 v[58:59], v[50:51], v[54:55] neg_lo:[0,1] neg_hi:[0,1]
	v_mov_b32_e32 v57, v50
	v_add_f32_e32 v17, v49, v17
	v_pk_add_f32 v[50:51], v[58:59], v[56:57] neg_lo:[0,1] neg_hi:[0,1]
	v_add_f32_e32 v18, v60, v61
	v_add_f32_e32 v17, v17, v51
	;; [unrolled: 1-line block ×4, first 2 shown]
	v_sub_f32_e32 v49, v18, v60
	v_mul_f32_e32 v17, v52, v17
	v_sub_f32_e32 v49, v61, v49
	v_add_f32_e32 v17, v49, v17
	v_add_f32_e32 v49, v18, v17
	v_cvt_f32_i32_e32 v54, v20
	v_mul_f32_e32 v50, v49, v49
	v_mov_b32_e32 v51, 0x3ecc95a3
	v_fmac_f32_e32 v51, 0x3e9b6dac, v50
	v_fmaak_f32 v51, v50, v51, 0x3f2aaada
	v_mul_f32_e32 v55, v49, v50
	v_mov_b32_e32 v50, 0x3f317218
	v_sub_f32_e32 v18, v49, v18
	v_pk_mul_f32 v[50:51], v[54:55], v[50:51]
	v_sub_f32_e32 v17, v17, v18
	v_fma_f32 v18, v54, s2, -v50
	v_ldexp_f32 v57, v49, 1
	v_fmamk_f32 v56, v54, 0xb102e308, v18
	v_pk_add_f32 v[54:55], v[50:51], v[56:57]
	v_ldexp_f32 v17, v17, 1
	v_sub_f32_e32 v18, v55, v57
	v_sub_f32_e32 v18, v51, v18
	v_add_f32_e32 v59, v17, v18
	v_mov_b32_e32 v58, v50
	v_pk_add_f32 v[50:51], v[54:55], v[50:51] neg_lo:[0,1] neg_hi:[0,1]
	v_pk_add_f32 v[60:61], v[54:55], v[58:59]
	v_mov_b32_e32 v57, v54
	v_mov_b32_e32 v51, v61
	v_pk_add_f32 v[62:63], v[56:57], v[50:51] neg_lo:[0,1] neg_hi:[0,1]
	v_pk_add_f32 v[50:51], v[56:57], v[50:51]
	s_mov_b32 s2, 0x33800000
	v_mov_b32_e32 v18, v51
	v_pk_add_f32 v[56:57], v[18:19], v[54:55] neg_lo:[0,1] neg_hi:[0,1]
	v_mov_b32_e32 v50, v61
	v_mov_b32_e32 v17, v56
	v_pk_add_f32 v[64:65], v[60:61], v[16:17] neg_lo:[0,1] neg_hi:[0,1]
	v_mov_b32_e32 v60, v55
	v_mov_b32_e32 v61, v56
	;; [unrolled: 1-line block ×3, first 2 shown]
	v_pk_add_f32 v[50:51], v[50:51], v[60:61] neg_lo:[0,1] neg_hi:[0,1]
	v_mov_b32_e32 v56, v59
	v_mov_b32_e32 v57, v54
	v_pk_add_f32 v[50:51], v[56:57], v[50:51] neg_lo:[0,1] neg_hi:[0,1]
	v_mov_b32_e32 v64, v62
	v_pk_add_f32 v[54:55], v[64:65], v[50:51]
	v_cmp_lt_f32_e64 s[2:3], |v24|, s2
	v_mov_b32_e32 v20, v55
	v_pk_add_f32 v[56:57], v[54:55], v[20:21]
	s_or_b64 vcc, vcc, s[2:3]
	v_pk_add_f32 v[58:59], v[18:19], v[56:57]
	v_mov_b32_e32 v51, v56
	v_mov_b32_e32 v55, v58
	v_pk_add_f32 v[60:61], v[54:55], v[62:63] neg_lo:[0,1] neg_hi:[0,1]
	s_nop 0
	v_sub_f32_e32 v17, v54, v60
	v_pk_add_f32 v[50:51], v[50:51], v[60:61] neg_lo:[0,1] neg_hi:[0,1]
	v_sub_f32_e32 v17, v62, v17
	v_add_f32_e32 v17, v50, v17
	v_add_f32_e32 v17, v17, v51
	;; [unrolled: 1-line block ×3, first 2 shown]
	v_cndmask_b32_e32 v17, v17, v24, vcc
	v_add_f32_e32 v17, v16, v17
.LBB489_146:
	s_or_b64 exec, exec, s[0:1]
	v_bfe_u32 v16, v17, 16, 1
	v_add3_u32 v16, v17, v16, s48
	v_lshrrev_b32_e32 v16, 16, v16
	v_cmp_o_f32_e32 vcc, v17, v17
	s_nop 1
	v_cndmask_b32_e32 v15, v15, v16, vcc
	v_lshlrev_b32_e32 v17, 16, v15
	v_max_f32_e32 v18, v17, v17
	v_min_f32_e32 v16, v18, v21
	v_cmp_u_f32_e32 vcc, v17, v17
	v_max_f32_e32 v18, v18, v21
	s_nop 0
	v_cndmask_b32_e32 v16, v16, v17, vcc
	v_cndmask_b32_e32 v18, v18, v17, vcc
	v_cndmask_b32_e64 v16, v16, v4, s[56:57]
	v_cndmask_b32_e64 v4, v18, v4, s[56:57]
	v_cmp_neq_f32_e32 vcc, v16, v4
	v_cmp_class_f32_e64 s[0:1], v16, s33
	s_or_b64 s[2:3], vcc, s[0:1]
	s_and_saveexec_b64 s[0:1], s[2:3]
	s_cbranch_execz .LBB489_148
; %bb.147:
	v_sub_f32_e32 v16, v16, v4
	s_mov_b32 s2, 0x3fb8aa3b
	v_mul_f32_e32 v17, 0x3fb8aa3b, v16
	v_fma_f32 v18, v16, s2, -v17
	v_rndne_f32_e32 v20, v17
	v_fmamk_f32 v18, v16, 0x32a5705f, v18
	v_sub_f32_e32 v17, v17, v20
	v_add_f32_e32 v17, v17, v18
	v_exp_f32_e32 v17, v17
	v_cvt_i32_f32_e32 v18, v20
	s_mov_b32 s2, 0xc2ce8ed0
	v_cmp_ngt_f32_e32 vcc, s2, v16
	s_mov_b32 s2, 0x42b17218
	v_ldexp_f32 v17, v17, v18
	v_cndmask_b32_e32 v17, 0, v17, vcc
	v_mov_b32_e32 v18, 0x7f800000
	v_cmp_nlt_f32_e32 vcc, s2, v16
	s_mov_b32 s2, 0x3f2aaaab
	s_mov_b32 s3, 0x7f800000
	v_cndmask_b32_e32 v52, v18, v17, vcc
	v_add_f32_e32 v18, 1.0, v52
	v_add_f32_e32 v16, -1.0, v18
	v_sub_f32_e32 v17, v16, v18
	v_add_f32_e32 v17, 1.0, v17
	v_sub_f32_e32 v16, v52, v16
	v_add_f32_e32 v20, v16, v17
	v_frexp_mant_f32_e32 v21, v18
	v_cvt_f64_f32_e32 v[16:17], v18
	v_frexp_exp_i32_f64_e32 v16, v[16:17]
	v_cmp_gt_f32_e32 vcc, s2, v21
	s_mov_b32 s2, 0x3f317218
	s_nop 0
	v_subbrev_co_u32_e32 v24, vcc, 0, v16, vcc
	v_sub_u32_e32 v16, 0, v24
	v_ldexp_f32 v17, v18, v16
	v_add_f32_e32 v18, -1.0, v17
	v_add_f32_e32 v21, 1.0, v17
	v_ldexp_f32 v16, v20, v16
	v_add_f32_e32 v20, 1.0, v18
	v_add_f32_e32 v49, -1.0, v21
	v_sub_f32_e32 v20, v17, v20
	v_sub_f32_e32 v17, v17, v49
	v_add_f32_e32 v20, v16, v20
	v_add_f32_e32 v16, v16, v17
	;; [unrolled: 1-line block ×3, first 2 shown]
	v_rcp_f32_e32 v57, v49
	v_sub_f32_e32 v17, v21, v49
	v_add_f32_e32 v56, v16, v17
	v_add_f32_e32 v17, v18, v20
	v_sub_f32_e32 v16, v18, v17
	v_mul_f32_e32 v58, v17, v57
	v_add_f32_e32 v18, v20, v16
	v_mul_f32_e32 v20, v49, v58
	v_fma_f32 v50, v58, v49, -v20
	v_fmac_f32_e32 v50, v58, v56
	v_add_f32_e32 v16, v20, v50
	v_sub_f32_e32 v21, v17, v16
	s_waitcnt lgkmcnt(0)
	v_pk_add_f32 v[54:55], v[16:17], v[20:21] neg_lo:[0,1] neg_hi:[0,1]
	v_mov_b32_e32 v51, v16
	v_pk_add_f32 v[16:17], v[54:55], v[50:51] neg_lo:[0,1] neg_hi:[0,1]
	v_cmp_eq_f32_e32 vcc, s3, v52
	v_add_f32_e32 v17, v18, v17
	v_add_f32_e32 v16, v16, v17
	;; [unrolled: 1-line block ×3, first 2 shown]
	v_mul_f32_e32 v18, v57, v17
	v_mul_f32_e32 v20, v49, v18
	v_fma_f32 v50, v18, v49, -v20
	v_fmac_f32_e32 v50, v18, v56
	v_sub_f32_e32 v21, v21, v17
	v_add_f32_e32 v49, v16, v21
	v_add_f32_e32 v16, v20, v50
	v_sub_f32_e32 v21, v17, v16
	v_pk_add_f32 v[54:55], v[16:17], v[20:21] neg_lo:[0,1] neg_hi:[0,1]
	v_mov_b32_e32 v51, v16
	v_pk_add_f32 v[16:17], v[54:55], v[50:51] neg_lo:[0,1] neg_hi:[0,1]
	v_cvt_f32_i32_e32 v20, v24
	v_add_f32_e32 v17, v49, v17
	v_add_f32_e32 v16, v16, v17
	;; [unrolled: 1-line block ×4, first 2 shown]
	v_sub_f32_e32 v17, v21, v58
	v_mul_f32_e32 v16, v57, v16
	v_sub_f32_e32 v17, v18, v17
	v_add_f32_e32 v16, v17, v16
	v_add_f32_e32 v18, v21, v16
	v_mul_f32_e32 v49, v18, v18
	v_mov_b32_e32 v17, 0x3ecc95a3
	v_sub_f32_e32 v21, v18, v21
	v_fmac_f32_e32 v17, 0x3e9b6dac, v49
	v_sub_f32_e32 v16, v16, v21
	v_fmaak_f32 v17, v49, v17, 0x3f2aaada
	v_ldexp_f32 v24, v16, 1
	v_mul_f32_e32 v21, v18, v49
	v_mov_b32_e32 v16, 0x3f317218
	v_pk_mul_f32 v[16:17], v[20:21], v[16:17]
	v_ldexp_f32 v51, v18, 1
	v_fma_f32 v18, v20, s2, -v16
	v_fmamk_f32 v50, v20, 0xb102e308, v18
	v_pk_add_f32 v[20:21], v[16:17], v[50:51]
	v_mov_b32_e32 v54, v16
	v_sub_f32_e32 v18, v21, v51
	v_sub_f32_e32 v18, v17, v18
	v_add_f32_e32 v55, v24, v18
	v_pk_add_f32 v[16:17], v[20:21], v[16:17] neg_lo:[0,1] neg_hi:[0,1]
	v_pk_add_f32 v[56:57], v[20:21], v[54:55]
	v_mov_b32_e32 v51, v20
	v_mov_b32_e32 v17, v57
	v_pk_add_f32 v[58:59], v[50:51], v[16:17] neg_lo:[0,1] neg_hi:[0,1]
	v_pk_add_f32 v[16:17], v[50:51], v[16:17]
	s_mov_b32 s2, 0x33800000
	v_mov_b32_e32 v18, v17
	v_pk_add_f32 v[50:51], v[18:19], v[20:21] neg_lo:[0,1] neg_hi:[0,1]
	v_mov_b32_e32 v16, v57
	v_mov_b32_e32 v49, v50
	v_pk_add_f32 v[60:61], v[56:57], v[48:49] neg_lo:[0,1] neg_hi:[0,1]
	v_mov_b32_e32 v56, v21
	v_mov_b32_e32 v57, v50
	;; [unrolled: 1-line block ×3, first 2 shown]
	v_pk_add_f32 v[16:17], v[16:17], v[56:57] neg_lo:[0,1] neg_hi:[0,1]
	v_mov_b32_e32 v50, v55
	v_mov_b32_e32 v51, v20
	v_pk_add_f32 v[16:17], v[50:51], v[16:17] neg_lo:[0,1] neg_hi:[0,1]
	v_mov_b32_e32 v60, v58
	v_pk_add_f32 v[20:21], v[60:61], v[16:17]
	v_cmp_lt_f32_e64 s[2:3], |v52|, s2
	v_mov_b32_e32 v24, v21
	v_pk_add_f32 v[50:51], v[20:21], v[24:25]
	s_or_b64 vcc, vcc, s[2:3]
	v_pk_add_f32 v[54:55], v[18:19], v[50:51]
	v_mov_b32_e32 v17, v50
	v_mov_b32_e32 v21, v54
	v_pk_add_f32 v[56:57], v[20:21], v[58:59] neg_lo:[0,1] neg_hi:[0,1]
	s_nop 0
	v_sub_f32_e32 v18, v20, v56
	v_pk_add_f32 v[16:17], v[16:17], v[56:57] neg_lo:[0,1] neg_hi:[0,1]
	v_sub_f32_e32 v18, v58, v18
	v_add_f32_e32 v16, v16, v18
	v_add_f32_e32 v16, v16, v17
	;; [unrolled: 1-line block ×3, first 2 shown]
	v_cndmask_b32_e32 v16, v16, v52, vcc
	v_add_f32_e32 v17, v4, v16
.LBB489_148:
	s_or_b64 exec, exec, s[0:1]
	v_bfe_u32 v4, v17, 16, 1
	v_add3_u32 v4, v17, v4, s48
	v_lshrrev_b32_e32 v4, 16, v4
	v_mov_b32_e32 v16, 0x7fc0
	v_cmp_o_f32_e32 vcc, v17, v17
	s_nop 1
	v_cndmask_b32_e32 v4, v16, v4, vcc
	v_lshlrev_b32_e32 v18, 16, v4
	v_max_f32_e32 v17, v18, v18
	v_min_f32_e32 v20, v17, v23
	v_cmp_u_f32_e32 vcc, v18, v18
	v_max_f32_e32 v17, v17, v23
	s_nop 0
	v_cndmask_b32_e32 v20, v20, v18, vcc
	v_cndmask_b32_e32 v17, v17, v18, vcc
	v_cndmask_b32_e64 v20, v20, v19, s[58:59]
	v_cndmask_b32_e64 v17, v17, v19, s[58:59]
	v_cmp_neq_f32_e32 vcc, v20, v17
	v_cmp_class_f32_e64 s[0:1], v20, s33
	s_or_b64 s[2:3], vcc, s[0:1]
	s_and_saveexec_b64 s[0:1], s[2:3]
	s_cbranch_execz .LBB489_150
; %bb.149:
	v_sub_f32_e32 v18, v20, v17
	s_mov_b32 s2, 0x3fb8aa3b
	v_mul_f32_e32 v19, 0x3fb8aa3b, v18
	v_fma_f32 v20, v18, s2, -v19
	v_rndne_f32_e32 v21, v19
	v_fmamk_f32 v20, v18, 0x32a5705f, v20
	v_sub_f32_e32 v19, v19, v21
	v_add_f32_e32 v19, v19, v20
	v_exp_f32_e32 v19, v19
	v_cvt_i32_f32_e32 v20, v21
	s_mov_b32 s2, 0xc2ce8ed0
	v_cmp_ngt_f32_e32 vcc, s2, v18
	s_mov_b32 s2, 0x42b17218
	v_ldexp_f32 v19, v19, v20
	v_cndmask_b32_e32 v19, 0, v19, vcc
	v_mov_b32_e32 v20, 0x7f800000
	v_cmp_nlt_f32_e32 vcc, s2, v18
	s_mov_b32 s2, 0x3f2aaaab
	s_mov_b32 s3, 0x7f800000
	v_cndmask_b32_e32 v49, v20, v19, vcc
	v_add_f32_e32 v20, 1.0, v49
	v_add_f32_e32 v18, -1.0, v20
	v_sub_f32_e32 v19, v18, v20
	v_add_f32_e32 v19, 1.0, v19
	v_sub_f32_e32 v18, v49, v18
	v_add_f32_e32 v21, v18, v19
	v_frexp_mant_f32_e32 v23, v20
	v_cvt_f64_f32_e32 v[18:19], v20
	v_frexp_exp_i32_f64_e32 v18, v[18:19]
	v_cmp_gt_f32_e32 vcc, s2, v23
	s_mov_b32 s2, 0x3f317218
	s_nop 0
	v_subbrev_co_u32_e32 v23, vcc, 0, v18, vcc
	v_sub_u32_e32 v18, 0, v23
	v_ldexp_f32 v19, v20, v18
	v_add_f32_e32 v20, -1.0, v19
	v_add_f32_e32 v24, 1.0, v19
	v_ldexp_f32 v18, v21, v18
	v_add_f32_e32 v21, 1.0, v20
	v_add_f32_e32 v50, -1.0, v24
	v_sub_f32_e32 v21, v19, v21
	v_sub_f32_e32 v19, v19, v50
	v_add_f32_e32 v21, v18, v21
	v_add_f32_e32 v18, v18, v19
	;; [unrolled: 1-line block ×3, first 2 shown]
	v_rcp_f32_e32 v56, v52
	v_sub_f32_e32 v19, v24, v52
	v_add_f32_e32 v24, v18, v19
	v_add_f32_e32 v19, v20, v21
	v_mul_f32_e32 v58, v19, v56
	v_sub_f32_e32 v18, v20, v19
	v_mul_f32_e32 v20, v52, v58
	v_fma_f32 v50, v58, v52, -v20
	v_fmac_f32_e32 v50, v58, v24
	v_add_f32_e32 v57, v21, v18
	v_add_f32_e32 v18, v20, v50
	v_sub_f32_e32 v21, v19, v18
	s_waitcnt lgkmcnt(0)
	v_pk_add_f32 v[54:55], v[18:19], v[20:21] neg_lo:[0,1] neg_hi:[0,1]
	v_mov_b32_e32 v51, v18
	v_pk_add_f32 v[18:19], v[54:55], v[50:51] neg_lo:[0,1] neg_hi:[0,1]
	v_cmp_eq_f32_e32 vcc, s3, v49
	v_add_f32_e32 v19, v57, v19
	v_add_f32_e32 v18, v18, v19
	;; [unrolled: 1-line block ×3, first 2 shown]
	v_mul_f32_e32 v57, v56, v19
	v_mul_f32_e32 v20, v52, v57
	v_fma_f32 v50, v57, v52, -v20
	v_fmac_f32_e32 v50, v57, v24
	v_sub_f32_e32 v21, v21, v19
	v_add_f32_e32 v24, v18, v21
	v_add_f32_e32 v18, v20, v50
	v_sub_f32_e32 v21, v19, v18
	v_pk_add_f32 v[54:55], v[18:19], v[20:21] neg_lo:[0,1] neg_hi:[0,1]
	v_mov_b32_e32 v51, v18
	v_pk_add_f32 v[18:19], v[54:55], v[50:51] neg_lo:[0,1] neg_hi:[0,1]
	v_cvt_f32_i32_e32 v20, v23
	v_add_f32_e32 v19, v24, v19
	v_add_f32_e32 v18, v18, v19
	;; [unrolled: 1-line block ×4, first 2 shown]
	v_sub_f32_e32 v19, v21, v58
	v_mul_f32_e32 v18, v56, v18
	v_sub_f32_e32 v19, v57, v19
	v_add_f32_e32 v18, v19, v18
	v_add_f32_e32 v24, v21, v18
	v_mul_f32_e32 v50, v24, v24
	v_mov_b32_e32 v19, 0x3ecc95a3
	v_sub_f32_e32 v21, v24, v21
	v_fmac_f32_e32 v19, 0x3e9b6dac, v50
	v_sub_f32_e32 v18, v18, v21
	v_fmaak_f32 v19, v50, v19, 0x3f2aaada
	v_ldexp_f32 v23, v18, 1
	v_mul_f32_e32 v21, v24, v50
	v_mov_b32_e32 v18, 0x3f317218
	v_pk_mul_f32 v[18:19], v[20:21], v[18:19]
	v_ldexp_f32 v51, v24, 1
	v_fma_f32 v21, v20, s2, -v18
	v_fmamk_f32 v50, v20, 0xb102e308, v21
	v_pk_add_f32 v[20:21], v[18:19], v[50:51]
	v_mov_b32_e32 v54, v18
	v_sub_f32_e32 v24, v21, v51
	v_sub_f32_e32 v24, v19, v24
	v_add_f32_e32 v55, v23, v24
	v_pk_add_f32 v[18:19], v[20:21], v[18:19] neg_lo:[0,1] neg_hi:[0,1]
	v_pk_add_f32 v[56:57], v[20:21], v[54:55]
	v_mov_b32_e32 v51, v20
	v_mov_b32_e32 v19, v57
	v_pk_add_f32 v[58:59], v[50:51], v[18:19] neg_lo:[0,1] neg_hi:[0,1]
	v_pk_add_f32 v[18:19], v[50:51], v[18:19]
	s_mov_b32 s2, 0x33800000
	v_mov_b32_e32 v24, v19
	v_pk_add_f32 v[50:51], v[24:25], v[20:21] neg_lo:[0,1] neg_hi:[0,1]
	v_mov_b32_e32 v18, v57
	v_mov_b32_e32 v23, v50
	v_pk_add_f32 v[60:61], v[56:57], v[22:23] neg_lo:[0,1] neg_hi:[0,1]
	v_mov_b32_e32 v56, v21
	v_mov_b32_e32 v57, v50
	v_mov_b32_e32 v59, v19
	v_pk_add_f32 v[18:19], v[18:19], v[56:57] neg_lo:[0,1] neg_hi:[0,1]
	v_mov_b32_e32 v50, v55
	v_mov_b32_e32 v51, v20
	v_pk_add_f32 v[18:19], v[50:51], v[18:19] neg_lo:[0,1] neg_hi:[0,1]
	v_mov_b32_e32 v60, v58
	v_pk_add_f32 v[20:21], v[60:61], v[18:19]
	v_cmp_lt_f32_e64 s[2:3], |v49|, s2
	v_mov_b32_e32 v50, v21
	v_pk_add_f32 v[50:51], v[20:21], v[50:51]
	s_or_b64 vcc, vcc, s[2:3]
	v_pk_add_f32 v[54:55], v[24:25], v[50:51]
	v_mov_b32_e32 v19, v50
	v_mov_b32_e32 v21, v54
	v_pk_add_f32 v[56:57], v[20:21], v[58:59] neg_lo:[0,1] neg_hi:[0,1]
	s_nop 0
	v_sub_f32_e32 v20, v20, v56
	v_pk_add_f32 v[18:19], v[18:19], v[56:57] neg_lo:[0,1] neg_hi:[0,1]
	v_sub_f32_e32 v20, v58, v20
	v_add_f32_e32 v18, v18, v20
	v_add_f32_e32 v18, v18, v19
	v_add_f32_e32 v18, v54, v18
	v_cndmask_b32_e32 v18, v18, v49, vcc
	v_add_f32_e32 v18, v17, v18
.LBB489_150:
	s_or_b64 exec, exec, s[0:1]
	v_bfe_u32 v17, v18, 16, 1
	v_add3_u32 v17, v18, v17, s48
	v_lshrrev_b32_e32 v17, 16, v17
	v_cmp_o_f32_e32 vcc, v18, v18
	s_nop 1
	v_cndmask_b32_e32 v16, v16, v17, vcc
	v_lshlrev_b32_e32 v18, 16, v16
	v_max_f32_e32 v19, v18, v18
	v_min_f32_e32 v17, v19, v25
	v_cmp_u_f32_e32 vcc, v18, v18
	v_max_f32_e32 v19, v19, v25
	s_nop 0
	v_cndmask_b32_e32 v17, v17, v18, vcc
	v_cndmask_b32_e32 v19, v19, v18, vcc
	v_cndmask_b32_e64 v17, v17, v5, s[60:61]
	v_cndmask_b32_e64 v5, v19, v5, s[60:61]
	v_cmp_neq_f32_e32 vcc, v17, v5
	v_cmp_class_f32_e64 s[0:1], v17, s33
	s_or_b64 s[2:3], vcc, s[0:1]
	s_and_saveexec_b64 s[0:1], s[2:3]
	s_cbranch_execz .LBB489_152
; %bb.151:
	v_sub_f32_e32 v17, v17, v5
	s_mov_b32 s2, 0x3fb8aa3b
	v_mul_f32_e32 v18, 0x3fb8aa3b, v17
	v_fma_f32 v19, v17, s2, -v18
	v_rndne_f32_e32 v20, v18
	v_fmamk_f32 v19, v17, 0x32a5705f, v19
	v_sub_f32_e32 v18, v18, v20
	v_add_f32_e32 v18, v18, v19
	v_exp_f32_e32 v18, v18
	v_cvt_i32_f32_e32 v19, v20
	s_mov_b32 s2, 0xc2ce8ed0
	v_cmp_ngt_f32_e32 vcc, s2, v17
	s_mov_b32 s2, 0x42b17218
	v_ldexp_f32 v18, v18, v19
	v_cndmask_b32_e32 v18, 0, v18, vcc
	v_mov_b32_e32 v19, 0x7f800000
	v_cmp_nlt_f32_e32 vcc, s2, v17
	s_mov_b32 s2, 0x3f2aaaab
	s_mov_b32 s3, 0x7f800000
	v_cndmask_b32_e32 v23, v19, v18, vcc
	v_add_f32_e32 v17, 1.0, v23
	v_add_f32_e32 v18, -1.0, v17
	v_sub_f32_e32 v19, v18, v17
	v_add_f32_e32 v19, 1.0, v19
	v_sub_f32_e32 v18, v23, v18
	v_add_f32_e32 v20, v18, v19
	v_frexp_mant_f32_e32 v21, v17
	v_cvt_f64_f32_e32 v[18:19], v17
	v_frexp_exp_i32_f64_e32 v18, v[18:19]
	v_cmp_gt_f32_e32 vcc, s2, v21
	s_mov_b32 s2, 0x3f317218
	s_nop 0
	v_subbrev_co_u32_e32 v49, vcc, 0, v18, vcc
	v_sub_u32_e32 v18, 0, v49
	v_ldexp_f32 v17, v17, v18
	v_ldexp_f32 v18, v20, v18
	v_add_f32_e32 v20, -1.0, v17
	v_add_f32_e32 v19, 1.0, v20
	v_sub_f32_e32 v19, v17, v19
	v_add_f32_e32 v21, v18, v19
	v_add_f32_e32 v19, 1.0, v17
	v_add_f32_e32 v24, -1.0, v19
	v_sub_f32_e32 v17, v17, v24
	v_add_f32_e32 v17, v18, v17
	v_add_f32_e32 v52, v19, v17
	v_rcp_f32_e32 v54, v52
	v_sub_f32_e32 v18, v19, v52
	v_add_f32_e32 v19, v20, v21
	v_add_f32_e32 v17, v17, v18
	v_mul_f32_e32 v56, v19, v54
	v_sub_f32_e32 v18, v20, v19
	v_mul_f32_e32 v20, v52, v56
	v_fma_f32 v24, v56, v52, -v20
	v_fmac_f32_e32 v24, v56, v17
	s_waitcnt lgkmcnt(0)
	v_add_f32_e32 v55, v21, v18
	v_add_f32_e32 v18, v20, v24
	v_sub_f32_e32 v21, v19, v18
	v_pk_add_f32 v[50:51], v[18:19], v[20:21] neg_lo:[0,1] neg_hi:[0,1]
	v_mov_b32_e32 v25, v18
	v_pk_add_f32 v[18:19], v[50:51], v[24:25] neg_lo:[0,1] neg_hi:[0,1]
	v_cmp_eq_f32_e32 vcc, s3, v23
	v_add_f32_e32 v19, v55, v19
	v_add_f32_e32 v18, v18, v19
	;; [unrolled: 1-line block ×3, first 2 shown]
	v_mul_f32_e32 v55, v54, v19
	v_mul_f32_e32 v20, v52, v55
	v_fma_f32 v24, v55, v52, -v20
	v_fmac_f32_e32 v24, v55, v17
	v_sub_f32_e32 v17, v21, v19
	v_add_f32_e32 v17, v18, v17
	v_add_f32_e32 v18, v20, v24
	v_sub_f32_e32 v21, v19, v18
	v_pk_add_f32 v[50:51], v[18:19], v[20:21] neg_lo:[0,1] neg_hi:[0,1]
	v_mov_b32_e32 v25, v18
	v_pk_add_f32 v[18:19], v[50:51], v[24:25] neg_lo:[0,1] neg_hi:[0,1]
	v_cvt_f32_i32_e32 v20, v49
	v_add_f32_e32 v17, v17, v19
	v_add_f32_e32 v17, v18, v17
	;; [unrolled: 1-line block ×4, first 2 shown]
	v_sub_f32_e32 v19, v18, v56
	v_mul_f32_e32 v17, v54, v17
	v_sub_f32_e32 v19, v55, v19
	v_add_f32_e32 v17, v19, v17
	v_add_f32_e32 v21, v18, v17
	v_mul_f32_e32 v24, v21, v21
	v_mov_b32_e32 v19, 0x3ecc95a3
	v_fmac_f32_e32 v19, 0x3e9b6dac, v24
	v_sub_f32_e32 v18, v21, v18
	v_fmaak_f32 v19, v24, v19, 0x3f2aaada
	v_sub_f32_e32 v17, v17, v18
	v_ldexp_f32 v25, v21, 1
	v_mul_f32_e32 v21, v21, v24
	v_mov_b32_e32 v18, 0x3f317218
	v_pk_mul_f32 v[18:19], v[20:21], v[18:19]
	v_ldexp_f32 v17, v17, 1
	v_fma_f32 v21, v20, s2, -v18
	v_fmamk_f32 v24, v20, 0xb102e308, v21
	v_pk_add_f32 v[20:21], v[18:19], v[24:25]
	v_mov_b32_e32 v50, v18
	v_sub_f32_e32 v25, v21, v25
	v_sub_f32_e32 v25, v19, v25
	v_add_f32_e32 v51, v17, v25
	v_pk_add_f32 v[18:19], v[20:21], v[18:19] neg_lo:[0,1] neg_hi:[0,1]
	v_pk_add_f32 v[54:55], v[20:21], v[50:51]
	v_mov_b32_e32 v25, v20
	v_mov_b32_e32 v19, v55
	v_pk_add_f32 v[56:57], v[24:25], v[18:19] neg_lo:[0,1] neg_hi:[0,1]
	v_pk_add_f32 v[18:19], v[24:25], v[18:19]
	v_mov_b32_e32 v50, v51
	v_mov_b32_e32 v24, v19
	v_pk_add_f32 v[58:59], v[24:25], v[20:21] neg_lo:[0,1] neg_hi:[0,1]
	v_mov_b32_e32 v18, v55
	v_mov_b32_e32 v17, v58
	v_pk_add_f32 v[60:61], v[54:55], v[16:17] neg_lo:[0,1] neg_hi:[0,1]
	v_mov_b32_e32 v54, v21
	v_mov_b32_e32 v55, v58
	v_mov_b32_e32 v57, v19
	v_pk_add_f32 v[18:19], v[18:19], v[54:55] neg_lo:[0,1] neg_hi:[0,1]
	v_mov_b32_e32 v51, v20
	v_pk_add_f32 v[18:19], v[50:51], v[18:19] neg_lo:[0,1] neg_hi:[0,1]
	v_mov_b32_e32 v60, v56
	v_pk_add_f32 v[20:21], v[60:61], v[18:19]
	s_mov_b32 s2, 0x33800000
	v_mov_b32_e32 v50, v21
	v_pk_add_f32 v[50:51], v[20:21], v[50:51]
	v_cmp_lt_f32_e64 s[2:3], |v23|, s2
	v_pk_add_f32 v[24:25], v[24:25], v[50:51]
	v_mov_b32_e32 v19, v50
	v_mov_b32_e32 v21, v24
	v_pk_add_f32 v[54:55], v[20:21], v[56:57] neg_lo:[0,1] neg_hi:[0,1]
	s_or_b64 vcc, vcc, s[2:3]
	v_sub_f32_e32 v17, v20, v54
	v_pk_add_f32 v[18:19], v[18:19], v[54:55] neg_lo:[0,1] neg_hi:[0,1]
	v_sub_f32_e32 v17, v56, v17
	v_add_f32_e32 v17, v18, v17
	v_add_f32_e32 v17, v17, v19
	v_add_f32_e32 v17, v24, v17
	v_cndmask_b32_e32 v17, v17, v23, vcc
	v_add_f32_e32 v18, v5, v17
.LBB489_152:
	s_or_b64 exec, exec, s[0:1]
	v_bfe_u32 v5, v18, 16, 1
	v_add3_u32 v5, v18, v5, s48
	v_lshrrev_b32_e32 v5, 16, v5
	v_mov_b32_e32 v17, 0x7fc0
	v_cmp_o_f32_e32 vcc, v18, v18
	s_nop 1
	v_cndmask_b32_e32 v5, v17, v5, vcc
	v_lshlrev_b32_e32 v19, 16, v5
	v_max_f32_e32 v18, v19, v19
	v_min_f32_e32 v20, v18, v27
	v_cmp_u_f32_e32 vcc, v19, v19
	v_max_f32_e32 v18, v18, v27
	s_nop 0
	v_cndmask_b32_e32 v20, v20, v19, vcc
	v_cndmask_b32_e32 v18, v18, v19, vcc
	v_cndmask_b32_e64 v20, v20, v22, s[62:63]
	v_cndmask_b32_e64 v18, v18, v22, s[62:63]
	v_cmp_neq_f32_e32 vcc, v20, v18
	v_cmp_class_f32_e64 s[0:1], v20, s33
	s_or_b64 s[2:3], vcc, s[0:1]
	s_and_saveexec_b64 s[0:1], s[2:3]
	s_cbranch_execz .LBB489_154
; %bb.153:
	v_sub_f32_e32 v19, v20, v18
	s_mov_b32 s2, 0x3fb8aa3b
	v_mul_f32_e32 v20, 0x3fb8aa3b, v19
	v_fma_f32 v21, v19, s2, -v20
	v_rndne_f32_e32 v22, v20
	v_fmamk_f32 v21, v19, 0x32a5705f, v21
	v_sub_f32_e32 v20, v20, v22
	v_add_f32_e32 v20, v20, v21
	v_exp_f32_e32 v20, v20
	v_cvt_i32_f32_e32 v21, v22
	s_mov_b32 s2, 0xc2ce8ed0
	v_cmp_ngt_f32_e32 vcc, s2, v19
	s_mov_b32 s2, 0x42b17218
	v_ldexp_f32 v20, v20, v21
	v_cndmask_b32_e32 v20, 0, v20, vcc
	v_mov_b32_e32 v21, 0x7f800000
	v_cmp_nlt_f32_e32 vcc, s2, v19
	s_mov_b32 s2, 0x3f2aaaab
	s_mov_b32 s3, 0x7f800000
	v_cndmask_b32_e32 v27, v21, v20, vcc
	v_add_f32_e32 v19, 1.0, v27
	v_add_f32_e32 v20, -1.0, v19
	v_sub_f32_e32 v21, v20, v19
	v_add_f32_e32 v21, 1.0, v21
	v_sub_f32_e32 v20, v27, v20
	v_add_f32_e32 v22, v20, v21
	v_frexp_mant_f32_e32 v23, v19
	v_cvt_f64_f32_e32 v[20:21], v19
	v_frexp_exp_i32_f64_e32 v20, v[20:21]
	v_cmp_gt_f32_e32 vcc, s2, v23
	s_mov_b32 s2, 0x3f317218
	s_nop 0
	v_subbrev_co_u32_e32 v49, vcc, 0, v20, vcc
	v_sub_u32_e32 v20, 0, v49
	v_ldexp_f32 v19, v19, v20
	v_ldexp_f32 v20, v22, v20
	v_add_f32_e32 v22, -1.0, v19
	v_add_f32_e32 v21, 1.0, v22
	v_sub_f32_e32 v21, v19, v21
	v_add_f32_e32 v23, v20, v21
	v_add_f32_e32 v21, 1.0, v19
	v_add_f32_e32 v24, -1.0, v21
	v_sub_f32_e32 v19, v19, v24
	v_add_f32_e32 v19, v20, v19
	v_add_f32_e32 v52, v21, v19
	v_rcp_f32_e32 v54, v52
	v_sub_f32_e32 v20, v21, v52
	v_add_f32_e32 v21, v22, v23
	v_add_f32_e32 v19, v19, v20
	v_mul_f32_e32 v56, v21, v54
	v_sub_f32_e32 v20, v22, v21
	v_mul_f32_e32 v22, v52, v56
	v_fma_f32 v24, v56, v52, -v22
	v_fmac_f32_e32 v24, v56, v19
	s_waitcnt lgkmcnt(0)
	v_add_f32_e32 v55, v23, v20
	v_add_f32_e32 v20, v22, v24
	v_sub_f32_e32 v23, v21, v20
	v_pk_add_f32 v[50:51], v[20:21], v[22:23] neg_lo:[0,1] neg_hi:[0,1]
	v_mov_b32_e32 v25, v20
	v_pk_add_f32 v[20:21], v[50:51], v[24:25] neg_lo:[0,1] neg_hi:[0,1]
	v_cmp_eq_f32_e32 vcc, s3, v27
	v_add_f32_e32 v21, v55, v21
	v_add_f32_e32 v20, v20, v21
	;; [unrolled: 1-line block ×3, first 2 shown]
	v_mul_f32_e32 v55, v54, v21
	v_mul_f32_e32 v22, v52, v55
	v_fma_f32 v24, v55, v52, -v22
	v_fmac_f32_e32 v24, v55, v19
	v_sub_f32_e32 v19, v23, v21
	v_add_f32_e32 v19, v20, v19
	v_add_f32_e32 v20, v22, v24
	v_sub_f32_e32 v23, v21, v20
	v_pk_add_f32 v[50:51], v[20:21], v[22:23] neg_lo:[0,1] neg_hi:[0,1]
	v_mov_b32_e32 v25, v20
	v_pk_add_f32 v[20:21], v[50:51], v[24:25] neg_lo:[0,1] neg_hi:[0,1]
	v_cvt_f32_i32_e32 v22, v49
	v_add_f32_e32 v19, v19, v21
	v_add_f32_e32 v19, v20, v19
	;; [unrolled: 1-line block ×4, first 2 shown]
	v_sub_f32_e32 v21, v20, v56
	v_mul_f32_e32 v19, v54, v19
	v_sub_f32_e32 v21, v55, v21
	v_add_f32_e32 v19, v21, v19
	v_add_f32_e32 v23, v20, v19
	v_mul_f32_e32 v24, v23, v23
	v_mov_b32_e32 v21, 0x3ecc95a3
	v_fmac_f32_e32 v21, 0x3e9b6dac, v24
	v_sub_f32_e32 v20, v23, v20
	v_fmaak_f32 v21, v24, v21, 0x3f2aaada
	v_sub_f32_e32 v19, v19, v20
	v_ldexp_f32 v25, v23, 1
	v_mul_f32_e32 v23, v23, v24
	v_mov_b32_e32 v20, 0x3f317218
	v_pk_mul_f32 v[20:21], v[22:23], v[20:21]
	v_ldexp_f32 v19, v19, 1
	v_fma_f32 v23, v22, s2, -v20
	v_fmamk_f32 v24, v22, 0xb102e308, v23
	v_pk_add_f32 v[22:23], v[20:21], v[24:25]
	v_mov_b32_e32 v50, v20
	v_sub_f32_e32 v25, v23, v25
	v_sub_f32_e32 v25, v21, v25
	v_add_f32_e32 v51, v19, v25
	v_pk_add_f32 v[20:21], v[22:23], v[20:21] neg_lo:[0,1] neg_hi:[0,1]
	v_pk_add_f32 v[54:55], v[22:23], v[50:51]
	v_mov_b32_e32 v25, v22
	v_mov_b32_e32 v21, v55
	v_pk_add_f32 v[56:57], v[24:25], v[20:21] neg_lo:[0,1] neg_hi:[0,1]
	v_pk_add_f32 v[20:21], v[24:25], v[20:21]
	v_mov_b32_e32 v50, v51
	v_mov_b32_e32 v24, v21
	v_pk_add_f32 v[58:59], v[24:25], v[22:23] neg_lo:[0,1] neg_hi:[0,1]
	v_mov_b32_e32 v20, v55
	v_mov_b32_e32 v19, v58
	v_pk_add_f32 v[60:61], v[54:55], v[18:19] neg_lo:[0,1] neg_hi:[0,1]
	v_mov_b32_e32 v54, v23
	v_mov_b32_e32 v55, v58
	;; [unrolled: 1-line block ×3, first 2 shown]
	v_pk_add_f32 v[20:21], v[20:21], v[54:55] neg_lo:[0,1] neg_hi:[0,1]
	v_mov_b32_e32 v51, v22
	v_pk_add_f32 v[20:21], v[50:51], v[20:21] neg_lo:[0,1] neg_hi:[0,1]
	v_mov_b32_e32 v60, v56
	v_pk_add_f32 v[22:23], v[60:61], v[20:21]
	s_mov_b32 s2, 0x33800000
	v_mov_b32_e32 v50, v23
	v_pk_add_f32 v[50:51], v[22:23], v[50:51]
	v_cmp_lt_f32_e64 s[2:3], |v27|, s2
	v_pk_add_f32 v[24:25], v[24:25], v[50:51]
	v_mov_b32_e32 v21, v50
	v_mov_b32_e32 v23, v24
	v_pk_add_f32 v[54:55], v[22:23], v[56:57] neg_lo:[0,1] neg_hi:[0,1]
	s_or_b64 vcc, vcc, s[2:3]
	v_sub_f32_e32 v19, v22, v54
	v_pk_add_f32 v[20:21], v[20:21], v[54:55] neg_lo:[0,1] neg_hi:[0,1]
	v_sub_f32_e32 v19, v56, v19
	v_add_f32_e32 v19, v20, v19
	v_add_f32_e32 v19, v19, v21
	v_add_f32_e32 v19, v24, v19
	v_cndmask_b32_e32 v19, v19, v27, vcc
	v_add_f32_e32 v19, v18, v19
.LBB489_154:
	s_or_b64 exec, exec, s[0:1]
	v_bfe_u32 v18, v19, 16, 1
	v_add3_u32 v18, v19, v18, s48
	v_lshrrev_b32_e32 v18, 16, v18
	v_cmp_o_f32_e32 vcc, v19, v19
	s_nop 1
	v_cndmask_b32_e32 v17, v17, v18, vcc
	v_lshlrev_b32_e32 v19, 16, v17
	v_max_f32_e32 v20, v19, v19
	v_min_f32_e32 v18, v20, v28
	v_cmp_u_f32_e32 vcc, v19, v19
	v_max_f32_e32 v20, v20, v28
	s_nop 0
	v_cndmask_b32_e32 v18, v18, v19, vcc
	v_cndmask_b32_e32 v20, v20, v19, vcc
	v_cndmask_b32_e64 v18, v18, v10, s[64:65]
	v_cndmask_b32_e64 v10, v20, v10, s[64:65]
	v_cmp_neq_f32_e32 vcc, v18, v10
	v_cmp_class_f32_e64 s[0:1], v18, s33
	s_or_b64 s[2:3], vcc, s[0:1]
	s_and_saveexec_b64 s[0:1], s[2:3]
	s_cbranch_execz .LBB489_156
; %bb.155:
	v_sub_f32_e32 v18, v18, v10
	s_mov_b32 s2, 0x3fb8aa3b
	v_mul_f32_e32 v19, 0x3fb8aa3b, v18
	v_fma_f32 v20, v18, s2, -v19
	v_rndne_f32_e32 v21, v19
	v_fmamk_f32 v20, v18, 0x32a5705f, v20
	v_sub_f32_e32 v19, v19, v21
	v_add_f32_e32 v19, v19, v20
	v_exp_f32_e32 v19, v19
	v_cvt_i32_f32_e32 v20, v21
	s_mov_b32 s2, 0xc2ce8ed0
	v_cmp_ngt_f32_e32 vcc, s2, v18
	s_mov_b32 s2, 0x42b17218
	v_ldexp_f32 v19, v19, v20
	v_cndmask_b32_e32 v19, 0, v19, vcc
	v_mov_b32_e32 v20, 0x7f800000
	v_cmp_nlt_f32_e32 vcc, s2, v18
	s_mov_b32 s2, 0x3f2aaaab
	s_mov_b32 s3, 0x7f800000
	v_cndmask_b32_e32 v27, v20, v19, vcc
	v_add_f32_e32 v20, 1.0, v27
	v_add_f32_e32 v18, -1.0, v20
	v_sub_f32_e32 v19, v18, v20
	v_add_f32_e32 v19, 1.0, v19
	v_sub_f32_e32 v18, v27, v18
	v_add_f32_e32 v21, v18, v19
	v_frexp_mant_f32_e32 v22, v20
	v_cvt_f64_f32_e32 v[18:19], v20
	v_frexp_exp_i32_f64_e32 v18, v[18:19]
	v_cmp_gt_f32_e32 vcc, s2, v22
	s_mov_b32 s2, 0x3f317218
	s_nop 0
	v_subbrev_co_u32_e32 v28, vcc, 0, v18, vcc
	v_sub_u32_e32 v18, 0, v28
	v_ldexp_f32 v19, v20, v18
	v_add_f32_e32 v20, -1.0, v19
	v_add_f32_e32 v22, 1.0, v19
	v_ldexp_f32 v18, v21, v18
	v_add_f32_e32 v21, 1.0, v20
	v_add_f32_e32 v23, -1.0, v22
	v_sub_f32_e32 v21, v19, v21
	v_sub_f32_e32 v19, v19, v23
	v_add_f32_e32 v21, v18, v21
	v_add_f32_e32 v18, v18, v19
	;; [unrolled: 1-line block ×3, first 2 shown]
	v_rcp_f32_e32 v51, v49
	v_sub_f32_e32 v19, v22, v49
	v_add_f32_e32 v50, v18, v19
	v_add_f32_e32 v19, v20, v21
	v_mul_f32_e32 v54, v19, v51
	v_sub_f32_e32 v18, v20, v19
	v_mul_f32_e32 v20, v49, v54
	v_fma_f32 v22, v54, v49, -v20
	v_fmac_f32_e32 v22, v54, v50
	v_add_f32_e32 v52, v21, v18
	v_add_f32_e32 v18, v20, v22
	v_sub_f32_e32 v21, v19, v18
	v_pk_add_f32 v[24:25], v[18:19], v[20:21] neg_lo:[0,1] neg_hi:[0,1]
	v_mov_b32_e32 v23, v18
	v_pk_add_f32 v[18:19], v[24:25], v[22:23] neg_lo:[0,1] neg_hi:[0,1]
	v_cmp_eq_f32_e32 vcc, s3, v27
	v_add_f32_e32 v19, v52, v19
	v_add_f32_e32 v18, v18, v19
	;; [unrolled: 1-line block ×3, first 2 shown]
	v_mul_f32_e32 v52, v51, v19
	v_mul_f32_e32 v20, v49, v52
	v_fma_f32 v22, v52, v49, -v20
	v_fmac_f32_e32 v22, v52, v50
	v_sub_f32_e32 v21, v21, v19
	v_add_f32_e32 v49, v18, v21
	v_add_f32_e32 v18, v20, v22
	v_sub_f32_e32 v21, v19, v18
	v_pk_add_f32 v[24:25], v[18:19], v[20:21] neg_lo:[0,1] neg_hi:[0,1]
	v_mov_b32_e32 v23, v18
	v_pk_add_f32 v[18:19], v[24:25], v[22:23] neg_lo:[0,1] neg_hi:[0,1]
	v_cvt_f32_i32_e32 v20, v28
	v_add_f32_e32 v19, v49, v19
	v_add_f32_e32 v18, v18, v19
	;; [unrolled: 1-line block ×4, first 2 shown]
	v_sub_f32_e32 v19, v21, v54
	v_mul_f32_e32 v18, v51, v18
	v_sub_f32_e32 v19, v52, v19
	v_add_f32_e32 v18, v19, v18
	v_add_f32_e32 v22, v21, v18
	v_mul_f32_e32 v24, v22, v22
	v_mov_b32_e32 v19, 0x3ecc95a3
	v_sub_f32_e32 v21, v22, v21
	v_fmac_f32_e32 v19, 0x3e9b6dac, v24
	v_sub_f32_e32 v18, v18, v21
	v_fmaak_f32 v19, v24, v19, 0x3f2aaada
	v_ldexp_f32 v25, v18, 1
	v_mul_f32_e32 v21, v22, v24
	v_mov_b32_e32 v18, 0x3f317218
	v_pk_mul_f32 v[18:19], v[20:21], v[18:19]
	v_ldexp_f32 v23, v22, 1
	v_fma_f32 v21, v20, s2, -v18
	v_fmamk_f32 v22, v20, 0xb102e308, v21
	v_pk_add_f32 v[20:21], v[18:19], v[22:23]
	v_mov_b32_e32 v24, v18
	v_sub_f32_e32 v23, v21, v23
	v_sub_f32_e32 v23, v19, v23
	v_add_f32_e32 v25, v25, v23
	v_pk_add_f32 v[18:19], v[20:21], v[18:19] neg_lo:[0,1] neg_hi:[0,1]
	v_pk_add_f32 v[50:51], v[20:21], v[24:25]
	v_mov_b32_e32 v23, v20
	v_mov_b32_e32 v19, v51
	s_waitcnt lgkmcnt(0)
	v_pk_add_f32 v[54:55], v[22:23], v[18:19] neg_lo:[0,1] neg_hi:[0,1]
	v_pk_add_f32 v[18:19], v[22:23], v[18:19]
	v_mov_b32_e32 v24, v25
	v_mov_b32_e32 v22, v19
	v_pk_add_f32 v[56:57], v[22:23], v[20:21] neg_lo:[0,1] neg_hi:[0,1]
	v_mov_b32_e32 v18, v51
	v_mov_b32_e32 v23, v56
	v_pk_add_f32 v[58:59], v[50:51], v[22:23] neg_lo:[0,1] neg_hi:[0,1]
	v_mov_b32_e32 v50, v21
	v_mov_b32_e32 v51, v56
	;; [unrolled: 1-line block ×3, first 2 shown]
	v_pk_add_f32 v[18:19], v[18:19], v[50:51] neg_lo:[0,1] neg_hi:[0,1]
	v_mov_b32_e32 v25, v20
	v_pk_add_f32 v[18:19], v[24:25], v[18:19] neg_lo:[0,1] neg_hi:[0,1]
	v_mov_b32_e32 v58, v54
	v_pk_add_f32 v[20:21], v[58:59], v[18:19]
	s_mov_b32 s2, 0x33800000
	v_mov_b32_e32 v24, v21
	v_pk_add_f32 v[24:25], v[20:21], v[24:25]
	v_cmp_lt_f32_e64 s[2:3], |v27|, s2
	v_pk_add_f32 v[22:23], v[22:23], v[24:25]
	v_mov_b32_e32 v19, v24
	v_mov_b32_e32 v21, v22
	v_pk_add_f32 v[50:51], v[20:21], v[54:55] neg_lo:[0,1] neg_hi:[0,1]
	s_or_b64 vcc, vcc, s[2:3]
	v_sub_f32_e32 v20, v20, v50
	v_pk_add_f32 v[18:19], v[18:19], v[50:51] neg_lo:[0,1] neg_hi:[0,1]
	v_sub_f32_e32 v20, v54, v20
	v_add_f32_e32 v18, v18, v20
	v_add_f32_e32 v18, v18, v19
	;; [unrolled: 1-line block ×3, first 2 shown]
	v_cndmask_b32_e32 v18, v18, v27, vcc
	v_add_f32_e32 v19, v10, v18
.LBB489_156:
	s_or_b64 exec, exec, s[0:1]
	v_bfe_u32 v10, v19, 16, 1
	v_add3_u32 v10, v19, v10, s48
	v_lshrrev_b32_e32 v10, 16, v10
	v_mov_b32_e32 v18, 0x7fc0
	v_cmp_o_f32_e32 vcc, v19, v19
	s_nop 1
	v_cndmask_b32_e32 v10, v18, v10, vcc
	v_lshlrev_b32_e32 v20, 16, v10
	v_max_f32_e32 v19, v20, v20
	v_min_f32_e32 v21, v19, v30
	v_cmp_u_f32_e32 vcc, v20, v20
	v_max_f32_e32 v19, v19, v30
	s_nop 0
	v_cndmask_b32_e32 v21, v21, v20, vcc
	v_cndmask_b32_e32 v19, v19, v20, vcc
	v_cndmask_b32_e64 v21, v21, v26, s[66:67]
	v_cndmask_b32_e64 v19, v19, v26, s[66:67]
	v_cmp_neq_f32_e32 vcc, v21, v19
	v_cmp_class_f32_e64 s[0:1], v21, s33
	s_or_b64 s[2:3], vcc, s[0:1]
	s_and_saveexec_b64 s[0:1], s[2:3]
	s_cbranch_execz .LBB489_158
; %bb.157:
	v_sub_f32_e32 v20, v21, v19
	s_mov_b32 s2, 0x3fb8aa3b
	v_mul_f32_e32 v21, 0x3fb8aa3b, v20
	v_fma_f32 v22, v20, s2, -v21
	v_rndne_f32_e32 v23, v21
	v_fmamk_f32 v22, v20, 0x32a5705f, v22
	v_sub_f32_e32 v21, v21, v23
	v_add_f32_e32 v21, v21, v22
	v_exp_f32_e32 v21, v21
	v_cvt_i32_f32_e32 v22, v23
	s_mov_b32 s2, 0xc2ce8ed0
	v_cmp_ngt_f32_e32 vcc, s2, v20
	s_mov_b32 s2, 0x42b17218
	v_ldexp_f32 v21, v21, v22
	v_cndmask_b32_e32 v21, 0, v21, vcc
	v_mov_b32_e32 v22, 0x7f800000
	v_cmp_nlt_f32_e32 vcc, s2, v20
	s_mov_b32 s2, 0x3f2aaaab
	s_mov_b32 s3, 0x7f800000
	v_cndmask_b32_e32 v28, v22, v21, vcc
	v_add_f32_e32 v22, 1.0, v28
	v_add_f32_e32 v20, -1.0, v22
	v_sub_f32_e32 v21, v20, v22
	v_add_f32_e32 v21, 1.0, v21
	v_sub_f32_e32 v20, v28, v20
	v_add_f32_e32 v23, v20, v21
	v_frexp_mant_f32_e32 v24, v22
	v_cvt_f64_f32_e32 v[20:21], v22
	v_frexp_exp_i32_f64_e32 v20, v[20:21]
	v_cmp_gt_f32_e32 vcc, s2, v24
	s_mov_b32 s2, 0x3f317218
	s_nop 0
	v_subbrev_co_u32_e32 v30, vcc, 0, v20, vcc
	v_sub_u32_e32 v20, 0, v30
	v_ldexp_f32 v21, v22, v20
	v_add_f32_e32 v22, -1.0, v21
	v_add_f32_e32 v24, 1.0, v21
	v_ldexp_f32 v20, v23, v20
	v_add_f32_e32 v23, 1.0, v22
	v_add_f32_e32 v25, -1.0, v24
	v_sub_f32_e32 v23, v21, v23
	v_sub_f32_e32 v21, v21, v25
	v_add_f32_e32 v23, v20, v23
	v_add_f32_e32 v20, v20, v21
	;; [unrolled: 1-line block ×3, first 2 shown]
	v_rcp_f32_e32 v51, v49
	v_sub_f32_e32 v21, v24, v49
	v_add_f32_e32 v50, v20, v21
	v_add_f32_e32 v21, v22, v23
	v_mul_f32_e32 v54, v21, v51
	v_sub_f32_e32 v20, v22, v21
	v_mul_f32_e32 v22, v49, v54
	v_fma_f32 v24, v54, v49, -v22
	v_fmac_f32_e32 v24, v54, v50
	v_add_f32_e32 v52, v23, v20
	v_add_f32_e32 v20, v22, v24
	v_sub_f32_e32 v23, v21, v20
	v_pk_add_f32 v[26:27], v[20:21], v[22:23] neg_lo:[0,1] neg_hi:[0,1]
	v_mov_b32_e32 v25, v20
	v_pk_add_f32 v[20:21], v[26:27], v[24:25] neg_lo:[0,1] neg_hi:[0,1]
	v_cmp_eq_f32_e32 vcc, s3, v28
	v_add_f32_e32 v21, v52, v21
	v_add_f32_e32 v20, v20, v21
	;; [unrolled: 1-line block ×3, first 2 shown]
	v_mul_f32_e32 v52, v51, v21
	v_mul_f32_e32 v22, v49, v52
	v_fma_f32 v24, v52, v49, -v22
	v_fmac_f32_e32 v24, v52, v50
	v_sub_f32_e32 v23, v23, v21
	v_add_f32_e32 v49, v20, v23
	v_add_f32_e32 v20, v22, v24
	v_sub_f32_e32 v23, v21, v20
	v_pk_add_f32 v[26:27], v[20:21], v[22:23] neg_lo:[0,1] neg_hi:[0,1]
	v_mov_b32_e32 v25, v20
	v_pk_add_f32 v[20:21], v[26:27], v[24:25] neg_lo:[0,1] neg_hi:[0,1]
	v_cvt_f32_i32_e32 v22, v30
	v_add_f32_e32 v21, v49, v21
	v_add_f32_e32 v20, v20, v21
	;; [unrolled: 1-line block ×4, first 2 shown]
	v_sub_f32_e32 v21, v23, v54
	v_mul_f32_e32 v20, v51, v20
	v_sub_f32_e32 v21, v52, v21
	v_add_f32_e32 v20, v21, v20
	v_add_f32_e32 v24, v23, v20
	v_mul_f32_e32 v26, v24, v24
	v_mov_b32_e32 v21, 0x3ecc95a3
	v_sub_f32_e32 v23, v24, v23
	v_fmac_f32_e32 v21, 0x3e9b6dac, v26
	v_sub_f32_e32 v20, v20, v23
	v_fmaak_f32 v21, v26, v21, 0x3f2aaada
	v_ldexp_f32 v27, v20, 1
	v_mul_f32_e32 v23, v24, v26
	v_mov_b32_e32 v20, 0x3f317218
	v_pk_mul_f32 v[20:21], v[22:23], v[20:21]
	v_ldexp_f32 v25, v24, 1
	v_fma_f32 v23, v22, s2, -v20
	v_fmamk_f32 v24, v22, 0xb102e308, v23
	v_pk_add_f32 v[22:23], v[20:21], v[24:25]
	v_mov_b32_e32 v26, v20
	v_sub_f32_e32 v25, v23, v25
	v_sub_f32_e32 v25, v21, v25
	v_add_f32_e32 v27, v27, v25
	v_pk_add_f32 v[20:21], v[22:23], v[20:21] neg_lo:[0,1] neg_hi:[0,1]
	v_pk_add_f32 v[50:51], v[22:23], v[26:27]
	v_mov_b32_e32 v25, v22
	v_mov_b32_e32 v21, v51
	s_waitcnt lgkmcnt(0)
	v_pk_add_f32 v[54:55], v[24:25], v[20:21] neg_lo:[0,1] neg_hi:[0,1]
	v_pk_add_f32 v[20:21], v[24:25], v[20:21]
	v_mov_b32_e32 v26, v27
	v_mov_b32_e32 v24, v21
	v_pk_add_f32 v[56:57], v[24:25], v[22:23] neg_lo:[0,1] neg_hi:[0,1]
	v_mov_b32_e32 v20, v51
	v_mov_b32_e32 v25, v56
	v_pk_add_f32 v[58:59], v[50:51], v[24:25] neg_lo:[0,1] neg_hi:[0,1]
	v_mov_b32_e32 v50, v23
	v_mov_b32_e32 v51, v56
	;; [unrolled: 1-line block ×3, first 2 shown]
	v_pk_add_f32 v[20:21], v[20:21], v[50:51] neg_lo:[0,1] neg_hi:[0,1]
	v_mov_b32_e32 v27, v22
	v_pk_add_f32 v[20:21], v[26:27], v[20:21] neg_lo:[0,1] neg_hi:[0,1]
	v_mov_b32_e32 v58, v54
	v_pk_add_f32 v[22:23], v[58:59], v[20:21]
	s_mov_b32 s2, 0x33800000
	v_mov_b32_e32 v26, v23
	v_pk_add_f32 v[26:27], v[22:23], v[26:27]
	v_cmp_lt_f32_e64 s[2:3], |v28|, s2
	v_pk_add_f32 v[24:25], v[24:25], v[26:27]
	v_mov_b32_e32 v21, v26
	v_mov_b32_e32 v23, v24
	v_pk_add_f32 v[50:51], v[22:23], v[54:55] neg_lo:[0,1] neg_hi:[0,1]
	s_or_b64 vcc, vcc, s[2:3]
	v_sub_f32_e32 v22, v22, v50
	v_pk_add_f32 v[20:21], v[20:21], v[50:51] neg_lo:[0,1] neg_hi:[0,1]
	v_sub_f32_e32 v22, v54, v22
	v_add_f32_e32 v20, v20, v22
	v_add_f32_e32 v20, v20, v21
	;; [unrolled: 1-line block ×3, first 2 shown]
	v_cndmask_b32_e32 v20, v20, v28, vcc
	v_add_f32_e32 v20, v19, v20
.LBB489_158:
	s_or_b64 exec, exec, s[0:1]
	v_bfe_u32 v19, v20, 16, 1
	v_add3_u32 v19, v20, v19, s48
	v_lshrrev_b32_e32 v19, 16, v19
	v_cmp_o_f32_e32 vcc, v20, v20
	s_nop 1
	v_cndmask_b32_e32 v18, v18, v19, vcc
	v_lshlrev_b32_e32 v20, 16, v18
	v_max_f32_e32 v21, v20, v20
	v_min_f32_e32 v19, v21, v31
	v_cmp_u_f32_e32 vcc, v20, v20
	v_max_f32_e32 v21, v21, v31
	s_nop 0
	v_cndmask_b32_e32 v19, v19, v20, vcc
	v_cndmask_b32_e32 v21, v21, v20, vcc
	v_cndmask_b32_e64 v19, v19, v11, s[68:69]
	v_cndmask_b32_e64 v11, v21, v11, s[68:69]
	v_cmp_neq_f32_e32 vcc, v19, v11
	v_cmp_class_f32_e64 s[0:1], v19, s33
	s_or_b64 s[2:3], vcc, s[0:1]
	s_and_saveexec_b64 s[0:1], s[2:3]
	s_cbranch_execz .LBB489_160
; %bb.159:
	v_sub_f32_e32 v19, v19, v11
	s_mov_b32 s2, 0x3fb8aa3b
	v_mul_f32_e32 v20, 0x3fb8aa3b, v19
	v_fma_f32 v21, v19, s2, -v20
	v_rndne_f32_e32 v22, v20
	v_fmamk_f32 v21, v19, 0x32a5705f, v21
	v_sub_f32_e32 v20, v20, v22
	v_add_f32_e32 v20, v20, v21
	v_exp_f32_e32 v20, v20
	v_cvt_i32_f32_e32 v21, v22
	s_mov_b32 s2, 0xc2ce8ed0
	v_cmp_ngt_f32_e32 vcc, s2, v19
	s_mov_b32 s2, 0x42b17218
	v_ldexp_f32 v20, v20, v21
	v_cndmask_b32_e32 v20, 0, v20, vcc
	v_mov_b32_e32 v21, 0x7f800000
	v_cmp_nlt_f32_e32 vcc, s2, v19
	s_mov_b32 s2, 0x3f2aaaab
	s_mov_b32 s3, 0x7f800000
	v_cndmask_b32_e32 v28, v21, v20, vcc
	v_add_f32_e32 v19, 1.0, v28
	v_add_f32_e32 v20, -1.0, v19
	v_sub_f32_e32 v21, v20, v19
	v_add_f32_e32 v21, 1.0, v21
	v_sub_f32_e32 v20, v28, v20
	v_add_f32_e32 v22, v20, v21
	v_frexp_mant_f32_e32 v23, v19
	v_cvt_f64_f32_e32 v[20:21], v19
	v_frexp_exp_i32_f64_e32 v20, v[20:21]
	v_cmp_gt_f32_e32 vcc, s2, v23
	s_mov_b32 s2, 0x3f317218
	s_nop 0
	v_subbrev_co_u32_e32 v30, vcc, 0, v20, vcc
	v_sub_u32_e32 v20, 0, v30
	v_ldexp_f32 v19, v19, v20
	v_ldexp_f32 v20, v22, v20
	v_add_f32_e32 v22, -1.0, v19
	v_add_f32_e32 v21, 1.0, v22
	v_sub_f32_e32 v21, v19, v21
	v_add_f32_e32 v23, v20, v21
	v_add_f32_e32 v21, 1.0, v19
	v_add_f32_e32 v24, -1.0, v21
	v_sub_f32_e32 v19, v19, v24
	v_add_f32_e32 v19, v20, v19
	v_add_f32_e32 v31, v21, v19
	v_rcp_f32_e32 v49, v31
	v_sub_f32_e32 v20, v21, v31
	v_add_f32_e32 v21, v22, v23
	v_add_f32_e32 v19, v19, v20
	v_mul_f32_e32 v51, v21, v49
	v_sub_f32_e32 v20, v22, v21
	v_mul_f32_e32 v22, v31, v51
	v_fma_f32 v24, v51, v31, -v22
	v_fmac_f32_e32 v24, v51, v19
	v_add_f32_e32 v50, v23, v20
	v_add_f32_e32 v20, v22, v24
	v_sub_f32_e32 v23, v21, v20
	v_pk_add_f32 v[26:27], v[20:21], v[22:23] neg_lo:[0,1] neg_hi:[0,1]
	v_mov_b32_e32 v25, v20
	v_pk_add_f32 v[20:21], v[26:27], v[24:25] neg_lo:[0,1] neg_hi:[0,1]
	v_cmp_eq_f32_e32 vcc, s3, v28
	v_add_f32_e32 v21, v50, v21
	v_add_f32_e32 v20, v20, v21
	;; [unrolled: 1-line block ×3, first 2 shown]
	v_mul_f32_e32 v50, v49, v21
	v_mul_f32_e32 v22, v31, v50
	v_fma_f32 v24, v50, v31, -v22
	v_fmac_f32_e32 v24, v50, v19
	v_sub_f32_e32 v19, v23, v21
	v_add_f32_e32 v19, v20, v19
	v_add_f32_e32 v20, v22, v24
	v_sub_f32_e32 v23, v21, v20
	v_pk_add_f32 v[26:27], v[20:21], v[22:23] neg_lo:[0,1] neg_hi:[0,1]
	v_mov_b32_e32 v25, v20
	v_pk_add_f32 v[20:21], v[26:27], v[24:25] neg_lo:[0,1] neg_hi:[0,1]
	v_cvt_f32_i32_e32 v22, v30
	v_add_f32_e32 v19, v19, v21
	v_add_f32_e32 v19, v20, v19
	;; [unrolled: 1-line block ×4, first 2 shown]
	v_sub_f32_e32 v21, v20, v51
	v_mul_f32_e32 v19, v49, v19
	v_sub_f32_e32 v21, v50, v21
	v_add_f32_e32 v19, v21, v19
	v_add_f32_e32 v23, v20, v19
	v_mul_f32_e32 v24, v23, v23
	v_mov_b32_e32 v21, 0x3ecc95a3
	v_fmac_f32_e32 v21, 0x3e9b6dac, v24
	v_sub_f32_e32 v20, v23, v20
	v_fmaak_f32 v21, v24, v21, 0x3f2aaada
	v_sub_f32_e32 v19, v19, v20
	v_ldexp_f32 v25, v23, 1
	v_mul_f32_e32 v23, v23, v24
	v_mov_b32_e32 v20, 0x3f317218
	v_pk_mul_f32 v[20:21], v[22:23], v[20:21]
	v_ldexp_f32 v19, v19, 1
	v_fma_f32 v23, v22, s2, -v20
	v_fmamk_f32 v24, v22, 0xb102e308, v23
	v_pk_add_f32 v[22:23], v[20:21], v[24:25]
	v_mov_b32_e32 v26, v20
	v_sub_f32_e32 v25, v23, v25
	v_sub_f32_e32 v25, v21, v25
	v_add_f32_e32 v27, v19, v25
	v_pk_add_f32 v[20:21], v[22:23], v[20:21] neg_lo:[0,1] neg_hi:[0,1]
	v_pk_add_f32 v[30:31], v[22:23], v[26:27]
	v_mov_b32_e32 v25, v22
	v_mov_b32_e32 v21, v31
	v_pk_add_f32 v[50:51], v[24:25], v[20:21] neg_lo:[0,1] neg_hi:[0,1]
	v_pk_add_f32 v[20:21], v[24:25], v[20:21]
	v_mov_b32_e32 v26, v27
	v_mov_b32_e32 v24, v21
	s_waitcnt lgkmcnt(0)
	v_pk_add_f32 v[54:55], v[24:25], v[22:23] neg_lo:[0,1] neg_hi:[0,1]
	v_mov_b32_e32 v20, v31
	v_mov_b32_e32 v19, v54
	v_pk_add_f32 v[56:57], v[30:31], v[18:19] neg_lo:[0,1] neg_hi:[0,1]
	v_mov_b32_e32 v30, v23
	v_mov_b32_e32 v31, v54
	;; [unrolled: 1-line block ×3, first 2 shown]
	v_pk_add_f32 v[20:21], v[20:21], v[30:31] neg_lo:[0,1] neg_hi:[0,1]
	v_mov_b32_e32 v27, v22
	v_pk_add_f32 v[20:21], v[26:27], v[20:21] neg_lo:[0,1] neg_hi:[0,1]
	v_mov_b32_e32 v56, v50
	v_pk_add_f32 v[22:23], v[56:57], v[20:21]
	s_mov_b32 s2, 0x33800000
	v_mov_b32_e32 v26, v23
	v_pk_add_f32 v[26:27], v[22:23], v[26:27]
	v_cmp_lt_f32_e64 s[2:3], |v28|, s2
	v_pk_add_f32 v[24:25], v[24:25], v[26:27]
	v_mov_b32_e32 v21, v26
	v_mov_b32_e32 v23, v24
	v_pk_add_f32 v[30:31], v[22:23], v[50:51] neg_lo:[0,1] neg_hi:[0,1]
	s_or_b64 vcc, vcc, s[2:3]
	v_sub_f32_e32 v19, v22, v30
	v_pk_add_f32 v[20:21], v[20:21], v[30:31] neg_lo:[0,1] neg_hi:[0,1]
	v_sub_f32_e32 v19, v50, v19
	v_add_f32_e32 v19, v20, v19
	v_add_f32_e32 v19, v19, v21
	;; [unrolled: 1-line block ×3, first 2 shown]
	v_cndmask_b32_e32 v19, v19, v28, vcc
	v_add_f32_e32 v20, v11, v19
.LBB489_160:
	s_or_b64 exec, exec, s[0:1]
	v_bfe_u32 v11, v20, 16, 1
	v_add3_u32 v11, v20, v11, s48
	v_lshrrev_b32_e32 v11, 16, v11
	v_mov_b32_e32 v19, 0x7fc0
	v_cmp_o_f32_e32 vcc, v20, v20
	s_nop 1
	v_cndmask_b32_e32 v11, v19, v11, vcc
	v_lshlrev_b32_e32 v21, 16, v11
	v_max_f32_e32 v20, v21, v21
	v_min_f32_e32 v22, v20, v33
	v_cmp_u_f32_e32 vcc, v21, v21
	v_max_f32_e32 v20, v20, v33
	s_nop 0
	v_cndmask_b32_e32 v22, v22, v21, vcc
	v_cndmask_b32_e32 v20, v20, v21, vcc
	v_cndmask_b32_e64 v22, v22, v29, s[70:71]
	v_cndmask_b32_e64 v20, v20, v29, s[70:71]
	v_cmp_neq_f32_e32 vcc, v22, v20
	v_cmp_class_f32_e64 s[0:1], v22, s33
	s_or_b64 s[2:3], vcc, s[0:1]
	s_and_saveexec_b64 s[0:1], s[2:3]
	s_cbranch_execz .LBB489_162
; %bb.161:
	v_sub_f32_e32 v21, v22, v20
	s_mov_b32 s2, 0x3fb8aa3b
	v_mul_f32_e32 v22, 0x3fb8aa3b, v21
	v_fma_f32 v23, v21, s2, -v22
	v_rndne_f32_e32 v24, v22
	v_fmamk_f32 v23, v21, 0x32a5705f, v23
	v_sub_f32_e32 v22, v22, v24
	v_add_f32_e32 v22, v22, v23
	v_exp_f32_e32 v22, v22
	v_cvt_i32_f32_e32 v23, v24
	s_mov_b32 s2, 0xc2ce8ed0
	v_cmp_ngt_f32_e32 vcc, s2, v21
	s_mov_b32 s2, 0x42b17218
	v_ldexp_f32 v22, v22, v23
	v_cndmask_b32_e32 v22, 0, v22, vcc
	v_mov_b32_e32 v23, 0x7f800000
	v_cmp_nlt_f32_e32 vcc, s2, v21
	s_mov_b32 s2, 0x3f2aaaab
	s_mov_b32 s3, 0x7f800000
	v_cndmask_b32_e32 v33, v23, v22, vcc
	v_add_f32_e32 v21, 1.0, v33
	v_add_f32_e32 v22, -1.0, v21
	v_sub_f32_e32 v23, v22, v21
	v_add_f32_e32 v23, 1.0, v23
	v_sub_f32_e32 v22, v33, v22
	v_add_f32_e32 v24, v22, v23
	v_frexp_mant_f32_e32 v25, v21
	v_cvt_f64_f32_e32 v[22:23], v21
	v_frexp_exp_i32_f64_e32 v22, v[22:23]
	v_cmp_gt_f32_e32 vcc, s2, v25
	s_mov_b32 s2, 0x3f317218
	s_nop 0
	v_subbrev_co_u32_e32 v30, vcc, 0, v22, vcc
	v_sub_u32_e32 v22, 0, v30
	v_ldexp_f32 v21, v21, v22
	v_ldexp_f32 v22, v24, v22
	v_add_f32_e32 v24, -1.0, v21
	v_add_f32_e32 v23, 1.0, v24
	v_sub_f32_e32 v23, v21, v23
	v_add_f32_e32 v25, v22, v23
	v_add_f32_e32 v23, 1.0, v21
	v_add_f32_e32 v26, -1.0, v23
	v_sub_f32_e32 v21, v21, v26
	v_add_f32_e32 v21, v22, v21
	v_add_f32_e32 v31, v23, v21
	v_rcp_f32_e32 v49, v31
	v_sub_f32_e32 v22, v23, v31
	v_add_f32_e32 v23, v24, v25
	v_add_f32_e32 v21, v21, v22
	v_mul_f32_e32 v51, v23, v49
	v_sub_f32_e32 v22, v24, v23
	v_mul_f32_e32 v24, v31, v51
	v_fma_f32 v26, v51, v31, -v24
	v_fmac_f32_e32 v26, v51, v21
	v_add_f32_e32 v50, v25, v22
	v_add_f32_e32 v22, v24, v26
	v_sub_f32_e32 v25, v23, v22
	v_pk_add_f32 v[28:29], v[22:23], v[24:25] neg_lo:[0,1] neg_hi:[0,1]
	v_mov_b32_e32 v27, v22
	v_pk_add_f32 v[22:23], v[28:29], v[26:27] neg_lo:[0,1] neg_hi:[0,1]
	v_cmp_eq_f32_e32 vcc, s3, v33
	v_add_f32_e32 v23, v50, v23
	v_add_f32_e32 v22, v22, v23
	;; [unrolled: 1-line block ×3, first 2 shown]
	v_mul_f32_e32 v50, v49, v23
	v_mul_f32_e32 v24, v31, v50
	v_fma_f32 v26, v50, v31, -v24
	v_fmac_f32_e32 v26, v50, v21
	v_sub_f32_e32 v21, v25, v23
	v_add_f32_e32 v21, v22, v21
	v_add_f32_e32 v22, v24, v26
	v_sub_f32_e32 v25, v23, v22
	v_pk_add_f32 v[28:29], v[22:23], v[24:25] neg_lo:[0,1] neg_hi:[0,1]
	v_mov_b32_e32 v27, v22
	v_pk_add_f32 v[22:23], v[28:29], v[26:27] neg_lo:[0,1] neg_hi:[0,1]
	v_cvt_f32_i32_e32 v24, v30
	v_add_f32_e32 v21, v21, v23
	v_add_f32_e32 v21, v22, v21
	;; [unrolled: 1-line block ×4, first 2 shown]
	v_sub_f32_e32 v23, v22, v51
	v_mul_f32_e32 v21, v49, v21
	v_sub_f32_e32 v23, v50, v23
	v_add_f32_e32 v21, v23, v21
	v_add_f32_e32 v25, v22, v21
	v_mul_f32_e32 v26, v25, v25
	v_mov_b32_e32 v23, 0x3ecc95a3
	v_fmac_f32_e32 v23, 0x3e9b6dac, v26
	v_sub_f32_e32 v22, v25, v22
	v_fmaak_f32 v23, v26, v23, 0x3f2aaada
	v_sub_f32_e32 v21, v21, v22
	v_ldexp_f32 v27, v25, 1
	v_mul_f32_e32 v25, v25, v26
	v_mov_b32_e32 v22, 0x3f317218
	v_pk_mul_f32 v[22:23], v[24:25], v[22:23]
	v_ldexp_f32 v21, v21, 1
	v_fma_f32 v25, v24, s2, -v22
	v_fmamk_f32 v26, v24, 0xb102e308, v25
	v_pk_add_f32 v[24:25], v[22:23], v[26:27]
	v_mov_b32_e32 v28, v22
	v_sub_f32_e32 v27, v25, v27
	v_sub_f32_e32 v27, v23, v27
	v_add_f32_e32 v29, v21, v27
	v_pk_add_f32 v[22:23], v[24:25], v[22:23] neg_lo:[0,1] neg_hi:[0,1]
	v_pk_add_f32 v[30:31], v[24:25], v[28:29]
	v_mov_b32_e32 v27, v24
	v_mov_b32_e32 v23, v31
	v_pk_add_f32 v[50:51], v[26:27], v[22:23] neg_lo:[0,1] neg_hi:[0,1]
	v_pk_add_f32 v[22:23], v[26:27], v[22:23]
	v_mov_b32_e32 v28, v29
	v_mov_b32_e32 v26, v23
	s_waitcnt lgkmcnt(0)
	v_pk_add_f32 v[54:55], v[26:27], v[24:25] neg_lo:[0,1] neg_hi:[0,1]
	v_mov_b32_e32 v22, v31
	v_mov_b32_e32 v21, v54
	v_pk_add_f32 v[56:57], v[30:31], v[20:21] neg_lo:[0,1] neg_hi:[0,1]
	v_mov_b32_e32 v30, v25
	v_mov_b32_e32 v31, v54
	;; [unrolled: 1-line block ×3, first 2 shown]
	v_pk_add_f32 v[22:23], v[22:23], v[30:31] neg_lo:[0,1] neg_hi:[0,1]
	v_mov_b32_e32 v29, v24
	v_pk_add_f32 v[22:23], v[28:29], v[22:23] neg_lo:[0,1] neg_hi:[0,1]
	v_mov_b32_e32 v56, v50
	v_pk_add_f32 v[24:25], v[56:57], v[22:23]
	s_mov_b32 s2, 0x33800000
	v_mov_b32_e32 v28, v25
	v_pk_add_f32 v[28:29], v[24:25], v[28:29]
	v_cmp_lt_f32_e64 s[2:3], |v33|, s2
	v_pk_add_f32 v[26:27], v[26:27], v[28:29]
	v_mov_b32_e32 v23, v28
	v_mov_b32_e32 v25, v26
	v_pk_add_f32 v[30:31], v[24:25], v[50:51] neg_lo:[0,1] neg_hi:[0,1]
	s_or_b64 vcc, vcc, s[2:3]
	v_sub_f32_e32 v21, v24, v30
	v_pk_add_f32 v[22:23], v[22:23], v[30:31] neg_lo:[0,1] neg_hi:[0,1]
	v_sub_f32_e32 v21, v50, v21
	v_add_f32_e32 v21, v22, v21
	v_add_f32_e32 v21, v21, v23
	v_add_f32_e32 v21, v26, v21
	v_cndmask_b32_e32 v21, v21, v33, vcc
	v_add_f32_e32 v21, v20, v21
.LBB489_162:
	s_or_b64 exec, exec, s[0:1]
	v_bfe_u32 v20, v21, 16, 1
	v_add3_u32 v20, v21, v20, s48
	v_lshrrev_b32_e32 v20, 16, v20
	v_cmp_o_f32_e32 vcc, v21, v21
	s_nop 1
	v_cndmask_b32_e32 v19, v19, v20, vcc
	v_lshlrev_b32_e32 v21, 16, v19
	v_max_f32_e32 v22, v21, v21
	v_min_f32_e32 v20, v22, v34
	v_cmp_u_f32_e32 vcc, v21, v21
	v_max_f32_e32 v22, v22, v34
	s_nop 0
	v_cndmask_b32_e32 v20, v20, v21, vcc
	v_cndmask_b32_e32 v22, v22, v21, vcc
	v_cndmask_b32_e64 v20, v20, v12, s[72:73]
	v_cndmask_b32_e64 v12, v22, v12, s[72:73]
	v_cmp_neq_f32_e32 vcc, v20, v12
	v_cmp_class_f32_e64 s[0:1], v20, s33
	s_or_b64 s[2:3], vcc, s[0:1]
	s_and_saveexec_b64 s[0:1], s[2:3]
	s_cbranch_execz .LBB489_164
; %bb.163:
	v_sub_f32_e32 v20, v20, v12
	s_mov_b32 s2, 0x3fb8aa3b
	v_mul_f32_e32 v21, 0x3fb8aa3b, v20
	v_fma_f32 v22, v20, s2, -v21
	v_rndne_f32_e32 v23, v21
	v_fmamk_f32 v22, v20, 0x32a5705f, v22
	v_sub_f32_e32 v21, v21, v23
	v_add_f32_e32 v21, v21, v22
	v_exp_f32_e32 v21, v21
	v_cvt_i32_f32_e32 v22, v23
	s_mov_b32 s2, 0xc2ce8ed0
	v_cmp_ngt_f32_e32 vcc, s2, v20
	s_mov_b32 s2, 0x42b17218
	v_ldexp_f32 v21, v21, v22
	v_cndmask_b32_e32 v21, 0, v21, vcc
	v_mov_b32_e32 v22, 0x7f800000
	v_cmp_nlt_f32_e32 vcc, s2, v20
	s_mov_b32 s2, 0x3f2aaaab
	s_mov_b32 s3, 0x7f800000
	v_cndmask_b32_e32 v33, v22, v21, vcc
	v_add_f32_e32 v22, 1.0, v33
	v_add_f32_e32 v20, -1.0, v22
	v_sub_f32_e32 v21, v20, v22
	v_add_f32_e32 v21, 1.0, v21
	v_sub_f32_e32 v20, v33, v20
	v_add_f32_e32 v23, v20, v21
	v_frexp_mant_f32_e32 v24, v22
	v_cvt_f64_f32_e32 v[20:21], v22
	v_frexp_exp_i32_f64_e32 v20, v[20:21]
	v_cmp_gt_f32_e32 vcc, s2, v24
	s_mov_b32 s2, 0x3f317218
	s_nop 0
	v_subbrev_co_u32_e32 v28, vcc, 0, v20, vcc
	v_sub_u32_e32 v20, 0, v28
	v_ldexp_f32 v21, v22, v20
	v_add_f32_e32 v22, -1.0, v21
	v_add_f32_e32 v24, 1.0, v21
	v_ldexp_f32 v20, v23, v20
	v_add_f32_e32 v23, 1.0, v22
	v_add_f32_e32 v25, -1.0, v24
	v_sub_f32_e32 v23, v21, v23
	v_sub_f32_e32 v21, v21, v25
	v_add_f32_e32 v23, v20, v23
	v_add_f32_e32 v20, v20, v21
	;; [unrolled: 1-line block ×3, first 2 shown]
	v_rcp_f32_e32 v31, v29
	v_sub_f32_e32 v21, v24, v29
	v_add_f32_e32 v30, v20, v21
	v_add_f32_e32 v21, v22, v23
	v_mul_f32_e32 v49, v21, v31
	v_sub_f32_e32 v20, v22, v21
	v_mul_f32_e32 v22, v29, v49
	v_fma_f32 v24, v49, v29, -v22
	v_fmac_f32_e32 v24, v49, v30
	v_add_f32_e32 v34, v23, v20
	v_add_f32_e32 v20, v22, v24
	v_sub_f32_e32 v23, v21, v20
	v_pk_add_f32 v[26:27], v[20:21], v[22:23] neg_lo:[0,1] neg_hi:[0,1]
	v_mov_b32_e32 v25, v20
	v_pk_add_f32 v[20:21], v[26:27], v[24:25] neg_lo:[0,1] neg_hi:[0,1]
	v_cmp_eq_f32_e32 vcc, s3, v33
	v_add_f32_e32 v21, v34, v21
	v_add_f32_e32 v20, v20, v21
	;; [unrolled: 1-line block ×3, first 2 shown]
	v_mul_f32_e32 v34, v31, v21
	v_mul_f32_e32 v22, v29, v34
	v_fma_f32 v24, v34, v29, -v22
	v_fmac_f32_e32 v24, v34, v30
	v_sub_f32_e32 v23, v23, v21
	v_add_f32_e32 v29, v20, v23
	v_add_f32_e32 v20, v22, v24
	v_sub_f32_e32 v23, v21, v20
	v_pk_add_f32 v[26:27], v[20:21], v[22:23] neg_lo:[0,1] neg_hi:[0,1]
	v_mov_b32_e32 v25, v20
	v_pk_add_f32 v[20:21], v[26:27], v[24:25] neg_lo:[0,1] neg_hi:[0,1]
	v_cvt_f32_i32_e32 v22, v28
	v_add_f32_e32 v21, v29, v21
	v_add_f32_e32 v20, v20, v21
	;; [unrolled: 1-line block ×4, first 2 shown]
	v_sub_f32_e32 v21, v23, v49
	v_mul_f32_e32 v20, v31, v20
	v_sub_f32_e32 v21, v34, v21
	v_add_f32_e32 v20, v21, v20
	v_add_f32_e32 v24, v23, v20
	v_mul_f32_e32 v26, v24, v24
	v_mov_b32_e32 v21, 0x3ecc95a3
	v_sub_f32_e32 v23, v24, v23
	v_fmac_f32_e32 v21, 0x3e9b6dac, v26
	v_sub_f32_e32 v20, v20, v23
	v_fmaak_f32 v21, v26, v21, 0x3f2aaada
	v_ldexp_f32 v27, v20, 1
	v_mul_f32_e32 v23, v24, v26
	v_mov_b32_e32 v20, 0x3f317218
	v_pk_mul_f32 v[20:21], v[22:23], v[20:21]
	v_ldexp_f32 v25, v24, 1
	v_fma_f32 v23, v22, s2, -v20
	v_fmamk_f32 v24, v22, 0xb102e308, v23
	v_pk_add_f32 v[22:23], v[20:21], v[24:25]
	v_mov_b32_e32 v26, v20
	v_sub_f32_e32 v25, v23, v25
	v_sub_f32_e32 v25, v21, v25
	v_add_f32_e32 v27, v27, v25
	v_pk_add_f32 v[20:21], v[22:23], v[20:21] neg_lo:[0,1] neg_hi:[0,1]
	v_pk_add_f32 v[28:29], v[22:23], v[26:27]
	v_mov_b32_e32 v25, v22
	v_mov_b32_e32 v21, v29
	v_pk_add_f32 v[30:31], v[24:25], v[20:21] neg_lo:[0,1] neg_hi:[0,1]
	v_pk_add_f32 v[20:21], v[24:25], v[20:21]
	v_mov_b32_e32 v26, v27
	v_mov_b32_e32 v24, v21
	v_pk_add_f32 v[50:51], v[24:25], v[22:23] neg_lo:[0,1] neg_hi:[0,1]
	v_mov_b32_e32 v20, v29
	v_mov_b32_e32 v25, v50
	s_waitcnt lgkmcnt(0)
	v_pk_add_f32 v[54:55], v[28:29], v[24:25] neg_lo:[0,1] neg_hi:[0,1]
	v_mov_b32_e32 v28, v23
	v_mov_b32_e32 v29, v50
	;; [unrolled: 1-line block ×3, first 2 shown]
	v_pk_add_f32 v[20:21], v[20:21], v[28:29] neg_lo:[0,1] neg_hi:[0,1]
	v_mov_b32_e32 v27, v22
	v_pk_add_f32 v[20:21], v[26:27], v[20:21] neg_lo:[0,1] neg_hi:[0,1]
	v_mov_b32_e32 v54, v30
	v_pk_add_f32 v[22:23], v[54:55], v[20:21]
	s_mov_b32 s2, 0x33800000
	v_mov_b32_e32 v26, v23
	v_pk_add_f32 v[26:27], v[22:23], v[26:27]
	v_cmp_lt_f32_e64 s[2:3], |v33|, s2
	v_pk_add_f32 v[24:25], v[24:25], v[26:27]
	v_mov_b32_e32 v21, v26
	v_mov_b32_e32 v23, v24
	v_pk_add_f32 v[28:29], v[22:23], v[30:31] neg_lo:[0,1] neg_hi:[0,1]
	s_or_b64 vcc, vcc, s[2:3]
	v_sub_f32_e32 v22, v22, v28
	v_pk_add_f32 v[20:21], v[20:21], v[28:29] neg_lo:[0,1] neg_hi:[0,1]
	v_sub_f32_e32 v22, v30, v22
	v_add_f32_e32 v20, v20, v22
	v_add_f32_e32 v20, v20, v21
	;; [unrolled: 1-line block ×3, first 2 shown]
	v_cndmask_b32_e32 v20, v20, v33, vcc
	v_add_f32_e32 v21, v12, v20
.LBB489_164:
	s_or_b64 exec, exec, s[0:1]
	v_bfe_u32 v12, v21, 16, 1
	v_add3_u32 v12, v21, v12, s48
	v_lshrrev_b32_e32 v12, 16, v12
	v_mov_b32_e32 v20, 0x7fc0
	v_cmp_o_f32_e32 vcc, v21, v21
	s_nop 1
	v_cndmask_b32_e32 v12, v20, v12, vcc
	v_lshlrev_b32_e32 v22, 16, v12
	v_max_f32_e32 v21, v22, v22
	v_min_f32_e32 v23, v21, v36
	v_cmp_u_f32_e32 vcc, v22, v22
	v_max_f32_e32 v21, v21, v36
	s_nop 0
	v_cndmask_b32_e32 v23, v23, v22, vcc
	v_cndmask_b32_e32 v21, v21, v22, vcc
	v_cndmask_b32_e64 v23, v23, v32, s[74:75]
	v_cndmask_b32_e64 v21, v21, v32, s[74:75]
	v_cmp_neq_f32_e32 vcc, v23, v21
	v_cmp_class_f32_e64 s[0:1], v23, s33
	s_or_b64 s[2:3], vcc, s[0:1]
	s_and_saveexec_b64 s[0:1], s[2:3]
	s_cbranch_execz .LBB489_166
; %bb.165:
	v_sub_f32_e32 v22, v23, v21
	s_mov_b32 s2, 0x3fb8aa3b
	v_mul_f32_e32 v23, 0x3fb8aa3b, v22
	v_fma_f32 v24, v22, s2, -v23
	v_rndne_f32_e32 v25, v23
	v_fmamk_f32 v24, v22, 0x32a5705f, v24
	v_sub_f32_e32 v23, v23, v25
	v_add_f32_e32 v23, v23, v24
	v_exp_f32_e32 v23, v23
	v_cvt_i32_f32_e32 v24, v25
	s_mov_b32 s2, 0xc2ce8ed0
	v_cmp_ngt_f32_e32 vcc, s2, v22
	s_mov_b32 s2, 0x42b17218
	v_ldexp_f32 v23, v23, v24
	v_cndmask_b32_e32 v23, 0, v23, vcc
	v_mov_b32_e32 v24, 0x7f800000
	v_cmp_nlt_f32_e32 vcc, s2, v22
	s_mov_b32 s2, 0x3f2aaaab
	s_mov_b32 s3, 0x7f800000
	v_cndmask_b32_e32 v34, v24, v23, vcc
	v_add_f32_e32 v24, 1.0, v34
	v_add_f32_e32 v22, -1.0, v24
	v_sub_f32_e32 v23, v22, v24
	v_add_f32_e32 v23, 1.0, v23
	v_sub_f32_e32 v22, v34, v22
	v_add_f32_e32 v25, v22, v23
	v_frexp_mant_f32_e32 v26, v24
	v_cvt_f64_f32_e32 v[22:23], v24
	v_frexp_exp_i32_f64_e32 v22, v[22:23]
	v_cmp_gt_f32_e32 vcc, s2, v26
	s_mov_b32 s2, 0x3f317218
	s_nop 0
	v_subbrev_co_u32_e32 v30, vcc, 0, v22, vcc
	v_sub_u32_e32 v22, 0, v30
	v_ldexp_f32 v23, v24, v22
	v_add_f32_e32 v24, -1.0, v23
	v_add_f32_e32 v26, 1.0, v23
	v_ldexp_f32 v22, v25, v22
	v_add_f32_e32 v25, 1.0, v24
	v_add_f32_e32 v27, -1.0, v26
	v_sub_f32_e32 v25, v23, v25
	v_sub_f32_e32 v23, v23, v27
	v_add_f32_e32 v25, v22, v25
	v_add_f32_e32 v22, v22, v23
	;; [unrolled: 1-line block ×3, first 2 shown]
	v_rcp_f32_e32 v33, v31
	v_sub_f32_e32 v23, v26, v31
	v_add_f32_e32 v32, v22, v23
	v_add_f32_e32 v23, v24, v25
	v_mul_f32_e32 v49, v23, v33
	v_sub_f32_e32 v22, v24, v23
	v_mul_f32_e32 v24, v31, v49
	v_fma_f32 v26, v49, v31, -v24
	v_fmac_f32_e32 v26, v49, v32
	v_add_f32_e32 v36, v25, v22
	v_add_f32_e32 v22, v24, v26
	v_sub_f32_e32 v25, v23, v22
	v_pk_add_f32 v[28:29], v[22:23], v[24:25] neg_lo:[0,1] neg_hi:[0,1]
	v_mov_b32_e32 v27, v22
	v_pk_add_f32 v[22:23], v[28:29], v[26:27] neg_lo:[0,1] neg_hi:[0,1]
	v_cmp_eq_f32_e32 vcc, s3, v34
	v_add_f32_e32 v23, v36, v23
	v_add_f32_e32 v22, v22, v23
	;; [unrolled: 1-line block ×3, first 2 shown]
	v_mul_f32_e32 v36, v33, v23
	v_mul_f32_e32 v24, v31, v36
	v_fma_f32 v26, v36, v31, -v24
	v_fmac_f32_e32 v26, v36, v32
	v_sub_f32_e32 v25, v25, v23
	v_add_f32_e32 v31, v22, v25
	v_add_f32_e32 v22, v24, v26
	v_sub_f32_e32 v25, v23, v22
	v_pk_add_f32 v[28:29], v[22:23], v[24:25] neg_lo:[0,1] neg_hi:[0,1]
	v_mov_b32_e32 v27, v22
	v_pk_add_f32 v[22:23], v[28:29], v[26:27] neg_lo:[0,1] neg_hi:[0,1]
	v_cvt_f32_i32_e32 v24, v30
	v_add_f32_e32 v23, v31, v23
	v_add_f32_e32 v22, v22, v23
	;; [unrolled: 1-line block ×4, first 2 shown]
	v_sub_f32_e32 v23, v25, v49
	v_mul_f32_e32 v22, v33, v22
	v_sub_f32_e32 v23, v36, v23
	v_add_f32_e32 v22, v23, v22
	v_add_f32_e32 v26, v25, v22
	v_mul_f32_e32 v28, v26, v26
	v_mov_b32_e32 v23, 0x3ecc95a3
	v_sub_f32_e32 v25, v26, v25
	v_fmac_f32_e32 v23, 0x3e9b6dac, v28
	v_sub_f32_e32 v22, v22, v25
	v_fmaak_f32 v23, v28, v23, 0x3f2aaada
	v_ldexp_f32 v29, v22, 1
	v_mul_f32_e32 v25, v26, v28
	v_mov_b32_e32 v22, 0x3f317218
	v_pk_mul_f32 v[22:23], v[24:25], v[22:23]
	v_ldexp_f32 v27, v26, 1
	v_fma_f32 v25, v24, s2, -v22
	v_fmamk_f32 v26, v24, 0xb102e308, v25
	v_pk_add_f32 v[24:25], v[22:23], v[26:27]
	v_mov_b32_e32 v28, v22
	v_sub_f32_e32 v27, v25, v27
	v_sub_f32_e32 v27, v23, v27
	v_add_f32_e32 v29, v29, v27
	v_pk_add_f32 v[22:23], v[24:25], v[22:23] neg_lo:[0,1] neg_hi:[0,1]
	v_pk_add_f32 v[30:31], v[24:25], v[28:29]
	v_mov_b32_e32 v27, v24
	v_mov_b32_e32 v23, v31
	v_pk_add_f32 v[32:33], v[26:27], v[22:23] neg_lo:[0,1] neg_hi:[0,1]
	v_pk_add_f32 v[22:23], v[26:27], v[22:23]
	v_mov_b32_e32 v28, v29
	v_mov_b32_e32 v26, v23
	v_pk_add_f32 v[50:51], v[26:27], v[24:25] neg_lo:[0,1] neg_hi:[0,1]
	v_mov_b32_e32 v22, v31
	v_mov_b32_e32 v27, v50
	s_waitcnt lgkmcnt(0)
	v_pk_add_f32 v[54:55], v[30:31], v[26:27] neg_lo:[0,1] neg_hi:[0,1]
	v_mov_b32_e32 v30, v25
	v_mov_b32_e32 v31, v50
	;; [unrolled: 1-line block ×3, first 2 shown]
	v_pk_add_f32 v[22:23], v[22:23], v[30:31] neg_lo:[0,1] neg_hi:[0,1]
	v_mov_b32_e32 v29, v24
	v_pk_add_f32 v[22:23], v[28:29], v[22:23] neg_lo:[0,1] neg_hi:[0,1]
	v_mov_b32_e32 v54, v32
	v_pk_add_f32 v[24:25], v[54:55], v[22:23]
	s_mov_b32 s2, 0x33800000
	v_mov_b32_e32 v28, v25
	v_pk_add_f32 v[28:29], v[24:25], v[28:29]
	v_cmp_lt_f32_e64 s[2:3], |v34|, s2
	v_pk_add_f32 v[26:27], v[26:27], v[28:29]
	v_mov_b32_e32 v23, v28
	v_mov_b32_e32 v25, v26
	v_pk_add_f32 v[30:31], v[24:25], v[32:33] neg_lo:[0,1] neg_hi:[0,1]
	s_or_b64 vcc, vcc, s[2:3]
	v_sub_f32_e32 v24, v24, v30
	v_pk_add_f32 v[22:23], v[22:23], v[30:31] neg_lo:[0,1] neg_hi:[0,1]
	v_sub_f32_e32 v24, v32, v24
	v_add_f32_e32 v22, v22, v24
	v_add_f32_e32 v22, v22, v23
	v_add_f32_e32 v22, v26, v22
	v_cndmask_b32_e32 v22, v22, v34, vcc
	v_add_f32_e32 v22, v21, v22
.LBB489_166:
	s_or_b64 exec, exec, s[0:1]
	v_bfe_u32 v21, v22, 16, 1
	v_add3_u32 v21, v22, v21, s48
	v_lshrrev_b32_e32 v21, 16, v21
	v_cmp_o_f32_e32 vcc, v22, v22
	s_nop 1
	v_cndmask_b32_e32 v20, v20, v21, vcc
	v_lshlrev_b32_e32 v22, 16, v20
	v_max_f32_e32 v23, v22, v22
	v_min_f32_e32 v21, v23, v37
	v_cmp_u_f32_e32 vcc, v22, v22
	v_max_f32_e32 v23, v23, v37
	s_nop 0
	v_cndmask_b32_e32 v21, v21, v22, vcc
	v_cndmask_b32_e32 v23, v23, v22, vcc
	v_cndmask_b32_e64 v21, v21, v13, s[76:77]
	v_cndmask_b32_e64 v13, v23, v13, s[76:77]
	v_cmp_neq_f32_e32 vcc, v21, v13
	v_cmp_class_f32_e64 s[0:1], v21, s33
	s_or_b64 s[2:3], vcc, s[0:1]
	s_and_saveexec_b64 s[0:1], s[2:3]
	s_cbranch_execz .LBB489_168
; %bb.167:
	v_sub_f32_e32 v21, v21, v13
	s_mov_b32 s2, 0x3fb8aa3b
	v_mul_f32_e32 v22, 0x3fb8aa3b, v21
	v_fma_f32 v23, v21, s2, -v22
	v_rndne_f32_e32 v24, v22
	v_fmamk_f32 v23, v21, 0x32a5705f, v23
	v_sub_f32_e32 v22, v22, v24
	v_add_f32_e32 v22, v22, v23
	v_exp_f32_e32 v22, v22
	v_cvt_i32_f32_e32 v23, v24
	s_mov_b32 s2, 0xc2ce8ed0
	v_cmp_ngt_f32_e32 vcc, s2, v21
	s_mov_b32 s2, 0x42b17218
	v_ldexp_f32 v22, v22, v23
	v_cndmask_b32_e32 v22, 0, v22, vcc
	v_mov_b32_e32 v23, 0x7f800000
	v_cmp_nlt_f32_e32 vcc, s2, v21
	s_mov_b32 s2, 0x3f2aaaab
	s_mov_b32 s3, 0x7f800000
	v_cndmask_b32_e32 v34, v23, v22, vcc
	v_add_f32_e32 v21, 1.0, v34
	v_add_f32_e32 v22, -1.0, v21
	v_sub_f32_e32 v23, v22, v21
	v_add_f32_e32 v23, 1.0, v23
	v_sub_f32_e32 v22, v34, v22
	v_add_f32_e32 v24, v22, v23
	v_frexp_mant_f32_e32 v25, v21
	v_cvt_f64_f32_e32 v[22:23], v21
	v_frexp_exp_i32_f64_e32 v22, v[22:23]
	v_cmp_gt_f32_e32 vcc, s2, v25
	s_mov_b32 s2, 0x3f317218
	s_nop 0
	v_subbrev_co_u32_e32 v30, vcc, 0, v22, vcc
	v_sub_u32_e32 v22, 0, v30
	v_ldexp_f32 v21, v21, v22
	v_ldexp_f32 v22, v24, v22
	v_add_f32_e32 v24, -1.0, v21
	v_add_f32_e32 v23, 1.0, v24
	v_sub_f32_e32 v23, v21, v23
	v_add_f32_e32 v25, v22, v23
	v_add_f32_e32 v23, 1.0, v21
	v_add_f32_e32 v26, -1.0, v23
	v_sub_f32_e32 v21, v21, v26
	v_add_f32_e32 v21, v22, v21
	v_add_f32_e32 v31, v23, v21
	v_rcp_f32_e32 v32, v31
	v_sub_f32_e32 v22, v23, v31
	v_add_f32_e32 v23, v24, v25
	v_add_f32_e32 v21, v21, v22
	v_mul_f32_e32 v36, v23, v32
	v_sub_f32_e32 v22, v24, v23
	v_mul_f32_e32 v24, v31, v36
	v_fma_f32 v26, v36, v31, -v24
	v_fmac_f32_e32 v26, v36, v21
	v_add_f32_e32 v33, v25, v22
	v_add_f32_e32 v22, v24, v26
	v_sub_f32_e32 v25, v23, v22
	v_pk_add_f32 v[28:29], v[22:23], v[24:25] neg_lo:[0,1] neg_hi:[0,1]
	v_mov_b32_e32 v27, v22
	v_pk_add_f32 v[22:23], v[28:29], v[26:27] neg_lo:[0,1] neg_hi:[0,1]
	v_cmp_eq_f32_e32 vcc, s3, v34
	v_add_f32_e32 v23, v33, v23
	v_add_f32_e32 v22, v22, v23
	;; [unrolled: 1-line block ×3, first 2 shown]
	v_mul_f32_e32 v33, v32, v23
	v_mul_f32_e32 v24, v31, v33
	v_fma_f32 v26, v33, v31, -v24
	v_fmac_f32_e32 v26, v33, v21
	v_sub_f32_e32 v21, v25, v23
	v_add_f32_e32 v21, v22, v21
	v_add_f32_e32 v22, v24, v26
	v_sub_f32_e32 v25, v23, v22
	v_pk_add_f32 v[28:29], v[22:23], v[24:25] neg_lo:[0,1] neg_hi:[0,1]
	v_mov_b32_e32 v27, v22
	v_pk_add_f32 v[22:23], v[28:29], v[26:27] neg_lo:[0,1] neg_hi:[0,1]
	v_cvt_f32_i32_e32 v24, v30
	v_add_f32_e32 v21, v21, v23
	v_add_f32_e32 v21, v22, v21
	;; [unrolled: 1-line block ×4, first 2 shown]
	v_sub_f32_e32 v23, v22, v36
	v_mul_f32_e32 v21, v32, v21
	v_sub_f32_e32 v23, v33, v23
	v_add_f32_e32 v21, v23, v21
	v_add_f32_e32 v25, v22, v21
	v_mul_f32_e32 v26, v25, v25
	v_mov_b32_e32 v23, 0x3ecc95a3
	v_fmac_f32_e32 v23, 0x3e9b6dac, v26
	v_sub_f32_e32 v22, v25, v22
	v_fmaak_f32 v23, v26, v23, 0x3f2aaada
	v_sub_f32_e32 v21, v21, v22
	v_ldexp_f32 v27, v25, 1
	v_mul_f32_e32 v25, v25, v26
	v_mov_b32_e32 v22, 0x3f317218
	v_pk_mul_f32 v[22:23], v[24:25], v[22:23]
	v_ldexp_f32 v21, v21, 1
	v_fma_f32 v25, v24, s2, -v22
	v_fmamk_f32 v26, v24, 0xb102e308, v25
	v_pk_add_f32 v[24:25], v[22:23], v[26:27]
	v_mov_b32_e32 v28, v22
	v_sub_f32_e32 v27, v25, v27
	v_sub_f32_e32 v27, v23, v27
	v_add_f32_e32 v29, v21, v27
	v_pk_add_f32 v[22:23], v[24:25], v[22:23] neg_lo:[0,1] neg_hi:[0,1]
	v_pk_add_f32 v[30:31], v[24:25], v[28:29]
	v_mov_b32_e32 v27, v24
	v_mov_b32_e32 v23, v31
	v_pk_add_f32 v[32:33], v[26:27], v[22:23] neg_lo:[0,1] neg_hi:[0,1]
	v_pk_add_f32 v[22:23], v[26:27], v[22:23]
	v_mov_b32_e32 v28, v29
	v_mov_b32_e32 v26, v23
	v_pk_add_f32 v[36:37], v[26:27], v[24:25] neg_lo:[0,1] neg_hi:[0,1]
	v_mov_b32_e32 v22, v31
	v_mov_b32_e32 v21, v36
	v_pk_add_f32 v[50:51], v[30:31], v[20:21] neg_lo:[0,1] neg_hi:[0,1]
	v_mov_b32_e32 v30, v25
	v_mov_b32_e32 v31, v36
	;; [unrolled: 1-line block ×3, first 2 shown]
	v_pk_add_f32 v[22:23], v[22:23], v[30:31] neg_lo:[0,1] neg_hi:[0,1]
	v_mov_b32_e32 v29, v24
	v_pk_add_f32 v[22:23], v[28:29], v[22:23] neg_lo:[0,1] neg_hi:[0,1]
	v_mov_b32_e32 v50, v32
	v_pk_add_f32 v[24:25], v[50:51], v[22:23]
	s_mov_b32 s2, 0x33800000
	v_mov_b32_e32 v28, v25
	v_pk_add_f32 v[28:29], v[24:25], v[28:29]
	v_cmp_lt_f32_e64 s[2:3], |v34|, s2
	v_pk_add_f32 v[26:27], v[26:27], v[28:29]
	v_mov_b32_e32 v23, v28
	v_mov_b32_e32 v25, v26
	v_pk_add_f32 v[30:31], v[24:25], v[32:33] neg_lo:[0,1] neg_hi:[0,1]
	s_or_b64 vcc, vcc, s[2:3]
	v_sub_f32_e32 v21, v24, v30
	v_pk_add_f32 v[22:23], v[22:23], v[30:31] neg_lo:[0,1] neg_hi:[0,1]
	v_sub_f32_e32 v21, v32, v21
	v_add_f32_e32 v21, v22, v21
	v_add_f32_e32 v21, v21, v23
	;; [unrolled: 1-line block ×3, first 2 shown]
	v_cndmask_b32_e32 v21, v21, v34, vcc
	v_add_f32_e32 v22, v13, v21
.LBB489_168:
	s_or_b64 exec, exec, s[0:1]
	v_bfe_u32 v13, v22, 16, 1
	v_add3_u32 v13, v22, v13, s48
	v_lshrrev_b32_e32 v13, 16, v13
	v_mov_b32_e32 v21, 0x7fc0
	v_cmp_o_f32_e32 vcc, v22, v22
	s_nop 1
	v_cndmask_b32_e32 v13, v21, v13, vcc
	v_lshlrev_b32_e32 v23, 16, v13
	v_max_f32_e32 v22, v23, v23
	v_min_f32_e32 v24, v22, v39
	v_cmp_u_f32_e32 vcc, v23, v23
	v_max_f32_e32 v22, v22, v39
	s_nop 0
	v_cndmask_b32_e32 v24, v24, v23, vcc
	v_cndmask_b32_e32 v22, v22, v23, vcc
	v_cndmask_b32_e64 v24, v24, v35, s[78:79]
	v_cndmask_b32_e64 v22, v22, v35, s[78:79]
	v_cmp_neq_f32_e32 vcc, v24, v22
	v_cmp_class_f32_e64 s[0:1], v24, s33
	s_or_b64 s[2:3], vcc, s[0:1]
	s_and_saveexec_b64 s[0:1], s[2:3]
	s_cbranch_execz .LBB489_170
; %bb.169:
	v_sub_f32_e32 v23, v24, v22
	s_mov_b32 s2, 0x3fb8aa3b
	v_mul_f32_e32 v24, 0x3fb8aa3b, v23
	v_fma_f32 v25, v23, s2, -v24
	v_rndne_f32_e32 v26, v24
	v_fmamk_f32 v25, v23, 0x32a5705f, v25
	v_sub_f32_e32 v24, v24, v26
	v_add_f32_e32 v24, v24, v25
	v_exp_f32_e32 v24, v24
	v_cvt_i32_f32_e32 v25, v26
	s_mov_b32 s2, 0xc2ce8ed0
	v_cmp_ngt_f32_e32 vcc, s2, v23
	s_mov_b32 s2, 0x42b17218
	v_ldexp_f32 v24, v24, v25
	v_cndmask_b32_e32 v24, 0, v24, vcc
	v_mov_b32_e32 v25, 0x7f800000
	v_cmp_nlt_f32_e32 vcc, s2, v23
	s_mov_b32 s2, 0x3f2aaaab
	s_mov_b32 s3, 0x7f800000
	v_cndmask_b32_e32 v39, v25, v24, vcc
	v_add_f32_e32 v23, 1.0, v39
	v_add_f32_e32 v24, -1.0, v23
	v_sub_f32_e32 v25, v24, v23
	v_add_f32_e32 v25, 1.0, v25
	v_sub_f32_e32 v24, v39, v24
	v_add_f32_e32 v26, v24, v25
	v_frexp_mant_f32_e32 v27, v23
	v_cvt_f64_f32_e32 v[24:25], v23
	v_frexp_exp_i32_f64_e32 v24, v[24:25]
	v_cmp_gt_f32_e32 vcc, s2, v27
	s_mov_b32 s2, 0x3f317218
	s_nop 0
	v_subbrev_co_u32_e32 v32, vcc, 0, v24, vcc
	v_sub_u32_e32 v24, 0, v32
	v_ldexp_f32 v23, v23, v24
	v_ldexp_f32 v24, v26, v24
	v_add_f32_e32 v26, -1.0, v23
	v_add_f32_e32 v25, 1.0, v26
	v_sub_f32_e32 v25, v23, v25
	v_add_f32_e32 v27, v24, v25
	v_add_f32_e32 v25, 1.0, v23
	v_add_f32_e32 v28, -1.0, v25
	v_sub_f32_e32 v23, v23, v28
	v_add_f32_e32 v23, v24, v23
	v_add_f32_e32 v33, v25, v23
	v_rcp_f32_e32 v34, v33
	v_sub_f32_e32 v24, v25, v33
	v_add_f32_e32 v25, v26, v27
	v_add_f32_e32 v23, v23, v24
	v_mul_f32_e32 v36, v25, v34
	v_sub_f32_e32 v24, v26, v25
	v_mul_f32_e32 v26, v33, v36
	v_fma_f32 v28, v36, v33, -v26
	v_fmac_f32_e32 v28, v36, v23
	v_add_f32_e32 v35, v27, v24
	v_add_f32_e32 v24, v26, v28
	v_sub_f32_e32 v27, v25, v24
	v_pk_add_f32 v[30:31], v[24:25], v[26:27] neg_lo:[0,1] neg_hi:[0,1]
	v_mov_b32_e32 v29, v24
	v_pk_add_f32 v[24:25], v[30:31], v[28:29] neg_lo:[0,1] neg_hi:[0,1]
	v_cmp_eq_f32_e32 vcc, s3, v39
	v_add_f32_e32 v25, v35, v25
	v_add_f32_e32 v24, v24, v25
	;; [unrolled: 1-line block ×3, first 2 shown]
	v_mul_f32_e32 v35, v34, v25
	v_mul_f32_e32 v26, v33, v35
	v_fma_f32 v28, v35, v33, -v26
	v_fmac_f32_e32 v28, v35, v23
	v_sub_f32_e32 v23, v27, v25
	v_add_f32_e32 v23, v24, v23
	v_add_f32_e32 v24, v26, v28
	v_sub_f32_e32 v27, v25, v24
	v_pk_add_f32 v[30:31], v[24:25], v[26:27] neg_lo:[0,1] neg_hi:[0,1]
	v_mov_b32_e32 v29, v24
	v_pk_add_f32 v[24:25], v[30:31], v[28:29] neg_lo:[0,1] neg_hi:[0,1]
	v_cvt_f32_i32_e32 v26, v32
	v_add_f32_e32 v23, v23, v25
	v_add_f32_e32 v23, v24, v23
	;; [unrolled: 1-line block ×4, first 2 shown]
	v_sub_f32_e32 v25, v24, v36
	v_mul_f32_e32 v23, v34, v23
	v_sub_f32_e32 v25, v35, v25
	v_add_f32_e32 v23, v25, v23
	v_add_f32_e32 v27, v24, v23
	v_mul_f32_e32 v28, v27, v27
	v_mov_b32_e32 v25, 0x3ecc95a3
	v_fmac_f32_e32 v25, 0x3e9b6dac, v28
	v_sub_f32_e32 v24, v27, v24
	v_fmaak_f32 v25, v28, v25, 0x3f2aaada
	v_sub_f32_e32 v23, v23, v24
	v_ldexp_f32 v29, v27, 1
	v_mul_f32_e32 v27, v27, v28
	v_mov_b32_e32 v24, 0x3f317218
	v_pk_mul_f32 v[24:25], v[26:27], v[24:25]
	v_ldexp_f32 v23, v23, 1
	v_fma_f32 v27, v26, s2, -v24
	v_fmamk_f32 v28, v26, 0xb102e308, v27
	v_pk_add_f32 v[26:27], v[24:25], v[28:29]
	v_mov_b32_e32 v30, v24
	v_sub_f32_e32 v29, v27, v29
	v_sub_f32_e32 v29, v25, v29
	v_add_f32_e32 v31, v23, v29
	v_pk_add_f32 v[24:25], v[26:27], v[24:25] neg_lo:[0,1] neg_hi:[0,1]
	v_pk_add_f32 v[32:33], v[26:27], v[30:31]
	v_mov_b32_e32 v29, v26
	v_mov_b32_e32 v25, v33
	v_pk_add_f32 v[34:35], v[28:29], v[24:25] neg_lo:[0,1] neg_hi:[0,1]
	v_pk_add_f32 v[24:25], v[28:29], v[24:25]
	v_mov_b32_e32 v30, v31
	v_mov_b32_e32 v28, v25
	v_pk_add_f32 v[36:37], v[28:29], v[26:27] neg_lo:[0,1] neg_hi:[0,1]
	v_mov_b32_e32 v24, v33
	v_mov_b32_e32 v23, v36
	v_pk_add_f32 v[50:51], v[32:33], v[22:23] neg_lo:[0,1] neg_hi:[0,1]
	v_mov_b32_e32 v32, v27
	v_mov_b32_e32 v33, v36
	;; [unrolled: 1-line block ×3, first 2 shown]
	v_pk_add_f32 v[24:25], v[24:25], v[32:33] neg_lo:[0,1] neg_hi:[0,1]
	v_mov_b32_e32 v31, v26
	v_pk_add_f32 v[24:25], v[30:31], v[24:25] neg_lo:[0,1] neg_hi:[0,1]
	v_mov_b32_e32 v50, v34
	v_pk_add_f32 v[26:27], v[50:51], v[24:25]
	s_mov_b32 s2, 0x33800000
	v_mov_b32_e32 v30, v27
	v_pk_add_f32 v[30:31], v[26:27], v[30:31]
	v_cmp_lt_f32_e64 s[2:3], |v39|, s2
	v_pk_add_f32 v[28:29], v[28:29], v[30:31]
	v_mov_b32_e32 v25, v30
	v_mov_b32_e32 v27, v28
	v_pk_add_f32 v[32:33], v[26:27], v[34:35] neg_lo:[0,1] neg_hi:[0,1]
	s_or_b64 vcc, vcc, s[2:3]
	v_sub_f32_e32 v23, v26, v32
	v_pk_add_f32 v[24:25], v[24:25], v[32:33] neg_lo:[0,1] neg_hi:[0,1]
	v_sub_f32_e32 v23, v34, v23
	v_add_f32_e32 v23, v24, v23
	v_add_f32_e32 v23, v23, v25
	;; [unrolled: 1-line block ×3, first 2 shown]
	v_cndmask_b32_e32 v23, v23, v39, vcc
	v_add_f32_e32 v23, v22, v23
.LBB489_170:
	s_or_b64 exec, exec, s[0:1]
	v_bfe_u32 v22, v23, 16, 1
	v_add3_u32 v22, v23, v22, s48
	v_lshrrev_b32_e32 v22, 16, v22
	v_cmp_o_f32_e32 vcc, v23, v23
	s_nop 1
	v_cndmask_b32_e32 v21, v21, v22, vcc
	v_lshlrev_b32_e32 v23, 16, v21
	v_max_f32_e32 v24, v23, v23
	v_min_f32_e32 v22, v24, v40
	v_cmp_u_f32_e32 vcc, v23, v23
	v_max_f32_e32 v24, v24, v40
	s_nop 0
	v_cndmask_b32_e32 v22, v22, v23, vcc
	v_cndmask_b32_e32 v24, v24, v23, vcc
	v_cndmask_b32_e64 v22, v22, v6, s[80:81]
	v_cndmask_b32_e64 v6, v24, v6, s[80:81]
	v_cmp_neq_f32_e32 vcc, v22, v6
	v_cmp_class_f32_e64 s[0:1], v22, s33
	s_or_b64 s[2:3], vcc, s[0:1]
	s_and_saveexec_b64 s[0:1], s[2:3]
	s_cbranch_execz .LBB489_172
; %bb.171:
	v_sub_f32_e32 v22, v22, v6
	s_mov_b32 s2, 0x3fb8aa3b
	v_mul_f32_e32 v23, 0x3fb8aa3b, v22
	v_fma_f32 v24, v22, s2, -v23
	v_rndne_f32_e32 v25, v23
	v_fmamk_f32 v24, v22, 0x32a5705f, v24
	v_sub_f32_e32 v23, v23, v25
	v_add_f32_e32 v23, v23, v24
	v_exp_f32_e32 v23, v23
	v_cvt_i32_f32_e32 v24, v25
	s_mov_b32 s2, 0xc2ce8ed0
	v_cmp_ngt_f32_e32 vcc, s2, v22
	s_mov_b32 s2, 0x42b17218
	v_ldexp_f32 v23, v23, v24
	v_cndmask_b32_e32 v23, 0, v23, vcc
	v_mov_b32_e32 v24, 0x7f800000
	v_cmp_nlt_f32_e32 vcc, s2, v22
	s_mov_b32 s2, 0x3f2aaaab
	s_mov_b32 s3, 0x7f800000
	v_cndmask_b32_e32 v39, v24, v23, vcc
	v_add_f32_e32 v24, 1.0, v39
	v_add_f32_e32 v22, -1.0, v24
	v_sub_f32_e32 v23, v22, v24
	v_add_f32_e32 v23, 1.0, v23
	v_sub_f32_e32 v22, v39, v22
	v_add_f32_e32 v25, v22, v23
	v_frexp_mant_f32_e32 v26, v24
	v_cvt_f64_f32_e32 v[22:23], v24
	v_frexp_exp_i32_f64_e32 v22, v[22:23]
	v_cmp_gt_f32_e32 vcc, s2, v26
	s_mov_b32 s2, 0x3f317218
	s_nop 0
	v_subbrev_co_u32_e32 v30, vcc, 0, v22, vcc
	v_sub_u32_e32 v22, 0, v30
	v_ldexp_f32 v23, v24, v22
	v_add_f32_e32 v24, -1.0, v23
	v_add_f32_e32 v26, 1.0, v23
	v_ldexp_f32 v22, v25, v22
	v_add_f32_e32 v25, 1.0, v24
	v_add_f32_e32 v27, -1.0, v26
	v_sub_f32_e32 v25, v23, v25
	v_sub_f32_e32 v23, v23, v27
	v_add_f32_e32 v25, v22, v25
	v_add_f32_e32 v22, v22, v23
	;; [unrolled: 1-line block ×3, first 2 shown]
	v_rcp_f32_e32 v33, v31
	v_sub_f32_e32 v23, v26, v31
	v_add_f32_e32 v32, v22, v23
	v_add_f32_e32 v23, v24, v25
	v_mul_f32_e32 v35, v23, v33
	v_sub_f32_e32 v22, v24, v23
	v_mul_f32_e32 v24, v31, v35
	v_fma_f32 v26, v35, v31, -v24
	v_fmac_f32_e32 v26, v35, v32
	v_add_f32_e32 v34, v25, v22
	v_add_f32_e32 v22, v24, v26
	v_sub_f32_e32 v25, v23, v22
	v_pk_add_f32 v[28:29], v[22:23], v[24:25] neg_lo:[0,1] neg_hi:[0,1]
	v_mov_b32_e32 v27, v22
	v_pk_add_f32 v[22:23], v[28:29], v[26:27] neg_lo:[0,1] neg_hi:[0,1]
	v_cmp_eq_f32_e32 vcc, s3, v39
	v_add_f32_e32 v23, v34, v23
	v_add_f32_e32 v22, v22, v23
	;; [unrolled: 1-line block ×3, first 2 shown]
	v_mul_f32_e32 v34, v33, v23
	v_mul_f32_e32 v24, v31, v34
	v_fma_f32 v26, v34, v31, -v24
	v_fmac_f32_e32 v26, v34, v32
	v_sub_f32_e32 v25, v25, v23
	v_add_f32_e32 v31, v22, v25
	v_add_f32_e32 v22, v24, v26
	v_sub_f32_e32 v25, v23, v22
	v_pk_add_f32 v[28:29], v[22:23], v[24:25] neg_lo:[0,1] neg_hi:[0,1]
	v_mov_b32_e32 v27, v22
	v_pk_add_f32 v[22:23], v[28:29], v[26:27] neg_lo:[0,1] neg_hi:[0,1]
	v_cvt_f32_i32_e32 v24, v30
	v_add_f32_e32 v23, v31, v23
	v_add_f32_e32 v22, v22, v23
	;; [unrolled: 1-line block ×4, first 2 shown]
	v_sub_f32_e32 v23, v25, v35
	v_mul_f32_e32 v22, v33, v22
	v_sub_f32_e32 v23, v34, v23
	v_add_f32_e32 v22, v23, v22
	v_add_f32_e32 v26, v25, v22
	v_mul_f32_e32 v28, v26, v26
	v_mov_b32_e32 v23, 0x3ecc95a3
	v_sub_f32_e32 v25, v26, v25
	v_fmac_f32_e32 v23, 0x3e9b6dac, v28
	v_sub_f32_e32 v22, v22, v25
	v_fmaak_f32 v23, v28, v23, 0x3f2aaada
	v_ldexp_f32 v29, v22, 1
	v_mul_f32_e32 v25, v26, v28
	v_mov_b32_e32 v22, 0x3f317218
	v_pk_mul_f32 v[22:23], v[24:25], v[22:23]
	v_ldexp_f32 v27, v26, 1
	v_fma_f32 v25, v24, s2, -v22
	v_fmamk_f32 v26, v24, 0xb102e308, v25
	v_pk_add_f32 v[24:25], v[22:23], v[26:27]
	v_mov_b32_e32 v28, v22
	v_sub_f32_e32 v27, v25, v27
	v_sub_f32_e32 v27, v23, v27
	v_add_f32_e32 v29, v29, v27
	v_pk_add_f32 v[22:23], v[24:25], v[22:23] neg_lo:[0,1] neg_hi:[0,1]
	v_pk_add_f32 v[30:31], v[24:25], v[28:29]
	v_mov_b32_e32 v27, v24
	v_mov_b32_e32 v23, v31
	v_pk_add_f32 v[32:33], v[26:27], v[22:23] neg_lo:[0,1] neg_hi:[0,1]
	v_pk_add_f32 v[22:23], v[26:27], v[22:23]
	v_mov_b32_e32 v28, v29
	v_mov_b32_e32 v26, v23
	v_pk_add_f32 v[34:35], v[26:27], v[24:25] neg_lo:[0,1] neg_hi:[0,1]
	v_mov_b32_e32 v22, v31
	v_mov_b32_e32 v27, v34
	v_pk_add_f32 v[36:37], v[30:31], v[26:27] neg_lo:[0,1] neg_hi:[0,1]
	v_mov_b32_e32 v30, v25
	v_mov_b32_e32 v31, v34
	;; [unrolled: 1-line block ×3, first 2 shown]
	v_pk_add_f32 v[22:23], v[22:23], v[30:31] neg_lo:[0,1] neg_hi:[0,1]
	v_mov_b32_e32 v29, v24
	v_pk_add_f32 v[22:23], v[28:29], v[22:23] neg_lo:[0,1] neg_hi:[0,1]
	v_mov_b32_e32 v36, v32
	v_pk_add_f32 v[24:25], v[36:37], v[22:23]
	s_mov_b32 s2, 0x33800000
	v_mov_b32_e32 v28, v25
	v_pk_add_f32 v[28:29], v[24:25], v[28:29]
	v_cmp_lt_f32_e64 s[2:3], |v39|, s2
	v_pk_add_f32 v[26:27], v[26:27], v[28:29]
	v_mov_b32_e32 v23, v28
	v_mov_b32_e32 v25, v26
	v_pk_add_f32 v[30:31], v[24:25], v[32:33] neg_lo:[0,1] neg_hi:[0,1]
	s_or_b64 vcc, vcc, s[2:3]
	v_sub_f32_e32 v24, v24, v30
	v_pk_add_f32 v[22:23], v[22:23], v[30:31] neg_lo:[0,1] neg_hi:[0,1]
	v_sub_f32_e32 v24, v32, v24
	v_add_f32_e32 v22, v22, v24
	v_add_f32_e32 v22, v22, v23
	;; [unrolled: 1-line block ×3, first 2 shown]
	v_cndmask_b32_e32 v22, v22, v39, vcc
	v_add_f32_e32 v23, v6, v22
.LBB489_172:
	s_or_b64 exec, exec, s[0:1]
	v_bfe_u32 v6, v23, 16, 1
	v_add3_u32 v6, v23, v6, s48
	v_lshrrev_b32_e32 v6, 16, v6
	v_mov_b32_e32 v22, 0x7fc0
	v_cmp_o_f32_e32 vcc, v23, v23
	s_nop 1
	v_cndmask_b32_e32 v6, v22, v6, vcc
	v_lshlrev_b32_e32 v24, 16, v6
	v_max_f32_e32 v23, v24, v24
	v_min_f32_e32 v25, v23, v42
	v_cmp_u_f32_e32 vcc, v24, v24
	v_max_f32_e32 v23, v23, v42
	s_nop 0
	v_cndmask_b32_e32 v25, v25, v24, vcc
	v_cndmask_b32_e32 v23, v23, v24, vcc
	v_cndmask_b32_e64 v25, v25, v38, s[82:83]
	v_cndmask_b32_e64 v23, v23, v38, s[82:83]
	v_cmp_neq_f32_e32 vcc, v25, v23
	v_cmp_class_f32_e64 s[0:1], v25, s33
	s_or_b64 s[2:3], vcc, s[0:1]
	s_and_saveexec_b64 s[0:1], s[2:3]
	s_cbranch_execz .LBB489_174
; %bb.173:
	v_sub_f32_e32 v24, v25, v23
	s_mov_b32 s2, 0x3fb8aa3b
	v_mul_f32_e32 v25, 0x3fb8aa3b, v24
	v_fma_f32 v26, v24, s2, -v25
	v_rndne_f32_e32 v27, v25
	v_fmamk_f32 v26, v24, 0x32a5705f, v26
	v_sub_f32_e32 v25, v25, v27
	v_add_f32_e32 v25, v25, v26
	v_exp_f32_e32 v25, v25
	v_cvt_i32_f32_e32 v26, v27
	s_mov_b32 s2, 0xc2ce8ed0
	v_cmp_ngt_f32_e32 vcc, s2, v24
	s_mov_b32 s2, 0x42b17218
	v_ldexp_f32 v25, v25, v26
	v_cndmask_b32_e32 v25, 0, v25, vcc
	v_mov_b32_e32 v26, 0x7f800000
	v_cmp_nlt_f32_e32 vcc, s2, v24
	s_mov_b32 s2, 0x3f2aaaab
	s_mov_b32 s3, 0x7f800000
	v_cndmask_b32_e32 v40, v26, v25, vcc
	v_add_f32_e32 v26, 1.0, v40
	v_add_f32_e32 v24, -1.0, v26
	v_sub_f32_e32 v25, v24, v26
	v_add_f32_e32 v25, 1.0, v25
	v_sub_f32_e32 v24, v40, v24
	v_add_f32_e32 v27, v24, v25
	v_frexp_mant_f32_e32 v28, v26
	v_cvt_f64_f32_e32 v[24:25], v26
	v_frexp_exp_i32_f64_e32 v24, v[24:25]
	v_cmp_gt_f32_e32 vcc, s2, v28
	s_mov_b32 s2, 0x3f317218
	s_nop 0
	v_subbrev_co_u32_e32 v32, vcc, 0, v24, vcc
	v_sub_u32_e32 v24, 0, v32
	v_ldexp_f32 v25, v26, v24
	v_add_f32_e32 v26, -1.0, v25
	v_add_f32_e32 v28, 1.0, v25
	v_ldexp_f32 v24, v27, v24
	v_add_f32_e32 v27, 1.0, v26
	v_add_f32_e32 v29, -1.0, v28
	v_sub_f32_e32 v27, v25, v27
	v_sub_f32_e32 v25, v25, v29
	v_add_f32_e32 v27, v24, v27
	v_add_f32_e32 v24, v24, v25
	;; [unrolled: 1-line block ×3, first 2 shown]
	v_rcp_f32_e32 v35, v33
	v_sub_f32_e32 v25, v28, v33
	v_add_f32_e32 v34, v24, v25
	v_add_f32_e32 v25, v26, v27
	v_mul_f32_e32 v37, v25, v35
	v_sub_f32_e32 v24, v26, v25
	v_mul_f32_e32 v26, v33, v37
	v_fma_f32 v28, v37, v33, -v26
	v_fmac_f32_e32 v28, v37, v34
	v_add_f32_e32 v36, v27, v24
	v_add_f32_e32 v24, v26, v28
	v_sub_f32_e32 v27, v25, v24
	v_pk_add_f32 v[30:31], v[24:25], v[26:27] neg_lo:[0,1] neg_hi:[0,1]
	v_mov_b32_e32 v29, v24
	v_pk_add_f32 v[24:25], v[30:31], v[28:29] neg_lo:[0,1] neg_hi:[0,1]
	v_cmp_eq_f32_e32 vcc, s3, v40
	v_add_f32_e32 v25, v36, v25
	v_add_f32_e32 v24, v24, v25
	;; [unrolled: 1-line block ×3, first 2 shown]
	v_mul_f32_e32 v36, v35, v25
	v_mul_f32_e32 v26, v33, v36
	v_fma_f32 v28, v36, v33, -v26
	v_fmac_f32_e32 v28, v36, v34
	v_sub_f32_e32 v27, v27, v25
	v_add_f32_e32 v33, v24, v27
	v_add_f32_e32 v24, v26, v28
	v_sub_f32_e32 v27, v25, v24
	v_pk_add_f32 v[30:31], v[24:25], v[26:27] neg_lo:[0,1] neg_hi:[0,1]
	v_mov_b32_e32 v29, v24
	v_pk_add_f32 v[24:25], v[30:31], v[28:29] neg_lo:[0,1] neg_hi:[0,1]
	v_cvt_f32_i32_e32 v26, v32
	v_add_f32_e32 v25, v33, v25
	v_add_f32_e32 v24, v24, v25
	v_add_f32_e32 v24, v27, v24
	v_add_f32_e32 v27, v37, v36
	v_sub_f32_e32 v25, v27, v37
	v_mul_f32_e32 v24, v35, v24
	v_sub_f32_e32 v25, v36, v25
	v_add_f32_e32 v24, v25, v24
	v_add_f32_e32 v28, v27, v24
	v_mul_f32_e32 v30, v28, v28
	v_mov_b32_e32 v25, 0x3ecc95a3
	v_sub_f32_e32 v27, v28, v27
	v_fmac_f32_e32 v25, 0x3e9b6dac, v30
	v_sub_f32_e32 v24, v24, v27
	v_fmaak_f32 v25, v30, v25, 0x3f2aaada
	v_ldexp_f32 v31, v24, 1
	v_mul_f32_e32 v27, v28, v30
	v_mov_b32_e32 v24, 0x3f317218
	v_pk_mul_f32 v[24:25], v[26:27], v[24:25]
	v_ldexp_f32 v29, v28, 1
	v_fma_f32 v27, v26, s2, -v24
	v_fmamk_f32 v28, v26, 0xb102e308, v27
	v_pk_add_f32 v[26:27], v[24:25], v[28:29]
	v_mov_b32_e32 v30, v24
	v_sub_f32_e32 v29, v27, v29
	v_sub_f32_e32 v29, v25, v29
	v_add_f32_e32 v31, v31, v29
	v_pk_add_f32 v[24:25], v[26:27], v[24:25] neg_lo:[0,1] neg_hi:[0,1]
	v_pk_add_f32 v[32:33], v[26:27], v[30:31]
	v_mov_b32_e32 v29, v26
	v_mov_b32_e32 v25, v33
	v_pk_add_f32 v[34:35], v[28:29], v[24:25] neg_lo:[0,1] neg_hi:[0,1]
	v_pk_add_f32 v[24:25], v[28:29], v[24:25]
	v_mov_b32_e32 v30, v31
	v_mov_b32_e32 v28, v25
	v_pk_add_f32 v[36:37], v[28:29], v[26:27] neg_lo:[0,1] neg_hi:[0,1]
	v_mov_b32_e32 v24, v33
	v_mov_b32_e32 v29, v36
	v_pk_add_f32 v[38:39], v[32:33], v[28:29] neg_lo:[0,1] neg_hi:[0,1]
	v_mov_b32_e32 v32, v27
	v_mov_b32_e32 v33, v36
	;; [unrolled: 1-line block ×3, first 2 shown]
	v_pk_add_f32 v[24:25], v[24:25], v[32:33] neg_lo:[0,1] neg_hi:[0,1]
	v_mov_b32_e32 v31, v26
	v_pk_add_f32 v[24:25], v[30:31], v[24:25] neg_lo:[0,1] neg_hi:[0,1]
	v_mov_b32_e32 v38, v34
	v_pk_add_f32 v[26:27], v[38:39], v[24:25]
	s_mov_b32 s2, 0x33800000
	v_mov_b32_e32 v30, v27
	v_pk_add_f32 v[30:31], v[26:27], v[30:31]
	v_cmp_lt_f32_e64 s[2:3], |v40|, s2
	v_pk_add_f32 v[28:29], v[28:29], v[30:31]
	v_mov_b32_e32 v25, v30
	v_mov_b32_e32 v27, v28
	v_pk_add_f32 v[32:33], v[26:27], v[34:35] neg_lo:[0,1] neg_hi:[0,1]
	s_or_b64 vcc, vcc, s[2:3]
	v_sub_f32_e32 v26, v26, v32
	v_pk_add_f32 v[24:25], v[24:25], v[32:33] neg_lo:[0,1] neg_hi:[0,1]
	v_sub_f32_e32 v26, v34, v26
	v_add_f32_e32 v24, v24, v26
	v_add_f32_e32 v24, v24, v25
	;; [unrolled: 1-line block ×3, first 2 shown]
	v_cndmask_b32_e32 v24, v24, v40, vcc
	v_add_f32_e32 v24, v23, v24
.LBB489_174:
	s_or_b64 exec, exec, s[0:1]
	v_bfe_u32 v23, v24, 16, 1
	v_add3_u32 v23, v24, v23, s48
	v_lshrrev_b32_e32 v23, 16, v23
	v_cmp_o_f32_e32 vcc, v24, v24
	s_nop 1
	v_cndmask_b32_e32 v22, v22, v23, vcc
	v_lshlrev_b32_e32 v24, 16, v22
	v_max_f32_e32 v25, v24, v24
	v_min_f32_e32 v23, v25, v43
	v_cmp_u_f32_e32 vcc, v24, v24
	v_max_f32_e32 v25, v25, v43
	s_nop 0
	v_cndmask_b32_e32 v23, v23, v24, vcc
	v_cndmask_b32_e32 v25, v25, v24, vcc
	v_cndmask_b32_e64 v23, v23, v7, s[84:85]
	v_cndmask_b32_e64 v7, v25, v7, s[84:85]
	v_cmp_neq_f32_e32 vcc, v23, v7
	v_cmp_class_f32_e64 s[0:1], v23, s33
	s_or_b64 s[2:3], vcc, s[0:1]
	s_and_saveexec_b64 s[0:1], s[2:3]
	s_cbranch_execz .LBB489_176
; %bb.175:
	v_sub_f32_e32 v23, v23, v7
	s_mov_b32 s2, 0x3fb8aa3b
	v_mul_f32_e32 v24, 0x3fb8aa3b, v23
	v_fma_f32 v25, v23, s2, -v24
	v_rndne_f32_e32 v26, v24
	v_fmamk_f32 v25, v23, 0x32a5705f, v25
	v_sub_f32_e32 v24, v24, v26
	v_add_f32_e32 v24, v24, v25
	v_exp_f32_e32 v24, v24
	v_cvt_i32_f32_e32 v25, v26
	s_mov_b32 s2, 0xc2ce8ed0
	v_cmp_ngt_f32_e32 vcc, s2, v23
	s_mov_b32 s2, 0x42b17218
	v_ldexp_f32 v24, v24, v25
	v_cndmask_b32_e32 v24, 0, v24, vcc
	v_mov_b32_e32 v25, 0x7f800000
	v_cmp_nlt_f32_e32 vcc, s2, v23
	s_mov_b32 s2, 0x3f2aaaab
	s_mov_b32 s3, 0x7f800000
	v_cndmask_b32_e32 v40, v25, v24, vcc
	v_add_f32_e32 v23, 1.0, v40
	v_add_f32_e32 v24, -1.0, v23
	v_sub_f32_e32 v25, v24, v23
	v_add_f32_e32 v25, 1.0, v25
	v_sub_f32_e32 v24, v40, v24
	v_add_f32_e32 v26, v24, v25
	v_frexp_mant_f32_e32 v27, v23
	v_cvt_f64_f32_e32 v[24:25], v23
	v_frexp_exp_i32_f64_e32 v24, v[24:25]
	v_cmp_gt_f32_e32 vcc, s2, v27
	s_mov_b32 s2, 0x3f317218
	s_nop 0
	v_subbrev_co_u32_e32 v32, vcc, 0, v24, vcc
	v_sub_u32_e32 v24, 0, v32
	v_ldexp_f32 v23, v23, v24
	v_ldexp_f32 v24, v26, v24
	v_add_f32_e32 v26, -1.0, v23
	v_add_f32_e32 v25, 1.0, v26
	v_sub_f32_e32 v25, v23, v25
	v_add_f32_e32 v27, v24, v25
	v_add_f32_e32 v25, 1.0, v23
	v_add_f32_e32 v28, -1.0, v25
	v_sub_f32_e32 v23, v23, v28
	v_add_f32_e32 v23, v24, v23
	v_add_f32_e32 v33, v25, v23
	v_rcp_f32_e32 v34, v33
	v_sub_f32_e32 v24, v25, v33
	v_add_f32_e32 v25, v26, v27
	v_add_f32_e32 v23, v23, v24
	v_mul_f32_e32 v36, v25, v34
	v_sub_f32_e32 v24, v26, v25
	v_mul_f32_e32 v26, v33, v36
	v_fma_f32 v28, v36, v33, -v26
	v_fmac_f32_e32 v28, v36, v23
	v_add_f32_e32 v35, v27, v24
	v_add_f32_e32 v24, v26, v28
	v_sub_f32_e32 v27, v25, v24
	v_pk_add_f32 v[30:31], v[24:25], v[26:27] neg_lo:[0,1] neg_hi:[0,1]
	v_mov_b32_e32 v29, v24
	v_pk_add_f32 v[24:25], v[30:31], v[28:29] neg_lo:[0,1] neg_hi:[0,1]
	v_cmp_eq_f32_e32 vcc, s3, v40
	v_add_f32_e32 v25, v35, v25
	v_add_f32_e32 v24, v24, v25
	;; [unrolled: 1-line block ×3, first 2 shown]
	v_mul_f32_e32 v35, v34, v25
	v_mul_f32_e32 v26, v33, v35
	v_fma_f32 v28, v35, v33, -v26
	v_fmac_f32_e32 v28, v35, v23
	v_sub_f32_e32 v23, v27, v25
	v_add_f32_e32 v23, v24, v23
	v_add_f32_e32 v24, v26, v28
	v_sub_f32_e32 v27, v25, v24
	v_pk_add_f32 v[30:31], v[24:25], v[26:27] neg_lo:[0,1] neg_hi:[0,1]
	v_mov_b32_e32 v29, v24
	v_pk_add_f32 v[24:25], v[30:31], v[28:29] neg_lo:[0,1] neg_hi:[0,1]
	v_cvt_f32_i32_e32 v26, v32
	v_add_f32_e32 v23, v23, v25
	v_add_f32_e32 v23, v24, v23
	;; [unrolled: 1-line block ×4, first 2 shown]
	v_sub_f32_e32 v25, v24, v36
	v_mul_f32_e32 v23, v34, v23
	v_sub_f32_e32 v25, v35, v25
	v_add_f32_e32 v23, v25, v23
	v_add_f32_e32 v27, v24, v23
	v_mul_f32_e32 v28, v27, v27
	v_mov_b32_e32 v25, 0x3ecc95a3
	v_fmac_f32_e32 v25, 0x3e9b6dac, v28
	v_sub_f32_e32 v24, v27, v24
	v_fmaak_f32 v25, v28, v25, 0x3f2aaada
	v_sub_f32_e32 v23, v23, v24
	v_ldexp_f32 v29, v27, 1
	v_mul_f32_e32 v27, v27, v28
	v_mov_b32_e32 v24, 0x3f317218
	v_pk_mul_f32 v[24:25], v[26:27], v[24:25]
	v_ldexp_f32 v23, v23, 1
	v_fma_f32 v27, v26, s2, -v24
	v_fmamk_f32 v28, v26, 0xb102e308, v27
	v_pk_add_f32 v[26:27], v[24:25], v[28:29]
	v_mov_b32_e32 v30, v24
	v_sub_f32_e32 v29, v27, v29
	v_sub_f32_e32 v29, v25, v29
	v_add_f32_e32 v31, v23, v29
	v_pk_add_f32 v[24:25], v[26:27], v[24:25] neg_lo:[0,1] neg_hi:[0,1]
	v_pk_add_f32 v[32:33], v[26:27], v[30:31]
	v_mov_b32_e32 v29, v26
	v_mov_b32_e32 v25, v33
	v_pk_add_f32 v[34:35], v[28:29], v[24:25] neg_lo:[0,1] neg_hi:[0,1]
	v_pk_add_f32 v[24:25], v[28:29], v[24:25]
	v_mov_b32_e32 v30, v31
	v_mov_b32_e32 v28, v25
	v_pk_add_f32 v[36:37], v[28:29], v[26:27] neg_lo:[0,1] neg_hi:[0,1]
	v_mov_b32_e32 v24, v33
	v_mov_b32_e32 v23, v36
	v_pk_add_f32 v[38:39], v[32:33], v[22:23] neg_lo:[0,1] neg_hi:[0,1]
	v_mov_b32_e32 v32, v27
	v_mov_b32_e32 v33, v36
	v_mov_b32_e32 v35, v25
	v_pk_add_f32 v[24:25], v[24:25], v[32:33] neg_lo:[0,1] neg_hi:[0,1]
	v_mov_b32_e32 v31, v26
	v_pk_add_f32 v[24:25], v[30:31], v[24:25] neg_lo:[0,1] neg_hi:[0,1]
	v_mov_b32_e32 v38, v34
	v_pk_add_f32 v[26:27], v[38:39], v[24:25]
	s_mov_b32 s2, 0x33800000
	v_mov_b32_e32 v30, v27
	v_pk_add_f32 v[30:31], v[26:27], v[30:31]
	v_cmp_lt_f32_e64 s[2:3], |v40|, s2
	v_pk_add_f32 v[28:29], v[28:29], v[30:31]
	v_mov_b32_e32 v25, v30
	v_mov_b32_e32 v27, v28
	v_pk_add_f32 v[32:33], v[26:27], v[34:35] neg_lo:[0,1] neg_hi:[0,1]
	s_or_b64 vcc, vcc, s[2:3]
	v_sub_f32_e32 v23, v26, v32
	v_pk_add_f32 v[24:25], v[24:25], v[32:33] neg_lo:[0,1] neg_hi:[0,1]
	v_sub_f32_e32 v23, v34, v23
	v_add_f32_e32 v23, v24, v23
	v_add_f32_e32 v23, v23, v25
	;; [unrolled: 1-line block ×3, first 2 shown]
	v_cndmask_b32_e32 v23, v23, v40, vcc
	v_add_f32_e32 v24, v7, v23
.LBB489_176:
	s_or_b64 exec, exec, s[0:1]
	v_bfe_u32 v7, v24, 16, 1
	v_add3_u32 v7, v24, v7, s48
	v_lshrrev_b32_e32 v7, 16, v7
	v_mov_b32_e32 v23, 0x7fc0
	v_cmp_o_f32_e32 vcc, v24, v24
	s_nop 1
	v_cndmask_b32_e32 v7, v23, v7, vcc
	v_lshlrev_b32_e32 v25, 16, v7
	v_max_f32_e32 v24, v25, v25
	v_min_f32_e32 v26, v24, v45
	v_cmp_u_f32_e32 vcc, v25, v25
	v_max_f32_e32 v24, v24, v45
	s_nop 0
	v_cndmask_b32_e32 v26, v26, v25, vcc
	v_cndmask_b32_e32 v24, v24, v25, vcc
	v_cndmask_b32_e64 v26, v26, v41, s[86:87]
	v_cndmask_b32_e64 v24, v24, v41, s[86:87]
	v_cmp_neq_f32_e32 vcc, v26, v24
	v_cmp_class_f32_e64 s[0:1], v26, s33
	s_or_b64 s[2:3], vcc, s[0:1]
	s_and_saveexec_b64 s[0:1], s[2:3]
	s_cbranch_execz .LBB489_178
; %bb.177:
	v_sub_f32_e32 v25, v26, v24
	s_mov_b32 s2, 0x3fb8aa3b
	v_mul_f32_e32 v26, 0x3fb8aa3b, v25
	v_fma_f32 v27, v25, s2, -v26
	v_rndne_f32_e32 v28, v26
	v_fmamk_f32 v27, v25, 0x32a5705f, v27
	v_sub_f32_e32 v26, v26, v28
	v_add_f32_e32 v26, v26, v27
	v_exp_f32_e32 v26, v26
	v_cvt_i32_f32_e32 v27, v28
	s_mov_b32 s2, 0xc2ce8ed0
	v_cmp_ngt_f32_e32 vcc, s2, v25
	s_mov_b32 s2, 0x42b17218
	v_ldexp_f32 v26, v26, v27
	v_cndmask_b32_e32 v26, 0, v26, vcc
	v_mov_b32_e32 v27, 0x7f800000
	v_cmp_nlt_f32_e32 vcc, s2, v25
	s_mov_b32 s2, 0x3f2aaaab
	s_mov_b32 s3, 0x7f800000
	v_cndmask_b32_e32 v42, v27, v26, vcc
	v_add_f32_e32 v25, 1.0, v42
	v_add_f32_e32 v26, -1.0, v25
	v_sub_f32_e32 v27, v26, v25
	v_add_f32_e32 v27, 1.0, v27
	v_sub_f32_e32 v26, v42, v26
	v_add_f32_e32 v28, v26, v27
	v_frexp_mant_f32_e32 v29, v25
	v_cvt_f64_f32_e32 v[26:27], v25
	v_frexp_exp_i32_f64_e32 v26, v[26:27]
	v_cmp_gt_f32_e32 vcc, s2, v29
	s_mov_b32 s2, 0x3f317218
	s_nop 0
	v_subbrev_co_u32_e32 v34, vcc, 0, v26, vcc
	v_sub_u32_e32 v26, 0, v34
	v_ldexp_f32 v25, v25, v26
	v_ldexp_f32 v26, v28, v26
	v_add_f32_e32 v28, -1.0, v25
	v_add_f32_e32 v27, 1.0, v28
	v_sub_f32_e32 v27, v25, v27
	v_add_f32_e32 v29, v26, v27
	v_add_f32_e32 v27, 1.0, v25
	v_add_f32_e32 v30, -1.0, v27
	v_sub_f32_e32 v25, v25, v30
	v_add_f32_e32 v25, v26, v25
	v_add_f32_e32 v35, v27, v25
	v_rcp_f32_e32 v36, v35
	v_sub_f32_e32 v26, v27, v35
	v_add_f32_e32 v27, v28, v29
	v_add_f32_e32 v25, v25, v26
	v_mul_f32_e32 v38, v27, v36
	v_sub_f32_e32 v26, v28, v27
	v_mul_f32_e32 v28, v35, v38
	v_fma_f32 v30, v38, v35, -v28
	v_fmac_f32_e32 v30, v38, v25
	v_add_f32_e32 v37, v29, v26
	v_add_f32_e32 v26, v28, v30
	v_sub_f32_e32 v29, v27, v26
	v_pk_add_f32 v[32:33], v[26:27], v[28:29] neg_lo:[0,1] neg_hi:[0,1]
	v_mov_b32_e32 v31, v26
	v_pk_add_f32 v[26:27], v[32:33], v[30:31] neg_lo:[0,1] neg_hi:[0,1]
	v_cmp_eq_f32_e32 vcc, s3, v42
	v_add_f32_e32 v27, v37, v27
	v_add_f32_e32 v26, v26, v27
	;; [unrolled: 1-line block ×3, first 2 shown]
	v_mul_f32_e32 v37, v36, v27
	v_mul_f32_e32 v28, v35, v37
	v_fma_f32 v30, v37, v35, -v28
	v_fmac_f32_e32 v30, v37, v25
	v_sub_f32_e32 v25, v29, v27
	v_add_f32_e32 v25, v26, v25
	v_add_f32_e32 v26, v28, v30
	v_sub_f32_e32 v29, v27, v26
	v_pk_add_f32 v[32:33], v[26:27], v[28:29] neg_lo:[0,1] neg_hi:[0,1]
	v_mov_b32_e32 v31, v26
	v_pk_add_f32 v[26:27], v[32:33], v[30:31] neg_lo:[0,1] neg_hi:[0,1]
	v_cvt_f32_i32_e32 v28, v34
	v_add_f32_e32 v25, v25, v27
	v_add_f32_e32 v25, v26, v25
	v_add_f32_e32 v26, v38, v37
	v_add_f32_e32 v25, v29, v25
	v_sub_f32_e32 v27, v26, v38
	v_mul_f32_e32 v25, v36, v25
	v_sub_f32_e32 v27, v37, v27
	v_add_f32_e32 v25, v27, v25
	v_add_f32_e32 v29, v26, v25
	v_mul_f32_e32 v30, v29, v29
	v_mov_b32_e32 v27, 0x3ecc95a3
	v_fmac_f32_e32 v27, 0x3e9b6dac, v30
	v_sub_f32_e32 v26, v29, v26
	v_fmaak_f32 v27, v30, v27, 0x3f2aaada
	v_sub_f32_e32 v25, v25, v26
	v_ldexp_f32 v31, v29, 1
	v_mul_f32_e32 v29, v29, v30
	v_mov_b32_e32 v26, 0x3f317218
	v_pk_mul_f32 v[26:27], v[28:29], v[26:27]
	v_ldexp_f32 v25, v25, 1
	v_fma_f32 v29, v28, s2, -v26
	v_fmamk_f32 v30, v28, 0xb102e308, v29
	v_pk_add_f32 v[28:29], v[26:27], v[30:31]
	v_mov_b32_e32 v32, v26
	v_sub_f32_e32 v31, v29, v31
	v_sub_f32_e32 v31, v27, v31
	v_add_f32_e32 v33, v25, v31
	v_pk_add_f32 v[26:27], v[28:29], v[26:27] neg_lo:[0,1] neg_hi:[0,1]
	v_pk_add_f32 v[34:35], v[28:29], v[32:33]
	v_mov_b32_e32 v31, v28
	v_mov_b32_e32 v27, v35
	v_pk_add_f32 v[36:37], v[30:31], v[26:27] neg_lo:[0,1] neg_hi:[0,1]
	v_pk_add_f32 v[26:27], v[30:31], v[26:27]
	v_mov_b32_e32 v32, v33
	v_mov_b32_e32 v30, v27
	v_pk_add_f32 v[38:39], v[30:31], v[28:29] neg_lo:[0,1] neg_hi:[0,1]
	v_mov_b32_e32 v26, v35
	v_mov_b32_e32 v25, v38
	v_pk_add_f32 v[40:41], v[34:35], v[24:25] neg_lo:[0,1] neg_hi:[0,1]
	v_mov_b32_e32 v34, v29
	v_mov_b32_e32 v35, v38
	;; [unrolled: 1-line block ×3, first 2 shown]
	v_pk_add_f32 v[26:27], v[26:27], v[34:35] neg_lo:[0,1] neg_hi:[0,1]
	v_mov_b32_e32 v33, v28
	v_pk_add_f32 v[26:27], v[32:33], v[26:27] neg_lo:[0,1] neg_hi:[0,1]
	v_mov_b32_e32 v40, v36
	v_pk_add_f32 v[28:29], v[40:41], v[26:27]
	s_mov_b32 s2, 0x33800000
	v_mov_b32_e32 v32, v29
	v_pk_add_f32 v[32:33], v[28:29], v[32:33]
	v_cmp_lt_f32_e64 s[2:3], |v42|, s2
	v_pk_add_f32 v[30:31], v[30:31], v[32:33]
	v_mov_b32_e32 v27, v32
	v_mov_b32_e32 v29, v30
	v_pk_add_f32 v[34:35], v[28:29], v[36:37] neg_lo:[0,1] neg_hi:[0,1]
	s_or_b64 vcc, vcc, s[2:3]
	v_sub_f32_e32 v25, v28, v34
	v_pk_add_f32 v[26:27], v[26:27], v[34:35] neg_lo:[0,1] neg_hi:[0,1]
	v_sub_f32_e32 v25, v36, v25
	v_add_f32_e32 v25, v26, v25
	v_add_f32_e32 v25, v25, v27
	;; [unrolled: 1-line block ×3, first 2 shown]
	v_cndmask_b32_e32 v25, v25, v42, vcc
	v_add_f32_e32 v25, v24, v25
.LBB489_178:
	s_or_b64 exec, exec, s[0:1]
	v_bfe_u32 v24, v25, 16, 1
	v_add3_u32 v24, v25, v24, s48
	v_lshrrev_b32_e32 v24, 16, v24
	v_cmp_o_f32_e32 vcc, v25, v25
	s_nop 1
	v_cndmask_b32_e32 v23, v23, v24, vcc
	v_lshlrev_b32_e32 v25, 16, v23
	v_max_f32_e32 v26, v25, v25
	v_min_f32_e32 v24, v26, v46
	v_cmp_u_f32_e32 vcc, v25, v25
	v_max_f32_e32 v26, v26, v46
	s_nop 0
	v_cndmask_b32_e32 v24, v24, v25, vcc
	v_cndmask_b32_e32 v26, v26, v25, vcc
	v_cndmask_b32_e64 v24, v24, v8, s[88:89]
	v_cndmask_b32_e64 v8, v26, v8, s[88:89]
	v_cmp_neq_f32_e32 vcc, v24, v8
	v_cmp_class_f32_e64 s[0:1], v24, s33
	s_or_b64 s[2:3], vcc, s[0:1]
	s_and_saveexec_b64 s[0:1], s[2:3]
	s_cbranch_execz .LBB489_180
; %bb.179:
	v_sub_f32_e32 v24, v24, v8
	s_mov_b32 s2, 0x3fb8aa3b
	v_mul_f32_e32 v25, 0x3fb8aa3b, v24
	v_fma_f32 v26, v24, s2, -v25
	v_rndne_f32_e32 v27, v25
	v_fmamk_f32 v26, v24, 0x32a5705f, v26
	v_sub_f32_e32 v25, v25, v27
	v_add_f32_e32 v25, v25, v26
	v_exp_f32_e32 v25, v25
	v_cvt_i32_f32_e32 v26, v27
	s_mov_b32 s2, 0xc2ce8ed0
	v_cmp_ngt_f32_e32 vcc, s2, v24
	s_mov_b32 s2, 0x42b17218
	v_ldexp_f32 v25, v25, v26
	v_cndmask_b32_e32 v25, 0, v25, vcc
	v_mov_b32_e32 v26, 0x7f800000
	v_cmp_nlt_f32_e32 vcc, s2, v24
	s_mov_b32 s2, 0x3f2aaaab
	s_mov_b32 s3, 0x7f800000
	v_cndmask_b32_e32 v40, v26, v25, vcc
	v_add_f32_e32 v26, 1.0, v40
	v_add_f32_e32 v24, -1.0, v26
	v_sub_f32_e32 v25, v24, v26
	v_add_f32_e32 v25, 1.0, v25
	v_sub_f32_e32 v24, v40, v24
	v_add_f32_e32 v27, v24, v25
	v_frexp_mant_f32_e32 v28, v26
	v_cvt_f64_f32_e32 v[24:25], v26
	v_frexp_exp_i32_f64_e32 v24, v[24:25]
	v_cmp_gt_f32_e32 vcc, s2, v28
	s_mov_b32 s2, 0x3f317218
	s_nop 0
	v_subbrev_co_u32_e32 v32, vcc, 0, v24, vcc
	v_sub_u32_e32 v24, 0, v32
	v_ldexp_f32 v25, v26, v24
	v_add_f32_e32 v26, -1.0, v25
	v_add_f32_e32 v28, 1.0, v25
	v_ldexp_f32 v24, v27, v24
	v_add_f32_e32 v27, 1.0, v26
	v_add_f32_e32 v29, -1.0, v28
	v_sub_f32_e32 v27, v25, v27
	v_sub_f32_e32 v25, v25, v29
	v_add_f32_e32 v27, v24, v27
	v_add_f32_e32 v24, v24, v25
	;; [unrolled: 1-line block ×3, first 2 shown]
	v_rcp_f32_e32 v35, v33
	v_sub_f32_e32 v25, v28, v33
	v_add_f32_e32 v34, v24, v25
	v_add_f32_e32 v25, v26, v27
	v_mul_f32_e32 v37, v25, v35
	v_sub_f32_e32 v24, v26, v25
	v_mul_f32_e32 v26, v33, v37
	v_fma_f32 v28, v37, v33, -v26
	v_fmac_f32_e32 v28, v37, v34
	v_add_f32_e32 v36, v27, v24
	v_add_f32_e32 v24, v26, v28
	v_sub_f32_e32 v27, v25, v24
	v_pk_add_f32 v[30:31], v[24:25], v[26:27] neg_lo:[0,1] neg_hi:[0,1]
	v_mov_b32_e32 v29, v24
	v_pk_add_f32 v[24:25], v[30:31], v[28:29] neg_lo:[0,1] neg_hi:[0,1]
	v_cmp_eq_f32_e32 vcc, s3, v40
	v_add_f32_e32 v25, v36, v25
	v_add_f32_e32 v24, v24, v25
	v_add_f32_e32 v25, v27, v24
	v_mul_f32_e32 v36, v35, v25
	v_mul_f32_e32 v26, v33, v36
	v_fma_f32 v28, v36, v33, -v26
	v_fmac_f32_e32 v28, v36, v34
	v_sub_f32_e32 v27, v27, v25
	v_add_f32_e32 v33, v24, v27
	v_add_f32_e32 v24, v26, v28
	v_sub_f32_e32 v27, v25, v24
	v_pk_add_f32 v[30:31], v[24:25], v[26:27] neg_lo:[0,1] neg_hi:[0,1]
	v_mov_b32_e32 v29, v24
	v_pk_add_f32 v[24:25], v[30:31], v[28:29] neg_lo:[0,1] neg_hi:[0,1]
	v_cvt_f32_i32_e32 v26, v32
	v_add_f32_e32 v25, v33, v25
	v_add_f32_e32 v24, v24, v25
	;; [unrolled: 1-line block ×4, first 2 shown]
	v_sub_f32_e32 v25, v27, v37
	v_mul_f32_e32 v24, v35, v24
	v_sub_f32_e32 v25, v36, v25
	v_add_f32_e32 v24, v25, v24
	v_add_f32_e32 v28, v27, v24
	v_mul_f32_e32 v30, v28, v28
	v_mov_b32_e32 v25, 0x3ecc95a3
	v_sub_f32_e32 v27, v28, v27
	v_fmac_f32_e32 v25, 0x3e9b6dac, v30
	v_sub_f32_e32 v24, v24, v27
	v_fmaak_f32 v25, v30, v25, 0x3f2aaada
	v_ldexp_f32 v31, v24, 1
	v_mul_f32_e32 v27, v28, v30
	v_mov_b32_e32 v24, 0x3f317218
	v_pk_mul_f32 v[24:25], v[26:27], v[24:25]
	v_ldexp_f32 v29, v28, 1
	v_fma_f32 v27, v26, s2, -v24
	v_fmamk_f32 v28, v26, 0xb102e308, v27
	v_pk_add_f32 v[26:27], v[24:25], v[28:29]
	v_mov_b32_e32 v30, v24
	v_sub_f32_e32 v29, v27, v29
	v_sub_f32_e32 v29, v25, v29
	v_add_f32_e32 v31, v31, v29
	v_pk_add_f32 v[24:25], v[26:27], v[24:25] neg_lo:[0,1] neg_hi:[0,1]
	v_pk_add_f32 v[32:33], v[26:27], v[30:31]
	v_mov_b32_e32 v29, v26
	v_mov_b32_e32 v25, v33
	v_pk_add_f32 v[34:35], v[28:29], v[24:25] neg_lo:[0,1] neg_hi:[0,1]
	v_pk_add_f32 v[24:25], v[28:29], v[24:25]
	v_mov_b32_e32 v30, v31
	v_mov_b32_e32 v28, v25
	v_pk_add_f32 v[36:37], v[28:29], v[26:27] neg_lo:[0,1] neg_hi:[0,1]
	v_mov_b32_e32 v24, v33
	v_mov_b32_e32 v29, v36
	v_pk_add_f32 v[38:39], v[32:33], v[28:29] neg_lo:[0,1] neg_hi:[0,1]
	v_mov_b32_e32 v32, v27
	v_mov_b32_e32 v33, v36
	;; [unrolled: 1-line block ×3, first 2 shown]
	v_pk_add_f32 v[24:25], v[24:25], v[32:33] neg_lo:[0,1] neg_hi:[0,1]
	v_mov_b32_e32 v31, v26
	v_pk_add_f32 v[24:25], v[30:31], v[24:25] neg_lo:[0,1] neg_hi:[0,1]
	v_mov_b32_e32 v38, v34
	v_pk_add_f32 v[26:27], v[38:39], v[24:25]
	s_mov_b32 s2, 0x33800000
	v_mov_b32_e32 v30, v27
	v_pk_add_f32 v[30:31], v[26:27], v[30:31]
	v_cmp_lt_f32_e64 s[2:3], |v40|, s2
	v_pk_add_f32 v[28:29], v[28:29], v[30:31]
	v_mov_b32_e32 v25, v30
	v_mov_b32_e32 v27, v28
	v_pk_add_f32 v[32:33], v[26:27], v[34:35] neg_lo:[0,1] neg_hi:[0,1]
	s_or_b64 vcc, vcc, s[2:3]
	v_sub_f32_e32 v26, v26, v32
	v_pk_add_f32 v[24:25], v[24:25], v[32:33] neg_lo:[0,1] neg_hi:[0,1]
	v_sub_f32_e32 v26, v34, v26
	v_add_f32_e32 v24, v24, v26
	v_add_f32_e32 v24, v24, v25
	;; [unrolled: 1-line block ×3, first 2 shown]
	v_cndmask_b32_e32 v24, v24, v40, vcc
	v_add_f32_e32 v25, v8, v24
.LBB489_180:
	s_or_b64 exec, exec, s[0:1]
	v_bfe_u32 v8, v25, 16, 1
	v_add3_u32 v8, v25, v8, s48
	v_lshrrev_b32_e32 v8, 16, v8
	v_mov_b32_e32 v24, 0x7fc0
	v_cmp_o_f32_e32 vcc, v25, v25
	s_nop 1
	v_cndmask_b32_e32 v8, v24, v8, vcc
	v_lshlrev_b32_e32 v26, 16, v8
	v_max_f32_e32 v25, v26, v26
	v_min_f32_e32 v27, v25, v47
	v_cmp_u_f32_e32 vcc, v26, v26
	v_max_f32_e32 v25, v25, v47
	s_nop 0
	v_cndmask_b32_e32 v27, v27, v26, vcc
	v_cndmask_b32_e32 v25, v25, v26, vcc
	v_cndmask_b32_e64 v27, v27, v44, s[90:91]
	v_cndmask_b32_e64 v25, v25, v44, s[90:91]
	v_cmp_neq_f32_e32 vcc, v27, v25
	v_cmp_class_f32_e64 s[0:1], v27, s33
	s_or_b64 s[2:3], vcc, s[0:1]
	s_and_saveexec_b64 s[0:1], s[2:3]
	s_cbranch_execz .LBB489_182
; %bb.181:
	v_sub_f32_e32 v26, v27, v25
	s_mov_b32 s2, 0x3fb8aa3b
	v_mul_f32_e32 v27, 0x3fb8aa3b, v26
	v_fma_f32 v28, v26, s2, -v27
	v_rndne_f32_e32 v29, v27
	v_fmamk_f32 v28, v26, 0x32a5705f, v28
	v_sub_f32_e32 v27, v27, v29
	v_add_f32_e32 v27, v27, v28
	v_exp_f32_e32 v27, v27
	v_cvt_i32_f32_e32 v28, v29
	s_mov_b32 s2, 0xc2ce8ed0
	v_cmp_ngt_f32_e32 vcc, s2, v26
	s_mov_b32 s2, 0x42b17218
	v_ldexp_f32 v27, v27, v28
	v_cndmask_b32_e32 v27, 0, v27, vcc
	v_mov_b32_e32 v28, 0x7f800000
	v_cmp_nlt_f32_e32 vcc, s2, v26
	s_mov_b32 s2, 0x3f2aaaab
	s_mov_b32 s3, 0x7f800000
	v_cndmask_b32_e32 v42, v28, v27, vcc
	v_add_f32_e32 v28, 1.0, v42
	v_add_f32_e32 v26, -1.0, v28
	v_sub_f32_e32 v27, v26, v28
	v_add_f32_e32 v27, 1.0, v27
	v_sub_f32_e32 v26, v42, v26
	v_add_f32_e32 v29, v26, v27
	v_frexp_mant_f32_e32 v30, v28
	v_cvt_f64_f32_e32 v[26:27], v28
	v_frexp_exp_i32_f64_e32 v26, v[26:27]
	v_cmp_gt_f32_e32 vcc, s2, v30
	s_mov_b32 s2, 0x3f317218
	s_nop 0
	v_subbrev_co_u32_e32 v34, vcc, 0, v26, vcc
	v_sub_u32_e32 v26, 0, v34
	v_ldexp_f32 v27, v28, v26
	v_add_f32_e32 v28, -1.0, v27
	v_add_f32_e32 v30, 1.0, v27
	v_ldexp_f32 v26, v29, v26
	v_add_f32_e32 v29, 1.0, v28
	v_add_f32_e32 v31, -1.0, v30
	v_sub_f32_e32 v29, v27, v29
	v_sub_f32_e32 v27, v27, v31
	v_add_f32_e32 v29, v26, v29
	v_add_f32_e32 v26, v26, v27
	;; [unrolled: 1-line block ×3, first 2 shown]
	v_rcp_f32_e32 v37, v35
	v_sub_f32_e32 v27, v30, v35
	v_add_f32_e32 v36, v26, v27
	v_add_f32_e32 v27, v28, v29
	v_mul_f32_e32 v39, v27, v37
	v_sub_f32_e32 v26, v28, v27
	v_mul_f32_e32 v28, v35, v39
	v_fma_f32 v30, v39, v35, -v28
	v_fmac_f32_e32 v30, v39, v36
	v_add_f32_e32 v38, v29, v26
	v_add_f32_e32 v26, v28, v30
	v_sub_f32_e32 v29, v27, v26
	v_pk_add_f32 v[32:33], v[26:27], v[28:29] neg_lo:[0,1] neg_hi:[0,1]
	v_mov_b32_e32 v31, v26
	v_pk_add_f32 v[26:27], v[32:33], v[30:31] neg_lo:[0,1] neg_hi:[0,1]
	v_cmp_eq_f32_e32 vcc, s3, v42
	v_add_f32_e32 v27, v38, v27
	v_add_f32_e32 v26, v26, v27
	;; [unrolled: 1-line block ×3, first 2 shown]
	v_mul_f32_e32 v38, v37, v27
	v_mul_f32_e32 v28, v35, v38
	v_fma_f32 v30, v38, v35, -v28
	v_fmac_f32_e32 v30, v38, v36
	v_sub_f32_e32 v29, v29, v27
	v_add_f32_e32 v35, v26, v29
	v_add_f32_e32 v26, v28, v30
	v_sub_f32_e32 v29, v27, v26
	v_pk_add_f32 v[32:33], v[26:27], v[28:29] neg_lo:[0,1] neg_hi:[0,1]
	v_mov_b32_e32 v31, v26
	v_pk_add_f32 v[26:27], v[32:33], v[30:31] neg_lo:[0,1] neg_hi:[0,1]
	v_cvt_f32_i32_e32 v28, v34
	v_add_f32_e32 v27, v35, v27
	v_add_f32_e32 v26, v26, v27
	;; [unrolled: 1-line block ×4, first 2 shown]
	v_sub_f32_e32 v27, v29, v39
	v_mul_f32_e32 v26, v37, v26
	v_sub_f32_e32 v27, v38, v27
	v_add_f32_e32 v26, v27, v26
	v_add_f32_e32 v30, v29, v26
	v_mul_f32_e32 v32, v30, v30
	v_mov_b32_e32 v27, 0x3ecc95a3
	v_sub_f32_e32 v29, v30, v29
	v_fmac_f32_e32 v27, 0x3e9b6dac, v32
	v_sub_f32_e32 v26, v26, v29
	v_fmaak_f32 v27, v32, v27, 0x3f2aaada
	v_ldexp_f32 v33, v26, 1
	v_mul_f32_e32 v29, v30, v32
	v_mov_b32_e32 v26, 0x3f317218
	v_pk_mul_f32 v[26:27], v[28:29], v[26:27]
	v_ldexp_f32 v31, v30, 1
	v_fma_f32 v29, v28, s2, -v26
	v_fmamk_f32 v30, v28, 0xb102e308, v29
	v_pk_add_f32 v[28:29], v[26:27], v[30:31]
	v_mov_b32_e32 v32, v26
	v_sub_f32_e32 v31, v29, v31
	v_sub_f32_e32 v31, v27, v31
	v_add_f32_e32 v33, v33, v31
	v_pk_add_f32 v[26:27], v[28:29], v[26:27] neg_lo:[0,1] neg_hi:[0,1]
	v_pk_add_f32 v[34:35], v[28:29], v[32:33]
	v_mov_b32_e32 v31, v28
	v_mov_b32_e32 v27, v35
	v_pk_add_f32 v[36:37], v[30:31], v[26:27] neg_lo:[0,1] neg_hi:[0,1]
	v_pk_add_f32 v[26:27], v[30:31], v[26:27]
	v_mov_b32_e32 v32, v33
	v_mov_b32_e32 v30, v27
	v_pk_add_f32 v[38:39], v[30:31], v[28:29] neg_lo:[0,1] neg_hi:[0,1]
	v_mov_b32_e32 v26, v35
	v_mov_b32_e32 v31, v38
	v_pk_add_f32 v[40:41], v[34:35], v[30:31] neg_lo:[0,1] neg_hi:[0,1]
	v_mov_b32_e32 v34, v29
	v_mov_b32_e32 v35, v38
	;; [unrolled: 1-line block ×3, first 2 shown]
	v_pk_add_f32 v[26:27], v[26:27], v[34:35] neg_lo:[0,1] neg_hi:[0,1]
	v_mov_b32_e32 v33, v28
	v_pk_add_f32 v[26:27], v[32:33], v[26:27] neg_lo:[0,1] neg_hi:[0,1]
	v_mov_b32_e32 v40, v36
	v_pk_add_f32 v[28:29], v[40:41], v[26:27]
	s_mov_b32 s2, 0x33800000
	v_mov_b32_e32 v32, v29
	v_pk_add_f32 v[32:33], v[28:29], v[32:33]
	v_cmp_lt_f32_e64 s[2:3], |v42|, s2
	v_pk_add_f32 v[30:31], v[30:31], v[32:33]
	v_mov_b32_e32 v27, v32
	v_mov_b32_e32 v29, v30
	v_pk_add_f32 v[34:35], v[28:29], v[36:37] neg_lo:[0,1] neg_hi:[0,1]
	s_or_b64 vcc, vcc, s[2:3]
	v_sub_f32_e32 v28, v28, v34
	v_pk_add_f32 v[26:27], v[26:27], v[34:35] neg_lo:[0,1] neg_hi:[0,1]
	v_sub_f32_e32 v28, v36, v28
	v_add_f32_e32 v26, v26, v28
	v_add_f32_e32 v26, v26, v27
	;; [unrolled: 1-line block ×3, first 2 shown]
	v_cndmask_b32_e32 v26, v26, v42, vcc
	v_add_f32_e32 v26, v25, v26
.LBB489_182:
	s_or_b64 exec, exec, s[0:1]
	v_bfe_u32 v25, v26, 16, 1
	v_add3_u32 v25, v26, v25, s48
	v_lshrrev_b32_e32 v25, 16, v25
	v_cmp_o_f32_e32 vcc, v26, v26
	s_movk_i32 s0, 0x1f8
	s_nop 0
	v_cndmask_b32_e32 v24, v24, v25, vcc
	v_lshlrev_b32_e32 v25, 16, v24
	v_max_f32_e32 v27, v25, v25
	v_min_f32_e32 v26, v27, v48
	v_cmp_u_f32_e32 vcc, v25, v25
	v_max_f32_e32 v27, v27, v48
	s_nop 0
	v_cndmask_b32_e32 v26, v26, v25, vcc
	v_cndmask_b32_e32 v27, v27, v25, vcc
	v_cndmask_b32_e64 v26, v26, v9, s[92:93]
	v_cndmask_b32_e64 v9, v27, v9, s[92:93]
	v_cmp_neq_f32_e32 vcc, v26, v9
	v_cmp_class_f32_e64 s[0:1], v26, s0
	s_or_b64 s[2:3], vcc, s[0:1]
	s_and_saveexec_b64 s[0:1], s[2:3]
	s_cbranch_execz .LBB489_184
; %bb.183:
	v_sub_f32_e32 v25, v26, v9
	s_mov_b32 s2, 0x3fb8aa3b
	v_mul_f32_e32 v26, 0x3fb8aa3b, v25
	v_fma_f32 v27, v25, s2, -v26
	v_rndne_f32_e32 v28, v26
	v_fmamk_f32 v27, v25, 0x32a5705f, v27
	v_sub_f32_e32 v26, v26, v28
	v_add_f32_e32 v26, v26, v27
	v_exp_f32_e32 v26, v26
	v_cvt_i32_f32_e32 v27, v28
	s_mov_b32 s2, 0xc2ce8ed0
	v_cmp_ngt_f32_e32 vcc, s2, v25
	s_mov_b32 s2, 0x42b17218
	v_ldexp_f32 v26, v26, v27
	v_cndmask_b32_e32 v26, 0, v26, vcc
	v_mov_b32_e32 v27, 0x7f800000
	v_cmp_nlt_f32_e32 vcc, s2, v25
	s_mov_b32 s2, 0x3f2aaaab
	s_mov_b32 s3, 0x7f800000
	v_cndmask_b32_e32 v42, v27, v26, vcc
	v_add_f32_e32 v25, 1.0, v42
	v_add_f32_e32 v26, -1.0, v25
	v_sub_f32_e32 v27, v26, v25
	v_add_f32_e32 v27, 1.0, v27
	v_sub_f32_e32 v26, v42, v26
	v_add_f32_e32 v28, v26, v27
	v_frexp_mant_f32_e32 v29, v25
	v_cvt_f64_f32_e32 v[26:27], v25
	v_frexp_exp_i32_f64_e32 v26, v[26:27]
	v_cmp_gt_f32_e32 vcc, s2, v29
	s_mov_b32 s2, 0x3f317218
	s_nop 0
	v_subbrev_co_u32_e32 v34, vcc, 0, v26, vcc
	v_sub_u32_e32 v26, 0, v34
	v_ldexp_f32 v25, v25, v26
	v_ldexp_f32 v26, v28, v26
	v_add_f32_e32 v28, -1.0, v25
	v_add_f32_e32 v27, 1.0, v28
	v_sub_f32_e32 v27, v25, v27
	v_add_f32_e32 v29, v26, v27
	v_add_f32_e32 v27, 1.0, v25
	v_add_f32_e32 v30, -1.0, v27
	v_sub_f32_e32 v25, v25, v30
	v_add_f32_e32 v25, v26, v25
	v_add_f32_e32 v35, v27, v25
	v_rcp_f32_e32 v36, v35
	v_sub_f32_e32 v26, v27, v35
	v_add_f32_e32 v27, v28, v29
	v_add_f32_e32 v25, v25, v26
	v_mul_f32_e32 v38, v27, v36
	v_sub_f32_e32 v26, v28, v27
	v_mul_f32_e32 v28, v35, v38
	v_fma_f32 v30, v38, v35, -v28
	v_fmac_f32_e32 v30, v38, v25
	v_add_f32_e32 v37, v29, v26
	v_add_f32_e32 v26, v28, v30
	v_sub_f32_e32 v29, v27, v26
	v_pk_add_f32 v[32:33], v[26:27], v[28:29] neg_lo:[0,1] neg_hi:[0,1]
	v_mov_b32_e32 v31, v26
	v_pk_add_f32 v[26:27], v[32:33], v[30:31] neg_lo:[0,1] neg_hi:[0,1]
	v_cmp_eq_f32_e32 vcc, s3, v42
	v_add_f32_e32 v27, v37, v27
	v_add_f32_e32 v26, v26, v27
	;; [unrolled: 1-line block ×3, first 2 shown]
	v_mul_f32_e32 v37, v36, v27
	v_mul_f32_e32 v28, v35, v37
	v_fma_f32 v30, v37, v35, -v28
	v_fmac_f32_e32 v30, v37, v25
	v_sub_f32_e32 v25, v29, v27
	v_add_f32_e32 v25, v26, v25
	v_add_f32_e32 v26, v28, v30
	v_sub_f32_e32 v29, v27, v26
	v_pk_add_f32 v[32:33], v[26:27], v[28:29] neg_lo:[0,1] neg_hi:[0,1]
	v_mov_b32_e32 v31, v26
	v_pk_add_f32 v[26:27], v[32:33], v[30:31] neg_lo:[0,1] neg_hi:[0,1]
	v_cvt_f32_i32_e32 v28, v34
	v_add_f32_e32 v25, v25, v27
	v_add_f32_e32 v25, v26, v25
	;; [unrolled: 1-line block ×4, first 2 shown]
	v_sub_f32_e32 v27, v26, v38
	v_mul_f32_e32 v25, v36, v25
	v_sub_f32_e32 v27, v37, v27
	v_add_f32_e32 v25, v27, v25
	v_add_f32_e32 v29, v26, v25
	v_mul_f32_e32 v30, v29, v29
	v_mov_b32_e32 v27, 0x3ecc95a3
	v_fmac_f32_e32 v27, 0x3e9b6dac, v30
	v_sub_f32_e32 v26, v29, v26
	v_fmaak_f32 v27, v30, v27, 0x3f2aaada
	v_sub_f32_e32 v25, v25, v26
	v_ldexp_f32 v31, v29, 1
	v_mul_f32_e32 v29, v29, v30
	v_mov_b32_e32 v26, 0x3f317218
	v_pk_mul_f32 v[26:27], v[28:29], v[26:27]
	v_ldexp_f32 v25, v25, 1
	v_fma_f32 v29, v28, s2, -v26
	v_fmamk_f32 v30, v28, 0xb102e308, v29
	v_pk_add_f32 v[28:29], v[26:27], v[30:31]
	v_mov_b32_e32 v32, v26
	v_sub_f32_e32 v31, v29, v31
	v_sub_f32_e32 v31, v27, v31
	v_add_f32_e32 v33, v25, v31
	v_pk_add_f32 v[26:27], v[28:29], v[26:27] neg_lo:[0,1] neg_hi:[0,1]
	v_pk_add_f32 v[34:35], v[28:29], v[32:33]
	v_mov_b32_e32 v31, v28
	v_mov_b32_e32 v27, v35
	v_pk_add_f32 v[36:37], v[30:31], v[26:27] neg_lo:[0,1] neg_hi:[0,1]
	v_pk_add_f32 v[26:27], v[30:31], v[26:27]
	v_mov_b32_e32 v32, v33
	v_mov_b32_e32 v30, v27
	v_pk_add_f32 v[38:39], v[30:31], v[28:29] neg_lo:[0,1] neg_hi:[0,1]
	v_mov_b32_e32 v26, v35
	v_mov_b32_e32 v25, v38
	v_pk_add_f32 v[40:41], v[34:35], v[24:25] neg_lo:[0,1] neg_hi:[0,1]
	v_mov_b32_e32 v34, v29
	v_mov_b32_e32 v35, v38
	;; [unrolled: 1-line block ×3, first 2 shown]
	v_pk_add_f32 v[26:27], v[26:27], v[34:35] neg_lo:[0,1] neg_hi:[0,1]
	v_mov_b32_e32 v33, v28
	v_pk_add_f32 v[26:27], v[32:33], v[26:27] neg_lo:[0,1] neg_hi:[0,1]
	v_mov_b32_e32 v40, v36
	v_pk_add_f32 v[28:29], v[40:41], v[26:27]
	s_mov_b32 s2, 0x33800000
	v_mov_b32_e32 v32, v29
	v_pk_add_f32 v[32:33], v[28:29], v[32:33]
	v_cmp_lt_f32_e64 s[2:3], |v42|, s2
	v_pk_add_f32 v[30:31], v[30:31], v[32:33]
	v_mov_b32_e32 v27, v32
	v_mov_b32_e32 v29, v30
	v_pk_add_f32 v[34:35], v[28:29], v[36:37] neg_lo:[0,1] neg_hi:[0,1]
	s_or_b64 vcc, vcc, s[2:3]
	v_sub_f32_e32 v25, v28, v34
	v_pk_add_f32 v[26:27], v[26:27], v[34:35] neg_lo:[0,1] neg_hi:[0,1]
	v_sub_f32_e32 v25, v36, v25
	v_add_f32_e32 v25, v26, v25
	v_add_f32_e32 v25, v25, v27
	;; [unrolled: 1-line block ×3, first 2 shown]
	v_cndmask_b32_e32 v25, v25, v42, vcc
	v_add_f32_e32 v25, v9, v25
.LBB489_184:
	s_or_b64 exec, exec, s[0:1]
	v_bfe_u32 v9, v25, 16, 1
	s_movk_i32 s0, 0x7fff
	v_add3_u32 v9, v25, v9, s0
	s_mov_b32 s0, 0x5040100
	v_lshrrev_b32_e32 v9, 16, v9
	v_mov_b32_e32 v26, 0x7fc0
	v_cmp_o_f32_e32 vcc, v25, v25
	v_add_u32_e32 v25, v14, v53
	v_perm_b32 v5, v5, v16, s0
	v_perm_b32 v4, v4, v15, s0
	;; [unrolled: 1-line block ×4, first 2 shown]
	v_cndmask_b32_e32 v9, v26, v9, vcc
	s_waitcnt lgkmcnt(0)
	s_barrier
	ds_write_b128 v25, v[2:5]
	v_perm_b32 v3, v13, v20, s0
	v_perm_b32 v2, v12, v19, s0
	v_perm_b32 v1, v11, v18, s0
	v_perm_b32 v0, v10, v17, s0
	ds_write_b128 v25, v[0:3] offset:16
	v_perm_b32 v2, v8, v23, s0
	v_perm_b32 v1, v7, v22, s0
	;; [unrolled: 1-line block ×4, first 2 shown]
	ds_write_b128 v25, v[0:3] offset:32
	s_waitcnt lgkmcnt(0)
	s_barrier
	ds_read_u16 v26, v14 offset:512
	ds_read_u16 v25, v14 offset:1024
	ds_read_u16 v24, v14 offset:1536
	ds_read_u16 v23, v14 offset:2048
	ds_read_u16 v22, v14 offset:2560
	ds_read_u16 v21, v14 offset:3072
	ds_read_u16 v20, v14 offset:3584
	ds_read_u16 v19, v14 offset:4096
	ds_read_u16 v18, v14 offset:4608
	ds_read_u16 v17, v14 offset:5120
	ds_read_u16 v16, v14 offset:5632
	ds_read_u16 v13, v14 offset:6144
	ds_read_u16 v12, v14 offset:6656
	ds_read_u16 v11, v14 offset:7168
	ds_read_u16 v10, v14 offset:7680
	ds_read_u16 v9, v14 offset:8192
	ds_read_u16 v8, v14 offset:8704
	ds_read_u16 v7, v14 offset:9216
	ds_read_u16 v6, v14 offset:9728
	ds_read_u16 v5, v14 offset:10240
	ds_read_u16 v4, v14 offset:10752
	ds_read_u16 v3, v14 offset:11264
	ds_read_u16 v2, v14 offset:11776
	v_readlane_b32 s0, v77, 6
	v_mov_b32_e32 v15, 0
	v_readlane_b32 s1, v77, 7
	s_nop 1
	v_lshl_add_u64 v[0:1], s[0:1], 0, v[14:15]
	s_mov_b64 s[0:1], exec
	v_readlane_b32 s2, v77, 0
	v_readlane_b32 s3, v77, 1
	s_and_b64 s[2:3], s[0:1], s[2:3]
	s_mov_b64 exec, s[2:3]
	s_cbranch_execz .LBB489_186
; %bb.185:
	ds_read_u16 v14, v14
	s_waitcnt lgkmcnt(0)
	global_store_short v[0:1], v14, off
.LBB489_186:
	s_or_b64 exec, exec, s[0:1]
	s_mov_b64 s[0:1], exec
	v_readlane_b32 s2, v77, 2
	v_readlane_b32 s3, v77, 3
	s_and_b64 s[2:3], s[0:1], s[2:3]
	s_mov_b64 exec, s[2:3]
	s_cbranch_execz .LBB489_188
; %bb.187:
	s_waitcnt lgkmcnt(14)
	global_store_short v[0:1], v26, off offset:512
.LBB489_188:
	s_or_b64 exec, exec, s[0:1]
	s_mov_b64 s[0:1], exec
	v_readlane_b32 s2, v77, 4
	v_readlane_b32 s3, v77, 5
	s_and_b64 s[2:3], s[0:1], s[2:3]
	s_mov_b64 exec, s[2:3]
	s_cbranch_execnz .LBB489_211
; %bb.189:
	s_or_b64 exec, exec, s[0:1]
	s_and_saveexec_b64 s[0:1], s[4:5]
	s_cbranch_execnz .LBB489_212
.LBB489_190:
	s_or_b64 exec, exec, s[0:1]
	s_and_saveexec_b64 s[0:1], s[6:7]
	s_cbranch_execnz .LBB489_213
.LBB489_191:
	s_or_b64 exec, exec, s[0:1]
	s_and_saveexec_b64 s[0:1], s[8:9]
	s_cbranch_execnz .LBB489_214
.LBB489_192:
	s_or_b64 exec, exec, s[0:1]
	s_and_saveexec_b64 s[0:1], s[10:11]
	s_cbranch_execnz .LBB489_215
.LBB489_193:
	s_or_b64 exec, exec, s[0:1]
	s_and_saveexec_b64 s[0:1], s[12:13]
	s_cbranch_execnz .LBB489_216
.LBB489_194:
	s_or_b64 exec, exec, s[0:1]
	s_and_saveexec_b64 s[0:1], s[14:15]
	s_cbranch_execnz .LBB489_217
.LBB489_195:
	s_or_b64 exec, exec, s[0:1]
	s_and_saveexec_b64 s[0:1], s[16:17]
	s_cbranch_execnz .LBB489_218
.LBB489_196:
	s_or_b64 exec, exec, s[0:1]
	s_and_saveexec_b64 s[0:1], s[18:19]
	s_cbranch_execnz .LBB489_219
.LBB489_197:
	s_or_b64 exec, exec, s[0:1]
	s_and_saveexec_b64 s[0:1], s[20:21]
	s_cbranch_execnz .LBB489_220
.LBB489_198:
	s_or_b64 exec, exec, s[0:1]
	s_and_saveexec_b64 s[0:1], s[22:23]
	s_cbranch_execnz .LBB489_221
.LBB489_199:
	s_or_b64 exec, exec, s[0:1]
	s_and_saveexec_b64 s[0:1], s[24:25]
	s_cbranch_execnz .LBB489_222
.LBB489_200:
	s_or_b64 exec, exec, s[0:1]
	s_and_saveexec_b64 s[0:1], s[26:27]
	s_cbranch_execnz .LBB489_223
.LBB489_201:
	s_or_b64 exec, exec, s[0:1]
	s_and_saveexec_b64 s[0:1], s[28:29]
	s_cbranch_execnz .LBB489_224
.LBB489_202:
	s_or_b64 exec, exec, s[0:1]
	s_and_saveexec_b64 s[0:1], s[30:31]
	s_cbranch_execnz .LBB489_225
.LBB489_203:
	s_or_b64 exec, exec, s[0:1]
	s_and_saveexec_b64 s[0:1], s[34:35]
	s_cbranch_execnz .LBB489_226
.LBB489_204:
	s_or_b64 exec, exec, s[0:1]
	s_and_saveexec_b64 s[0:1], s[36:37]
	s_cbranch_execnz .LBB489_227
.LBB489_205:
	s_or_b64 exec, exec, s[0:1]
	s_and_saveexec_b64 s[0:1], s[38:39]
	s_cbranch_execnz .LBB489_228
.LBB489_206:
	s_or_b64 exec, exec, s[0:1]
	s_and_saveexec_b64 s[0:1], s[40:41]
	s_cbranch_execnz .LBB489_229
.LBB489_207:
	s_or_b64 exec, exec, s[0:1]
	s_and_saveexec_b64 s[0:1], s[42:43]
	s_cbranch_execnz .LBB489_230
.LBB489_208:
	s_or_b64 exec, exec, s[0:1]
	s_and_saveexec_b64 s[0:1], s[44:45]
	s_cbranch_execnz .LBB489_231
.LBB489_209:
	s_or_b64 exec, exec, s[0:1]
	s_and_saveexec_b64 s[0:1], s[46:47]
	s_cbranch_execnz .LBB489_232
.LBB489_210:
	s_endpgm
.LBB489_211:
	s_waitcnt lgkmcnt(14)
	global_store_short v[0:1], v25, off offset:1024
	s_or_b64 exec, exec, s[0:1]
	s_and_saveexec_b64 s[0:1], s[4:5]
	s_cbranch_execz .LBB489_190
.LBB489_212:
	s_waitcnt lgkmcnt(14)
	global_store_short v[0:1], v24, off offset:1536
	s_or_b64 exec, exec, s[0:1]
	s_and_saveexec_b64 s[0:1], s[6:7]
	s_cbranch_execz .LBB489_191
.LBB489_213:
	s_waitcnt lgkmcnt(14)
	global_store_short v[0:1], v23, off offset:2048
	s_or_b64 exec, exec, s[0:1]
	s_and_saveexec_b64 s[0:1], s[8:9]
	s_cbranch_execz .LBB489_192
.LBB489_214:
	s_waitcnt lgkmcnt(14)
	global_store_short v[0:1], v22, off offset:2560
	s_or_b64 exec, exec, s[0:1]
	s_and_saveexec_b64 s[0:1], s[10:11]
	s_cbranch_execz .LBB489_193
.LBB489_215:
	s_waitcnt lgkmcnt(14)
	global_store_short v[0:1], v21, off offset:3072
	s_or_b64 exec, exec, s[0:1]
	s_and_saveexec_b64 s[0:1], s[12:13]
	s_cbranch_execz .LBB489_194
.LBB489_216:
	s_waitcnt lgkmcnt(14)
	global_store_short v[0:1], v20, off offset:3584
	s_or_b64 exec, exec, s[0:1]
	s_and_saveexec_b64 s[0:1], s[14:15]
	s_cbranch_execz .LBB489_195
.LBB489_217:
	v_add_co_u32_e32 v14, vcc, 0x1000, v0
	s_nop 1
	v_addc_co_u32_e32 v15, vcc, 0, v1, vcc
	s_waitcnt lgkmcnt(14)
	global_store_short v[14:15], v19, off
	s_or_b64 exec, exec, s[0:1]
	s_and_saveexec_b64 s[0:1], s[16:17]
	s_cbranch_execz .LBB489_196
.LBB489_218:
	v_add_co_u32_e32 v14, vcc, 0x1000, v0
	s_nop 1
	v_addc_co_u32_e32 v15, vcc, 0, v1, vcc
	s_waitcnt lgkmcnt(14)
	global_store_short v[14:15], v18, off offset:512
	s_or_b64 exec, exec, s[0:1]
	s_and_saveexec_b64 s[0:1], s[18:19]
	s_cbranch_execz .LBB489_197
.LBB489_219:
	v_add_co_u32_e32 v14, vcc, 0x1000, v0
	s_nop 1
	v_addc_co_u32_e32 v15, vcc, 0, v1, vcc
	s_waitcnt lgkmcnt(13)
	global_store_short v[14:15], v17, off offset:1024
	s_or_b64 exec, exec, s[0:1]
	s_and_saveexec_b64 s[0:1], s[20:21]
	s_cbranch_execz .LBB489_198
.LBB489_220:
	v_add_co_u32_e32 v14, vcc, 0x1000, v0
	s_nop 1
	v_addc_co_u32_e32 v15, vcc, 0, v1, vcc
	s_waitcnt lgkmcnt(12)
	global_store_short v[14:15], v16, off offset:1536
	s_or_b64 exec, exec, s[0:1]
	s_and_saveexec_b64 s[0:1], s[22:23]
	s_cbranch_execz .LBB489_199
.LBB489_221:
	v_add_co_u32_e32 v14, vcc, 0x1000, v0
	s_nop 1
	v_addc_co_u32_e32 v15, vcc, 0, v1, vcc
	s_waitcnt lgkmcnt(11)
	global_store_short v[14:15], v13, off offset:2048
	s_or_b64 exec, exec, s[0:1]
	s_and_saveexec_b64 s[0:1], s[24:25]
	s_cbranch_execz .LBB489_200
.LBB489_222:
	v_add_co_u32_e32 v14, vcc, 0x1000, v0
	s_nop 1
	v_addc_co_u32_e32 v15, vcc, 0, v1, vcc
	s_waitcnt lgkmcnt(10)
	global_store_short v[14:15], v12, off offset:2560
	s_or_b64 exec, exec, s[0:1]
	s_and_saveexec_b64 s[0:1], s[26:27]
	s_cbranch_execz .LBB489_201
.LBB489_223:
	s_waitcnt lgkmcnt(10)
	v_add_co_u32_e32 v12, vcc, 0x1000, v0
	s_nop 1
	v_addc_co_u32_e32 v13, vcc, 0, v1, vcc
	s_waitcnt lgkmcnt(9)
	global_store_short v[12:13], v11, off offset:3072
	s_or_b64 exec, exec, s[0:1]
	s_and_saveexec_b64 s[0:1], s[28:29]
	s_cbranch_execz .LBB489_202
.LBB489_224:
	s_waitcnt lgkmcnt(10)
	v_add_co_u32_e32 v12, vcc, 0x1000, v0
	s_nop 1
	v_addc_co_u32_e32 v13, vcc, 0, v1, vcc
	s_waitcnt lgkmcnt(8)
	global_store_short v[12:13], v10, off offset:3584
	s_or_b64 exec, exec, s[0:1]
	s_and_saveexec_b64 s[0:1], s[30:31]
	s_cbranch_execz .LBB489_203
.LBB489_225:
	s_waitcnt lgkmcnt(8)
	v_add_co_u32_e32 v10, vcc, 0x2000, v0
	s_nop 1
	v_addc_co_u32_e32 v11, vcc, 0, v1, vcc
	s_waitcnt lgkmcnt(7)
	global_store_short v[10:11], v9, off
	s_or_b64 exec, exec, s[0:1]
	s_and_saveexec_b64 s[0:1], s[34:35]
	s_cbranch_execz .LBB489_204
.LBB489_226:
	s_waitcnt lgkmcnt(8)
	v_add_co_u32_e32 v10, vcc, 0x2000, v0
	s_nop 1
	v_addc_co_u32_e32 v11, vcc, 0, v1, vcc
	s_waitcnt lgkmcnt(6)
	global_store_short v[10:11], v8, off offset:512
	s_or_b64 exec, exec, s[0:1]
	s_and_saveexec_b64 s[0:1], s[36:37]
	s_cbranch_execz .LBB489_205
.LBB489_227:
	s_waitcnt lgkmcnt(6)
	v_add_co_u32_e32 v8, vcc, 0x2000, v0
	s_nop 1
	v_addc_co_u32_e32 v9, vcc, 0, v1, vcc
	s_waitcnt lgkmcnt(5)
	global_store_short v[8:9], v7, off offset:1024
	s_or_b64 exec, exec, s[0:1]
	s_and_saveexec_b64 s[0:1], s[38:39]
	s_cbranch_execz .LBB489_206
.LBB489_228:
	s_waitcnt lgkmcnt(6)
	v_add_co_u32_e32 v8, vcc, 0x2000, v0
	s_nop 1
	v_addc_co_u32_e32 v9, vcc, 0, v1, vcc
	s_waitcnt lgkmcnt(4)
	global_store_short v[8:9], v6, off offset:1536
	s_or_b64 exec, exec, s[0:1]
	s_and_saveexec_b64 s[0:1], s[40:41]
	s_cbranch_execz .LBB489_207
.LBB489_229:
	s_waitcnt lgkmcnt(4)
	v_add_co_u32_e32 v6, vcc, 0x2000, v0
	s_nop 1
	v_addc_co_u32_e32 v7, vcc, 0, v1, vcc
	s_waitcnt lgkmcnt(3)
	global_store_short v[6:7], v5, off offset:2048
	s_or_b64 exec, exec, s[0:1]
	s_and_saveexec_b64 s[0:1], s[42:43]
	s_cbranch_execz .LBB489_208
.LBB489_230:
	s_waitcnt lgkmcnt(4)
	v_add_co_u32_e32 v6, vcc, 0x2000, v0
	s_nop 1
	v_addc_co_u32_e32 v7, vcc, 0, v1, vcc
	s_waitcnt lgkmcnt(2)
	global_store_short v[6:7], v4, off offset:2560
	s_or_b64 exec, exec, s[0:1]
	s_and_saveexec_b64 s[0:1], s[44:45]
	s_cbranch_execz .LBB489_209
.LBB489_231:
	s_waitcnt lgkmcnt(2)
	v_add_co_u32_e32 v4, vcc, 0x2000, v0
	s_nop 1
	v_addc_co_u32_e32 v5, vcc, 0, v1, vcc
	s_waitcnt lgkmcnt(1)
	global_store_short v[4:5], v3, off offset:3072
	s_or_b64 exec, exec, s[0:1]
	s_and_saveexec_b64 s[0:1], s[46:47]
	s_cbranch_execz .LBB489_210
.LBB489_232:
	v_add_co_u32_e32 v0, vcc, 0x2000, v0
	s_nop 1
	v_addc_co_u32_e32 v1, vcc, 0, v1, vcc
	s_waitcnt lgkmcnt(0)
	global_store_short v[0:1], v2, off offset:3584
	s_endpgm
	.section	.rodata,"a",@progbits
	.p2align	6, 0x0
	.amdhsa_kernel _ZN7rocprim17ROCPRIM_400000_NS6detail17trampoline_kernelINS0_14default_configENS1_20scan_config_selectorIN3c108BFloat16EEEZZNS1_9scan_implILNS1_25lookback_scan_determinismE0ELb0ELb0ES3_PKS6_PS6_S6_ZZZN2at6native31launch_logcumsumexp_cuda_kernelERKNSD_10TensorBaseESH_lENKUlvE_clEvENKUlvE4_clEvEUlS6_S6_E_S6_EEDaPvRmT3_T4_T5_mT6_P12ihipStream_tbENKUlT_T0_E_clISt17integral_constantIbLb1EESY_EEDaST_SU_EUlST_E0_NS1_11comp_targetILNS1_3genE5ELNS1_11target_archE942ELNS1_3gpuE9ELNS1_3repE0EEENS1_30default_config_static_selectorELNS0_4arch9wavefront6targetE1EEEvT1_
		.amdhsa_group_segment_fixed_size 12288
		.amdhsa_private_segment_fixed_size 0
		.amdhsa_kernarg_size 32
		.amdhsa_user_sgpr_count 2
		.amdhsa_user_sgpr_dispatch_ptr 0
		.amdhsa_user_sgpr_queue_ptr 0
		.amdhsa_user_sgpr_kernarg_segment_ptr 1
		.amdhsa_user_sgpr_dispatch_id 0
		.amdhsa_user_sgpr_kernarg_preload_length 0
		.amdhsa_user_sgpr_kernarg_preload_offset 0
		.amdhsa_user_sgpr_private_segment_size 0
		.amdhsa_uses_dynamic_stack 0
		.amdhsa_enable_private_segment 0
		.amdhsa_system_sgpr_workgroup_id_x 1
		.amdhsa_system_sgpr_workgroup_id_y 0
		.amdhsa_system_sgpr_workgroup_id_z 0
		.amdhsa_system_sgpr_workgroup_info 0
		.amdhsa_system_vgpr_workitem_id 0
		.amdhsa_next_free_vgpr 78
		.amdhsa_next_free_sgpr 100
		.amdhsa_accum_offset 80
		.amdhsa_reserve_vcc 1
		.amdhsa_float_round_mode_32 0
		.amdhsa_float_round_mode_16_64 0
		.amdhsa_float_denorm_mode_32 3
		.amdhsa_float_denorm_mode_16_64 3
		.amdhsa_dx10_clamp 1
		.amdhsa_ieee_mode 1
		.amdhsa_fp16_overflow 0
		.amdhsa_tg_split 0
		.amdhsa_exception_fp_ieee_invalid_op 0
		.amdhsa_exception_fp_denorm_src 0
		.amdhsa_exception_fp_ieee_div_zero 0
		.amdhsa_exception_fp_ieee_overflow 0
		.amdhsa_exception_fp_ieee_underflow 0
		.amdhsa_exception_fp_ieee_inexact 0
		.amdhsa_exception_int_div_zero 0
	.end_amdhsa_kernel
	.section	.text._ZN7rocprim17ROCPRIM_400000_NS6detail17trampoline_kernelINS0_14default_configENS1_20scan_config_selectorIN3c108BFloat16EEEZZNS1_9scan_implILNS1_25lookback_scan_determinismE0ELb0ELb0ES3_PKS6_PS6_S6_ZZZN2at6native31launch_logcumsumexp_cuda_kernelERKNSD_10TensorBaseESH_lENKUlvE_clEvENKUlvE4_clEvEUlS6_S6_E_S6_EEDaPvRmT3_T4_T5_mT6_P12ihipStream_tbENKUlT_T0_E_clISt17integral_constantIbLb1EESY_EEDaST_SU_EUlST_E0_NS1_11comp_targetILNS1_3genE5ELNS1_11target_archE942ELNS1_3gpuE9ELNS1_3repE0EEENS1_30default_config_static_selectorELNS0_4arch9wavefront6targetE1EEEvT1_,"axG",@progbits,_ZN7rocprim17ROCPRIM_400000_NS6detail17trampoline_kernelINS0_14default_configENS1_20scan_config_selectorIN3c108BFloat16EEEZZNS1_9scan_implILNS1_25lookback_scan_determinismE0ELb0ELb0ES3_PKS6_PS6_S6_ZZZN2at6native31launch_logcumsumexp_cuda_kernelERKNSD_10TensorBaseESH_lENKUlvE_clEvENKUlvE4_clEvEUlS6_S6_E_S6_EEDaPvRmT3_T4_T5_mT6_P12ihipStream_tbENKUlT_T0_E_clISt17integral_constantIbLb1EESY_EEDaST_SU_EUlST_E0_NS1_11comp_targetILNS1_3genE5ELNS1_11target_archE942ELNS1_3gpuE9ELNS1_3repE0EEENS1_30default_config_static_selectorELNS0_4arch9wavefront6targetE1EEEvT1_,comdat
.Lfunc_end489:
	.size	_ZN7rocprim17ROCPRIM_400000_NS6detail17trampoline_kernelINS0_14default_configENS1_20scan_config_selectorIN3c108BFloat16EEEZZNS1_9scan_implILNS1_25lookback_scan_determinismE0ELb0ELb0ES3_PKS6_PS6_S6_ZZZN2at6native31launch_logcumsumexp_cuda_kernelERKNSD_10TensorBaseESH_lENKUlvE_clEvENKUlvE4_clEvEUlS6_S6_E_S6_EEDaPvRmT3_T4_T5_mT6_P12ihipStream_tbENKUlT_T0_E_clISt17integral_constantIbLb1EESY_EEDaST_SU_EUlST_E0_NS1_11comp_targetILNS1_3genE5ELNS1_11target_archE942ELNS1_3gpuE9ELNS1_3repE0EEENS1_30default_config_static_selectorELNS0_4arch9wavefront6targetE1EEEvT1_, .Lfunc_end489-_ZN7rocprim17ROCPRIM_400000_NS6detail17trampoline_kernelINS0_14default_configENS1_20scan_config_selectorIN3c108BFloat16EEEZZNS1_9scan_implILNS1_25lookback_scan_determinismE0ELb0ELb0ES3_PKS6_PS6_S6_ZZZN2at6native31launch_logcumsumexp_cuda_kernelERKNSD_10TensorBaseESH_lENKUlvE_clEvENKUlvE4_clEvEUlS6_S6_E_S6_EEDaPvRmT3_T4_T5_mT6_P12ihipStream_tbENKUlT_T0_E_clISt17integral_constantIbLb1EESY_EEDaST_SU_EUlST_E0_NS1_11comp_targetILNS1_3genE5ELNS1_11target_archE942ELNS1_3gpuE9ELNS1_3repE0EEENS1_30default_config_static_selectorELNS0_4arch9wavefront6targetE1EEEvT1_
                                        ; -- End function
	.section	.AMDGPU.csdata,"",@progbits
; Kernel info:
; codeLenInByte = 52992
; NumSgprs: 106
; NumVgprs: 78
; NumAgprs: 0
; TotalNumVgprs: 78
; ScratchSize: 0
; MemoryBound: 0
; FloatMode: 240
; IeeeMode: 1
; LDSByteSize: 12288 bytes/workgroup (compile time only)
; SGPRBlocks: 13
; VGPRBlocks: 9
; NumSGPRsForWavesPerEU: 106
; NumVGPRsForWavesPerEU: 78
; AccumOffset: 80
; Occupancy: 5
; WaveLimiterHint : 0
; COMPUTE_PGM_RSRC2:SCRATCH_EN: 0
; COMPUTE_PGM_RSRC2:USER_SGPR: 2
; COMPUTE_PGM_RSRC2:TRAP_HANDLER: 0
; COMPUTE_PGM_RSRC2:TGID_X_EN: 1
; COMPUTE_PGM_RSRC2:TGID_Y_EN: 0
; COMPUTE_PGM_RSRC2:TGID_Z_EN: 0
; COMPUTE_PGM_RSRC2:TIDIG_COMP_CNT: 0
; COMPUTE_PGM_RSRC3_GFX90A:ACCUM_OFFSET: 19
; COMPUTE_PGM_RSRC3_GFX90A:TG_SPLIT: 0
	.section	.text._ZN7rocprim17ROCPRIM_400000_NS6detail17trampoline_kernelINS0_14default_configENS1_20scan_config_selectorIN3c108BFloat16EEEZZNS1_9scan_implILNS1_25lookback_scan_determinismE0ELb0ELb0ES3_PKS6_PS6_S6_ZZZN2at6native31launch_logcumsumexp_cuda_kernelERKNSD_10TensorBaseESH_lENKUlvE_clEvENKUlvE4_clEvEUlS6_S6_E_S6_EEDaPvRmT3_T4_T5_mT6_P12ihipStream_tbENKUlT_T0_E_clISt17integral_constantIbLb1EESY_EEDaST_SU_EUlST_E0_NS1_11comp_targetILNS1_3genE4ELNS1_11target_archE910ELNS1_3gpuE8ELNS1_3repE0EEENS1_30default_config_static_selectorELNS0_4arch9wavefront6targetE1EEEvT1_,"axG",@progbits,_ZN7rocprim17ROCPRIM_400000_NS6detail17trampoline_kernelINS0_14default_configENS1_20scan_config_selectorIN3c108BFloat16EEEZZNS1_9scan_implILNS1_25lookback_scan_determinismE0ELb0ELb0ES3_PKS6_PS6_S6_ZZZN2at6native31launch_logcumsumexp_cuda_kernelERKNSD_10TensorBaseESH_lENKUlvE_clEvENKUlvE4_clEvEUlS6_S6_E_S6_EEDaPvRmT3_T4_T5_mT6_P12ihipStream_tbENKUlT_T0_E_clISt17integral_constantIbLb1EESY_EEDaST_SU_EUlST_E0_NS1_11comp_targetILNS1_3genE4ELNS1_11target_archE910ELNS1_3gpuE8ELNS1_3repE0EEENS1_30default_config_static_selectorELNS0_4arch9wavefront6targetE1EEEvT1_,comdat
	.globl	_ZN7rocprim17ROCPRIM_400000_NS6detail17trampoline_kernelINS0_14default_configENS1_20scan_config_selectorIN3c108BFloat16EEEZZNS1_9scan_implILNS1_25lookback_scan_determinismE0ELb0ELb0ES3_PKS6_PS6_S6_ZZZN2at6native31launch_logcumsumexp_cuda_kernelERKNSD_10TensorBaseESH_lENKUlvE_clEvENKUlvE4_clEvEUlS6_S6_E_S6_EEDaPvRmT3_T4_T5_mT6_P12ihipStream_tbENKUlT_T0_E_clISt17integral_constantIbLb1EESY_EEDaST_SU_EUlST_E0_NS1_11comp_targetILNS1_3genE4ELNS1_11target_archE910ELNS1_3gpuE8ELNS1_3repE0EEENS1_30default_config_static_selectorELNS0_4arch9wavefront6targetE1EEEvT1_ ; -- Begin function _ZN7rocprim17ROCPRIM_400000_NS6detail17trampoline_kernelINS0_14default_configENS1_20scan_config_selectorIN3c108BFloat16EEEZZNS1_9scan_implILNS1_25lookback_scan_determinismE0ELb0ELb0ES3_PKS6_PS6_S6_ZZZN2at6native31launch_logcumsumexp_cuda_kernelERKNSD_10TensorBaseESH_lENKUlvE_clEvENKUlvE4_clEvEUlS6_S6_E_S6_EEDaPvRmT3_T4_T5_mT6_P12ihipStream_tbENKUlT_T0_E_clISt17integral_constantIbLb1EESY_EEDaST_SU_EUlST_E0_NS1_11comp_targetILNS1_3genE4ELNS1_11target_archE910ELNS1_3gpuE8ELNS1_3repE0EEENS1_30default_config_static_selectorELNS0_4arch9wavefront6targetE1EEEvT1_
	.p2align	8
	.type	_ZN7rocprim17ROCPRIM_400000_NS6detail17trampoline_kernelINS0_14default_configENS1_20scan_config_selectorIN3c108BFloat16EEEZZNS1_9scan_implILNS1_25lookback_scan_determinismE0ELb0ELb0ES3_PKS6_PS6_S6_ZZZN2at6native31launch_logcumsumexp_cuda_kernelERKNSD_10TensorBaseESH_lENKUlvE_clEvENKUlvE4_clEvEUlS6_S6_E_S6_EEDaPvRmT3_T4_T5_mT6_P12ihipStream_tbENKUlT_T0_E_clISt17integral_constantIbLb1EESY_EEDaST_SU_EUlST_E0_NS1_11comp_targetILNS1_3genE4ELNS1_11target_archE910ELNS1_3gpuE8ELNS1_3repE0EEENS1_30default_config_static_selectorELNS0_4arch9wavefront6targetE1EEEvT1_,@function
_ZN7rocprim17ROCPRIM_400000_NS6detail17trampoline_kernelINS0_14default_configENS1_20scan_config_selectorIN3c108BFloat16EEEZZNS1_9scan_implILNS1_25lookback_scan_determinismE0ELb0ELb0ES3_PKS6_PS6_S6_ZZZN2at6native31launch_logcumsumexp_cuda_kernelERKNSD_10TensorBaseESH_lENKUlvE_clEvENKUlvE4_clEvEUlS6_S6_E_S6_EEDaPvRmT3_T4_T5_mT6_P12ihipStream_tbENKUlT_T0_E_clISt17integral_constantIbLb1EESY_EEDaST_SU_EUlST_E0_NS1_11comp_targetILNS1_3genE4ELNS1_11target_archE910ELNS1_3gpuE8ELNS1_3repE0EEENS1_30default_config_static_selectorELNS0_4arch9wavefront6targetE1EEEvT1_: ; @_ZN7rocprim17ROCPRIM_400000_NS6detail17trampoline_kernelINS0_14default_configENS1_20scan_config_selectorIN3c108BFloat16EEEZZNS1_9scan_implILNS1_25lookback_scan_determinismE0ELb0ELb0ES3_PKS6_PS6_S6_ZZZN2at6native31launch_logcumsumexp_cuda_kernelERKNSD_10TensorBaseESH_lENKUlvE_clEvENKUlvE4_clEvEUlS6_S6_E_S6_EEDaPvRmT3_T4_T5_mT6_P12ihipStream_tbENKUlT_T0_E_clISt17integral_constantIbLb1EESY_EEDaST_SU_EUlST_E0_NS1_11comp_targetILNS1_3genE4ELNS1_11target_archE910ELNS1_3gpuE8ELNS1_3repE0EEENS1_30default_config_static_selectorELNS0_4arch9wavefront6targetE1EEEvT1_
; %bb.0:
	.section	.rodata,"a",@progbits
	.p2align	6, 0x0
	.amdhsa_kernel _ZN7rocprim17ROCPRIM_400000_NS6detail17trampoline_kernelINS0_14default_configENS1_20scan_config_selectorIN3c108BFloat16EEEZZNS1_9scan_implILNS1_25lookback_scan_determinismE0ELb0ELb0ES3_PKS6_PS6_S6_ZZZN2at6native31launch_logcumsumexp_cuda_kernelERKNSD_10TensorBaseESH_lENKUlvE_clEvENKUlvE4_clEvEUlS6_S6_E_S6_EEDaPvRmT3_T4_T5_mT6_P12ihipStream_tbENKUlT_T0_E_clISt17integral_constantIbLb1EESY_EEDaST_SU_EUlST_E0_NS1_11comp_targetILNS1_3genE4ELNS1_11target_archE910ELNS1_3gpuE8ELNS1_3repE0EEENS1_30default_config_static_selectorELNS0_4arch9wavefront6targetE1EEEvT1_
		.amdhsa_group_segment_fixed_size 0
		.amdhsa_private_segment_fixed_size 0
		.amdhsa_kernarg_size 32
		.amdhsa_user_sgpr_count 2
		.amdhsa_user_sgpr_dispatch_ptr 0
		.amdhsa_user_sgpr_queue_ptr 0
		.amdhsa_user_sgpr_kernarg_segment_ptr 1
		.amdhsa_user_sgpr_dispatch_id 0
		.amdhsa_user_sgpr_kernarg_preload_length 0
		.amdhsa_user_sgpr_kernarg_preload_offset 0
		.amdhsa_user_sgpr_private_segment_size 0
		.amdhsa_uses_dynamic_stack 0
		.amdhsa_enable_private_segment 0
		.amdhsa_system_sgpr_workgroup_id_x 1
		.amdhsa_system_sgpr_workgroup_id_y 0
		.amdhsa_system_sgpr_workgroup_id_z 0
		.amdhsa_system_sgpr_workgroup_info 0
		.amdhsa_system_vgpr_workitem_id 0
		.amdhsa_next_free_vgpr 1
		.amdhsa_next_free_sgpr 0
		.amdhsa_accum_offset 4
		.amdhsa_reserve_vcc 0
		.amdhsa_float_round_mode_32 0
		.amdhsa_float_round_mode_16_64 0
		.amdhsa_float_denorm_mode_32 3
		.amdhsa_float_denorm_mode_16_64 3
		.amdhsa_dx10_clamp 1
		.amdhsa_ieee_mode 1
		.amdhsa_fp16_overflow 0
		.amdhsa_tg_split 0
		.amdhsa_exception_fp_ieee_invalid_op 0
		.amdhsa_exception_fp_denorm_src 0
		.amdhsa_exception_fp_ieee_div_zero 0
		.amdhsa_exception_fp_ieee_overflow 0
		.amdhsa_exception_fp_ieee_underflow 0
		.amdhsa_exception_fp_ieee_inexact 0
		.amdhsa_exception_int_div_zero 0
	.end_amdhsa_kernel
	.section	.text._ZN7rocprim17ROCPRIM_400000_NS6detail17trampoline_kernelINS0_14default_configENS1_20scan_config_selectorIN3c108BFloat16EEEZZNS1_9scan_implILNS1_25lookback_scan_determinismE0ELb0ELb0ES3_PKS6_PS6_S6_ZZZN2at6native31launch_logcumsumexp_cuda_kernelERKNSD_10TensorBaseESH_lENKUlvE_clEvENKUlvE4_clEvEUlS6_S6_E_S6_EEDaPvRmT3_T4_T5_mT6_P12ihipStream_tbENKUlT_T0_E_clISt17integral_constantIbLb1EESY_EEDaST_SU_EUlST_E0_NS1_11comp_targetILNS1_3genE4ELNS1_11target_archE910ELNS1_3gpuE8ELNS1_3repE0EEENS1_30default_config_static_selectorELNS0_4arch9wavefront6targetE1EEEvT1_,"axG",@progbits,_ZN7rocprim17ROCPRIM_400000_NS6detail17trampoline_kernelINS0_14default_configENS1_20scan_config_selectorIN3c108BFloat16EEEZZNS1_9scan_implILNS1_25lookback_scan_determinismE0ELb0ELb0ES3_PKS6_PS6_S6_ZZZN2at6native31launch_logcumsumexp_cuda_kernelERKNSD_10TensorBaseESH_lENKUlvE_clEvENKUlvE4_clEvEUlS6_S6_E_S6_EEDaPvRmT3_T4_T5_mT6_P12ihipStream_tbENKUlT_T0_E_clISt17integral_constantIbLb1EESY_EEDaST_SU_EUlST_E0_NS1_11comp_targetILNS1_3genE4ELNS1_11target_archE910ELNS1_3gpuE8ELNS1_3repE0EEENS1_30default_config_static_selectorELNS0_4arch9wavefront6targetE1EEEvT1_,comdat
.Lfunc_end490:
	.size	_ZN7rocprim17ROCPRIM_400000_NS6detail17trampoline_kernelINS0_14default_configENS1_20scan_config_selectorIN3c108BFloat16EEEZZNS1_9scan_implILNS1_25lookback_scan_determinismE0ELb0ELb0ES3_PKS6_PS6_S6_ZZZN2at6native31launch_logcumsumexp_cuda_kernelERKNSD_10TensorBaseESH_lENKUlvE_clEvENKUlvE4_clEvEUlS6_S6_E_S6_EEDaPvRmT3_T4_T5_mT6_P12ihipStream_tbENKUlT_T0_E_clISt17integral_constantIbLb1EESY_EEDaST_SU_EUlST_E0_NS1_11comp_targetILNS1_3genE4ELNS1_11target_archE910ELNS1_3gpuE8ELNS1_3repE0EEENS1_30default_config_static_selectorELNS0_4arch9wavefront6targetE1EEEvT1_, .Lfunc_end490-_ZN7rocprim17ROCPRIM_400000_NS6detail17trampoline_kernelINS0_14default_configENS1_20scan_config_selectorIN3c108BFloat16EEEZZNS1_9scan_implILNS1_25lookback_scan_determinismE0ELb0ELb0ES3_PKS6_PS6_S6_ZZZN2at6native31launch_logcumsumexp_cuda_kernelERKNSD_10TensorBaseESH_lENKUlvE_clEvENKUlvE4_clEvEUlS6_S6_E_S6_EEDaPvRmT3_T4_T5_mT6_P12ihipStream_tbENKUlT_T0_E_clISt17integral_constantIbLb1EESY_EEDaST_SU_EUlST_E0_NS1_11comp_targetILNS1_3genE4ELNS1_11target_archE910ELNS1_3gpuE8ELNS1_3repE0EEENS1_30default_config_static_selectorELNS0_4arch9wavefront6targetE1EEEvT1_
                                        ; -- End function
	.section	.AMDGPU.csdata,"",@progbits
; Kernel info:
; codeLenInByte = 0
; NumSgprs: 6
; NumVgprs: 0
; NumAgprs: 0
; TotalNumVgprs: 0
; ScratchSize: 0
; MemoryBound: 0
; FloatMode: 240
; IeeeMode: 1
; LDSByteSize: 0 bytes/workgroup (compile time only)
; SGPRBlocks: 0
; VGPRBlocks: 0
; NumSGPRsForWavesPerEU: 6
; NumVGPRsForWavesPerEU: 1
; AccumOffset: 4
; Occupancy: 8
; WaveLimiterHint : 0
; COMPUTE_PGM_RSRC2:SCRATCH_EN: 0
; COMPUTE_PGM_RSRC2:USER_SGPR: 2
; COMPUTE_PGM_RSRC2:TRAP_HANDLER: 0
; COMPUTE_PGM_RSRC2:TGID_X_EN: 1
; COMPUTE_PGM_RSRC2:TGID_Y_EN: 0
; COMPUTE_PGM_RSRC2:TGID_Z_EN: 0
; COMPUTE_PGM_RSRC2:TIDIG_COMP_CNT: 0
; COMPUTE_PGM_RSRC3_GFX90A:ACCUM_OFFSET: 0
; COMPUTE_PGM_RSRC3_GFX90A:TG_SPLIT: 0
	.section	.text._ZN7rocprim17ROCPRIM_400000_NS6detail17trampoline_kernelINS0_14default_configENS1_20scan_config_selectorIN3c108BFloat16EEEZZNS1_9scan_implILNS1_25lookback_scan_determinismE0ELb0ELb0ES3_PKS6_PS6_S6_ZZZN2at6native31launch_logcumsumexp_cuda_kernelERKNSD_10TensorBaseESH_lENKUlvE_clEvENKUlvE4_clEvEUlS6_S6_E_S6_EEDaPvRmT3_T4_T5_mT6_P12ihipStream_tbENKUlT_T0_E_clISt17integral_constantIbLb1EESY_EEDaST_SU_EUlST_E0_NS1_11comp_targetILNS1_3genE3ELNS1_11target_archE908ELNS1_3gpuE7ELNS1_3repE0EEENS1_30default_config_static_selectorELNS0_4arch9wavefront6targetE1EEEvT1_,"axG",@progbits,_ZN7rocprim17ROCPRIM_400000_NS6detail17trampoline_kernelINS0_14default_configENS1_20scan_config_selectorIN3c108BFloat16EEEZZNS1_9scan_implILNS1_25lookback_scan_determinismE0ELb0ELb0ES3_PKS6_PS6_S6_ZZZN2at6native31launch_logcumsumexp_cuda_kernelERKNSD_10TensorBaseESH_lENKUlvE_clEvENKUlvE4_clEvEUlS6_S6_E_S6_EEDaPvRmT3_T4_T5_mT6_P12ihipStream_tbENKUlT_T0_E_clISt17integral_constantIbLb1EESY_EEDaST_SU_EUlST_E0_NS1_11comp_targetILNS1_3genE3ELNS1_11target_archE908ELNS1_3gpuE7ELNS1_3repE0EEENS1_30default_config_static_selectorELNS0_4arch9wavefront6targetE1EEEvT1_,comdat
	.globl	_ZN7rocprim17ROCPRIM_400000_NS6detail17trampoline_kernelINS0_14default_configENS1_20scan_config_selectorIN3c108BFloat16EEEZZNS1_9scan_implILNS1_25lookback_scan_determinismE0ELb0ELb0ES3_PKS6_PS6_S6_ZZZN2at6native31launch_logcumsumexp_cuda_kernelERKNSD_10TensorBaseESH_lENKUlvE_clEvENKUlvE4_clEvEUlS6_S6_E_S6_EEDaPvRmT3_T4_T5_mT6_P12ihipStream_tbENKUlT_T0_E_clISt17integral_constantIbLb1EESY_EEDaST_SU_EUlST_E0_NS1_11comp_targetILNS1_3genE3ELNS1_11target_archE908ELNS1_3gpuE7ELNS1_3repE0EEENS1_30default_config_static_selectorELNS0_4arch9wavefront6targetE1EEEvT1_ ; -- Begin function _ZN7rocprim17ROCPRIM_400000_NS6detail17trampoline_kernelINS0_14default_configENS1_20scan_config_selectorIN3c108BFloat16EEEZZNS1_9scan_implILNS1_25lookback_scan_determinismE0ELb0ELb0ES3_PKS6_PS6_S6_ZZZN2at6native31launch_logcumsumexp_cuda_kernelERKNSD_10TensorBaseESH_lENKUlvE_clEvENKUlvE4_clEvEUlS6_S6_E_S6_EEDaPvRmT3_T4_T5_mT6_P12ihipStream_tbENKUlT_T0_E_clISt17integral_constantIbLb1EESY_EEDaST_SU_EUlST_E0_NS1_11comp_targetILNS1_3genE3ELNS1_11target_archE908ELNS1_3gpuE7ELNS1_3repE0EEENS1_30default_config_static_selectorELNS0_4arch9wavefront6targetE1EEEvT1_
	.p2align	8
	.type	_ZN7rocprim17ROCPRIM_400000_NS6detail17trampoline_kernelINS0_14default_configENS1_20scan_config_selectorIN3c108BFloat16EEEZZNS1_9scan_implILNS1_25lookback_scan_determinismE0ELb0ELb0ES3_PKS6_PS6_S6_ZZZN2at6native31launch_logcumsumexp_cuda_kernelERKNSD_10TensorBaseESH_lENKUlvE_clEvENKUlvE4_clEvEUlS6_S6_E_S6_EEDaPvRmT3_T4_T5_mT6_P12ihipStream_tbENKUlT_T0_E_clISt17integral_constantIbLb1EESY_EEDaST_SU_EUlST_E0_NS1_11comp_targetILNS1_3genE3ELNS1_11target_archE908ELNS1_3gpuE7ELNS1_3repE0EEENS1_30default_config_static_selectorELNS0_4arch9wavefront6targetE1EEEvT1_,@function
_ZN7rocprim17ROCPRIM_400000_NS6detail17trampoline_kernelINS0_14default_configENS1_20scan_config_selectorIN3c108BFloat16EEEZZNS1_9scan_implILNS1_25lookback_scan_determinismE0ELb0ELb0ES3_PKS6_PS6_S6_ZZZN2at6native31launch_logcumsumexp_cuda_kernelERKNSD_10TensorBaseESH_lENKUlvE_clEvENKUlvE4_clEvEUlS6_S6_E_S6_EEDaPvRmT3_T4_T5_mT6_P12ihipStream_tbENKUlT_T0_E_clISt17integral_constantIbLb1EESY_EEDaST_SU_EUlST_E0_NS1_11comp_targetILNS1_3genE3ELNS1_11target_archE908ELNS1_3gpuE7ELNS1_3repE0EEENS1_30default_config_static_selectorELNS0_4arch9wavefront6targetE1EEEvT1_: ; @_ZN7rocprim17ROCPRIM_400000_NS6detail17trampoline_kernelINS0_14default_configENS1_20scan_config_selectorIN3c108BFloat16EEEZZNS1_9scan_implILNS1_25lookback_scan_determinismE0ELb0ELb0ES3_PKS6_PS6_S6_ZZZN2at6native31launch_logcumsumexp_cuda_kernelERKNSD_10TensorBaseESH_lENKUlvE_clEvENKUlvE4_clEvEUlS6_S6_E_S6_EEDaPvRmT3_T4_T5_mT6_P12ihipStream_tbENKUlT_T0_E_clISt17integral_constantIbLb1EESY_EEDaST_SU_EUlST_E0_NS1_11comp_targetILNS1_3genE3ELNS1_11target_archE908ELNS1_3gpuE7ELNS1_3repE0EEENS1_30default_config_static_selectorELNS0_4arch9wavefront6targetE1EEEvT1_
; %bb.0:
	.section	.rodata,"a",@progbits
	.p2align	6, 0x0
	.amdhsa_kernel _ZN7rocprim17ROCPRIM_400000_NS6detail17trampoline_kernelINS0_14default_configENS1_20scan_config_selectorIN3c108BFloat16EEEZZNS1_9scan_implILNS1_25lookback_scan_determinismE0ELb0ELb0ES3_PKS6_PS6_S6_ZZZN2at6native31launch_logcumsumexp_cuda_kernelERKNSD_10TensorBaseESH_lENKUlvE_clEvENKUlvE4_clEvEUlS6_S6_E_S6_EEDaPvRmT3_T4_T5_mT6_P12ihipStream_tbENKUlT_T0_E_clISt17integral_constantIbLb1EESY_EEDaST_SU_EUlST_E0_NS1_11comp_targetILNS1_3genE3ELNS1_11target_archE908ELNS1_3gpuE7ELNS1_3repE0EEENS1_30default_config_static_selectorELNS0_4arch9wavefront6targetE1EEEvT1_
		.amdhsa_group_segment_fixed_size 0
		.amdhsa_private_segment_fixed_size 0
		.amdhsa_kernarg_size 32
		.amdhsa_user_sgpr_count 2
		.amdhsa_user_sgpr_dispatch_ptr 0
		.amdhsa_user_sgpr_queue_ptr 0
		.amdhsa_user_sgpr_kernarg_segment_ptr 1
		.amdhsa_user_sgpr_dispatch_id 0
		.amdhsa_user_sgpr_kernarg_preload_length 0
		.amdhsa_user_sgpr_kernarg_preload_offset 0
		.amdhsa_user_sgpr_private_segment_size 0
		.amdhsa_uses_dynamic_stack 0
		.amdhsa_enable_private_segment 0
		.amdhsa_system_sgpr_workgroup_id_x 1
		.amdhsa_system_sgpr_workgroup_id_y 0
		.amdhsa_system_sgpr_workgroup_id_z 0
		.amdhsa_system_sgpr_workgroup_info 0
		.amdhsa_system_vgpr_workitem_id 0
		.amdhsa_next_free_vgpr 1
		.amdhsa_next_free_sgpr 0
		.amdhsa_accum_offset 4
		.amdhsa_reserve_vcc 0
		.amdhsa_float_round_mode_32 0
		.amdhsa_float_round_mode_16_64 0
		.amdhsa_float_denorm_mode_32 3
		.amdhsa_float_denorm_mode_16_64 3
		.amdhsa_dx10_clamp 1
		.amdhsa_ieee_mode 1
		.amdhsa_fp16_overflow 0
		.amdhsa_tg_split 0
		.amdhsa_exception_fp_ieee_invalid_op 0
		.amdhsa_exception_fp_denorm_src 0
		.amdhsa_exception_fp_ieee_div_zero 0
		.amdhsa_exception_fp_ieee_overflow 0
		.amdhsa_exception_fp_ieee_underflow 0
		.amdhsa_exception_fp_ieee_inexact 0
		.amdhsa_exception_int_div_zero 0
	.end_amdhsa_kernel
	.section	.text._ZN7rocprim17ROCPRIM_400000_NS6detail17trampoline_kernelINS0_14default_configENS1_20scan_config_selectorIN3c108BFloat16EEEZZNS1_9scan_implILNS1_25lookback_scan_determinismE0ELb0ELb0ES3_PKS6_PS6_S6_ZZZN2at6native31launch_logcumsumexp_cuda_kernelERKNSD_10TensorBaseESH_lENKUlvE_clEvENKUlvE4_clEvEUlS6_S6_E_S6_EEDaPvRmT3_T4_T5_mT6_P12ihipStream_tbENKUlT_T0_E_clISt17integral_constantIbLb1EESY_EEDaST_SU_EUlST_E0_NS1_11comp_targetILNS1_3genE3ELNS1_11target_archE908ELNS1_3gpuE7ELNS1_3repE0EEENS1_30default_config_static_selectorELNS0_4arch9wavefront6targetE1EEEvT1_,"axG",@progbits,_ZN7rocprim17ROCPRIM_400000_NS6detail17trampoline_kernelINS0_14default_configENS1_20scan_config_selectorIN3c108BFloat16EEEZZNS1_9scan_implILNS1_25lookback_scan_determinismE0ELb0ELb0ES3_PKS6_PS6_S6_ZZZN2at6native31launch_logcumsumexp_cuda_kernelERKNSD_10TensorBaseESH_lENKUlvE_clEvENKUlvE4_clEvEUlS6_S6_E_S6_EEDaPvRmT3_T4_T5_mT6_P12ihipStream_tbENKUlT_T0_E_clISt17integral_constantIbLb1EESY_EEDaST_SU_EUlST_E0_NS1_11comp_targetILNS1_3genE3ELNS1_11target_archE908ELNS1_3gpuE7ELNS1_3repE0EEENS1_30default_config_static_selectorELNS0_4arch9wavefront6targetE1EEEvT1_,comdat
.Lfunc_end491:
	.size	_ZN7rocprim17ROCPRIM_400000_NS6detail17trampoline_kernelINS0_14default_configENS1_20scan_config_selectorIN3c108BFloat16EEEZZNS1_9scan_implILNS1_25lookback_scan_determinismE0ELb0ELb0ES3_PKS6_PS6_S6_ZZZN2at6native31launch_logcumsumexp_cuda_kernelERKNSD_10TensorBaseESH_lENKUlvE_clEvENKUlvE4_clEvEUlS6_S6_E_S6_EEDaPvRmT3_T4_T5_mT6_P12ihipStream_tbENKUlT_T0_E_clISt17integral_constantIbLb1EESY_EEDaST_SU_EUlST_E0_NS1_11comp_targetILNS1_3genE3ELNS1_11target_archE908ELNS1_3gpuE7ELNS1_3repE0EEENS1_30default_config_static_selectorELNS0_4arch9wavefront6targetE1EEEvT1_, .Lfunc_end491-_ZN7rocprim17ROCPRIM_400000_NS6detail17trampoline_kernelINS0_14default_configENS1_20scan_config_selectorIN3c108BFloat16EEEZZNS1_9scan_implILNS1_25lookback_scan_determinismE0ELb0ELb0ES3_PKS6_PS6_S6_ZZZN2at6native31launch_logcumsumexp_cuda_kernelERKNSD_10TensorBaseESH_lENKUlvE_clEvENKUlvE4_clEvEUlS6_S6_E_S6_EEDaPvRmT3_T4_T5_mT6_P12ihipStream_tbENKUlT_T0_E_clISt17integral_constantIbLb1EESY_EEDaST_SU_EUlST_E0_NS1_11comp_targetILNS1_3genE3ELNS1_11target_archE908ELNS1_3gpuE7ELNS1_3repE0EEENS1_30default_config_static_selectorELNS0_4arch9wavefront6targetE1EEEvT1_
                                        ; -- End function
	.section	.AMDGPU.csdata,"",@progbits
; Kernel info:
; codeLenInByte = 0
; NumSgprs: 6
; NumVgprs: 0
; NumAgprs: 0
; TotalNumVgprs: 0
; ScratchSize: 0
; MemoryBound: 0
; FloatMode: 240
; IeeeMode: 1
; LDSByteSize: 0 bytes/workgroup (compile time only)
; SGPRBlocks: 0
; VGPRBlocks: 0
; NumSGPRsForWavesPerEU: 6
; NumVGPRsForWavesPerEU: 1
; AccumOffset: 4
; Occupancy: 8
; WaveLimiterHint : 0
; COMPUTE_PGM_RSRC2:SCRATCH_EN: 0
; COMPUTE_PGM_RSRC2:USER_SGPR: 2
; COMPUTE_PGM_RSRC2:TRAP_HANDLER: 0
; COMPUTE_PGM_RSRC2:TGID_X_EN: 1
; COMPUTE_PGM_RSRC2:TGID_Y_EN: 0
; COMPUTE_PGM_RSRC2:TGID_Z_EN: 0
; COMPUTE_PGM_RSRC2:TIDIG_COMP_CNT: 0
; COMPUTE_PGM_RSRC3_GFX90A:ACCUM_OFFSET: 0
; COMPUTE_PGM_RSRC3_GFX90A:TG_SPLIT: 0
	.section	.text._ZN7rocprim17ROCPRIM_400000_NS6detail17trampoline_kernelINS0_14default_configENS1_20scan_config_selectorIN3c108BFloat16EEEZZNS1_9scan_implILNS1_25lookback_scan_determinismE0ELb0ELb0ES3_PKS6_PS6_S6_ZZZN2at6native31launch_logcumsumexp_cuda_kernelERKNSD_10TensorBaseESH_lENKUlvE_clEvENKUlvE4_clEvEUlS6_S6_E_S6_EEDaPvRmT3_T4_T5_mT6_P12ihipStream_tbENKUlT_T0_E_clISt17integral_constantIbLb1EESY_EEDaST_SU_EUlST_E0_NS1_11comp_targetILNS1_3genE2ELNS1_11target_archE906ELNS1_3gpuE6ELNS1_3repE0EEENS1_30default_config_static_selectorELNS0_4arch9wavefront6targetE1EEEvT1_,"axG",@progbits,_ZN7rocprim17ROCPRIM_400000_NS6detail17trampoline_kernelINS0_14default_configENS1_20scan_config_selectorIN3c108BFloat16EEEZZNS1_9scan_implILNS1_25lookback_scan_determinismE0ELb0ELb0ES3_PKS6_PS6_S6_ZZZN2at6native31launch_logcumsumexp_cuda_kernelERKNSD_10TensorBaseESH_lENKUlvE_clEvENKUlvE4_clEvEUlS6_S6_E_S6_EEDaPvRmT3_T4_T5_mT6_P12ihipStream_tbENKUlT_T0_E_clISt17integral_constantIbLb1EESY_EEDaST_SU_EUlST_E0_NS1_11comp_targetILNS1_3genE2ELNS1_11target_archE906ELNS1_3gpuE6ELNS1_3repE0EEENS1_30default_config_static_selectorELNS0_4arch9wavefront6targetE1EEEvT1_,comdat
	.globl	_ZN7rocprim17ROCPRIM_400000_NS6detail17trampoline_kernelINS0_14default_configENS1_20scan_config_selectorIN3c108BFloat16EEEZZNS1_9scan_implILNS1_25lookback_scan_determinismE0ELb0ELb0ES3_PKS6_PS6_S6_ZZZN2at6native31launch_logcumsumexp_cuda_kernelERKNSD_10TensorBaseESH_lENKUlvE_clEvENKUlvE4_clEvEUlS6_S6_E_S6_EEDaPvRmT3_T4_T5_mT6_P12ihipStream_tbENKUlT_T0_E_clISt17integral_constantIbLb1EESY_EEDaST_SU_EUlST_E0_NS1_11comp_targetILNS1_3genE2ELNS1_11target_archE906ELNS1_3gpuE6ELNS1_3repE0EEENS1_30default_config_static_selectorELNS0_4arch9wavefront6targetE1EEEvT1_ ; -- Begin function _ZN7rocprim17ROCPRIM_400000_NS6detail17trampoline_kernelINS0_14default_configENS1_20scan_config_selectorIN3c108BFloat16EEEZZNS1_9scan_implILNS1_25lookback_scan_determinismE0ELb0ELb0ES3_PKS6_PS6_S6_ZZZN2at6native31launch_logcumsumexp_cuda_kernelERKNSD_10TensorBaseESH_lENKUlvE_clEvENKUlvE4_clEvEUlS6_S6_E_S6_EEDaPvRmT3_T4_T5_mT6_P12ihipStream_tbENKUlT_T0_E_clISt17integral_constantIbLb1EESY_EEDaST_SU_EUlST_E0_NS1_11comp_targetILNS1_3genE2ELNS1_11target_archE906ELNS1_3gpuE6ELNS1_3repE0EEENS1_30default_config_static_selectorELNS0_4arch9wavefront6targetE1EEEvT1_
	.p2align	8
	.type	_ZN7rocprim17ROCPRIM_400000_NS6detail17trampoline_kernelINS0_14default_configENS1_20scan_config_selectorIN3c108BFloat16EEEZZNS1_9scan_implILNS1_25lookback_scan_determinismE0ELb0ELb0ES3_PKS6_PS6_S6_ZZZN2at6native31launch_logcumsumexp_cuda_kernelERKNSD_10TensorBaseESH_lENKUlvE_clEvENKUlvE4_clEvEUlS6_S6_E_S6_EEDaPvRmT3_T4_T5_mT6_P12ihipStream_tbENKUlT_T0_E_clISt17integral_constantIbLb1EESY_EEDaST_SU_EUlST_E0_NS1_11comp_targetILNS1_3genE2ELNS1_11target_archE906ELNS1_3gpuE6ELNS1_3repE0EEENS1_30default_config_static_selectorELNS0_4arch9wavefront6targetE1EEEvT1_,@function
_ZN7rocprim17ROCPRIM_400000_NS6detail17trampoline_kernelINS0_14default_configENS1_20scan_config_selectorIN3c108BFloat16EEEZZNS1_9scan_implILNS1_25lookback_scan_determinismE0ELb0ELb0ES3_PKS6_PS6_S6_ZZZN2at6native31launch_logcumsumexp_cuda_kernelERKNSD_10TensorBaseESH_lENKUlvE_clEvENKUlvE4_clEvEUlS6_S6_E_S6_EEDaPvRmT3_T4_T5_mT6_P12ihipStream_tbENKUlT_T0_E_clISt17integral_constantIbLb1EESY_EEDaST_SU_EUlST_E0_NS1_11comp_targetILNS1_3genE2ELNS1_11target_archE906ELNS1_3gpuE6ELNS1_3repE0EEENS1_30default_config_static_selectorELNS0_4arch9wavefront6targetE1EEEvT1_: ; @_ZN7rocprim17ROCPRIM_400000_NS6detail17trampoline_kernelINS0_14default_configENS1_20scan_config_selectorIN3c108BFloat16EEEZZNS1_9scan_implILNS1_25lookback_scan_determinismE0ELb0ELb0ES3_PKS6_PS6_S6_ZZZN2at6native31launch_logcumsumexp_cuda_kernelERKNSD_10TensorBaseESH_lENKUlvE_clEvENKUlvE4_clEvEUlS6_S6_E_S6_EEDaPvRmT3_T4_T5_mT6_P12ihipStream_tbENKUlT_T0_E_clISt17integral_constantIbLb1EESY_EEDaST_SU_EUlST_E0_NS1_11comp_targetILNS1_3genE2ELNS1_11target_archE906ELNS1_3gpuE6ELNS1_3repE0EEENS1_30default_config_static_selectorELNS0_4arch9wavefront6targetE1EEEvT1_
; %bb.0:
	.section	.rodata,"a",@progbits
	.p2align	6, 0x0
	.amdhsa_kernel _ZN7rocprim17ROCPRIM_400000_NS6detail17trampoline_kernelINS0_14default_configENS1_20scan_config_selectorIN3c108BFloat16EEEZZNS1_9scan_implILNS1_25lookback_scan_determinismE0ELb0ELb0ES3_PKS6_PS6_S6_ZZZN2at6native31launch_logcumsumexp_cuda_kernelERKNSD_10TensorBaseESH_lENKUlvE_clEvENKUlvE4_clEvEUlS6_S6_E_S6_EEDaPvRmT3_T4_T5_mT6_P12ihipStream_tbENKUlT_T0_E_clISt17integral_constantIbLb1EESY_EEDaST_SU_EUlST_E0_NS1_11comp_targetILNS1_3genE2ELNS1_11target_archE906ELNS1_3gpuE6ELNS1_3repE0EEENS1_30default_config_static_selectorELNS0_4arch9wavefront6targetE1EEEvT1_
		.amdhsa_group_segment_fixed_size 0
		.amdhsa_private_segment_fixed_size 0
		.amdhsa_kernarg_size 32
		.amdhsa_user_sgpr_count 2
		.amdhsa_user_sgpr_dispatch_ptr 0
		.amdhsa_user_sgpr_queue_ptr 0
		.amdhsa_user_sgpr_kernarg_segment_ptr 1
		.amdhsa_user_sgpr_dispatch_id 0
		.amdhsa_user_sgpr_kernarg_preload_length 0
		.amdhsa_user_sgpr_kernarg_preload_offset 0
		.amdhsa_user_sgpr_private_segment_size 0
		.amdhsa_uses_dynamic_stack 0
		.amdhsa_enable_private_segment 0
		.amdhsa_system_sgpr_workgroup_id_x 1
		.amdhsa_system_sgpr_workgroup_id_y 0
		.amdhsa_system_sgpr_workgroup_id_z 0
		.amdhsa_system_sgpr_workgroup_info 0
		.amdhsa_system_vgpr_workitem_id 0
		.amdhsa_next_free_vgpr 1
		.amdhsa_next_free_sgpr 0
		.amdhsa_accum_offset 4
		.amdhsa_reserve_vcc 0
		.amdhsa_float_round_mode_32 0
		.amdhsa_float_round_mode_16_64 0
		.amdhsa_float_denorm_mode_32 3
		.amdhsa_float_denorm_mode_16_64 3
		.amdhsa_dx10_clamp 1
		.amdhsa_ieee_mode 1
		.amdhsa_fp16_overflow 0
		.amdhsa_tg_split 0
		.amdhsa_exception_fp_ieee_invalid_op 0
		.amdhsa_exception_fp_denorm_src 0
		.amdhsa_exception_fp_ieee_div_zero 0
		.amdhsa_exception_fp_ieee_overflow 0
		.amdhsa_exception_fp_ieee_underflow 0
		.amdhsa_exception_fp_ieee_inexact 0
		.amdhsa_exception_int_div_zero 0
	.end_amdhsa_kernel
	.section	.text._ZN7rocprim17ROCPRIM_400000_NS6detail17trampoline_kernelINS0_14default_configENS1_20scan_config_selectorIN3c108BFloat16EEEZZNS1_9scan_implILNS1_25lookback_scan_determinismE0ELb0ELb0ES3_PKS6_PS6_S6_ZZZN2at6native31launch_logcumsumexp_cuda_kernelERKNSD_10TensorBaseESH_lENKUlvE_clEvENKUlvE4_clEvEUlS6_S6_E_S6_EEDaPvRmT3_T4_T5_mT6_P12ihipStream_tbENKUlT_T0_E_clISt17integral_constantIbLb1EESY_EEDaST_SU_EUlST_E0_NS1_11comp_targetILNS1_3genE2ELNS1_11target_archE906ELNS1_3gpuE6ELNS1_3repE0EEENS1_30default_config_static_selectorELNS0_4arch9wavefront6targetE1EEEvT1_,"axG",@progbits,_ZN7rocprim17ROCPRIM_400000_NS6detail17trampoline_kernelINS0_14default_configENS1_20scan_config_selectorIN3c108BFloat16EEEZZNS1_9scan_implILNS1_25lookback_scan_determinismE0ELb0ELb0ES3_PKS6_PS6_S6_ZZZN2at6native31launch_logcumsumexp_cuda_kernelERKNSD_10TensorBaseESH_lENKUlvE_clEvENKUlvE4_clEvEUlS6_S6_E_S6_EEDaPvRmT3_T4_T5_mT6_P12ihipStream_tbENKUlT_T0_E_clISt17integral_constantIbLb1EESY_EEDaST_SU_EUlST_E0_NS1_11comp_targetILNS1_3genE2ELNS1_11target_archE906ELNS1_3gpuE6ELNS1_3repE0EEENS1_30default_config_static_selectorELNS0_4arch9wavefront6targetE1EEEvT1_,comdat
.Lfunc_end492:
	.size	_ZN7rocprim17ROCPRIM_400000_NS6detail17trampoline_kernelINS0_14default_configENS1_20scan_config_selectorIN3c108BFloat16EEEZZNS1_9scan_implILNS1_25lookback_scan_determinismE0ELb0ELb0ES3_PKS6_PS6_S6_ZZZN2at6native31launch_logcumsumexp_cuda_kernelERKNSD_10TensorBaseESH_lENKUlvE_clEvENKUlvE4_clEvEUlS6_S6_E_S6_EEDaPvRmT3_T4_T5_mT6_P12ihipStream_tbENKUlT_T0_E_clISt17integral_constantIbLb1EESY_EEDaST_SU_EUlST_E0_NS1_11comp_targetILNS1_3genE2ELNS1_11target_archE906ELNS1_3gpuE6ELNS1_3repE0EEENS1_30default_config_static_selectorELNS0_4arch9wavefront6targetE1EEEvT1_, .Lfunc_end492-_ZN7rocprim17ROCPRIM_400000_NS6detail17trampoline_kernelINS0_14default_configENS1_20scan_config_selectorIN3c108BFloat16EEEZZNS1_9scan_implILNS1_25lookback_scan_determinismE0ELb0ELb0ES3_PKS6_PS6_S6_ZZZN2at6native31launch_logcumsumexp_cuda_kernelERKNSD_10TensorBaseESH_lENKUlvE_clEvENKUlvE4_clEvEUlS6_S6_E_S6_EEDaPvRmT3_T4_T5_mT6_P12ihipStream_tbENKUlT_T0_E_clISt17integral_constantIbLb1EESY_EEDaST_SU_EUlST_E0_NS1_11comp_targetILNS1_3genE2ELNS1_11target_archE906ELNS1_3gpuE6ELNS1_3repE0EEENS1_30default_config_static_selectorELNS0_4arch9wavefront6targetE1EEEvT1_
                                        ; -- End function
	.section	.AMDGPU.csdata,"",@progbits
; Kernel info:
; codeLenInByte = 0
; NumSgprs: 6
; NumVgprs: 0
; NumAgprs: 0
; TotalNumVgprs: 0
; ScratchSize: 0
; MemoryBound: 0
; FloatMode: 240
; IeeeMode: 1
; LDSByteSize: 0 bytes/workgroup (compile time only)
; SGPRBlocks: 0
; VGPRBlocks: 0
; NumSGPRsForWavesPerEU: 6
; NumVGPRsForWavesPerEU: 1
; AccumOffset: 4
; Occupancy: 8
; WaveLimiterHint : 0
; COMPUTE_PGM_RSRC2:SCRATCH_EN: 0
; COMPUTE_PGM_RSRC2:USER_SGPR: 2
; COMPUTE_PGM_RSRC2:TRAP_HANDLER: 0
; COMPUTE_PGM_RSRC2:TGID_X_EN: 1
; COMPUTE_PGM_RSRC2:TGID_Y_EN: 0
; COMPUTE_PGM_RSRC2:TGID_Z_EN: 0
; COMPUTE_PGM_RSRC2:TIDIG_COMP_CNT: 0
; COMPUTE_PGM_RSRC3_GFX90A:ACCUM_OFFSET: 0
; COMPUTE_PGM_RSRC3_GFX90A:TG_SPLIT: 0
	.section	.text._ZN7rocprim17ROCPRIM_400000_NS6detail17trampoline_kernelINS0_14default_configENS1_20scan_config_selectorIN3c108BFloat16EEEZZNS1_9scan_implILNS1_25lookback_scan_determinismE0ELb0ELb0ES3_PKS6_PS6_S6_ZZZN2at6native31launch_logcumsumexp_cuda_kernelERKNSD_10TensorBaseESH_lENKUlvE_clEvENKUlvE4_clEvEUlS6_S6_E_S6_EEDaPvRmT3_T4_T5_mT6_P12ihipStream_tbENKUlT_T0_E_clISt17integral_constantIbLb1EESY_EEDaST_SU_EUlST_E0_NS1_11comp_targetILNS1_3genE10ELNS1_11target_archE1201ELNS1_3gpuE5ELNS1_3repE0EEENS1_30default_config_static_selectorELNS0_4arch9wavefront6targetE1EEEvT1_,"axG",@progbits,_ZN7rocprim17ROCPRIM_400000_NS6detail17trampoline_kernelINS0_14default_configENS1_20scan_config_selectorIN3c108BFloat16EEEZZNS1_9scan_implILNS1_25lookback_scan_determinismE0ELb0ELb0ES3_PKS6_PS6_S6_ZZZN2at6native31launch_logcumsumexp_cuda_kernelERKNSD_10TensorBaseESH_lENKUlvE_clEvENKUlvE4_clEvEUlS6_S6_E_S6_EEDaPvRmT3_T4_T5_mT6_P12ihipStream_tbENKUlT_T0_E_clISt17integral_constantIbLb1EESY_EEDaST_SU_EUlST_E0_NS1_11comp_targetILNS1_3genE10ELNS1_11target_archE1201ELNS1_3gpuE5ELNS1_3repE0EEENS1_30default_config_static_selectorELNS0_4arch9wavefront6targetE1EEEvT1_,comdat
	.globl	_ZN7rocprim17ROCPRIM_400000_NS6detail17trampoline_kernelINS0_14default_configENS1_20scan_config_selectorIN3c108BFloat16EEEZZNS1_9scan_implILNS1_25lookback_scan_determinismE0ELb0ELb0ES3_PKS6_PS6_S6_ZZZN2at6native31launch_logcumsumexp_cuda_kernelERKNSD_10TensorBaseESH_lENKUlvE_clEvENKUlvE4_clEvEUlS6_S6_E_S6_EEDaPvRmT3_T4_T5_mT6_P12ihipStream_tbENKUlT_T0_E_clISt17integral_constantIbLb1EESY_EEDaST_SU_EUlST_E0_NS1_11comp_targetILNS1_3genE10ELNS1_11target_archE1201ELNS1_3gpuE5ELNS1_3repE0EEENS1_30default_config_static_selectorELNS0_4arch9wavefront6targetE1EEEvT1_ ; -- Begin function _ZN7rocprim17ROCPRIM_400000_NS6detail17trampoline_kernelINS0_14default_configENS1_20scan_config_selectorIN3c108BFloat16EEEZZNS1_9scan_implILNS1_25lookback_scan_determinismE0ELb0ELb0ES3_PKS6_PS6_S6_ZZZN2at6native31launch_logcumsumexp_cuda_kernelERKNSD_10TensorBaseESH_lENKUlvE_clEvENKUlvE4_clEvEUlS6_S6_E_S6_EEDaPvRmT3_T4_T5_mT6_P12ihipStream_tbENKUlT_T0_E_clISt17integral_constantIbLb1EESY_EEDaST_SU_EUlST_E0_NS1_11comp_targetILNS1_3genE10ELNS1_11target_archE1201ELNS1_3gpuE5ELNS1_3repE0EEENS1_30default_config_static_selectorELNS0_4arch9wavefront6targetE1EEEvT1_
	.p2align	8
	.type	_ZN7rocprim17ROCPRIM_400000_NS6detail17trampoline_kernelINS0_14default_configENS1_20scan_config_selectorIN3c108BFloat16EEEZZNS1_9scan_implILNS1_25lookback_scan_determinismE0ELb0ELb0ES3_PKS6_PS6_S6_ZZZN2at6native31launch_logcumsumexp_cuda_kernelERKNSD_10TensorBaseESH_lENKUlvE_clEvENKUlvE4_clEvEUlS6_S6_E_S6_EEDaPvRmT3_T4_T5_mT6_P12ihipStream_tbENKUlT_T0_E_clISt17integral_constantIbLb1EESY_EEDaST_SU_EUlST_E0_NS1_11comp_targetILNS1_3genE10ELNS1_11target_archE1201ELNS1_3gpuE5ELNS1_3repE0EEENS1_30default_config_static_selectorELNS0_4arch9wavefront6targetE1EEEvT1_,@function
_ZN7rocprim17ROCPRIM_400000_NS6detail17trampoline_kernelINS0_14default_configENS1_20scan_config_selectorIN3c108BFloat16EEEZZNS1_9scan_implILNS1_25lookback_scan_determinismE0ELb0ELb0ES3_PKS6_PS6_S6_ZZZN2at6native31launch_logcumsumexp_cuda_kernelERKNSD_10TensorBaseESH_lENKUlvE_clEvENKUlvE4_clEvEUlS6_S6_E_S6_EEDaPvRmT3_T4_T5_mT6_P12ihipStream_tbENKUlT_T0_E_clISt17integral_constantIbLb1EESY_EEDaST_SU_EUlST_E0_NS1_11comp_targetILNS1_3genE10ELNS1_11target_archE1201ELNS1_3gpuE5ELNS1_3repE0EEENS1_30default_config_static_selectorELNS0_4arch9wavefront6targetE1EEEvT1_: ; @_ZN7rocprim17ROCPRIM_400000_NS6detail17trampoline_kernelINS0_14default_configENS1_20scan_config_selectorIN3c108BFloat16EEEZZNS1_9scan_implILNS1_25lookback_scan_determinismE0ELb0ELb0ES3_PKS6_PS6_S6_ZZZN2at6native31launch_logcumsumexp_cuda_kernelERKNSD_10TensorBaseESH_lENKUlvE_clEvENKUlvE4_clEvEUlS6_S6_E_S6_EEDaPvRmT3_T4_T5_mT6_P12ihipStream_tbENKUlT_T0_E_clISt17integral_constantIbLb1EESY_EEDaST_SU_EUlST_E0_NS1_11comp_targetILNS1_3genE10ELNS1_11target_archE1201ELNS1_3gpuE5ELNS1_3repE0EEENS1_30default_config_static_selectorELNS0_4arch9wavefront6targetE1EEEvT1_
; %bb.0:
	.section	.rodata,"a",@progbits
	.p2align	6, 0x0
	.amdhsa_kernel _ZN7rocprim17ROCPRIM_400000_NS6detail17trampoline_kernelINS0_14default_configENS1_20scan_config_selectorIN3c108BFloat16EEEZZNS1_9scan_implILNS1_25lookback_scan_determinismE0ELb0ELb0ES3_PKS6_PS6_S6_ZZZN2at6native31launch_logcumsumexp_cuda_kernelERKNSD_10TensorBaseESH_lENKUlvE_clEvENKUlvE4_clEvEUlS6_S6_E_S6_EEDaPvRmT3_T4_T5_mT6_P12ihipStream_tbENKUlT_T0_E_clISt17integral_constantIbLb1EESY_EEDaST_SU_EUlST_E0_NS1_11comp_targetILNS1_3genE10ELNS1_11target_archE1201ELNS1_3gpuE5ELNS1_3repE0EEENS1_30default_config_static_selectorELNS0_4arch9wavefront6targetE1EEEvT1_
		.amdhsa_group_segment_fixed_size 0
		.amdhsa_private_segment_fixed_size 0
		.amdhsa_kernarg_size 32
		.amdhsa_user_sgpr_count 2
		.amdhsa_user_sgpr_dispatch_ptr 0
		.amdhsa_user_sgpr_queue_ptr 0
		.amdhsa_user_sgpr_kernarg_segment_ptr 1
		.amdhsa_user_sgpr_dispatch_id 0
		.amdhsa_user_sgpr_kernarg_preload_length 0
		.amdhsa_user_sgpr_kernarg_preload_offset 0
		.amdhsa_user_sgpr_private_segment_size 0
		.amdhsa_uses_dynamic_stack 0
		.amdhsa_enable_private_segment 0
		.amdhsa_system_sgpr_workgroup_id_x 1
		.amdhsa_system_sgpr_workgroup_id_y 0
		.amdhsa_system_sgpr_workgroup_id_z 0
		.amdhsa_system_sgpr_workgroup_info 0
		.amdhsa_system_vgpr_workitem_id 0
		.amdhsa_next_free_vgpr 1
		.amdhsa_next_free_sgpr 0
		.amdhsa_accum_offset 4
		.amdhsa_reserve_vcc 0
		.amdhsa_float_round_mode_32 0
		.amdhsa_float_round_mode_16_64 0
		.amdhsa_float_denorm_mode_32 3
		.amdhsa_float_denorm_mode_16_64 3
		.amdhsa_dx10_clamp 1
		.amdhsa_ieee_mode 1
		.amdhsa_fp16_overflow 0
		.amdhsa_tg_split 0
		.amdhsa_exception_fp_ieee_invalid_op 0
		.amdhsa_exception_fp_denorm_src 0
		.amdhsa_exception_fp_ieee_div_zero 0
		.amdhsa_exception_fp_ieee_overflow 0
		.amdhsa_exception_fp_ieee_underflow 0
		.amdhsa_exception_fp_ieee_inexact 0
		.amdhsa_exception_int_div_zero 0
	.end_amdhsa_kernel
	.section	.text._ZN7rocprim17ROCPRIM_400000_NS6detail17trampoline_kernelINS0_14default_configENS1_20scan_config_selectorIN3c108BFloat16EEEZZNS1_9scan_implILNS1_25lookback_scan_determinismE0ELb0ELb0ES3_PKS6_PS6_S6_ZZZN2at6native31launch_logcumsumexp_cuda_kernelERKNSD_10TensorBaseESH_lENKUlvE_clEvENKUlvE4_clEvEUlS6_S6_E_S6_EEDaPvRmT3_T4_T5_mT6_P12ihipStream_tbENKUlT_T0_E_clISt17integral_constantIbLb1EESY_EEDaST_SU_EUlST_E0_NS1_11comp_targetILNS1_3genE10ELNS1_11target_archE1201ELNS1_3gpuE5ELNS1_3repE0EEENS1_30default_config_static_selectorELNS0_4arch9wavefront6targetE1EEEvT1_,"axG",@progbits,_ZN7rocprim17ROCPRIM_400000_NS6detail17trampoline_kernelINS0_14default_configENS1_20scan_config_selectorIN3c108BFloat16EEEZZNS1_9scan_implILNS1_25lookback_scan_determinismE0ELb0ELb0ES3_PKS6_PS6_S6_ZZZN2at6native31launch_logcumsumexp_cuda_kernelERKNSD_10TensorBaseESH_lENKUlvE_clEvENKUlvE4_clEvEUlS6_S6_E_S6_EEDaPvRmT3_T4_T5_mT6_P12ihipStream_tbENKUlT_T0_E_clISt17integral_constantIbLb1EESY_EEDaST_SU_EUlST_E0_NS1_11comp_targetILNS1_3genE10ELNS1_11target_archE1201ELNS1_3gpuE5ELNS1_3repE0EEENS1_30default_config_static_selectorELNS0_4arch9wavefront6targetE1EEEvT1_,comdat
.Lfunc_end493:
	.size	_ZN7rocprim17ROCPRIM_400000_NS6detail17trampoline_kernelINS0_14default_configENS1_20scan_config_selectorIN3c108BFloat16EEEZZNS1_9scan_implILNS1_25lookback_scan_determinismE0ELb0ELb0ES3_PKS6_PS6_S6_ZZZN2at6native31launch_logcumsumexp_cuda_kernelERKNSD_10TensorBaseESH_lENKUlvE_clEvENKUlvE4_clEvEUlS6_S6_E_S6_EEDaPvRmT3_T4_T5_mT6_P12ihipStream_tbENKUlT_T0_E_clISt17integral_constantIbLb1EESY_EEDaST_SU_EUlST_E0_NS1_11comp_targetILNS1_3genE10ELNS1_11target_archE1201ELNS1_3gpuE5ELNS1_3repE0EEENS1_30default_config_static_selectorELNS0_4arch9wavefront6targetE1EEEvT1_, .Lfunc_end493-_ZN7rocprim17ROCPRIM_400000_NS6detail17trampoline_kernelINS0_14default_configENS1_20scan_config_selectorIN3c108BFloat16EEEZZNS1_9scan_implILNS1_25lookback_scan_determinismE0ELb0ELb0ES3_PKS6_PS6_S6_ZZZN2at6native31launch_logcumsumexp_cuda_kernelERKNSD_10TensorBaseESH_lENKUlvE_clEvENKUlvE4_clEvEUlS6_S6_E_S6_EEDaPvRmT3_T4_T5_mT6_P12ihipStream_tbENKUlT_T0_E_clISt17integral_constantIbLb1EESY_EEDaST_SU_EUlST_E0_NS1_11comp_targetILNS1_3genE10ELNS1_11target_archE1201ELNS1_3gpuE5ELNS1_3repE0EEENS1_30default_config_static_selectorELNS0_4arch9wavefront6targetE1EEEvT1_
                                        ; -- End function
	.section	.AMDGPU.csdata,"",@progbits
; Kernel info:
; codeLenInByte = 0
; NumSgprs: 6
; NumVgprs: 0
; NumAgprs: 0
; TotalNumVgprs: 0
; ScratchSize: 0
; MemoryBound: 0
; FloatMode: 240
; IeeeMode: 1
; LDSByteSize: 0 bytes/workgroup (compile time only)
; SGPRBlocks: 0
; VGPRBlocks: 0
; NumSGPRsForWavesPerEU: 6
; NumVGPRsForWavesPerEU: 1
; AccumOffset: 4
; Occupancy: 8
; WaveLimiterHint : 0
; COMPUTE_PGM_RSRC2:SCRATCH_EN: 0
; COMPUTE_PGM_RSRC2:USER_SGPR: 2
; COMPUTE_PGM_RSRC2:TRAP_HANDLER: 0
; COMPUTE_PGM_RSRC2:TGID_X_EN: 1
; COMPUTE_PGM_RSRC2:TGID_Y_EN: 0
; COMPUTE_PGM_RSRC2:TGID_Z_EN: 0
; COMPUTE_PGM_RSRC2:TIDIG_COMP_CNT: 0
; COMPUTE_PGM_RSRC3_GFX90A:ACCUM_OFFSET: 0
; COMPUTE_PGM_RSRC3_GFX90A:TG_SPLIT: 0
	.section	.text._ZN7rocprim17ROCPRIM_400000_NS6detail17trampoline_kernelINS0_14default_configENS1_20scan_config_selectorIN3c108BFloat16EEEZZNS1_9scan_implILNS1_25lookback_scan_determinismE0ELb0ELb0ES3_PKS6_PS6_S6_ZZZN2at6native31launch_logcumsumexp_cuda_kernelERKNSD_10TensorBaseESH_lENKUlvE_clEvENKUlvE4_clEvEUlS6_S6_E_S6_EEDaPvRmT3_T4_T5_mT6_P12ihipStream_tbENKUlT_T0_E_clISt17integral_constantIbLb1EESY_EEDaST_SU_EUlST_E0_NS1_11comp_targetILNS1_3genE10ELNS1_11target_archE1200ELNS1_3gpuE4ELNS1_3repE0EEENS1_30default_config_static_selectorELNS0_4arch9wavefront6targetE1EEEvT1_,"axG",@progbits,_ZN7rocprim17ROCPRIM_400000_NS6detail17trampoline_kernelINS0_14default_configENS1_20scan_config_selectorIN3c108BFloat16EEEZZNS1_9scan_implILNS1_25lookback_scan_determinismE0ELb0ELb0ES3_PKS6_PS6_S6_ZZZN2at6native31launch_logcumsumexp_cuda_kernelERKNSD_10TensorBaseESH_lENKUlvE_clEvENKUlvE4_clEvEUlS6_S6_E_S6_EEDaPvRmT3_T4_T5_mT6_P12ihipStream_tbENKUlT_T0_E_clISt17integral_constantIbLb1EESY_EEDaST_SU_EUlST_E0_NS1_11comp_targetILNS1_3genE10ELNS1_11target_archE1200ELNS1_3gpuE4ELNS1_3repE0EEENS1_30default_config_static_selectorELNS0_4arch9wavefront6targetE1EEEvT1_,comdat
	.globl	_ZN7rocprim17ROCPRIM_400000_NS6detail17trampoline_kernelINS0_14default_configENS1_20scan_config_selectorIN3c108BFloat16EEEZZNS1_9scan_implILNS1_25lookback_scan_determinismE0ELb0ELb0ES3_PKS6_PS6_S6_ZZZN2at6native31launch_logcumsumexp_cuda_kernelERKNSD_10TensorBaseESH_lENKUlvE_clEvENKUlvE4_clEvEUlS6_S6_E_S6_EEDaPvRmT3_T4_T5_mT6_P12ihipStream_tbENKUlT_T0_E_clISt17integral_constantIbLb1EESY_EEDaST_SU_EUlST_E0_NS1_11comp_targetILNS1_3genE10ELNS1_11target_archE1200ELNS1_3gpuE4ELNS1_3repE0EEENS1_30default_config_static_selectorELNS0_4arch9wavefront6targetE1EEEvT1_ ; -- Begin function _ZN7rocprim17ROCPRIM_400000_NS6detail17trampoline_kernelINS0_14default_configENS1_20scan_config_selectorIN3c108BFloat16EEEZZNS1_9scan_implILNS1_25lookback_scan_determinismE0ELb0ELb0ES3_PKS6_PS6_S6_ZZZN2at6native31launch_logcumsumexp_cuda_kernelERKNSD_10TensorBaseESH_lENKUlvE_clEvENKUlvE4_clEvEUlS6_S6_E_S6_EEDaPvRmT3_T4_T5_mT6_P12ihipStream_tbENKUlT_T0_E_clISt17integral_constantIbLb1EESY_EEDaST_SU_EUlST_E0_NS1_11comp_targetILNS1_3genE10ELNS1_11target_archE1200ELNS1_3gpuE4ELNS1_3repE0EEENS1_30default_config_static_selectorELNS0_4arch9wavefront6targetE1EEEvT1_
	.p2align	8
	.type	_ZN7rocprim17ROCPRIM_400000_NS6detail17trampoline_kernelINS0_14default_configENS1_20scan_config_selectorIN3c108BFloat16EEEZZNS1_9scan_implILNS1_25lookback_scan_determinismE0ELb0ELb0ES3_PKS6_PS6_S6_ZZZN2at6native31launch_logcumsumexp_cuda_kernelERKNSD_10TensorBaseESH_lENKUlvE_clEvENKUlvE4_clEvEUlS6_S6_E_S6_EEDaPvRmT3_T4_T5_mT6_P12ihipStream_tbENKUlT_T0_E_clISt17integral_constantIbLb1EESY_EEDaST_SU_EUlST_E0_NS1_11comp_targetILNS1_3genE10ELNS1_11target_archE1200ELNS1_3gpuE4ELNS1_3repE0EEENS1_30default_config_static_selectorELNS0_4arch9wavefront6targetE1EEEvT1_,@function
_ZN7rocprim17ROCPRIM_400000_NS6detail17trampoline_kernelINS0_14default_configENS1_20scan_config_selectorIN3c108BFloat16EEEZZNS1_9scan_implILNS1_25lookback_scan_determinismE0ELb0ELb0ES3_PKS6_PS6_S6_ZZZN2at6native31launch_logcumsumexp_cuda_kernelERKNSD_10TensorBaseESH_lENKUlvE_clEvENKUlvE4_clEvEUlS6_S6_E_S6_EEDaPvRmT3_T4_T5_mT6_P12ihipStream_tbENKUlT_T0_E_clISt17integral_constantIbLb1EESY_EEDaST_SU_EUlST_E0_NS1_11comp_targetILNS1_3genE10ELNS1_11target_archE1200ELNS1_3gpuE4ELNS1_3repE0EEENS1_30default_config_static_selectorELNS0_4arch9wavefront6targetE1EEEvT1_: ; @_ZN7rocprim17ROCPRIM_400000_NS6detail17trampoline_kernelINS0_14default_configENS1_20scan_config_selectorIN3c108BFloat16EEEZZNS1_9scan_implILNS1_25lookback_scan_determinismE0ELb0ELb0ES3_PKS6_PS6_S6_ZZZN2at6native31launch_logcumsumexp_cuda_kernelERKNSD_10TensorBaseESH_lENKUlvE_clEvENKUlvE4_clEvEUlS6_S6_E_S6_EEDaPvRmT3_T4_T5_mT6_P12ihipStream_tbENKUlT_T0_E_clISt17integral_constantIbLb1EESY_EEDaST_SU_EUlST_E0_NS1_11comp_targetILNS1_3genE10ELNS1_11target_archE1200ELNS1_3gpuE4ELNS1_3repE0EEENS1_30default_config_static_selectorELNS0_4arch9wavefront6targetE1EEEvT1_
; %bb.0:
	.section	.rodata,"a",@progbits
	.p2align	6, 0x0
	.amdhsa_kernel _ZN7rocprim17ROCPRIM_400000_NS6detail17trampoline_kernelINS0_14default_configENS1_20scan_config_selectorIN3c108BFloat16EEEZZNS1_9scan_implILNS1_25lookback_scan_determinismE0ELb0ELb0ES3_PKS6_PS6_S6_ZZZN2at6native31launch_logcumsumexp_cuda_kernelERKNSD_10TensorBaseESH_lENKUlvE_clEvENKUlvE4_clEvEUlS6_S6_E_S6_EEDaPvRmT3_T4_T5_mT6_P12ihipStream_tbENKUlT_T0_E_clISt17integral_constantIbLb1EESY_EEDaST_SU_EUlST_E0_NS1_11comp_targetILNS1_3genE10ELNS1_11target_archE1200ELNS1_3gpuE4ELNS1_3repE0EEENS1_30default_config_static_selectorELNS0_4arch9wavefront6targetE1EEEvT1_
		.amdhsa_group_segment_fixed_size 0
		.amdhsa_private_segment_fixed_size 0
		.amdhsa_kernarg_size 32
		.amdhsa_user_sgpr_count 2
		.amdhsa_user_sgpr_dispatch_ptr 0
		.amdhsa_user_sgpr_queue_ptr 0
		.amdhsa_user_sgpr_kernarg_segment_ptr 1
		.amdhsa_user_sgpr_dispatch_id 0
		.amdhsa_user_sgpr_kernarg_preload_length 0
		.amdhsa_user_sgpr_kernarg_preload_offset 0
		.amdhsa_user_sgpr_private_segment_size 0
		.amdhsa_uses_dynamic_stack 0
		.amdhsa_enable_private_segment 0
		.amdhsa_system_sgpr_workgroup_id_x 1
		.amdhsa_system_sgpr_workgroup_id_y 0
		.amdhsa_system_sgpr_workgroup_id_z 0
		.amdhsa_system_sgpr_workgroup_info 0
		.amdhsa_system_vgpr_workitem_id 0
		.amdhsa_next_free_vgpr 1
		.amdhsa_next_free_sgpr 0
		.amdhsa_accum_offset 4
		.amdhsa_reserve_vcc 0
		.amdhsa_float_round_mode_32 0
		.amdhsa_float_round_mode_16_64 0
		.amdhsa_float_denorm_mode_32 3
		.amdhsa_float_denorm_mode_16_64 3
		.amdhsa_dx10_clamp 1
		.amdhsa_ieee_mode 1
		.amdhsa_fp16_overflow 0
		.amdhsa_tg_split 0
		.amdhsa_exception_fp_ieee_invalid_op 0
		.amdhsa_exception_fp_denorm_src 0
		.amdhsa_exception_fp_ieee_div_zero 0
		.amdhsa_exception_fp_ieee_overflow 0
		.amdhsa_exception_fp_ieee_underflow 0
		.amdhsa_exception_fp_ieee_inexact 0
		.amdhsa_exception_int_div_zero 0
	.end_amdhsa_kernel
	.section	.text._ZN7rocprim17ROCPRIM_400000_NS6detail17trampoline_kernelINS0_14default_configENS1_20scan_config_selectorIN3c108BFloat16EEEZZNS1_9scan_implILNS1_25lookback_scan_determinismE0ELb0ELb0ES3_PKS6_PS6_S6_ZZZN2at6native31launch_logcumsumexp_cuda_kernelERKNSD_10TensorBaseESH_lENKUlvE_clEvENKUlvE4_clEvEUlS6_S6_E_S6_EEDaPvRmT3_T4_T5_mT6_P12ihipStream_tbENKUlT_T0_E_clISt17integral_constantIbLb1EESY_EEDaST_SU_EUlST_E0_NS1_11comp_targetILNS1_3genE10ELNS1_11target_archE1200ELNS1_3gpuE4ELNS1_3repE0EEENS1_30default_config_static_selectorELNS0_4arch9wavefront6targetE1EEEvT1_,"axG",@progbits,_ZN7rocprim17ROCPRIM_400000_NS6detail17trampoline_kernelINS0_14default_configENS1_20scan_config_selectorIN3c108BFloat16EEEZZNS1_9scan_implILNS1_25lookback_scan_determinismE0ELb0ELb0ES3_PKS6_PS6_S6_ZZZN2at6native31launch_logcumsumexp_cuda_kernelERKNSD_10TensorBaseESH_lENKUlvE_clEvENKUlvE4_clEvEUlS6_S6_E_S6_EEDaPvRmT3_T4_T5_mT6_P12ihipStream_tbENKUlT_T0_E_clISt17integral_constantIbLb1EESY_EEDaST_SU_EUlST_E0_NS1_11comp_targetILNS1_3genE10ELNS1_11target_archE1200ELNS1_3gpuE4ELNS1_3repE0EEENS1_30default_config_static_selectorELNS0_4arch9wavefront6targetE1EEEvT1_,comdat
.Lfunc_end494:
	.size	_ZN7rocprim17ROCPRIM_400000_NS6detail17trampoline_kernelINS0_14default_configENS1_20scan_config_selectorIN3c108BFloat16EEEZZNS1_9scan_implILNS1_25lookback_scan_determinismE0ELb0ELb0ES3_PKS6_PS6_S6_ZZZN2at6native31launch_logcumsumexp_cuda_kernelERKNSD_10TensorBaseESH_lENKUlvE_clEvENKUlvE4_clEvEUlS6_S6_E_S6_EEDaPvRmT3_T4_T5_mT6_P12ihipStream_tbENKUlT_T0_E_clISt17integral_constantIbLb1EESY_EEDaST_SU_EUlST_E0_NS1_11comp_targetILNS1_3genE10ELNS1_11target_archE1200ELNS1_3gpuE4ELNS1_3repE0EEENS1_30default_config_static_selectorELNS0_4arch9wavefront6targetE1EEEvT1_, .Lfunc_end494-_ZN7rocprim17ROCPRIM_400000_NS6detail17trampoline_kernelINS0_14default_configENS1_20scan_config_selectorIN3c108BFloat16EEEZZNS1_9scan_implILNS1_25lookback_scan_determinismE0ELb0ELb0ES3_PKS6_PS6_S6_ZZZN2at6native31launch_logcumsumexp_cuda_kernelERKNSD_10TensorBaseESH_lENKUlvE_clEvENKUlvE4_clEvEUlS6_S6_E_S6_EEDaPvRmT3_T4_T5_mT6_P12ihipStream_tbENKUlT_T0_E_clISt17integral_constantIbLb1EESY_EEDaST_SU_EUlST_E0_NS1_11comp_targetILNS1_3genE10ELNS1_11target_archE1200ELNS1_3gpuE4ELNS1_3repE0EEENS1_30default_config_static_selectorELNS0_4arch9wavefront6targetE1EEEvT1_
                                        ; -- End function
	.section	.AMDGPU.csdata,"",@progbits
; Kernel info:
; codeLenInByte = 0
; NumSgprs: 6
; NumVgprs: 0
; NumAgprs: 0
; TotalNumVgprs: 0
; ScratchSize: 0
; MemoryBound: 0
; FloatMode: 240
; IeeeMode: 1
; LDSByteSize: 0 bytes/workgroup (compile time only)
; SGPRBlocks: 0
; VGPRBlocks: 0
; NumSGPRsForWavesPerEU: 6
; NumVGPRsForWavesPerEU: 1
; AccumOffset: 4
; Occupancy: 8
; WaveLimiterHint : 0
; COMPUTE_PGM_RSRC2:SCRATCH_EN: 0
; COMPUTE_PGM_RSRC2:USER_SGPR: 2
; COMPUTE_PGM_RSRC2:TRAP_HANDLER: 0
; COMPUTE_PGM_RSRC2:TGID_X_EN: 1
; COMPUTE_PGM_RSRC2:TGID_Y_EN: 0
; COMPUTE_PGM_RSRC2:TGID_Z_EN: 0
; COMPUTE_PGM_RSRC2:TIDIG_COMP_CNT: 0
; COMPUTE_PGM_RSRC3_GFX90A:ACCUM_OFFSET: 0
; COMPUTE_PGM_RSRC3_GFX90A:TG_SPLIT: 0
	.section	.text._ZN7rocprim17ROCPRIM_400000_NS6detail17trampoline_kernelINS0_14default_configENS1_20scan_config_selectorIN3c108BFloat16EEEZZNS1_9scan_implILNS1_25lookback_scan_determinismE0ELb0ELb0ES3_PKS6_PS6_S6_ZZZN2at6native31launch_logcumsumexp_cuda_kernelERKNSD_10TensorBaseESH_lENKUlvE_clEvENKUlvE4_clEvEUlS6_S6_E_S6_EEDaPvRmT3_T4_T5_mT6_P12ihipStream_tbENKUlT_T0_E_clISt17integral_constantIbLb1EESY_EEDaST_SU_EUlST_E0_NS1_11comp_targetILNS1_3genE9ELNS1_11target_archE1100ELNS1_3gpuE3ELNS1_3repE0EEENS1_30default_config_static_selectorELNS0_4arch9wavefront6targetE1EEEvT1_,"axG",@progbits,_ZN7rocprim17ROCPRIM_400000_NS6detail17trampoline_kernelINS0_14default_configENS1_20scan_config_selectorIN3c108BFloat16EEEZZNS1_9scan_implILNS1_25lookback_scan_determinismE0ELb0ELb0ES3_PKS6_PS6_S6_ZZZN2at6native31launch_logcumsumexp_cuda_kernelERKNSD_10TensorBaseESH_lENKUlvE_clEvENKUlvE4_clEvEUlS6_S6_E_S6_EEDaPvRmT3_T4_T5_mT6_P12ihipStream_tbENKUlT_T0_E_clISt17integral_constantIbLb1EESY_EEDaST_SU_EUlST_E0_NS1_11comp_targetILNS1_3genE9ELNS1_11target_archE1100ELNS1_3gpuE3ELNS1_3repE0EEENS1_30default_config_static_selectorELNS0_4arch9wavefront6targetE1EEEvT1_,comdat
	.globl	_ZN7rocprim17ROCPRIM_400000_NS6detail17trampoline_kernelINS0_14default_configENS1_20scan_config_selectorIN3c108BFloat16EEEZZNS1_9scan_implILNS1_25lookback_scan_determinismE0ELb0ELb0ES3_PKS6_PS6_S6_ZZZN2at6native31launch_logcumsumexp_cuda_kernelERKNSD_10TensorBaseESH_lENKUlvE_clEvENKUlvE4_clEvEUlS6_S6_E_S6_EEDaPvRmT3_T4_T5_mT6_P12ihipStream_tbENKUlT_T0_E_clISt17integral_constantIbLb1EESY_EEDaST_SU_EUlST_E0_NS1_11comp_targetILNS1_3genE9ELNS1_11target_archE1100ELNS1_3gpuE3ELNS1_3repE0EEENS1_30default_config_static_selectorELNS0_4arch9wavefront6targetE1EEEvT1_ ; -- Begin function _ZN7rocprim17ROCPRIM_400000_NS6detail17trampoline_kernelINS0_14default_configENS1_20scan_config_selectorIN3c108BFloat16EEEZZNS1_9scan_implILNS1_25lookback_scan_determinismE0ELb0ELb0ES3_PKS6_PS6_S6_ZZZN2at6native31launch_logcumsumexp_cuda_kernelERKNSD_10TensorBaseESH_lENKUlvE_clEvENKUlvE4_clEvEUlS6_S6_E_S6_EEDaPvRmT3_T4_T5_mT6_P12ihipStream_tbENKUlT_T0_E_clISt17integral_constantIbLb1EESY_EEDaST_SU_EUlST_E0_NS1_11comp_targetILNS1_3genE9ELNS1_11target_archE1100ELNS1_3gpuE3ELNS1_3repE0EEENS1_30default_config_static_selectorELNS0_4arch9wavefront6targetE1EEEvT1_
	.p2align	8
	.type	_ZN7rocprim17ROCPRIM_400000_NS6detail17trampoline_kernelINS0_14default_configENS1_20scan_config_selectorIN3c108BFloat16EEEZZNS1_9scan_implILNS1_25lookback_scan_determinismE0ELb0ELb0ES3_PKS6_PS6_S6_ZZZN2at6native31launch_logcumsumexp_cuda_kernelERKNSD_10TensorBaseESH_lENKUlvE_clEvENKUlvE4_clEvEUlS6_S6_E_S6_EEDaPvRmT3_T4_T5_mT6_P12ihipStream_tbENKUlT_T0_E_clISt17integral_constantIbLb1EESY_EEDaST_SU_EUlST_E0_NS1_11comp_targetILNS1_3genE9ELNS1_11target_archE1100ELNS1_3gpuE3ELNS1_3repE0EEENS1_30default_config_static_selectorELNS0_4arch9wavefront6targetE1EEEvT1_,@function
_ZN7rocprim17ROCPRIM_400000_NS6detail17trampoline_kernelINS0_14default_configENS1_20scan_config_selectorIN3c108BFloat16EEEZZNS1_9scan_implILNS1_25lookback_scan_determinismE0ELb0ELb0ES3_PKS6_PS6_S6_ZZZN2at6native31launch_logcumsumexp_cuda_kernelERKNSD_10TensorBaseESH_lENKUlvE_clEvENKUlvE4_clEvEUlS6_S6_E_S6_EEDaPvRmT3_T4_T5_mT6_P12ihipStream_tbENKUlT_T0_E_clISt17integral_constantIbLb1EESY_EEDaST_SU_EUlST_E0_NS1_11comp_targetILNS1_3genE9ELNS1_11target_archE1100ELNS1_3gpuE3ELNS1_3repE0EEENS1_30default_config_static_selectorELNS0_4arch9wavefront6targetE1EEEvT1_: ; @_ZN7rocprim17ROCPRIM_400000_NS6detail17trampoline_kernelINS0_14default_configENS1_20scan_config_selectorIN3c108BFloat16EEEZZNS1_9scan_implILNS1_25lookback_scan_determinismE0ELb0ELb0ES3_PKS6_PS6_S6_ZZZN2at6native31launch_logcumsumexp_cuda_kernelERKNSD_10TensorBaseESH_lENKUlvE_clEvENKUlvE4_clEvEUlS6_S6_E_S6_EEDaPvRmT3_T4_T5_mT6_P12ihipStream_tbENKUlT_T0_E_clISt17integral_constantIbLb1EESY_EEDaST_SU_EUlST_E0_NS1_11comp_targetILNS1_3genE9ELNS1_11target_archE1100ELNS1_3gpuE3ELNS1_3repE0EEENS1_30default_config_static_selectorELNS0_4arch9wavefront6targetE1EEEvT1_
; %bb.0:
	.section	.rodata,"a",@progbits
	.p2align	6, 0x0
	.amdhsa_kernel _ZN7rocprim17ROCPRIM_400000_NS6detail17trampoline_kernelINS0_14default_configENS1_20scan_config_selectorIN3c108BFloat16EEEZZNS1_9scan_implILNS1_25lookback_scan_determinismE0ELb0ELb0ES3_PKS6_PS6_S6_ZZZN2at6native31launch_logcumsumexp_cuda_kernelERKNSD_10TensorBaseESH_lENKUlvE_clEvENKUlvE4_clEvEUlS6_S6_E_S6_EEDaPvRmT3_T4_T5_mT6_P12ihipStream_tbENKUlT_T0_E_clISt17integral_constantIbLb1EESY_EEDaST_SU_EUlST_E0_NS1_11comp_targetILNS1_3genE9ELNS1_11target_archE1100ELNS1_3gpuE3ELNS1_3repE0EEENS1_30default_config_static_selectorELNS0_4arch9wavefront6targetE1EEEvT1_
		.amdhsa_group_segment_fixed_size 0
		.amdhsa_private_segment_fixed_size 0
		.amdhsa_kernarg_size 32
		.amdhsa_user_sgpr_count 2
		.amdhsa_user_sgpr_dispatch_ptr 0
		.amdhsa_user_sgpr_queue_ptr 0
		.amdhsa_user_sgpr_kernarg_segment_ptr 1
		.amdhsa_user_sgpr_dispatch_id 0
		.amdhsa_user_sgpr_kernarg_preload_length 0
		.amdhsa_user_sgpr_kernarg_preload_offset 0
		.amdhsa_user_sgpr_private_segment_size 0
		.amdhsa_uses_dynamic_stack 0
		.amdhsa_enable_private_segment 0
		.amdhsa_system_sgpr_workgroup_id_x 1
		.amdhsa_system_sgpr_workgroup_id_y 0
		.amdhsa_system_sgpr_workgroup_id_z 0
		.amdhsa_system_sgpr_workgroup_info 0
		.amdhsa_system_vgpr_workitem_id 0
		.amdhsa_next_free_vgpr 1
		.amdhsa_next_free_sgpr 0
		.amdhsa_accum_offset 4
		.amdhsa_reserve_vcc 0
		.amdhsa_float_round_mode_32 0
		.amdhsa_float_round_mode_16_64 0
		.amdhsa_float_denorm_mode_32 3
		.amdhsa_float_denorm_mode_16_64 3
		.amdhsa_dx10_clamp 1
		.amdhsa_ieee_mode 1
		.amdhsa_fp16_overflow 0
		.amdhsa_tg_split 0
		.amdhsa_exception_fp_ieee_invalid_op 0
		.amdhsa_exception_fp_denorm_src 0
		.amdhsa_exception_fp_ieee_div_zero 0
		.amdhsa_exception_fp_ieee_overflow 0
		.amdhsa_exception_fp_ieee_underflow 0
		.amdhsa_exception_fp_ieee_inexact 0
		.amdhsa_exception_int_div_zero 0
	.end_amdhsa_kernel
	.section	.text._ZN7rocprim17ROCPRIM_400000_NS6detail17trampoline_kernelINS0_14default_configENS1_20scan_config_selectorIN3c108BFloat16EEEZZNS1_9scan_implILNS1_25lookback_scan_determinismE0ELb0ELb0ES3_PKS6_PS6_S6_ZZZN2at6native31launch_logcumsumexp_cuda_kernelERKNSD_10TensorBaseESH_lENKUlvE_clEvENKUlvE4_clEvEUlS6_S6_E_S6_EEDaPvRmT3_T4_T5_mT6_P12ihipStream_tbENKUlT_T0_E_clISt17integral_constantIbLb1EESY_EEDaST_SU_EUlST_E0_NS1_11comp_targetILNS1_3genE9ELNS1_11target_archE1100ELNS1_3gpuE3ELNS1_3repE0EEENS1_30default_config_static_selectorELNS0_4arch9wavefront6targetE1EEEvT1_,"axG",@progbits,_ZN7rocprim17ROCPRIM_400000_NS6detail17trampoline_kernelINS0_14default_configENS1_20scan_config_selectorIN3c108BFloat16EEEZZNS1_9scan_implILNS1_25lookback_scan_determinismE0ELb0ELb0ES3_PKS6_PS6_S6_ZZZN2at6native31launch_logcumsumexp_cuda_kernelERKNSD_10TensorBaseESH_lENKUlvE_clEvENKUlvE4_clEvEUlS6_S6_E_S6_EEDaPvRmT3_T4_T5_mT6_P12ihipStream_tbENKUlT_T0_E_clISt17integral_constantIbLb1EESY_EEDaST_SU_EUlST_E0_NS1_11comp_targetILNS1_3genE9ELNS1_11target_archE1100ELNS1_3gpuE3ELNS1_3repE0EEENS1_30default_config_static_selectorELNS0_4arch9wavefront6targetE1EEEvT1_,comdat
.Lfunc_end495:
	.size	_ZN7rocprim17ROCPRIM_400000_NS6detail17trampoline_kernelINS0_14default_configENS1_20scan_config_selectorIN3c108BFloat16EEEZZNS1_9scan_implILNS1_25lookback_scan_determinismE0ELb0ELb0ES3_PKS6_PS6_S6_ZZZN2at6native31launch_logcumsumexp_cuda_kernelERKNSD_10TensorBaseESH_lENKUlvE_clEvENKUlvE4_clEvEUlS6_S6_E_S6_EEDaPvRmT3_T4_T5_mT6_P12ihipStream_tbENKUlT_T0_E_clISt17integral_constantIbLb1EESY_EEDaST_SU_EUlST_E0_NS1_11comp_targetILNS1_3genE9ELNS1_11target_archE1100ELNS1_3gpuE3ELNS1_3repE0EEENS1_30default_config_static_selectorELNS0_4arch9wavefront6targetE1EEEvT1_, .Lfunc_end495-_ZN7rocprim17ROCPRIM_400000_NS6detail17trampoline_kernelINS0_14default_configENS1_20scan_config_selectorIN3c108BFloat16EEEZZNS1_9scan_implILNS1_25lookback_scan_determinismE0ELb0ELb0ES3_PKS6_PS6_S6_ZZZN2at6native31launch_logcumsumexp_cuda_kernelERKNSD_10TensorBaseESH_lENKUlvE_clEvENKUlvE4_clEvEUlS6_S6_E_S6_EEDaPvRmT3_T4_T5_mT6_P12ihipStream_tbENKUlT_T0_E_clISt17integral_constantIbLb1EESY_EEDaST_SU_EUlST_E0_NS1_11comp_targetILNS1_3genE9ELNS1_11target_archE1100ELNS1_3gpuE3ELNS1_3repE0EEENS1_30default_config_static_selectorELNS0_4arch9wavefront6targetE1EEEvT1_
                                        ; -- End function
	.section	.AMDGPU.csdata,"",@progbits
; Kernel info:
; codeLenInByte = 0
; NumSgprs: 6
; NumVgprs: 0
; NumAgprs: 0
; TotalNumVgprs: 0
; ScratchSize: 0
; MemoryBound: 0
; FloatMode: 240
; IeeeMode: 1
; LDSByteSize: 0 bytes/workgroup (compile time only)
; SGPRBlocks: 0
; VGPRBlocks: 0
; NumSGPRsForWavesPerEU: 6
; NumVGPRsForWavesPerEU: 1
; AccumOffset: 4
; Occupancy: 8
; WaveLimiterHint : 0
; COMPUTE_PGM_RSRC2:SCRATCH_EN: 0
; COMPUTE_PGM_RSRC2:USER_SGPR: 2
; COMPUTE_PGM_RSRC2:TRAP_HANDLER: 0
; COMPUTE_PGM_RSRC2:TGID_X_EN: 1
; COMPUTE_PGM_RSRC2:TGID_Y_EN: 0
; COMPUTE_PGM_RSRC2:TGID_Z_EN: 0
; COMPUTE_PGM_RSRC2:TIDIG_COMP_CNT: 0
; COMPUTE_PGM_RSRC3_GFX90A:ACCUM_OFFSET: 0
; COMPUTE_PGM_RSRC3_GFX90A:TG_SPLIT: 0
	.section	.text._ZN7rocprim17ROCPRIM_400000_NS6detail17trampoline_kernelINS0_14default_configENS1_20scan_config_selectorIN3c108BFloat16EEEZZNS1_9scan_implILNS1_25lookback_scan_determinismE0ELb0ELb0ES3_PKS6_PS6_S6_ZZZN2at6native31launch_logcumsumexp_cuda_kernelERKNSD_10TensorBaseESH_lENKUlvE_clEvENKUlvE4_clEvEUlS6_S6_E_S6_EEDaPvRmT3_T4_T5_mT6_P12ihipStream_tbENKUlT_T0_E_clISt17integral_constantIbLb1EESY_EEDaST_SU_EUlST_E0_NS1_11comp_targetILNS1_3genE8ELNS1_11target_archE1030ELNS1_3gpuE2ELNS1_3repE0EEENS1_30default_config_static_selectorELNS0_4arch9wavefront6targetE1EEEvT1_,"axG",@progbits,_ZN7rocprim17ROCPRIM_400000_NS6detail17trampoline_kernelINS0_14default_configENS1_20scan_config_selectorIN3c108BFloat16EEEZZNS1_9scan_implILNS1_25lookback_scan_determinismE0ELb0ELb0ES3_PKS6_PS6_S6_ZZZN2at6native31launch_logcumsumexp_cuda_kernelERKNSD_10TensorBaseESH_lENKUlvE_clEvENKUlvE4_clEvEUlS6_S6_E_S6_EEDaPvRmT3_T4_T5_mT6_P12ihipStream_tbENKUlT_T0_E_clISt17integral_constantIbLb1EESY_EEDaST_SU_EUlST_E0_NS1_11comp_targetILNS1_3genE8ELNS1_11target_archE1030ELNS1_3gpuE2ELNS1_3repE0EEENS1_30default_config_static_selectorELNS0_4arch9wavefront6targetE1EEEvT1_,comdat
	.globl	_ZN7rocprim17ROCPRIM_400000_NS6detail17trampoline_kernelINS0_14default_configENS1_20scan_config_selectorIN3c108BFloat16EEEZZNS1_9scan_implILNS1_25lookback_scan_determinismE0ELb0ELb0ES3_PKS6_PS6_S6_ZZZN2at6native31launch_logcumsumexp_cuda_kernelERKNSD_10TensorBaseESH_lENKUlvE_clEvENKUlvE4_clEvEUlS6_S6_E_S6_EEDaPvRmT3_T4_T5_mT6_P12ihipStream_tbENKUlT_T0_E_clISt17integral_constantIbLb1EESY_EEDaST_SU_EUlST_E0_NS1_11comp_targetILNS1_3genE8ELNS1_11target_archE1030ELNS1_3gpuE2ELNS1_3repE0EEENS1_30default_config_static_selectorELNS0_4arch9wavefront6targetE1EEEvT1_ ; -- Begin function _ZN7rocprim17ROCPRIM_400000_NS6detail17trampoline_kernelINS0_14default_configENS1_20scan_config_selectorIN3c108BFloat16EEEZZNS1_9scan_implILNS1_25lookback_scan_determinismE0ELb0ELb0ES3_PKS6_PS6_S6_ZZZN2at6native31launch_logcumsumexp_cuda_kernelERKNSD_10TensorBaseESH_lENKUlvE_clEvENKUlvE4_clEvEUlS6_S6_E_S6_EEDaPvRmT3_T4_T5_mT6_P12ihipStream_tbENKUlT_T0_E_clISt17integral_constantIbLb1EESY_EEDaST_SU_EUlST_E0_NS1_11comp_targetILNS1_3genE8ELNS1_11target_archE1030ELNS1_3gpuE2ELNS1_3repE0EEENS1_30default_config_static_selectorELNS0_4arch9wavefront6targetE1EEEvT1_
	.p2align	8
	.type	_ZN7rocprim17ROCPRIM_400000_NS6detail17trampoline_kernelINS0_14default_configENS1_20scan_config_selectorIN3c108BFloat16EEEZZNS1_9scan_implILNS1_25lookback_scan_determinismE0ELb0ELb0ES3_PKS6_PS6_S6_ZZZN2at6native31launch_logcumsumexp_cuda_kernelERKNSD_10TensorBaseESH_lENKUlvE_clEvENKUlvE4_clEvEUlS6_S6_E_S6_EEDaPvRmT3_T4_T5_mT6_P12ihipStream_tbENKUlT_T0_E_clISt17integral_constantIbLb1EESY_EEDaST_SU_EUlST_E0_NS1_11comp_targetILNS1_3genE8ELNS1_11target_archE1030ELNS1_3gpuE2ELNS1_3repE0EEENS1_30default_config_static_selectorELNS0_4arch9wavefront6targetE1EEEvT1_,@function
_ZN7rocprim17ROCPRIM_400000_NS6detail17trampoline_kernelINS0_14default_configENS1_20scan_config_selectorIN3c108BFloat16EEEZZNS1_9scan_implILNS1_25lookback_scan_determinismE0ELb0ELb0ES3_PKS6_PS6_S6_ZZZN2at6native31launch_logcumsumexp_cuda_kernelERKNSD_10TensorBaseESH_lENKUlvE_clEvENKUlvE4_clEvEUlS6_S6_E_S6_EEDaPvRmT3_T4_T5_mT6_P12ihipStream_tbENKUlT_T0_E_clISt17integral_constantIbLb1EESY_EEDaST_SU_EUlST_E0_NS1_11comp_targetILNS1_3genE8ELNS1_11target_archE1030ELNS1_3gpuE2ELNS1_3repE0EEENS1_30default_config_static_selectorELNS0_4arch9wavefront6targetE1EEEvT1_: ; @_ZN7rocprim17ROCPRIM_400000_NS6detail17trampoline_kernelINS0_14default_configENS1_20scan_config_selectorIN3c108BFloat16EEEZZNS1_9scan_implILNS1_25lookback_scan_determinismE0ELb0ELb0ES3_PKS6_PS6_S6_ZZZN2at6native31launch_logcumsumexp_cuda_kernelERKNSD_10TensorBaseESH_lENKUlvE_clEvENKUlvE4_clEvEUlS6_S6_E_S6_EEDaPvRmT3_T4_T5_mT6_P12ihipStream_tbENKUlT_T0_E_clISt17integral_constantIbLb1EESY_EEDaST_SU_EUlST_E0_NS1_11comp_targetILNS1_3genE8ELNS1_11target_archE1030ELNS1_3gpuE2ELNS1_3repE0EEENS1_30default_config_static_selectorELNS0_4arch9wavefront6targetE1EEEvT1_
; %bb.0:
	.section	.rodata,"a",@progbits
	.p2align	6, 0x0
	.amdhsa_kernel _ZN7rocprim17ROCPRIM_400000_NS6detail17trampoline_kernelINS0_14default_configENS1_20scan_config_selectorIN3c108BFloat16EEEZZNS1_9scan_implILNS1_25lookback_scan_determinismE0ELb0ELb0ES3_PKS6_PS6_S6_ZZZN2at6native31launch_logcumsumexp_cuda_kernelERKNSD_10TensorBaseESH_lENKUlvE_clEvENKUlvE4_clEvEUlS6_S6_E_S6_EEDaPvRmT3_T4_T5_mT6_P12ihipStream_tbENKUlT_T0_E_clISt17integral_constantIbLb1EESY_EEDaST_SU_EUlST_E0_NS1_11comp_targetILNS1_3genE8ELNS1_11target_archE1030ELNS1_3gpuE2ELNS1_3repE0EEENS1_30default_config_static_selectorELNS0_4arch9wavefront6targetE1EEEvT1_
		.amdhsa_group_segment_fixed_size 0
		.amdhsa_private_segment_fixed_size 0
		.amdhsa_kernarg_size 32
		.amdhsa_user_sgpr_count 2
		.amdhsa_user_sgpr_dispatch_ptr 0
		.amdhsa_user_sgpr_queue_ptr 0
		.amdhsa_user_sgpr_kernarg_segment_ptr 1
		.amdhsa_user_sgpr_dispatch_id 0
		.amdhsa_user_sgpr_kernarg_preload_length 0
		.amdhsa_user_sgpr_kernarg_preload_offset 0
		.amdhsa_user_sgpr_private_segment_size 0
		.amdhsa_uses_dynamic_stack 0
		.amdhsa_enable_private_segment 0
		.amdhsa_system_sgpr_workgroup_id_x 1
		.amdhsa_system_sgpr_workgroup_id_y 0
		.amdhsa_system_sgpr_workgroup_id_z 0
		.amdhsa_system_sgpr_workgroup_info 0
		.amdhsa_system_vgpr_workitem_id 0
		.amdhsa_next_free_vgpr 1
		.amdhsa_next_free_sgpr 0
		.amdhsa_accum_offset 4
		.amdhsa_reserve_vcc 0
		.amdhsa_float_round_mode_32 0
		.amdhsa_float_round_mode_16_64 0
		.amdhsa_float_denorm_mode_32 3
		.amdhsa_float_denorm_mode_16_64 3
		.amdhsa_dx10_clamp 1
		.amdhsa_ieee_mode 1
		.amdhsa_fp16_overflow 0
		.amdhsa_tg_split 0
		.amdhsa_exception_fp_ieee_invalid_op 0
		.amdhsa_exception_fp_denorm_src 0
		.amdhsa_exception_fp_ieee_div_zero 0
		.amdhsa_exception_fp_ieee_overflow 0
		.amdhsa_exception_fp_ieee_underflow 0
		.amdhsa_exception_fp_ieee_inexact 0
		.amdhsa_exception_int_div_zero 0
	.end_amdhsa_kernel
	.section	.text._ZN7rocprim17ROCPRIM_400000_NS6detail17trampoline_kernelINS0_14default_configENS1_20scan_config_selectorIN3c108BFloat16EEEZZNS1_9scan_implILNS1_25lookback_scan_determinismE0ELb0ELb0ES3_PKS6_PS6_S6_ZZZN2at6native31launch_logcumsumexp_cuda_kernelERKNSD_10TensorBaseESH_lENKUlvE_clEvENKUlvE4_clEvEUlS6_S6_E_S6_EEDaPvRmT3_T4_T5_mT6_P12ihipStream_tbENKUlT_T0_E_clISt17integral_constantIbLb1EESY_EEDaST_SU_EUlST_E0_NS1_11comp_targetILNS1_3genE8ELNS1_11target_archE1030ELNS1_3gpuE2ELNS1_3repE0EEENS1_30default_config_static_selectorELNS0_4arch9wavefront6targetE1EEEvT1_,"axG",@progbits,_ZN7rocprim17ROCPRIM_400000_NS6detail17trampoline_kernelINS0_14default_configENS1_20scan_config_selectorIN3c108BFloat16EEEZZNS1_9scan_implILNS1_25lookback_scan_determinismE0ELb0ELb0ES3_PKS6_PS6_S6_ZZZN2at6native31launch_logcumsumexp_cuda_kernelERKNSD_10TensorBaseESH_lENKUlvE_clEvENKUlvE4_clEvEUlS6_S6_E_S6_EEDaPvRmT3_T4_T5_mT6_P12ihipStream_tbENKUlT_T0_E_clISt17integral_constantIbLb1EESY_EEDaST_SU_EUlST_E0_NS1_11comp_targetILNS1_3genE8ELNS1_11target_archE1030ELNS1_3gpuE2ELNS1_3repE0EEENS1_30default_config_static_selectorELNS0_4arch9wavefront6targetE1EEEvT1_,comdat
.Lfunc_end496:
	.size	_ZN7rocprim17ROCPRIM_400000_NS6detail17trampoline_kernelINS0_14default_configENS1_20scan_config_selectorIN3c108BFloat16EEEZZNS1_9scan_implILNS1_25lookback_scan_determinismE0ELb0ELb0ES3_PKS6_PS6_S6_ZZZN2at6native31launch_logcumsumexp_cuda_kernelERKNSD_10TensorBaseESH_lENKUlvE_clEvENKUlvE4_clEvEUlS6_S6_E_S6_EEDaPvRmT3_T4_T5_mT6_P12ihipStream_tbENKUlT_T0_E_clISt17integral_constantIbLb1EESY_EEDaST_SU_EUlST_E0_NS1_11comp_targetILNS1_3genE8ELNS1_11target_archE1030ELNS1_3gpuE2ELNS1_3repE0EEENS1_30default_config_static_selectorELNS0_4arch9wavefront6targetE1EEEvT1_, .Lfunc_end496-_ZN7rocprim17ROCPRIM_400000_NS6detail17trampoline_kernelINS0_14default_configENS1_20scan_config_selectorIN3c108BFloat16EEEZZNS1_9scan_implILNS1_25lookback_scan_determinismE0ELb0ELb0ES3_PKS6_PS6_S6_ZZZN2at6native31launch_logcumsumexp_cuda_kernelERKNSD_10TensorBaseESH_lENKUlvE_clEvENKUlvE4_clEvEUlS6_S6_E_S6_EEDaPvRmT3_T4_T5_mT6_P12ihipStream_tbENKUlT_T0_E_clISt17integral_constantIbLb1EESY_EEDaST_SU_EUlST_E0_NS1_11comp_targetILNS1_3genE8ELNS1_11target_archE1030ELNS1_3gpuE2ELNS1_3repE0EEENS1_30default_config_static_selectorELNS0_4arch9wavefront6targetE1EEEvT1_
                                        ; -- End function
	.section	.AMDGPU.csdata,"",@progbits
; Kernel info:
; codeLenInByte = 0
; NumSgprs: 6
; NumVgprs: 0
; NumAgprs: 0
; TotalNumVgprs: 0
; ScratchSize: 0
; MemoryBound: 0
; FloatMode: 240
; IeeeMode: 1
; LDSByteSize: 0 bytes/workgroup (compile time only)
; SGPRBlocks: 0
; VGPRBlocks: 0
; NumSGPRsForWavesPerEU: 6
; NumVGPRsForWavesPerEU: 1
; AccumOffset: 4
; Occupancy: 8
; WaveLimiterHint : 0
; COMPUTE_PGM_RSRC2:SCRATCH_EN: 0
; COMPUTE_PGM_RSRC2:USER_SGPR: 2
; COMPUTE_PGM_RSRC2:TRAP_HANDLER: 0
; COMPUTE_PGM_RSRC2:TGID_X_EN: 1
; COMPUTE_PGM_RSRC2:TGID_Y_EN: 0
; COMPUTE_PGM_RSRC2:TGID_Z_EN: 0
; COMPUTE_PGM_RSRC2:TIDIG_COMP_CNT: 0
; COMPUTE_PGM_RSRC3_GFX90A:ACCUM_OFFSET: 0
; COMPUTE_PGM_RSRC3_GFX90A:TG_SPLIT: 0
	.section	.text._ZN7rocprim17ROCPRIM_400000_NS6detail31init_lookback_scan_state_kernelINS1_19lookback_scan_stateIN3c108BFloat16ELb1ELb1EEENS1_16block_id_wrapperIjLb0EEEEEvT_jT0_jPNS9_10value_typeE,"axG",@progbits,_ZN7rocprim17ROCPRIM_400000_NS6detail31init_lookback_scan_state_kernelINS1_19lookback_scan_stateIN3c108BFloat16ELb1ELb1EEENS1_16block_id_wrapperIjLb0EEEEEvT_jT0_jPNS9_10value_typeE,comdat
	.protected	_ZN7rocprim17ROCPRIM_400000_NS6detail31init_lookback_scan_state_kernelINS1_19lookback_scan_stateIN3c108BFloat16ELb1ELb1EEENS1_16block_id_wrapperIjLb0EEEEEvT_jT0_jPNS9_10value_typeE ; -- Begin function _ZN7rocprim17ROCPRIM_400000_NS6detail31init_lookback_scan_state_kernelINS1_19lookback_scan_stateIN3c108BFloat16ELb1ELb1EEENS1_16block_id_wrapperIjLb0EEEEEvT_jT0_jPNS9_10value_typeE
	.globl	_ZN7rocprim17ROCPRIM_400000_NS6detail31init_lookback_scan_state_kernelINS1_19lookback_scan_stateIN3c108BFloat16ELb1ELb1EEENS1_16block_id_wrapperIjLb0EEEEEvT_jT0_jPNS9_10value_typeE
	.p2align	8
	.type	_ZN7rocprim17ROCPRIM_400000_NS6detail31init_lookback_scan_state_kernelINS1_19lookback_scan_stateIN3c108BFloat16ELb1ELb1EEENS1_16block_id_wrapperIjLb0EEEEEvT_jT0_jPNS9_10value_typeE,@function
_ZN7rocprim17ROCPRIM_400000_NS6detail31init_lookback_scan_state_kernelINS1_19lookback_scan_stateIN3c108BFloat16ELb1ELb1EEENS1_16block_id_wrapperIjLb0EEEEEvT_jT0_jPNS9_10value_typeE: ; @_ZN7rocprim17ROCPRIM_400000_NS6detail31init_lookback_scan_state_kernelINS1_19lookback_scan_stateIN3c108BFloat16ELb1ELb1EEENS1_16block_id_wrapperIjLb0EEEEEvT_jT0_jPNS9_10value_typeE
; %bb.0:
	s_load_dword s3, s[0:1], 0x2c
	s_load_dwordx2 s[6:7], s[0:1], 0x18
	s_load_dwordx2 s[4:5], s[0:1], 0x0
	s_load_dword s8, s[0:1], 0x8
	s_waitcnt lgkmcnt(0)
	s_and_b32 s3, s3, 0xffff
	s_mul_i32 s2, s2, s3
	s_cmp_eq_u64 s[6:7], 0
	v_add_u32_e32 v0, s2, v0
	s_cbranch_scc1 .LBB497_9
; %bb.1:
	s_load_dword s2, s[0:1], 0x10
	s_mov_b32 s3, 0
	s_waitcnt lgkmcnt(0)
	s_cmp_lt_u32 s2, s8
	s_cselect_b32 s0, s2, 0
	v_cmp_eq_u32_e32 vcc, s0, v0
	s_and_saveexec_b64 s[0:1], vcc
	s_cbranch_execz .LBB497_8
; %bb.2:
	s_add_i32 s2, s2, 64
	s_lshl_b64 s[2:3], s[2:3], 2
	s_add_u32 s2, s4, s2
	s_addc_u32 s3, s5, s3
	v_mov_b32_e32 v1, 0
	global_load_dword v2, v1, s[2:3] sc1
	s_waitcnt vmcnt(0)
	v_and_b32_e32 v3, 0xff0000, v2
	v_cmp_ne_u32_e32 vcc, 0, v3
	s_cbranch_vccnz .LBB497_7
; %bb.3:
	s_mov_b32 s9, 1
.LBB497_4:                              ; =>This Loop Header: Depth=1
                                        ;     Child Loop BB497_5 Depth 2
	s_max_u32 s10, s9, 1
.LBB497_5:                              ;   Parent Loop BB497_4 Depth=1
                                        ; =>  This Inner Loop Header: Depth=2
	s_add_i32 s10, s10, -1
	s_cmp_eq_u32 s10, 0
	s_sleep 1
	s_cbranch_scc0 .LBB497_5
; %bb.6:                                ;   in Loop: Header=BB497_4 Depth=1
	global_load_dword v2, v1, s[2:3] sc1
	s_cmp_lt_u32 s9, 32
	s_cselect_b64 s[10:11], -1, 0
	s_cmp_lg_u64 s[10:11], 0
	s_addc_u32 s9, s9, 0
	s_waitcnt vmcnt(0)
	v_and_b32_e32 v3, 0xff0000, v2
	v_cmp_ne_u32_e32 vcc, 0, v3
	s_cbranch_vccz .LBB497_4
.LBB497_7:
	v_mov_b32_e32 v1, 0
	global_store_short v1, v2, s[6:7]
.LBB497_8:
	s_or_b64 exec, exec, s[0:1]
.LBB497_9:
	v_cmp_gt_u32_e32 vcc, s8, v0
	s_and_saveexec_b64 s[0:1], vcc
	s_cbranch_execnz .LBB497_12
; %bb.10:
	s_or_b64 exec, exec, s[0:1]
	v_cmp_gt_u32_e32 vcc, 64, v0
	s_and_saveexec_b64 s[0:1], vcc
	s_cbranch_execnz .LBB497_13
.LBB497_11:
	s_endpgm
.LBB497_12:
	v_add_u32_e32 v2, 64, v0
	v_mov_b32_e32 v3, 0
	v_lshl_add_u64 v[4:5], v[2:3], 2, s[4:5]
	global_store_dword v[4:5], v3, off
	s_or_b64 exec, exec, s[0:1]
	v_cmp_gt_u32_e32 vcc, 64, v0
	s_and_saveexec_b64 s[0:1], vcc
	s_cbranch_execz .LBB497_11
.LBB497_13:
	v_mov_b32_e32 v1, 0
	v_lshl_add_u64 v[0:1], v[0:1], 2, s[4:5]
	v_mov_b32_e32 v2, 0xff0000
	global_store_dword v[0:1], v2, off
	s_endpgm
	.section	.rodata,"a",@progbits
	.p2align	6, 0x0
	.amdhsa_kernel _ZN7rocprim17ROCPRIM_400000_NS6detail31init_lookback_scan_state_kernelINS1_19lookback_scan_stateIN3c108BFloat16ELb1ELb1EEENS1_16block_id_wrapperIjLb0EEEEEvT_jT0_jPNS9_10value_typeE
		.amdhsa_group_segment_fixed_size 0
		.amdhsa_private_segment_fixed_size 0
		.amdhsa_kernarg_size 288
		.amdhsa_user_sgpr_count 2
		.amdhsa_user_sgpr_dispatch_ptr 0
		.amdhsa_user_sgpr_queue_ptr 0
		.amdhsa_user_sgpr_kernarg_segment_ptr 1
		.amdhsa_user_sgpr_dispatch_id 0
		.amdhsa_user_sgpr_kernarg_preload_length 0
		.amdhsa_user_sgpr_kernarg_preload_offset 0
		.amdhsa_user_sgpr_private_segment_size 0
		.amdhsa_uses_dynamic_stack 0
		.amdhsa_enable_private_segment 0
		.amdhsa_system_sgpr_workgroup_id_x 1
		.amdhsa_system_sgpr_workgroup_id_y 0
		.amdhsa_system_sgpr_workgroup_id_z 0
		.amdhsa_system_sgpr_workgroup_info 0
		.amdhsa_system_vgpr_workitem_id 0
		.amdhsa_next_free_vgpr 6
		.amdhsa_next_free_sgpr 12
		.amdhsa_accum_offset 8
		.amdhsa_reserve_vcc 1
		.amdhsa_float_round_mode_32 0
		.amdhsa_float_round_mode_16_64 0
		.amdhsa_float_denorm_mode_32 3
		.amdhsa_float_denorm_mode_16_64 3
		.amdhsa_dx10_clamp 1
		.amdhsa_ieee_mode 1
		.amdhsa_fp16_overflow 0
		.amdhsa_tg_split 0
		.amdhsa_exception_fp_ieee_invalid_op 0
		.amdhsa_exception_fp_denorm_src 0
		.amdhsa_exception_fp_ieee_div_zero 0
		.amdhsa_exception_fp_ieee_overflow 0
		.amdhsa_exception_fp_ieee_underflow 0
		.amdhsa_exception_fp_ieee_inexact 0
		.amdhsa_exception_int_div_zero 0
	.end_amdhsa_kernel
	.section	.text._ZN7rocprim17ROCPRIM_400000_NS6detail31init_lookback_scan_state_kernelINS1_19lookback_scan_stateIN3c108BFloat16ELb1ELb1EEENS1_16block_id_wrapperIjLb0EEEEEvT_jT0_jPNS9_10value_typeE,"axG",@progbits,_ZN7rocprim17ROCPRIM_400000_NS6detail31init_lookback_scan_state_kernelINS1_19lookback_scan_stateIN3c108BFloat16ELb1ELb1EEENS1_16block_id_wrapperIjLb0EEEEEvT_jT0_jPNS9_10value_typeE,comdat
.Lfunc_end497:
	.size	_ZN7rocprim17ROCPRIM_400000_NS6detail31init_lookback_scan_state_kernelINS1_19lookback_scan_stateIN3c108BFloat16ELb1ELb1EEENS1_16block_id_wrapperIjLb0EEEEEvT_jT0_jPNS9_10value_typeE, .Lfunc_end497-_ZN7rocprim17ROCPRIM_400000_NS6detail31init_lookback_scan_state_kernelINS1_19lookback_scan_stateIN3c108BFloat16ELb1ELb1EEENS1_16block_id_wrapperIjLb0EEEEEvT_jT0_jPNS9_10value_typeE
                                        ; -- End function
	.section	.AMDGPU.csdata,"",@progbits
; Kernel info:
; codeLenInByte = 332
; NumSgprs: 18
; NumVgprs: 6
; NumAgprs: 0
; TotalNumVgprs: 6
; ScratchSize: 0
; MemoryBound: 0
; FloatMode: 240
; IeeeMode: 1
; LDSByteSize: 0 bytes/workgroup (compile time only)
; SGPRBlocks: 2
; VGPRBlocks: 0
; NumSGPRsForWavesPerEU: 18
; NumVGPRsForWavesPerEU: 6
; AccumOffset: 8
; Occupancy: 8
; WaveLimiterHint : 0
; COMPUTE_PGM_RSRC2:SCRATCH_EN: 0
; COMPUTE_PGM_RSRC2:USER_SGPR: 2
; COMPUTE_PGM_RSRC2:TRAP_HANDLER: 0
; COMPUTE_PGM_RSRC2:TGID_X_EN: 1
; COMPUTE_PGM_RSRC2:TGID_Y_EN: 0
; COMPUTE_PGM_RSRC2:TGID_Z_EN: 0
; COMPUTE_PGM_RSRC2:TIDIG_COMP_CNT: 0
; COMPUTE_PGM_RSRC3_GFX90A:ACCUM_OFFSET: 1
; COMPUTE_PGM_RSRC3_GFX90A:TG_SPLIT: 0
	.section	.text._ZN7rocprim17ROCPRIM_400000_NS6detail17trampoline_kernelINS0_14default_configENS1_20scan_config_selectorIN3c108BFloat16EEEZZNS1_9scan_implILNS1_25lookback_scan_determinismE0ELb0ELb0ES3_PKS6_PS6_S6_ZZZN2at6native31launch_logcumsumexp_cuda_kernelERKNSD_10TensorBaseESH_lENKUlvE_clEvENKUlvE4_clEvEUlS6_S6_E_S6_EEDaPvRmT3_T4_T5_mT6_P12ihipStream_tbENKUlT_T0_E_clISt17integral_constantIbLb1EESX_IbLb0EEEEDaST_SU_EUlST_E_NS1_11comp_targetILNS1_3genE0ELNS1_11target_archE4294967295ELNS1_3gpuE0ELNS1_3repE0EEENS1_30default_config_static_selectorELNS0_4arch9wavefront6targetE1EEEvT1_,"axG",@progbits,_ZN7rocprim17ROCPRIM_400000_NS6detail17trampoline_kernelINS0_14default_configENS1_20scan_config_selectorIN3c108BFloat16EEEZZNS1_9scan_implILNS1_25lookback_scan_determinismE0ELb0ELb0ES3_PKS6_PS6_S6_ZZZN2at6native31launch_logcumsumexp_cuda_kernelERKNSD_10TensorBaseESH_lENKUlvE_clEvENKUlvE4_clEvEUlS6_S6_E_S6_EEDaPvRmT3_T4_T5_mT6_P12ihipStream_tbENKUlT_T0_E_clISt17integral_constantIbLb1EESX_IbLb0EEEEDaST_SU_EUlST_E_NS1_11comp_targetILNS1_3genE0ELNS1_11target_archE4294967295ELNS1_3gpuE0ELNS1_3repE0EEENS1_30default_config_static_selectorELNS0_4arch9wavefront6targetE1EEEvT1_,comdat
	.globl	_ZN7rocprim17ROCPRIM_400000_NS6detail17trampoline_kernelINS0_14default_configENS1_20scan_config_selectorIN3c108BFloat16EEEZZNS1_9scan_implILNS1_25lookback_scan_determinismE0ELb0ELb0ES3_PKS6_PS6_S6_ZZZN2at6native31launch_logcumsumexp_cuda_kernelERKNSD_10TensorBaseESH_lENKUlvE_clEvENKUlvE4_clEvEUlS6_S6_E_S6_EEDaPvRmT3_T4_T5_mT6_P12ihipStream_tbENKUlT_T0_E_clISt17integral_constantIbLb1EESX_IbLb0EEEEDaST_SU_EUlST_E_NS1_11comp_targetILNS1_3genE0ELNS1_11target_archE4294967295ELNS1_3gpuE0ELNS1_3repE0EEENS1_30default_config_static_selectorELNS0_4arch9wavefront6targetE1EEEvT1_ ; -- Begin function _ZN7rocprim17ROCPRIM_400000_NS6detail17trampoline_kernelINS0_14default_configENS1_20scan_config_selectorIN3c108BFloat16EEEZZNS1_9scan_implILNS1_25lookback_scan_determinismE0ELb0ELb0ES3_PKS6_PS6_S6_ZZZN2at6native31launch_logcumsumexp_cuda_kernelERKNSD_10TensorBaseESH_lENKUlvE_clEvENKUlvE4_clEvEUlS6_S6_E_S6_EEDaPvRmT3_T4_T5_mT6_P12ihipStream_tbENKUlT_T0_E_clISt17integral_constantIbLb1EESX_IbLb0EEEEDaST_SU_EUlST_E_NS1_11comp_targetILNS1_3genE0ELNS1_11target_archE4294967295ELNS1_3gpuE0ELNS1_3repE0EEENS1_30default_config_static_selectorELNS0_4arch9wavefront6targetE1EEEvT1_
	.p2align	8
	.type	_ZN7rocprim17ROCPRIM_400000_NS6detail17trampoline_kernelINS0_14default_configENS1_20scan_config_selectorIN3c108BFloat16EEEZZNS1_9scan_implILNS1_25lookback_scan_determinismE0ELb0ELb0ES3_PKS6_PS6_S6_ZZZN2at6native31launch_logcumsumexp_cuda_kernelERKNSD_10TensorBaseESH_lENKUlvE_clEvENKUlvE4_clEvEUlS6_S6_E_S6_EEDaPvRmT3_T4_T5_mT6_P12ihipStream_tbENKUlT_T0_E_clISt17integral_constantIbLb1EESX_IbLb0EEEEDaST_SU_EUlST_E_NS1_11comp_targetILNS1_3genE0ELNS1_11target_archE4294967295ELNS1_3gpuE0ELNS1_3repE0EEENS1_30default_config_static_selectorELNS0_4arch9wavefront6targetE1EEEvT1_,@function
_ZN7rocprim17ROCPRIM_400000_NS6detail17trampoline_kernelINS0_14default_configENS1_20scan_config_selectorIN3c108BFloat16EEEZZNS1_9scan_implILNS1_25lookback_scan_determinismE0ELb0ELb0ES3_PKS6_PS6_S6_ZZZN2at6native31launch_logcumsumexp_cuda_kernelERKNSD_10TensorBaseESH_lENKUlvE_clEvENKUlvE4_clEvEUlS6_S6_E_S6_EEDaPvRmT3_T4_T5_mT6_P12ihipStream_tbENKUlT_T0_E_clISt17integral_constantIbLb1EESX_IbLb0EEEEDaST_SU_EUlST_E_NS1_11comp_targetILNS1_3genE0ELNS1_11target_archE4294967295ELNS1_3gpuE0ELNS1_3repE0EEENS1_30default_config_static_selectorELNS0_4arch9wavefront6targetE1EEEvT1_: ; @_ZN7rocprim17ROCPRIM_400000_NS6detail17trampoline_kernelINS0_14default_configENS1_20scan_config_selectorIN3c108BFloat16EEEZZNS1_9scan_implILNS1_25lookback_scan_determinismE0ELb0ELb0ES3_PKS6_PS6_S6_ZZZN2at6native31launch_logcumsumexp_cuda_kernelERKNSD_10TensorBaseESH_lENKUlvE_clEvENKUlvE4_clEvEUlS6_S6_E_S6_EEDaPvRmT3_T4_T5_mT6_P12ihipStream_tbENKUlT_T0_E_clISt17integral_constantIbLb1EESX_IbLb0EEEEDaST_SU_EUlST_E_NS1_11comp_targetILNS1_3genE0ELNS1_11target_archE4294967295ELNS1_3gpuE0ELNS1_3repE0EEENS1_30default_config_static_selectorELNS0_4arch9wavefront6targetE1EEEvT1_
; %bb.0:
	.section	.rodata,"a",@progbits
	.p2align	6, 0x0
	.amdhsa_kernel _ZN7rocprim17ROCPRIM_400000_NS6detail17trampoline_kernelINS0_14default_configENS1_20scan_config_selectorIN3c108BFloat16EEEZZNS1_9scan_implILNS1_25lookback_scan_determinismE0ELb0ELb0ES3_PKS6_PS6_S6_ZZZN2at6native31launch_logcumsumexp_cuda_kernelERKNSD_10TensorBaseESH_lENKUlvE_clEvENKUlvE4_clEvEUlS6_S6_E_S6_EEDaPvRmT3_T4_T5_mT6_P12ihipStream_tbENKUlT_T0_E_clISt17integral_constantIbLb1EESX_IbLb0EEEEDaST_SU_EUlST_E_NS1_11comp_targetILNS1_3genE0ELNS1_11target_archE4294967295ELNS1_3gpuE0ELNS1_3repE0EEENS1_30default_config_static_selectorELNS0_4arch9wavefront6targetE1EEEvT1_
		.amdhsa_group_segment_fixed_size 0
		.amdhsa_private_segment_fixed_size 0
		.amdhsa_kernarg_size 96
		.amdhsa_user_sgpr_count 2
		.amdhsa_user_sgpr_dispatch_ptr 0
		.amdhsa_user_sgpr_queue_ptr 0
		.amdhsa_user_sgpr_kernarg_segment_ptr 1
		.amdhsa_user_sgpr_dispatch_id 0
		.amdhsa_user_sgpr_kernarg_preload_length 0
		.amdhsa_user_sgpr_kernarg_preload_offset 0
		.amdhsa_user_sgpr_private_segment_size 0
		.amdhsa_uses_dynamic_stack 0
		.amdhsa_enable_private_segment 0
		.amdhsa_system_sgpr_workgroup_id_x 1
		.amdhsa_system_sgpr_workgroup_id_y 0
		.amdhsa_system_sgpr_workgroup_id_z 0
		.amdhsa_system_sgpr_workgroup_info 0
		.amdhsa_system_vgpr_workitem_id 0
		.amdhsa_next_free_vgpr 1
		.amdhsa_next_free_sgpr 0
		.amdhsa_accum_offset 4
		.amdhsa_reserve_vcc 0
		.amdhsa_float_round_mode_32 0
		.amdhsa_float_round_mode_16_64 0
		.amdhsa_float_denorm_mode_32 3
		.amdhsa_float_denorm_mode_16_64 3
		.amdhsa_dx10_clamp 1
		.amdhsa_ieee_mode 1
		.amdhsa_fp16_overflow 0
		.amdhsa_tg_split 0
		.amdhsa_exception_fp_ieee_invalid_op 0
		.amdhsa_exception_fp_denorm_src 0
		.amdhsa_exception_fp_ieee_div_zero 0
		.amdhsa_exception_fp_ieee_overflow 0
		.amdhsa_exception_fp_ieee_underflow 0
		.amdhsa_exception_fp_ieee_inexact 0
		.amdhsa_exception_int_div_zero 0
	.end_amdhsa_kernel
	.section	.text._ZN7rocprim17ROCPRIM_400000_NS6detail17trampoline_kernelINS0_14default_configENS1_20scan_config_selectorIN3c108BFloat16EEEZZNS1_9scan_implILNS1_25lookback_scan_determinismE0ELb0ELb0ES3_PKS6_PS6_S6_ZZZN2at6native31launch_logcumsumexp_cuda_kernelERKNSD_10TensorBaseESH_lENKUlvE_clEvENKUlvE4_clEvEUlS6_S6_E_S6_EEDaPvRmT3_T4_T5_mT6_P12ihipStream_tbENKUlT_T0_E_clISt17integral_constantIbLb1EESX_IbLb0EEEEDaST_SU_EUlST_E_NS1_11comp_targetILNS1_3genE0ELNS1_11target_archE4294967295ELNS1_3gpuE0ELNS1_3repE0EEENS1_30default_config_static_selectorELNS0_4arch9wavefront6targetE1EEEvT1_,"axG",@progbits,_ZN7rocprim17ROCPRIM_400000_NS6detail17trampoline_kernelINS0_14default_configENS1_20scan_config_selectorIN3c108BFloat16EEEZZNS1_9scan_implILNS1_25lookback_scan_determinismE0ELb0ELb0ES3_PKS6_PS6_S6_ZZZN2at6native31launch_logcumsumexp_cuda_kernelERKNSD_10TensorBaseESH_lENKUlvE_clEvENKUlvE4_clEvEUlS6_S6_E_S6_EEDaPvRmT3_T4_T5_mT6_P12ihipStream_tbENKUlT_T0_E_clISt17integral_constantIbLb1EESX_IbLb0EEEEDaST_SU_EUlST_E_NS1_11comp_targetILNS1_3genE0ELNS1_11target_archE4294967295ELNS1_3gpuE0ELNS1_3repE0EEENS1_30default_config_static_selectorELNS0_4arch9wavefront6targetE1EEEvT1_,comdat
.Lfunc_end498:
	.size	_ZN7rocprim17ROCPRIM_400000_NS6detail17trampoline_kernelINS0_14default_configENS1_20scan_config_selectorIN3c108BFloat16EEEZZNS1_9scan_implILNS1_25lookback_scan_determinismE0ELb0ELb0ES3_PKS6_PS6_S6_ZZZN2at6native31launch_logcumsumexp_cuda_kernelERKNSD_10TensorBaseESH_lENKUlvE_clEvENKUlvE4_clEvEUlS6_S6_E_S6_EEDaPvRmT3_T4_T5_mT6_P12ihipStream_tbENKUlT_T0_E_clISt17integral_constantIbLb1EESX_IbLb0EEEEDaST_SU_EUlST_E_NS1_11comp_targetILNS1_3genE0ELNS1_11target_archE4294967295ELNS1_3gpuE0ELNS1_3repE0EEENS1_30default_config_static_selectorELNS0_4arch9wavefront6targetE1EEEvT1_, .Lfunc_end498-_ZN7rocprim17ROCPRIM_400000_NS6detail17trampoline_kernelINS0_14default_configENS1_20scan_config_selectorIN3c108BFloat16EEEZZNS1_9scan_implILNS1_25lookback_scan_determinismE0ELb0ELb0ES3_PKS6_PS6_S6_ZZZN2at6native31launch_logcumsumexp_cuda_kernelERKNSD_10TensorBaseESH_lENKUlvE_clEvENKUlvE4_clEvEUlS6_S6_E_S6_EEDaPvRmT3_T4_T5_mT6_P12ihipStream_tbENKUlT_T0_E_clISt17integral_constantIbLb1EESX_IbLb0EEEEDaST_SU_EUlST_E_NS1_11comp_targetILNS1_3genE0ELNS1_11target_archE4294967295ELNS1_3gpuE0ELNS1_3repE0EEENS1_30default_config_static_selectorELNS0_4arch9wavefront6targetE1EEEvT1_
                                        ; -- End function
	.section	.AMDGPU.csdata,"",@progbits
; Kernel info:
; codeLenInByte = 0
; NumSgprs: 6
; NumVgprs: 0
; NumAgprs: 0
; TotalNumVgprs: 0
; ScratchSize: 0
; MemoryBound: 0
; FloatMode: 240
; IeeeMode: 1
; LDSByteSize: 0 bytes/workgroup (compile time only)
; SGPRBlocks: 0
; VGPRBlocks: 0
; NumSGPRsForWavesPerEU: 6
; NumVGPRsForWavesPerEU: 1
; AccumOffset: 4
; Occupancy: 8
; WaveLimiterHint : 0
; COMPUTE_PGM_RSRC2:SCRATCH_EN: 0
; COMPUTE_PGM_RSRC2:USER_SGPR: 2
; COMPUTE_PGM_RSRC2:TRAP_HANDLER: 0
; COMPUTE_PGM_RSRC2:TGID_X_EN: 1
; COMPUTE_PGM_RSRC2:TGID_Y_EN: 0
; COMPUTE_PGM_RSRC2:TGID_Z_EN: 0
; COMPUTE_PGM_RSRC2:TIDIG_COMP_CNT: 0
; COMPUTE_PGM_RSRC3_GFX90A:ACCUM_OFFSET: 0
; COMPUTE_PGM_RSRC3_GFX90A:TG_SPLIT: 0
	.text
	.p2align	2                               ; -- Begin function _ZZZN7rocprim17ROCPRIM_400000_NS6detail9scan_implILNS1_25lookback_scan_determinismE0ELb0ELb0ENS0_14default_configEPKN3c108BFloat16EPS6_S6_ZZZN2at6native31launch_logcumsumexp_cuda_kernelERKNSA_10TensorBaseESE_lENKUlvE_clEvENKUlvE4_clEvEUlS6_S6_E_S6_EEDaPvRmT3_T4_T5_mT6_P12ihipStream_tbENKUlT_T0_E_clISt17integral_constantIbLb1EESU_IbLb0EEEEDaSQ_SR_ENKUlSQ_E_clINS1_13target_configIS4_NS1_20scan_config_selectorIS6_EENS1_11comp_targetILNS1_3genE5ELNS1_11target_archE942ELNS1_3gpuE9ELNS1_3repE0EEELNS0_4arch9wavefront6targetE1EEEEEDaSQ_
	.type	_ZZZN7rocprim17ROCPRIM_400000_NS6detail9scan_implILNS1_25lookback_scan_determinismE0ELb0ELb0ENS0_14default_configEPKN3c108BFloat16EPS6_S6_ZZZN2at6native31launch_logcumsumexp_cuda_kernelERKNSA_10TensorBaseESE_lENKUlvE_clEvENKUlvE4_clEvEUlS6_S6_E_S6_EEDaPvRmT3_T4_T5_mT6_P12ihipStream_tbENKUlT_T0_E_clISt17integral_constantIbLb1EESU_IbLb0EEEEDaSQ_SR_ENKUlSQ_E_clINS1_13target_configIS4_NS1_20scan_config_selectorIS6_EENS1_11comp_targetILNS1_3genE5ELNS1_11target_archE942ELNS1_3gpuE9ELNS1_3repE0EEELNS0_4arch9wavefront6targetE1EEEEEDaSQ_,@function
_ZZZN7rocprim17ROCPRIM_400000_NS6detail9scan_implILNS1_25lookback_scan_determinismE0ELb0ELb0ENS0_14default_configEPKN3c108BFloat16EPS6_S6_ZZZN2at6native31launch_logcumsumexp_cuda_kernelERKNSA_10TensorBaseESE_lENKUlvE_clEvENKUlvE4_clEvEUlS6_S6_E_S6_EEDaPvRmT3_T4_T5_mT6_P12ihipStream_tbENKUlT_T0_E_clISt17integral_constantIbLb1EESU_IbLb0EEEEDaSQ_SR_ENKUlSQ_E_clINS1_13target_configIS4_NS1_20scan_config_selectorIS6_EENS1_11comp_targetILNS1_3genE5ELNS1_11target_archE942ELNS1_3gpuE9ELNS1_3repE0EEELNS0_4arch9wavefront6targetE1EEEEEDaSQ_: ; @_ZZZN7rocprim17ROCPRIM_400000_NS6detail9scan_implILNS1_25lookback_scan_determinismE0ELb0ELb0ENS0_14default_configEPKN3c108BFloat16EPS6_S6_ZZZN2at6native31launch_logcumsumexp_cuda_kernelERKNSA_10TensorBaseESE_lENKUlvE_clEvENKUlvE4_clEvEUlS6_S6_E_S6_EEDaPvRmT3_T4_T5_mT6_P12ihipStream_tbENKUlT_T0_E_clISt17integral_constantIbLb1EESU_IbLb0EEEEDaSQ_SR_ENKUlSQ_E_clINS1_13target_configIS4_NS1_20scan_config_selectorIS6_EENS1_11comp_targetILNS1_3genE5ELNS1_11target_archE942ELNS1_3gpuE9ELNS1_3repE0EEELNS0_4arch9wavefront6targetE1EEEEEDaSQ_
; %bb.0:
	s_waitcnt vmcnt(0) expcnt(0) lgkmcnt(0)
	s_or_saveexec_b64 s[0:1], -1
	scratch_store_dword off, v40, s32       ; 4-byte Folded Spill
	s_mov_b64 exec, s[0:1]
	v_writelane_b32 v40, s30, 0
	s_nop 1
	v_writelane_b32 v40, s31, 1
	flat_load_dwordx4 v[10:13], v[0:1]
	flat_load_dwordx3 v[28:30], v[0:1] offset:40
	flat_load_dwordx4 v[14:17], v[0:1] offset:16
	flat_load_dwordx4 v[2:5], v[0:1] offset:56
	;; [unrolled: 1-line block ×3, first 2 shown]
	s_movk_i32 s0, 0x1800
	s_mov_b32 s59, 0
	v_and_b32_e32 v0, 0x3ff, v31
	s_mul_i32 s58, s12, 0x1800
	s_waitcnt vmcnt(0) lgkmcnt(0)
	v_lshl_add_u64 v[10:11], v[12:13], 1, v[10:11]
	v_add_u32_e32 v1, -1, v30
	v_mul_lo_u32 v20, v1, s0
	v_sub_co_u32_e32 v30, vcc, v16, v20
	v_cmp_ne_u32_e64 s[0:1], s12, v1
	v_lshl_add_u64 v[18:19], s[58:59], 1, v[10:11]
	v_subbrev_co_u32_e32 v31, vcc, 0, v17, vcc
	v_lshlrev_b32_e32 v10, 1, v0
	s_and_saveexec_b64 s[2:3], s[0:1]
	s_xor_b64 s[2:3], exec, s[2:3]
	s_cbranch_execz .LBB499_2
; %bb.1:
	v_mov_b32_e32 v11, 0
	v_lshl_add_u64 v[16:17], v[18:19], 0, v[10:11]
	v_add_co_u32_e32 v18, vcc, 0x1000, v16
	flat_load_ushort v1, v[16:17]
	flat_load_ushort v11, v[16:17] offset:512
	flat_load_ushort v20, v[16:17] offset:1024
	flat_load_ushort v21, v[16:17] offset:1536
	flat_load_ushort v22, v[16:17] offset:2048
	flat_load_ushort v23, v[16:17] offset:2560
	flat_load_ushort v24, v[16:17] offset:3072
	flat_load_ushort v25, v[16:17] offset:3584
	v_addc_co_u32_e32 v19, vcc, 0, v17, vcc
	v_add_co_u32_e32 v16, vcc, 0x2000, v16
	flat_load_ushort v26, v[18:19]
	flat_load_ushort v27, v[18:19] offset:512
	flat_load_ushort v32, v[18:19] offset:1024
	flat_load_ushort v33, v[18:19] offset:1536
	flat_load_ushort v34, v[18:19] offset:2048
	flat_load_ushort v35, v[18:19] offset:2560
	flat_load_ushort v36, v[18:19] offset:3072
	flat_load_ushort v37, v[18:19] offset:3584
	v_addc_co_u32_e32 v17, vcc, 0, v17, vcc
	flat_load_ushort v18, v[16:17]
	flat_load_ushort v19, v[16:17] offset:512
	flat_load_ushort v38, v[16:17] offset:1024
	;; [unrolled: 1-line block ×7, first 2 shown]
	s_waitcnt vmcnt(0) lgkmcnt(0)
	ds_write_b16 v10, v1
	ds_write_b16 v10, v11 offset:512
	ds_write_b16 v10, v20 offset:1024
	;; [unrolled: 1-line block ×23, first 2 shown]
	s_waitcnt lgkmcnt(0)
	s_barrier
                                        ; implicit-def: $vgpr18_vgpr19
.LBB499_2:
	s_andn2_saveexec_b64 s[2:3], s[2:3]
	s_cbranch_execz .LBB499_52
; %bb.3:
	flat_load_ushort v1, v[18:19]
	v_cmp_lt_u32_e32 vcc, v0, v30
	s_waitcnt vmcnt(0) lgkmcnt(0)
	v_mov_b32_e32 v16, v1
	s_and_saveexec_b64 s[4:5], vcc
	s_cbranch_execz .LBB499_5
; %bb.4:
	v_mov_b32_e32 v11, 0
	v_lshl_add_u64 v[16:17], v[18:19], 0, v[10:11]
	flat_load_ushort v16, v[16:17]
.LBB499_5:
	s_or_b64 exec, exec, s[4:5]
	v_add_u32_e32 v11, 0x100, v0
	v_cmp_lt_u32_e32 vcc, v11, v30
	v_mov_b32_e32 v17, v1
	s_and_saveexec_b64 s[4:5], vcc
	s_cbranch_execz .LBB499_7
; %bb.6:
	v_mov_b32_e32 v11, 0
	v_lshl_add_u64 v[20:21], v[18:19], 0, v[10:11]
	flat_load_ushort v17, v[20:21] offset:512
.LBB499_7:
	s_or_b64 exec, exec, s[4:5]
	v_add_u32_e32 v11, 0x200, v0
	v_cmp_lt_u32_e32 vcc, v11, v30
	v_mov_b32_e32 v20, v1
	s_and_saveexec_b64 s[4:5], vcc
	s_cbranch_execz .LBB499_9
; %bb.8:
	v_mov_b32_e32 v11, 0
	v_lshl_add_u64 v[20:21], v[18:19], 0, v[10:11]
	flat_load_ushort v20, v[20:21] offset:1024
.LBB499_9:
	;; [unrolled: 11-line block ×3, first 2 shown]
	s_or_b64 exec, exec, s[4:5]
	v_or_b32_e32 v11, 0x400, v0
	v_cmp_lt_u32_e32 vcc, v11, v30
	v_mov_b32_e32 v22, v1
	s_and_saveexec_b64 s[4:5], vcc
	s_cbranch_execz .LBB499_13
; %bb.12:
	v_mov_b32_e32 v11, 0
	v_lshl_add_u64 v[22:23], v[18:19], 0, v[10:11]
	flat_load_ushort v22, v[22:23] offset:2048
.LBB499_13:
	s_or_b64 exec, exec, s[4:5]
	v_add_u32_e32 v11, 0x500, v0
	v_cmp_lt_u32_e32 vcc, v11, v30
	v_mov_b32_e32 v23, v1
	s_and_saveexec_b64 s[4:5], vcc
	s_cbranch_execz .LBB499_15
; %bb.14:
	v_mov_b32_e32 v11, 0
	v_lshl_add_u64 v[24:25], v[18:19], 0, v[10:11]
	flat_load_ushort v23, v[24:25] offset:2560
.LBB499_15:
	s_or_b64 exec, exec, s[4:5]
	v_add_u32_e32 v11, 0x600, v0
	;; [unrolled: 11-line block ×3, first 2 shown]
	v_cmp_lt_u32_e32 vcc, v11, v30
	v_mov_b32_e32 v11, v1
	s_and_saveexec_b64 s[4:5], vcc
	s_cbranch_execz .LBB499_19
; %bb.18:
	v_mov_b32_e32 v11, 0
	v_lshl_add_u64 v[26:27], v[18:19], 0, v[10:11]
	flat_load_ushort v11, v[26:27] offset:3584
.LBB499_19:
	s_or_b64 exec, exec, s[4:5]
	v_or_b32_e32 v26, 0x800, v0
	v_cmp_lt_u32_e32 vcc, v26, v30
	v_mov_b32_e32 v25, v1
	s_and_saveexec_b64 s[4:5], vcc
	s_cbranch_execz .LBB499_21
; %bb.20:
	v_lshlrev_b32_e32 v26, 1, v26
	v_mov_b32_e32 v27, 0
	v_lshl_add_u64 v[26:27], v[18:19], 0, v[26:27]
	flat_load_ushort v25, v[26:27]
.LBB499_21:
	s_or_b64 exec, exec, s[4:5]
	v_add_u32_e32 v27, 0x900, v0
	v_cmp_lt_u32_e32 vcc, v27, v30
	v_mov_b32_e32 v26, v1
	s_and_saveexec_b64 s[4:5], vcc
	s_cbranch_execz .LBB499_23
; %bb.22:
	v_lshlrev_b32_e32 v26, 1, v27
	v_mov_b32_e32 v27, 0
	v_lshl_add_u64 v[26:27], v[18:19], 0, v[26:27]
	flat_load_ushort v26, v[26:27]
.LBB499_23:
	s_or_b64 exec, exec, s[4:5]
	v_add_u32_e32 v32, 0xa00, v0
	v_cmp_lt_u32_e32 vcc, v32, v30
	v_mov_b32_e32 v27, v1
	s_and_saveexec_b64 s[4:5], vcc
	s_cbranch_execz .LBB499_25
; %bb.24:
	v_lshlrev_b32_e32 v32, 1, v32
	v_mov_b32_e32 v33, 0
	v_lshl_add_u64 v[32:33], v[18:19], 0, v[32:33]
	flat_load_ushort v27, v[32:33]
.LBB499_25:
	s_or_b64 exec, exec, s[4:5]
	v_add_u32_e32 v33, 0xb00, v0
	v_cmp_lt_u32_e32 vcc, v33, v30
	v_mov_b32_e32 v32, v1
	s_and_saveexec_b64 s[4:5], vcc
	s_cbranch_execz .LBB499_27
; %bb.26:
	v_lshlrev_b32_e32 v32, 1, v33
	v_mov_b32_e32 v33, 0
	v_lshl_add_u64 v[32:33], v[18:19], 0, v[32:33]
	flat_load_ushort v32, v[32:33]
.LBB499_27:
	s_or_b64 exec, exec, s[4:5]
	v_or_b32_e32 v34, 0xc00, v0
	v_cmp_lt_u32_e32 vcc, v34, v30
	v_mov_b32_e32 v33, v1
	s_and_saveexec_b64 s[4:5], vcc
	s_cbranch_execz .LBB499_29
; %bb.28:
	v_lshlrev_b32_e32 v34, 1, v34
	v_mov_b32_e32 v35, 0
	v_lshl_add_u64 v[34:35], v[18:19], 0, v[34:35]
	flat_load_ushort v33, v[34:35]
.LBB499_29:
	s_or_b64 exec, exec, s[4:5]
	v_add_u32_e32 v35, 0xd00, v0
	v_cmp_lt_u32_e32 vcc, v35, v30
	v_mov_b32_e32 v34, v1
	s_and_saveexec_b64 s[4:5], vcc
	s_cbranch_execz .LBB499_31
; %bb.30:
	v_lshlrev_b32_e32 v34, 1, v35
	v_mov_b32_e32 v35, 0
	v_lshl_add_u64 v[34:35], v[18:19], 0, v[34:35]
	flat_load_ushort v34, v[34:35]
.LBB499_31:
	s_or_b64 exec, exec, s[4:5]
	v_add_u32_e32 v36, 0xe00, v0
	v_cmp_lt_u32_e32 vcc, v36, v30
	v_mov_b32_e32 v35, v1
	s_and_saveexec_b64 s[4:5], vcc
	s_cbranch_execz .LBB499_33
; %bb.32:
	v_lshlrev_b32_e32 v36, 1, v36
	v_mov_b32_e32 v37, 0
	v_lshl_add_u64 v[36:37], v[18:19], 0, v[36:37]
	flat_load_ushort v35, v[36:37]
.LBB499_33:
	s_or_b64 exec, exec, s[4:5]
	v_add_u32_e32 v37, 0xf00, v0
	v_cmp_lt_u32_e32 vcc, v37, v30
	v_mov_b32_e32 v36, v1
	s_and_saveexec_b64 s[4:5], vcc
	s_cbranch_execz .LBB499_35
; %bb.34:
	v_lshlrev_b32_e32 v36, 1, v37
	v_mov_b32_e32 v37, 0
	v_lshl_add_u64 v[36:37], v[18:19], 0, v[36:37]
	flat_load_ushort v36, v[36:37]
.LBB499_35:
	;; [unrolled: 48-line block ×3, first 2 shown]
	s_or_b64 exec, exec, s[4:5]
	v_or_b32_e32 v50, 0x1400, v0
	v_cmp_lt_u32_e32 vcc, v50, v30
	v_mov_b32_e32 v49, v1
	s_and_saveexec_b64 s[4:5], vcc
	s_cbranch_execz .LBB499_45
; %bb.44:
	v_lshlrev_b32_e32 v50, 1, v50
	v_mov_b32_e32 v51, 0
	v_lshl_add_u64 v[50:51], v[18:19], 0, v[50:51]
	flat_load_ushort v49, v[50:51]
.LBB499_45:
	s_or_b64 exec, exec, s[4:5]
	v_add_u32_e32 v51, 0x1500, v0
	v_cmp_lt_u32_e32 vcc, v51, v30
	v_mov_b32_e32 v50, v1
	s_and_saveexec_b64 s[4:5], vcc
	s_cbranch_execz .LBB499_47
; %bb.46:
	v_lshlrev_b32_e32 v50, 1, v51
	v_mov_b32_e32 v51, 0
	v_lshl_add_u64 v[50:51], v[18:19], 0, v[50:51]
	flat_load_ushort v50, v[50:51]
.LBB499_47:
	s_or_b64 exec, exec, s[4:5]
	v_add_u32_e32 v52, 0x1600, v0
	;; [unrolled: 12-line block ×3, first 2 shown]
	v_cmp_lt_u32_e32 vcc, v52, v30
	s_and_saveexec_b64 s[4:5], vcc
	s_cbranch_execz .LBB499_51
; %bb.50:
	v_lshlrev_b32_e32 v52, 1, v52
	v_mov_b32_e32 v53, 0
	v_lshl_add_u64 v[18:19], v[18:19], 0, v[52:53]
	flat_load_ushort v1, v[18:19]
.LBB499_51:
	s_or_b64 exec, exec, s[4:5]
	s_waitcnt vmcnt(0) lgkmcnt(0)
	ds_write_b16 v10, v16
	ds_write_b16 v10, v17 offset:512
	ds_write_b16 v10, v20 offset:1024
	;; [unrolled: 1-line block ×23, first 2 shown]
	s_waitcnt lgkmcnt(0)
	s_barrier
.LBB499_52:
	s_or_b64 exec, exec, s[2:3]
	v_mul_u32_u24_e32 v48, 24, v0
	v_lshlrev_b32_e32 v1, 1, v48
	ds_read_b128 v[24:27], v1
	ds_read_b128 v[20:23], v1 offset:16
	ds_read_b128 v[16:19], v1 offset:32
	s_cmp_lg_u32 s12, 0
	s_waitcnt lgkmcnt(0)
	s_barrier
	s_cbranch_scc0 .LBB499_267
; %bb.53:
	v_mov_b32_e32 v32, 16
	v_lshlrev_b32_e32 v11, 16, v24
	v_lshlrev_b32_sdwa v49, v32, v24 dst_sel:DWORD dst_unused:UNUSED_PAD src0_sel:DWORD src1_sel:WORD_1
	v_max_f32_e32 v50, v49, v49
	v_max_f32_e32 v135, v11, v11
	v_min_f32_e32 v33, v135, v50
	v_cmp_u_f32_e64 s[50:51], v11, v11
	v_cmp_u_f32_e64 s[2:3], v49, v49
	s_movk_i32 s6, 0x1f8
	v_cndmask_b32_e64 v33, v33, v11, s[50:51]
	v_cndmask_b32_e64 v35, v33, v49, s[2:3]
	v_max_f32_e32 v33, v135, v50
	v_cndmask_b32_e64 v33, v33, v11, s[50:51]
	v_cndmask_b32_e64 v33, v33, v49, s[2:3]
	v_cmp_neq_f32_e32 vcc, v35, v33
	v_cmp_class_f32_e64 s[4:5], v35, s6
	s_or_b64 s[8:9], vcc, s[4:5]
	v_mov_b32_e32 v34, v11
	s_and_saveexec_b64 s[4:5], s[8:9]
	s_cbranch_execz .LBB499_55
; %bb.54:
	v_sub_f32_e32 v34, v35, v33
	s_mov_b32 s7, 0x3fb8aa3b
	v_mul_f32_e32 v35, 0x3fb8aa3b, v34
	v_fma_f32 v36, v34, s7, -v35
	v_rndne_f32_e32 v37, v35
	v_fmamk_f32 v36, v34, 0x32a5705f, v36
	v_sub_f32_e32 v35, v35, v37
	v_add_f32_e32 v35, v35, v36
	v_exp_f32_e32 v35, v35
	v_cvt_i32_f32_e32 v36, v37
	s_mov_b32 s7, 0xc2ce8ed0
	v_cmp_ngt_f32_e32 vcc, s7, v34
	s_mov_b32 s7, 0x42b17218
	v_ldexp_f32 v35, v35, v36
	v_cndmask_b32_e32 v35, 0, v35, vcc
	v_mov_b32_e32 v36, 0x7f800000
	v_cmp_nlt_f32_e32 vcc, s7, v34
	s_mov_b32 s7, 0x3f2aaaab
	s_mov_b32 s8, 0x7f800000
	v_cndmask_b32_e32 v51, v36, v35, vcc
	v_add_f32_e32 v36, 1.0, v51
	v_add_f32_e32 v34, -1.0, v36
	v_sub_f32_e32 v35, v34, v36
	v_add_f32_e32 v35, 1.0, v35
	v_sub_f32_e32 v34, v51, v34
	v_add_f32_e32 v37, v34, v35
	v_frexp_mant_f32_e32 v38, v36
	v_cvt_f64_f32_e32 v[34:35], v36
	v_frexp_exp_i32_f64_e32 v34, v[34:35]
	v_cmp_gt_f32_e32 vcc, s7, v38
	s_mov_b32 s7, 0x3f317218
	s_nop 0
	v_subbrev_co_u32_e32 v54, vcc, 0, v34, vcc
	v_sub_u32_e32 v34, 0, v54
	v_ldexp_f32 v35, v36, v34
	v_add_f32_e32 v36, -1.0, v35
	v_add_f32_e32 v38, 1.0, v35
	v_ldexp_f32 v34, v37, v34
	v_add_f32_e32 v37, 1.0, v36
	v_add_f32_e32 v39, -1.0, v38
	v_sub_f32_e32 v37, v35, v37
	v_sub_f32_e32 v35, v35, v39
	v_add_f32_e32 v37, v34, v37
	v_add_f32_e32 v34, v34, v35
	;; [unrolled: 1-line block ×3, first 2 shown]
	v_rcp_f32_e32 v65, v55
	v_sub_f32_e32 v35, v38, v55
	v_add_f32_e32 v64, v34, v35
	v_add_f32_e32 v35, v36, v37
	v_mul_f32_e32 v67, v35, v65
	v_sub_f32_e32 v34, v36, v35
	v_mul_f32_e32 v36, v55, v67
	v_fma_f32 v38, v67, v55, -v36
	v_fmac_f32_e32 v38, v67, v64
	v_add_f32_e32 v66, v37, v34
	v_add_f32_e32 v34, v36, v38
	v_sub_f32_e32 v37, v35, v34
	v_pk_add_f32 v[52:53], v[34:35], v[36:37] neg_lo:[0,1] neg_hi:[0,1]
	v_mov_b32_e32 v39, v34
	v_pk_add_f32 v[34:35], v[52:53], v[38:39] neg_lo:[0,1] neg_hi:[0,1]
	v_cmp_eq_f32_e32 vcc, s8, v51
	v_add_f32_e32 v35, v66, v35
	v_add_f32_e32 v34, v34, v35
	;; [unrolled: 1-line block ×3, first 2 shown]
	v_mul_f32_e32 v66, v65, v35
	v_mul_f32_e32 v36, v55, v66
	v_fma_f32 v38, v66, v55, -v36
	v_fmac_f32_e32 v38, v66, v64
	v_sub_f32_e32 v37, v37, v35
	v_add_f32_e32 v55, v34, v37
	v_add_f32_e32 v34, v36, v38
	v_sub_f32_e32 v37, v35, v34
	v_pk_add_f32 v[52:53], v[34:35], v[36:37] neg_lo:[0,1] neg_hi:[0,1]
	v_mov_b32_e32 v39, v34
	v_pk_add_f32 v[34:35], v[52:53], v[38:39] neg_lo:[0,1] neg_hi:[0,1]
	v_cvt_f32_i32_e32 v36, v54
	v_add_f32_e32 v35, v55, v35
	v_add_f32_e32 v34, v34, v35
	;; [unrolled: 1-line block ×4, first 2 shown]
	v_sub_f32_e32 v35, v37, v67
	v_mul_f32_e32 v34, v65, v34
	v_sub_f32_e32 v35, v66, v35
	v_add_f32_e32 v34, v35, v34
	v_add_f32_e32 v38, v37, v34
	v_mul_f32_e32 v52, v38, v38
	v_mov_b32_e32 v35, 0x3ecc95a3
	v_sub_f32_e32 v37, v38, v37
	v_fmac_f32_e32 v35, 0x3e9b6dac, v52
	v_sub_f32_e32 v34, v34, v37
	v_fmaak_f32 v35, v52, v35, 0x3f2aaada
	v_ldexp_f32 v53, v34, 1
	v_mul_f32_e32 v37, v38, v52
	v_mov_b32_e32 v34, 0x3f317218
	v_pk_mul_f32 v[34:35], v[36:37], v[34:35]
	v_ldexp_f32 v39, v38, 1
	v_fma_f32 v37, v36, s7, -v34
	v_fmamk_f32 v38, v36, 0xb102e308, v37
	v_pk_add_f32 v[36:37], v[34:35], v[38:39]
	v_mov_b32_e32 v52, v34
	v_sub_f32_e32 v39, v37, v39
	v_sub_f32_e32 v39, v35, v39
	v_add_f32_e32 v53, v53, v39
	v_pk_add_f32 v[34:35], v[36:37], v[34:35] neg_lo:[0,1] neg_hi:[0,1]
	v_pk_add_f32 v[54:55], v[36:37], v[52:53]
	v_mov_b32_e32 v39, v36
	v_mov_b32_e32 v35, v55
	v_pk_add_f32 v[64:65], v[38:39], v[34:35] neg_lo:[0,1] neg_hi:[0,1]
	v_pk_add_f32 v[34:35], v[38:39], v[34:35]
	v_mov_b32_e32 v52, v53
	v_mov_b32_e32 v38, v35
	v_pk_add_f32 v[66:67], v[38:39], v[36:37] neg_lo:[0,1] neg_hi:[0,1]
	v_mov_b32_e32 v34, v55
	v_mov_b32_e32 v39, v66
	v_pk_add_f32 v[68:69], v[54:55], v[38:39] neg_lo:[0,1] neg_hi:[0,1]
	v_mov_b32_e32 v54, v37
	v_mov_b32_e32 v55, v66
	;; [unrolled: 1-line block ×3, first 2 shown]
	v_pk_add_f32 v[34:35], v[34:35], v[54:55] neg_lo:[0,1] neg_hi:[0,1]
	v_mov_b32_e32 v53, v36
	v_pk_add_f32 v[34:35], v[52:53], v[34:35] neg_lo:[0,1] neg_hi:[0,1]
	v_mov_b32_e32 v68, v64
	v_pk_add_f32 v[36:37], v[68:69], v[34:35]
	s_mov_b32 s7, 0x33800000
	v_mov_b32_e32 v52, v37
	v_pk_add_f32 v[52:53], v[36:37], v[52:53]
	v_cmp_lt_f32_e64 s[8:9], |v51|, s7
	v_pk_add_f32 v[38:39], v[38:39], v[52:53]
	v_mov_b32_e32 v35, v52
	v_mov_b32_e32 v37, v38
	v_pk_add_f32 v[54:55], v[36:37], v[64:65] neg_lo:[0,1] neg_hi:[0,1]
	s_or_b64 vcc, vcc, s[8:9]
	v_sub_f32_e32 v36, v36, v54
	v_pk_add_f32 v[34:35], v[34:35], v[54:55] neg_lo:[0,1] neg_hi:[0,1]
	v_sub_f32_e32 v36, v64, v36
	v_add_f32_e32 v34, v34, v36
	v_add_f32_e32 v34, v34, v35
	;; [unrolled: 1-line block ×3, first 2 shown]
	v_cndmask_b32_e32 v34, v34, v51, vcc
	v_add_f32_e32 v34, v33, v34
.LBB499_55:
	s_or_b64 exec, exec, s[4:5]
	v_bfe_u32 v33, v34, 16, 1
	s_movk_i32 s8, 0x7fff
	v_add3_u32 v33, v34, v33, s8
	v_and_b32_e32 v35, 0xffff0000, v33
	v_mov_b32_e32 v33, 0x7fc00000
	v_cmp_o_f32_e32 vcc, v34, v34
	v_lshlrev_b32_sdwa v51, v32, v25 dst_sel:DWORD dst_unused:UNUSED_PAD src0_sel:DWORD src1_sel:WORD_0
	v_max_f32_e32 v55, v51, v51
	v_cndmask_b32_e32 v34, v33, v35, vcc
	v_max_f32_e32 v32, v34, v34
	v_min_f32_e32 v35, v32, v55
	v_cmp_u_f32_e32 vcc, v34, v34
	v_max_f32_e32 v32, v32, v55
	v_cmp_u_f32_e64 s[4:5], v51, v51
	v_cndmask_b32_e32 v35, v35, v34, vcc
	v_cndmask_b32_e32 v32, v32, v34, vcc
	v_cndmask_b32_e64 v35, v35, v51, s[4:5]
	v_cndmask_b32_e64 v32, v32, v51, s[4:5]
	v_cmp_neq_f32_e32 vcc, v35, v32
	v_cmp_class_f32_e64 s[6:7], v35, s6
	s_or_b64 s[10:11], vcc, s[6:7]
	s_and_saveexec_b64 s[6:7], s[10:11]
	s_cbranch_execz .LBB499_57
; %bb.56:
	v_sub_f32_e32 v34, v35, v32
	s_mov_b32 s9, 0x3fb8aa3b
	v_mul_f32_e32 v35, 0x3fb8aa3b, v34
	v_fma_f32 v36, v34, s9, -v35
	v_rndne_f32_e32 v37, v35
	v_fmamk_f32 v36, v34, 0x32a5705f, v36
	v_sub_f32_e32 v35, v35, v37
	v_add_f32_e32 v35, v35, v36
	v_exp_f32_e32 v35, v35
	v_cvt_i32_f32_e32 v36, v37
	s_mov_b32 s9, 0xc2ce8ed0
	v_cmp_ngt_f32_e32 vcc, s9, v34
	s_mov_b32 s9, 0x42b17218
	v_ldexp_f32 v35, v35, v36
	v_cndmask_b32_e32 v35, 0, v35, vcc
	v_mov_b32_e32 v36, 0x7f800000
	v_cmp_nlt_f32_e32 vcc, s9, v34
	s_mov_b32 s9, 0x3f2aaaab
	s_mov_b32 s10, 0x7f800000
	v_cndmask_b32_e32 v54, v36, v35, vcc
	v_add_f32_e32 v36, 1.0, v54
	v_add_f32_e32 v34, -1.0, v36
	v_sub_f32_e32 v35, v34, v36
	v_add_f32_e32 v35, 1.0, v35
	v_sub_f32_e32 v34, v54, v34
	v_add_f32_e32 v37, v34, v35
	v_frexp_mant_f32_e32 v38, v36
	v_cvt_f64_f32_e32 v[34:35], v36
	v_frexp_exp_i32_f64_e32 v34, v[34:35]
	v_cmp_gt_f32_e32 vcc, s9, v38
	s_mov_b32 s9, 0x3f317218
	s_nop 0
	v_subbrev_co_u32_e32 v64, vcc, 0, v34, vcc
	v_sub_u32_e32 v34, 0, v64
	v_ldexp_f32 v35, v36, v34
	v_add_f32_e32 v36, -1.0, v35
	v_add_f32_e32 v38, 1.0, v35
	v_ldexp_f32 v34, v37, v34
	v_add_f32_e32 v37, 1.0, v36
	v_add_f32_e32 v39, -1.0, v38
	v_sub_f32_e32 v37, v35, v37
	v_sub_f32_e32 v35, v35, v39
	v_add_f32_e32 v37, v34, v37
	v_add_f32_e32 v34, v34, v35
	;; [unrolled: 1-line block ×3, first 2 shown]
	v_rcp_f32_e32 v67, v65
	v_sub_f32_e32 v35, v38, v65
	v_add_f32_e32 v66, v34, v35
	v_add_f32_e32 v35, v36, v37
	v_mul_f32_e32 v69, v35, v67
	v_sub_f32_e32 v34, v36, v35
	v_mul_f32_e32 v36, v65, v69
	v_fma_f32 v38, v69, v65, -v36
	v_fmac_f32_e32 v38, v69, v66
	v_add_f32_e32 v68, v37, v34
	v_add_f32_e32 v34, v36, v38
	v_sub_f32_e32 v37, v35, v34
	v_pk_add_f32 v[52:53], v[34:35], v[36:37] neg_lo:[0,1] neg_hi:[0,1]
	v_mov_b32_e32 v39, v34
	v_pk_add_f32 v[34:35], v[52:53], v[38:39] neg_lo:[0,1] neg_hi:[0,1]
	v_cmp_eq_f32_e32 vcc, s10, v54
	v_add_f32_e32 v35, v68, v35
	v_add_f32_e32 v34, v34, v35
	;; [unrolled: 1-line block ×3, first 2 shown]
	v_mul_f32_e32 v68, v67, v35
	v_mul_f32_e32 v36, v65, v68
	v_fma_f32 v38, v68, v65, -v36
	v_fmac_f32_e32 v38, v68, v66
	v_sub_f32_e32 v37, v37, v35
	v_add_f32_e32 v65, v34, v37
	v_add_f32_e32 v34, v36, v38
	v_sub_f32_e32 v37, v35, v34
	v_pk_add_f32 v[52:53], v[34:35], v[36:37] neg_lo:[0,1] neg_hi:[0,1]
	v_mov_b32_e32 v39, v34
	v_pk_add_f32 v[34:35], v[52:53], v[38:39] neg_lo:[0,1] neg_hi:[0,1]
	v_cvt_f32_i32_e32 v36, v64
	v_add_f32_e32 v35, v65, v35
	v_add_f32_e32 v34, v34, v35
	;; [unrolled: 1-line block ×4, first 2 shown]
	v_sub_f32_e32 v35, v37, v69
	v_mul_f32_e32 v34, v67, v34
	v_sub_f32_e32 v35, v68, v35
	v_add_f32_e32 v34, v35, v34
	v_add_f32_e32 v38, v37, v34
	v_mul_f32_e32 v52, v38, v38
	v_mov_b32_e32 v35, 0x3ecc95a3
	v_sub_f32_e32 v37, v38, v37
	v_fmac_f32_e32 v35, 0x3e9b6dac, v52
	v_sub_f32_e32 v34, v34, v37
	v_fmaak_f32 v35, v52, v35, 0x3f2aaada
	v_ldexp_f32 v53, v34, 1
	v_mul_f32_e32 v37, v38, v52
	v_mov_b32_e32 v34, 0x3f317218
	v_pk_mul_f32 v[34:35], v[36:37], v[34:35]
	v_ldexp_f32 v39, v38, 1
	v_fma_f32 v37, v36, s9, -v34
	v_fmamk_f32 v38, v36, 0xb102e308, v37
	v_pk_add_f32 v[36:37], v[34:35], v[38:39]
	v_mov_b32_e32 v52, v34
	v_sub_f32_e32 v39, v37, v39
	v_sub_f32_e32 v39, v35, v39
	v_add_f32_e32 v53, v53, v39
	v_pk_add_f32 v[34:35], v[36:37], v[34:35] neg_lo:[0,1] neg_hi:[0,1]
	v_pk_add_f32 v[64:65], v[36:37], v[52:53]
	v_mov_b32_e32 v39, v36
	v_mov_b32_e32 v35, v65
	v_pk_add_f32 v[66:67], v[38:39], v[34:35] neg_lo:[0,1] neg_hi:[0,1]
	v_pk_add_f32 v[34:35], v[38:39], v[34:35]
	v_mov_b32_e32 v52, v53
	v_mov_b32_e32 v38, v35
	v_pk_add_f32 v[68:69], v[38:39], v[36:37] neg_lo:[0,1] neg_hi:[0,1]
	v_mov_b32_e32 v34, v65
	v_mov_b32_e32 v39, v68
	v_pk_add_f32 v[70:71], v[64:65], v[38:39] neg_lo:[0,1] neg_hi:[0,1]
	v_mov_b32_e32 v64, v37
	v_mov_b32_e32 v65, v68
	;; [unrolled: 1-line block ×3, first 2 shown]
	v_pk_add_f32 v[34:35], v[34:35], v[64:65] neg_lo:[0,1] neg_hi:[0,1]
	v_mov_b32_e32 v53, v36
	v_pk_add_f32 v[34:35], v[52:53], v[34:35] neg_lo:[0,1] neg_hi:[0,1]
	v_mov_b32_e32 v70, v66
	v_pk_add_f32 v[36:37], v[70:71], v[34:35]
	s_mov_b32 s9, 0x33800000
	v_mov_b32_e32 v52, v37
	v_pk_add_f32 v[52:53], v[36:37], v[52:53]
	v_cmp_lt_f32_e64 s[10:11], |v54|, s9
	v_pk_add_f32 v[38:39], v[38:39], v[52:53]
	v_mov_b32_e32 v35, v52
	v_mov_b32_e32 v37, v38
	v_pk_add_f32 v[64:65], v[36:37], v[66:67] neg_lo:[0,1] neg_hi:[0,1]
	s_or_b64 vcc, vcc, s[10:11]
	v_sub_f32_e32 v36, v36, v64
	v_pk_add_f32 v[34:35], v[34:35], v[64:65] neg_lo:[0,1] neg_hi:[0,1]
	v_sub_f32_e32 v36, v66, v36
	v_add_f32_e32 v34, v34, v36
	v_add_f32_e32 v34, v34, v35
	v_add_f32_e32 v34, v38, v34
	v_cndmask_b32_e32 v34, v34, v54, vcc
	v_add_f32_e32 v34, v32, v34
.LBB499_57:
	s_or_b64 exec, exec, s[6:7]
	v_bfe_u32 v32, v34, 16, 1
	v_add3_u32 v32, v34, v32, s8
	v_and_b32_e32 v32, 0xffff0000, v32
	v_cmp_o_f32_e32 vcc, v34, v34
	s_movk_i32 s10, 0x1f8
	s_nop 0
	v_cndmask_b32_e32 v34, v33, v32, vcc
	v_mov_b32_e32 v32, 16
	v_lshlrev_b32_sdwa v52, v32, v25 dst_sel:DWORD dst_unused:UNUSED_PAD src0_sel:DWORD src1_sel:WORD_1
	v_max_f32_e32 v33, v34, v34
	v_max_f32_e32 v64, v52, v52
	v_min_f32_e32 v35, v33, v64
	v_cmp_u_f32_e32 vcc, v34, v34
	v_max_f32_e32 v33, v33, v64
	v_cmp_u_f32_e64 s[6:7], v52, v52
	v_cndmask_b32_e32 v35, v35, v34, vcc
	v_cndmask_b32_e32 v33, v33, v34, vcc
	v_cndmask_b32_e64 v35, v35, v52, s[6:7]
	v_cndmask_b32_e64 v33, v33, v52, s[6:7]
	v_cmp_neq_f32_e32 vcc, v35, v33
	v_cmp_class_f32_e64 s[8:9], v35, s10
	s_or_b64 s[14:15], vcc, s[8:9]
	s_and_saveexec_b64 s[8:9], s[14:15]
	s_cbranch_execz .LBB499_59
; %bb.58:
	v_sub_f32_e32 v34, v35, v33
	s_mov_b32 s11, 0x3fb8aa3b
	v_mul_f32_e32 v35, 0x3fb8aa3b, v34
	v_fma_f32 v36, v34, s11, -v35
	v_rndne_f32_e32 v37, v35
	v_fmamk_f32 v36, v34, 0x32a5705f, v36
	v_sub_f32_e32 v35, v35, v37
	v_add_f32_e32 v35, v35, v36
	v_exp_f32_e32 v35, v35
	v_cvt_i32_f32_e32 v36, v37
	s_mov_b32 s11, 0xc2ce8ed0
	v_cmp_ngt_f32_e32 vcc, s11, v34
	s_mov_b32 s11, 0x42b17218
	v_ldexp_f32 v35, v35, v36
	v_cndmask_b32_e32 v35, 0, v35, vcc
	v_mov_b32_e32 v36, 0x7f800000
	v_cmp_nlt_f32_e32 vcc, s11, v34
	s_mov_b32 s11, 0x3f2aaaab
	s_mov_b32 s13, 0x7f800000
	v_cndmask_b32_e32 v53, v36, v35, vcc
	v_add_f32_e32 v36, 1.0, v53
	v_add_f32_e32 v34, -1.0, v36
	v_sub_f32_e32 v35, v34, v36
	v_add_f32_e32 v35, 1.0, v35
	v_sub_f32_e32 v34, v53, v34
	v_add_f32_e32 v37, v34, v35
	v_frexp_mant_f32_e32 v38, v36
	v_cvt_f64_f32_e32 v[34:35], v36
	v_frexp_exp_i32_f64_e32 v34, v[34:35]
	v_cmp_gt_f32_e32 vcc, s11, v38
	s_mov_b32 s11, 0x3f317218
	s_nop 0
	v_subbrev_co_u32_e32 v54, vcc, 0, v34, vcc
	v_sub_u32_e32 v34, 0, v54
	v_ldexp_f32 v35, v36, v34
	v_add_f32_e32 v36, -1.0, v35
	v_add_f32_e32 v38, 1.0, v35
	v_ldexp_f32 v34, v37, v34
	v_add_f32_e32 v37, 1.0, v36
	v_add_f32_e32 v39, -1.0, v38
	v_sub_f32_e32 v37, v35, v37
	v_sub_f32_e32 v35, v35, v39
	v_add_f32_e32 v37, v34, v37
	v_add_f32_e32 v34, v34, v35
	;; [unrolled: 1-line block ×3, first 2 shown]
	v_rcp_f32_e32 v69, v65
	v_sub_f32_e32 v35, v38, v65
	v_add_f32_e32 v68, v34, v35
	v_add_f32_e32 v35, v36, v37
	v_mul_f32_e32 v71, v35, v69
	v_sub_f32_e32 v34, v36, v35
	v_mul_f32_e32 v36, v65, v71
	v_fma_f32 v38, v71, v65, -v36
	v_fmac_f32_e32 v38, v71, v68
	v_add_f32_e32 v70, v37, v34
	v_add_f32_e32 v34, v36, v38
	v_sub_f32_e32 v37, v35, v34
	v_pk_add_f32 v[66:67], v[34:35], v[36:37] neg_lo:[0,1] neg_hi:[0,1]
	v_mov_b32_e32 v39, v34
	v_pk_add_f32 v[34:35], v[66:67], v[38:39] neg_lo:[0,1] neg_hi:[0,1]
	v_cmp_eq_f32_e32 vcc, s13, v53
	v_add_f32_e32 v35, v70, v35
	v_add_f32_e32 v34, v34, v35
	;; [unrolled: 1-line block ×3, first 2 shown]
	v_mul_f32_e32 v70, v69, v35
	v_mul_f32_e32 v36, v65, v70
	v_fma_f32 v38, v70, v65, -v36
	v_fmac_f32_e32 v38, v70, v68
	v_sub_f32_e32 v37, v37, v35
	v_add_f32_e32 v65, v34, v37
	v_add_f32_e32 v34, v36, v38
	v_sub_f32_e32 v37, v35, v34
	v_pk_add_f32 v[66:67], v[34:35], v[36:37] neg_lo:[0,1] neg_hi:[0,1]
	v_mov_b32_e32 v39, v34
	v_pk_add_f32 v[34:35], v[66:67], v[38:39] neg_lo:[0,1] neg_hi:[0,1]
	v_cvt_f32_i32_e32 v36, v54
	v_add_f32_e32 v35, v65, v35
	v_add_f32_e32 v34, v34, v35
	;; [unrolled: 1-line block ×4, first 2 shown]
	v_sub_f32_e32 v35, v37, v71
	v_mul_f32_e32 v34, v69, v34
	v_sub_f32_e32 v35, v70, v35
	v_add_f32_e32 v34, v35, v34
	v_add_f32_e32 v38, v37, v34
	v_mul_f32_e32 v65, v38, v38
	v_mov_b32_e32 v35, 0x3ecc95a3
	v_sub_f32_e32 v37, v38, v37
	v_fmac_f32_e32 v35, 0x3e9b6dac, v65
	v_sub_f32_e32 v34, v34, v37
	v_fmaak_f32 v35, v65, v35, 0x3f2aaada
	v_ldexp_f32 v54, v34, 1
	v_mul_f32_e32 v37, v38, v65
	v_mov_b32_e32 v34, 0x3f317218
	v_pk_mul_f32 v[34:35], v[36:37], v[34:35]
	v_ldexp_f32 v39, v38, 1
	v_fma_f32 v37, v36, s11, -v34
	v_fmamk_f32 v38, v36, 0xb102e308, v37
	v_pk_add_f32 v[36:37], v[34:35], v[38:39]
	v_mov_b32_e32 v66, v34
	v_sub_f32_e32 v39, v37, v39
	v_sub_f32_e32 v39, v35, v39
	v_add_f32_e32 v67, v54, v39
	v_pk_add_f32 v[34:35], v[36:37], v[34:35] neg_lo:[0,1] neg_hi:[0,1]
	v_pk_add_f32 v[68:69], v[36:37], v[66:67]
	v_mov_b32_e32 v39, v36
	v_mov_b32_e32 v35, v69
	v_pk_add_f32 v[70:71], v[38:39], v[34:35] neg_lo:[0,1] neg_hi:[0,1]
	v_pk_add_f32 v[34:35], v[38:39], v[34:35]
	v_mov_b32_e32 v66, v67
	v_mov_b32_e32 v38, v35
	v_pk_add_f32 v[80:81], v[38:39], v[36:37] neg_lo:[0,1] neg_hi:[0,1]
	v_mov_b32_e32 v34, v69
	v_mov_b32_e32 v39, v80
	v_pk_add_f32 v[82:83], v[68:69], v[38:39] neg_lo:[0,1] neg_hi:[0,1]
	v_mov_b32_e32 v68, v37
	v_mov_b32_e32 v69, v80
	;; [unrolled: 1-line block ×3, first 2 shown]
	v_pk_add_f32 v[34:35], v[34:35], v[68:69] neg_lo:[0,1] neg_hi:[0,1]
	v_mov_b32_e32 v67, v36
	v_pk_add_f32 v[34:35], v[66:67], v[34:35] neg_lo:[0,1] neg_hi:[0,1]
	v_mov_b32_e32 v82, v70
	v_pk_add_f32 v[36:37], v[82:83], v[34:35]
	s_mov_b32 s11, 0x33800000
	v_mov_b32_e32 v54, v37
	v_pk_add_f32 v[66:67], v[36:37], v[54:55]
	v_cmp_lt_f32_e64 s[14:15], |v53|, s11
	v_pk_add_f32 v[38:39], v[38:39], v[66:67]
	v_mov_b32_e32 v35, v66
	v_mov_b32_e32 v37, v38
	v_pk_add_f32 v[68:69], v[36:37], v[70:71] neg_lo:[0,1] neg_hi:[0,1]
	s_or_b64 vcc, vcc, s[14:15]
	v_sub_f32_e32 v36, v36, v68
	v_pk_add_f32 v[34:35], v[34:35], v[68:69] neg_lo:[0,1] neg_hi:[0,1]
	v_sub_f32_e32 v36, v70, v36
	v_add_f32_e32 v34, v34, v36
	v_add_f32_e32 v34, v34, v35
	;; [unrolled: 1-line block ×3, first 2 shown]
	v_cndmask_b32_e32 v34, v34, v53, vcc
	v_add_f32_e32 v34, v33, v34
.LBB499_59:
	s_or_b64 exec, exec, s[8:9]
	v_bfe_u32 v33, v34, 16, 1
	s_movk_i32 s13, 0x7fff
	v_add3_u32 v33, v34, v33, s13
	v_and_b32_e32 v35, 0xffff0000, v33
	v_mov_b32_e32 v33, 0x7fc00000
	v_cmp_o_f32_e32 vcc, v34, v34
	v_lshlrev_b32_sdwa v53, v32, v26 dst_sel:DWORD dst_unused:UNUSED_PAD src0_sel:DWORD src1_sel:WORD_0
	v_max_f32_e32 v67, v53, v53
	v_cndmask_b32_e32 v34, v33, v35, vcc
	v_max_f32_e32 v32, v34, v34
	v_min_f32_e32 v35, v32, v67
	v_cmp_u_f32_e32 vcc, v34, v34
	v_max_f32_e32 v32, v32, v67
	v_cmp_u_f32_e64 s[8:9], v53, v53
	v_cndmask_b32_e32 v35, v35, v34, vcc
	v_cndmask_b32_e32 v32, v32, v34, vcc
	v_cndmask_b32_e64 v35, v35, v53, s[8:9]
	v_cndmask_b32_e64 v32, v32, v53, s[8:9]
	v_cmp_neq_f32_e32 vcc, v35, v32
	v_cmp_class_f32_e64 s[10:11], v35, s10
	s_or_b64 s[14:15], vcc, s[10:11]
	s_and_saveexec_b64 s[10:11], s[14:15]
	s_cbranch_execz .LBB499_61
; %bb.60:
	v_sub_f32_e32 v34, v35, v32
	s_mov_b32 s14, 0x3fb8aa3b
	v_mul_f32_e32 v35, 0x3fb8aa3b, v34
	v_fma_f32 v36, v34, s14, -v35
	v_rndne_f32_e32 v37, v35
	v_fmamk_f32 v36, v34, 0x32a5705f, v36
	v_sub_f32_e32 v35, v35, v37
	v_add_f32_e32 v35, v35, v36
	v_exp_f32_e32 v35, v35
	v_cvt_i32_f32_e32 v36, v37
	s_mov_b32 s14, 0xc2ce8ed0
	v_cmp_ngt_f32_e32 vcc, s14, v34
	s_mov_b32 s14, 0x42b17218
	v_ldexp_f32 v35, v35, v36
	v_cndmask_b32_e32 v35, 0, v35, vcc
	v_mov_b32_e32 v36, 0x7f800000
	v_cmp_nlt_f32_e32 vcc, s14, v34
	s_mov_b32 s14, 0x3f2aaaab
	s_mov_b32 s15, 0x7f800000
	v_cndmask_b32_e32 v65, v36, v35, vcc
	v_add_f32_e32 v36, 1.0, v65
	v_add_f32_e32 v34, -1.0, v36
	v_sub_f32_e32 v35, v34, v36
	v_add_f32_e32 v35, 1.0, v35
	v_sub_f32_e32 v34, v65, v34
	v_add_f32_e32 v37, v34, v35
	v_frexp_mant_f32_e32 v38, v36
	v_cvt_f64_f32_e32 v[34:35], v36
	v_frexp_exp_i32_f64_e32 v34, v[34:35]
	v_cmp_gt_f32_e32 vcc, s14, v38
	s_mov_b32 s14, 0x3f317218
	s_nop 0
	v_subbrev_co_u32_e32 v54, vcc, 0, v34, vcc
	v_sub_u32_e32 v34, 0, v54
	v_ldexp_f32 v35, v36, v34
	v_add_f32_e32 v36, -1.0, v35
	v_add_f32_e32 v38, 1.0, v35
	v_ldexp_f32 v34, v37, v34
	v_add_f32_e32 v37, 1.0, v36
	v_add_f32_e32 v39, -1.0, v38
	v_sub_f32_e32 v37, v35, v37
	v_sub_f32_e32 v35, v35, v39
	v_add_f32_e32 v37, v34, v37
	v_add_f32_e32 v34, v34, v35
	;; [unrolled: 1-line block ×3, first 2 shown]
	v_rcp_f32_e32 v71, v66
	v_sub_f32_e32 v35, v38, v66
	v_add_f32_e32 v70, v34, v35
	v_add_f32_e32 v35, v36, v37
	v_mul_f32_e32 v81, v35, v71
	v_sub_f32_e32 v34, v36, v35
	v_mul_f32_e32 v36, v66, v81
	v_fma_f32 v38, v81, v66, -v36
	v_fmac_f32_e32 v38, v81, v70
	v_add_f32_e32 v80, v37, v34
	v_add_f32_e32 v34, v36, v38
	v_sub_f32_e32 v37, v35, v34
	v_pk_add_f32 v[68:69], v[34:35], v[36:37] neg_lo:[0,1] neg_hi:[0,1]
	v_mov_b32_e32 v39, v34
	v_pk_add_f32 v[34:35], v[68:69], v[38:39] neg_lo:[0,1] neg_hi:[0,1]
	v_cmp_eq_f32_e32 vcc, s15, v65
	v_add_f32_e32 v35, v80, v35
	v_add_f32_e32 v34, v34, v35
	;; [unrolled: 1-line block ×3, first 2 shown]
	v_mul_f32_e32 v80, v71, v35
	v_mul_f32_e32 v36, v66, v80
	v_fma_f32 v38, v80, v66, -v36
	v_fmac_f32_e32 v38, v80, v70
	v_sub_f32_e32 v37, v37, v35
	v_add_f32_e32 v66, v34, v37
	v_add_f32_e32 v34, v36, v38
	v_sub_f32_e32 v37, v35, v34
	v_pk_add_f32 v[68:69], v[34:35], v[36:37] neg_lo:[0,1] neg_hi:[0,1]
	v_mov_b32_e32 v39, v34
	v_pk_add_f32 v[34:35], v[68:69], v[38:39] neg_lo:[0,1] neg_hi:[0,1]
	v_cvt_f32_i32_e32 v36, v54
	v_add_f32_e32 v35, v66, v35
	v_add_f32_e32 v34, v34, v35
	v_add_f32_e32 v34, v37, v34
	v_add_f32_e32 v37, v81, v80
	v_sub_f32_e32 v35, v37, v81
	v_mul_f32_e32 v34, v71, v34
	v_sub_f32_e32 v35, v80, v35
	v_add_f32_e32 v34, v35, v34
	v_add_f32_e32 v38, v37, v34
	v_mul_f32_e32 v66, v38, v38
	v_mov_b32_e32 v35, 0x3ecc95a3
	v_sub_f32_e32 v37, v38, v37
	v_fmac_f32_e32 v35, 0x3e9b6dac, v66
	v_sub_f32_e32 v34, v34, v37
	v_fmaak_f32 v35, v66, v35, 0x3f2aaada
	v_ldexp_f32 v54, v34, 1
	v_mul_f32_e32 v37, v38, v66
	v_mov_b32_e32 v34, 0x3f317218
	v_pk_mul_f32 v[34:35], v[36:37], v[34:35]
	v_ldexp_f32 v39, v38, 1
	v_fma_f32 v37, v36, s14, -v34
	v_fmamk_f32 v38, v36, 0xb102e308, v37
	v_pk_add_f32 v[36:37], v[34:35], v[38:39]
	v_mov_b32_e32 v68, v34
	v_sub_f32_e32 v39, v37, v39
	v_sub_f32_e32 v39, v35, v39
	v_add_f32_e32 v69, v54, v39
	v_pk_add_f32 v[34:35], v[36:37], v[34:35] neg_lo:[0,1] neg_hi:[0,1]
	v_pk_add_f32 v[70:71], v[36:37], v[68:69]
	v_mov_b32_e32 v39, v36
	v_mov_b32_e32 v35, v71
	v_pk_add_f32 v[80:81], v[38:39], v[34:35] neg_lo:[0,1] neg_hi:[0,1]
	v_pk_add_f32 v[34:35], v[38:39], v[34:35]
	v_mov_b32_e32 v68, v69
	v_mov_b32_e32 v38, v35
	v_pk_add_f32 v[82:83], v[38:39], v[36:37] neg_lo:[0,1] neg_hi:[0,1]
	v_mov_b32_e32 v34, v71
	v_mov_b32_e32 v39, v82
	v_pk_add_f32 v[84:85], v[70:71], v[38:39] neg_lo:[0,1] neg_hi:[0,1]
	v_mov_b32_e32 v70, v37
	v_mov_b32_e32 v71, v82
	;; [unrolled: 1-line block ×3, first 2 shown]
	v_pk_add_f32 v[34:35], v[34:35], v[70:71] neg_lo:[0,1] neg_hi:[0,1]
	v_mov_b32_e32 v69, v36
	v_pk_add_f32 v[34:35], v[68:69], v[34:35] neg_lo:[0,1] neg_hi:[0,1]
	v_mov_b32_e32 v84, v80
	v_pk_add_f32 v[36:37], v[84:85], v[34:35]
	s_mov_b32 s14, 0x33800000
	v_mov_b32_e32 v54, v37
	v_pk_add_f32 v[68:69], v[36:37], v[54:55]
	v_cmp_lt_f32_e64 s[14:15], |v65|, s14
	v_pk_add_f32 v[38:39], v[38:39], v[68:69]
	v_mov_b32_e32 v35, v68
	v_mov_b32_e32 v37, v38
	v_pk_add_f32 v[70:71], v[36:37], v[80:81] neg_lo:[0,1] neg_hi:[0,1]
	s_or_b64 vcc, vcc, s[14:15]
	v_sub_f32_e32 v36, v36, v70
	v_pk_add_f32 v[34:35], v[34:35], v[70:71] neg_lo:[0,1] neg_hi:[0,1]
	v_sub_f32_e32 v36, v80, v36
	v_add_f32_e32 v34, v34, v36
	v_add_f32_e32 v34, v34, v35
	;; [unrolled: 1-line block ×3, first 2 shown]
	v_cndmask_b32_e32 v34, v34, v65, vcc
	v_add_f32_e32 v34, v32, v34
.LBB499_61:
	s_or_b64 exec, exec, s[10:11]
	v_bfe_u32 v32, v34, 16, 1
	v_add3_u32 v32, v34, v32, s13
	v_and_b32_e32 v32, 0xffff0000, v32
	v_cmp_o_f32_e32 vcc, v34, v34
	s_movk_i32 s13, 0x1f8
	s_nop 0
	v_cndmask_b32_e32 v34, v33, v32, vcc
	v_mov_b32_e32 v32, 16
	v_lshlrev_b32_sdwa v54, v32, v26 dst_sel:DWORD dst_unused:UNUSED_PAD src0_sel:DWORD src1_sel:WORD_1
	v_max_f32_e32 v33, v34, v34
	v_max_f32_e32 v68, v54, v54
	v_min_f32_e32 v35, v33, v68
	v_cmp_u_f32_e32 vcc, v34, v34
	v_max_f32_e32 v33, v33, v68
	v_cmp_u_f32_e64 s[10:11], v54, v54
	v_cndmask_b32_e32 v35, v35, v34, vcc
	v_cndmask_b32_e32 v33, v33, v34, vcc
	v_cndmask_b32_e64 v35, v35, v54, s[10:11]
	v_cndmask_b32_e64 v33, v33, v54, s[10:11]
	v_cmp_neq_f32_e32 vcc, v35, v33
	v_cmp_class_f32_e64 s[14:15], v35, s13
	s_or_b64 s[16:17], vcc, s[14:15]
	s_and_saveexec_b64 s[14:15], s[16:17]
	s_cbranch_execz .LBB499_63
; %bb.62:
	v_sub_f32_e32 v34, v35, v33
	s_mov_b32 s16, 0x3fb8aa3b
	v_mul_f32_e32 v35, 0x3fb8aa3b, v34
	v_fma_f32 v36, v34, s16, -v35
	v_rndne_f32_e32 v37, v35
	v_fmamk_f32 v36, v34, 0x32a5705f, v36
	v_sub_f32_e32 v35, v35, v37
	v_add_f32_e32 v35, v35, v36
	v_exp_f32_e32 v35, v35
	v_cvt_i32_f32_e32 v36, v37
	s_mov_b32 s16, 0xc2ce8ed0
	v_cmp_ngt_f32_e32 vcc, s16, v34
	s_mov_b32 s16, 0x42b17218
	v_ldexp_f32 v35, v35, v36
	v_cndmask_b32_e32 v35, 0, v35, vcc
	v_mov_b32_e32 v36, 0x7f800000
	v_cmp_nlt_f32_e32 vcc, s16, v34
	s_mov_b32 s16, 0x3f2aaaab
	s_mov_b32 s17, 0x7f800000
	v_cndmask_b32_e32 v65, v36, v35, vcc
	v_add_f32_e32 v36, 1.0, v65
	v_add_f32_e32 v34, -1.0, v36
	v_sub_f32_e32 v35, v34, v36
	v_add_f32_e32 v35, 1.0, v35
	v_sub_f32_e32 v34, v65, v34
	v_add_f32_e32 v37, v34, v35
	v_frexp_mant_f32_e32 v38, v36
	v_cvt_f64_f32_e32 v[34:35], v36
	v_frexp_exp_i32_f64_e32 v34, v[34:35]
	v_cmp_gt_f32_e32 vcc, s16, v38
	s_mov_b32 s16, 0x3f317218
	s_nop 0
	v_subbrev_co_u32_e32 v66, vcc, 0, v34, vcc
	v_sub_u32_e32 v34, 0, v66
	v_ldexp_f32 v35, v36, v34
	v_add_f32_e32 v36, -1.0, v35
	v_add_f32_e32 v38, 1.0, v35
	v_ldexp_f32 v34, v37, v34
	v_add_f32_e32 v37, 1.0, v36
	v_add_f32_e32 v39, -1.0, v38
	v_sub_f32_e32 v37, v35, v37
	v_sub_f32_e32 v35, v35, v39
	v_add_f32_e32 v37, v34, v37
	v_add_f32_e32 v34, v34, v35
	;; [unrolled: 1-line block ×3, first 2 shown]
	v_rcp_f32_e32 v81, v69
	v_sub_f32_e32 v35, v38, v69
	v_add_f32_e32 v80, v34, v35
	v_add_f32_e32 v35, v36, v37
	v_mul_f32_e32 v83, v35, v81
	v_sub_f32_e32 v34, v36, v35
	v_mul_f32_e32 v36, v69, v83
	v_fma_f32 v38, v83, v69, -v36
	v_fmac_f32_e32 v38, v83, v80
	v_add_f32_e32 v82, v37, v34
	v_add_f32_e32 v34, v36, v38
	v_sub_f32_e32 v37, v35, v34
	v_pk_add_f32 v[70:71], v[34:35], v[36:37] neg_lo:[0,1] neg_hi:[0,1]
	v_mov_b32_e32 v39, v34
	v_pk_add_f32 v[34:35], v[70:71], v[38:39] neg_lo:[0,1] neg_hi:[0,1]
	v_cmp_eq_f32_e32 vcc, s17, v65
	v_add_f32_e32 v35, v82, v35
	v_add_f32_e32 v34, v34, v35
	;; [unrolled: 1-line block ×3, first 2 shown]
	v_mul_f32_e32 v82, v81, v35
	v_mul_f32_e32 v36, v69, v82
	v_fma_f32 v38, v82, v69, -v36
	v_fmac_f32_e32 v38, v82, v80
	v_sub_f32_e32 v37, v37, v35
	v_add_f32_e32 v69, v34, v37
	v_add_f32_e32 v34, v36, v38
	v_sub_f32_e32 v37, v35, v34
	v_pk_add_f32 v[70:71], v[34:35], v[36:37] neg_lo:[0,1] neg_hi:[0,1]
	v_mov_b32_e32 v39, v34
	v_pk_add_f32 v[34:35], v[70:71], v[38:39] neg_lo:[0,1] neg_hi:[0,1]
	v_cvt_f32_i32_e32 v36, v66
	v_add_f32_e32 v35, v69, v35
	v_add_f32_e32 v34, v34, v35
	;; [unrolled: 1-line block ×4, first 2 shown]
	v_sub_f32_e32 v35, v37, v83
	v_mul_f32_e32 v34, v81, v34
	v_sub_f32_e32 v35, v82, v35
	v_add_f32_e32 v34, v35, v34
	v_add_f32_e32 v38, v37, v34
	v_mul_f32_e32 v69, v38, v38
	v_mov_b32_e32 v35, 0x3ecc95a3
	v_sub_f32_e32 v37, v38, v37
	v_fmac_f32_e32 v35, 0x3e9b6dac, v69
	v_sub_f32_e32 v34, v34, v37
	v_fmaak_f32 v35, v69, v35, 0x3f2aaada
	v_ldexp_f32 v66, v34, 1
	v_mul_f32_e32 v37, v38, v69
	v_mov_b32_e32 v34, 0x3f317218
	v_pk_mul_f32 v[34:35], v[36:37], v[34:35]
	v_ldexp_f32 v39, v38, 1
	v_fma_f32 v37, v36, s16, -v34
	v_fmamk_f32 v38, v36, 0xb102e308, v37
	v_pk_add_f32 v[36:37], v[34:35], v[38:39]
	v_mov_b32_e32 v70, v34
	v_sub_f32_e32 v39, v37, v39
	v_sub_f32_e32 v39, v35, v39
	v_add_f32_e32 v71, v66, v39
	v_pk_add_f32 v[34:35], v[36:37], v[34:35] neg_lo:[0,1] neg_hi:[0,1]
	v_pk_add_f32 v[80:81], v[36:37], v[70:71]
	v_mov_b32_e32 v39, v36
	v_mov_b32_e32 v35, v81
	v_pk_add_f32 v[82:83], v[38:39], v[34:35] neg_lo:[0,1] neg_hi:[0,1]
	v_pk_add_f32 v[34:35], v[38:39], v[34:35]
	v_mov_b32_e32 v70, v71
	v_mov_b32_e32 v38, v35
	v_pk_add_f32 v[84:85], v[38:39], v[36:37] neg_lo:[0,1] neg_hi:[0,1]
	v_mov_b32_e32 v34, v81
	v_mov_b32_e32 v39, v84
	v_pk_add_f32 v[86:87], v[80:81], v[38:39] neg_lo:[0,1] neg_hi:[0,1]
	v_mov_b32_e32 v80, v37
	v_mov_b32_e32 v81, v84
	;; [unrolled: 1-line block ×3, first 2 shown]
	v_pk_add_f32 v[34:35], v[34:35], v[80:81] neg_lo:[0,1] neg_hi:[0,1]
	v_mov_b32_e32 v71, v36
	v_pk_add_f32 v[34:35], v[70:71], v[34:35] neg_lo:[0,1] neg_hi:[0,1]
	v_mov_b32_e32 v86, v82
	v_pk_add_f32 v[36:37], v[86:87], v[34:35]
	s_mov_b32 s16, 0x33800000
	v_mov_b32_e32 v66, v37
	v_pk_add_f32 v[70:71], v[36:37], v[66:67]
	v_cmp_lt_f32_e64 s[16:17], |v65|, s16
	v_pk_add_f32 v[38:39], v[38:39], v[70:71]
	v_mov_b32_e32 v35, v70
	v_mov_b32_e32 v37, v38
	v_pk_add_f32 v[80:81], v[36:37], v[82:83] neg_lo:[0,1] neg_hi:[0,1]
	s_or_b64 vcc, vcc, s[16:17]
	v_sub_f32_e32 v36, v36, v80
	v_pk_add_f32 v[34:35], v[34:35], v[80:81] neg_lo:[0,1] neg_hi:[0,1]
	v_sub_f32_e32 v36, v82, v36
	v_add_f32_e32 v34, v34, v36
	v_add_f32_e32 v34, v34, v35
	;; [unrolled: 1-line block ×3, first 2 shown]
	v_cndmask_b32_e32 v34, v34, v65, vcc
	v_add_f32_e32 v34, v33, v34
.LBB499_63:
	s_or_b64 exec, exec, s[14:15]
	v_bfe_u32 v33, v34, 16, 1
	s_movk_i32 s16, 0x7fff
	v_add3_u32 v33, v34, v33, s16
	v_and_b32_e32 v35, 0xffff0000, v33
	v_mov_b32_e32 v33, 0x7fc00000
	v_cmp_o_f32_e32 vcc, v34, v34
	v_lshlrev_b32_sdwa v65, v32, v27 dst_sel:DWORD dst_unused:UNUSED_PAD src0_sel:DWORD src1_sel:WORD_0
	v_max_f32_e32 v71, v65, v65
	v_cndmask_b32_e32 v34, v33, v35, vcc
	v_max_f32_e32 v32, v34, v34
	v_min_f32_e32 v35, v32, v71
	v_cmp_u_f32_e32 vcc, v34, v34
	v_max_f32_e32 v32, v32, v71
	v_cmp_u_f32_e64 s[54:55], v65, v65
	v_cndmask_b32_e32 v35, v35, v34, vcc
	v_cndmask_b32_e32 v32, v32, v34, vcc
	v_cndmask_b32_e64 v35, v35, v65, s[54:55]
	v_cndmask_b32_e64 v32, v32, v65, s[54:55]
	v_cmp_neq_f32_e32 vcc, v35, v32
	v_cmp_class_f32_e64 s[14:15], v35, s13
	s_or_b64 s[18:19], vcc, s[14:15]
	s_and_saveexec_b64 s[14:15], s[18:19]
	s_cbranch_execz .LBB499_65
; %bb.64:
	v_sub_f32_e32 v34, v35, v32
	s_mov_b32 s13, 0x3fb8aa3b
	v_mul_f32_e32 v35, 0x3fb8aa3b, v34
	v_fma_f32 v36, v34, s13, -v35
	v_rndne_f32_e32 v37, v35
	v_fmamk_f32 v36, v34, 0x32a5705f, v36
	v_sub_f32_e32 v35, v35, v37
	v_add_f32_e32 v35, v35, v36
	v_exp_f32_e32 v35, v35
	v_cvt_i32_f32_e32 v36, v37
	s_mov_b32 s13, 0xc2ce8ed0
	v_cmp_ngt_f32_e32 vcc, s13, v34
	s_mov_b32 s13, 0x42b17218
	v_ldexp_f32 v35, v35, v36
	v_cndmask_b32_e32 v35, 0, v35, vcc
	v_mov_b32_e32 v36, 0x7f800000
	v_cmp_nlt_f32_e32 vcc, s13, v34
	s_mov_b32 s13, 0x3f2aaaab
	s_mov_b32 s17, 0x7f800000
	v_cndmask_b32_e32 v69, v36, v35, vcc
	v_add_f32_e32 v36, 1.0, v69
	v_add_f32_e32 v34, -1.0, v36
	v_sub_f32_e32 v35, v34, v36
	v_add_f32_e32 v35, 1.0, v35
	v_sub_f32_e32 v34, v69, v34
	v_add_f32_e32 v37, v34, v35
	v_frexp_mant_f32_e32 v38, v36
	v_cvt_f64_f32_e32 v[34:35], v36
	v_frexp_exp_i32_f64_e32 v34, v[34:35]
	v_cmp_gt_f32_e32 vcc, s13, v38
	s_mov_b32 s13, 0x3f317218
	s_nop 0
	v_subbrev_co_u32_e32 v66, vcc, 0, v34, vcc
	v_sub_u32_e32 v34, 0, v66
	v_ldexp_f32 v35, v36, v34
	v_add_f32_e32 v36, -1.0, v35
	v_add_f32_e32 v38, 1.0, v35
	v_ldexp_f32 v34, v37, v34
	v_add_f32_e32 v37, 1.0, v36
	v_add_f32_e32 v39, -1.0, v38
	v_sub_f32_e32 v37, v35, v37
	v_sub_f32_e32 v35, v35, v39
	v_add_f32_e32 v37, v34, v37
	v_add_f32_e32 v34, v34, v35
	;; [unrolled: 1-line block ×3, first 2 shown]
	v_rcp_f32_e32 v83, v70
	v_sub_f32_e32 v35, v38, v70
	v_add_f32_e32 v82, v34, v35
	v_add_f32_e32 v35, v36, v37
	v_mul_f32_e32 v85, v35, v83
	v_sub_f32_e32 v34, v36, v35
	v_mul_f32_e32 v36, v70, v85
	v_fma_f32 v38, v85, v70, -v36
	v_fmac_f32_e32 v38, v85, v82
	v_add_f32_e32 v84, v37, v34
	v_add_f32_e32 v34, v36, v38
	v_sub_f32_e32 v37, v35, v34
	v_pk_add_f32 v[80:81], v[34:35], v[36:37] neg_lo:[0,1] neg_hi:[0,1]
	v_mov_b32_e32 v39, v34
	v_pk_add_f32 v[34:35], v[80:81], v[38:39] neg_lo:[0,1] neg_hi:[0,1]
	v_cmp_eq_f32_e32 vcc, s17, v69
	v_add_f32_e32 v35, v84, v35
	v_add_f32_e32 v34, v34, v35
	;; [unrolled: 1-line block ×3, first 2 shown]
	v_mul_f32_e32 v84, v83, v35
	v_mul_f32_e32 v36, v70, v84
	v_fma_f32 v38, v84, v70, -v36
	v_fmac_f32_e32 v38, v84, v82
	v_sub_f32_e32 v37, v37, v35
	v_add_f32_e32 v70, v34, v37
	v_add_f32_e32 v34, v36, v38
	v_sub_f32_e32 v37, v35, v34
	v_pk_add_f32 v[80:81], v[34:35], v[36:37] neg_lo:[0,1] neg_hi:[0,1]
	v_mov_b32_e32 v39, v34
	v_pk_add_f32 v[34:35], v[80:81], v[38:39] neg_lo:[0,1] neg_hi:[0,1]
	v_cvt_f32_i32_e32 v36, v66
	v_add_f32_e32 v35, v70, v35
	v_add_f32_e32 v34, v34, v35
	;; [unrolled: 1-line block ×4, first 2 shown]
	v_sub_f32_e32 v35, v37, v85
	v_mul_f32_e32 v34, v83, v34
	v_sub_f32_e32 v35, v84, v35
	v_add_f32_e32 v34, v35, v34
	v_add_f32_e32 v38, v37, v34
	v_mul_f32_e32 v70, v38, v38
	v_mov_b32_e32 v35, 0x3ecc95a3
	v_sub_f32_e32 v37, v38, v37
	v_fmac_f32_e32 v35, 0x3e9b6dac, v70
	v_sub_f32_e32 v34, v34, v37
	v_fmaak_f32 v35, v70, v35, 0x3f2aaada
	v_ldexp_f32 v66, v34, 1
	v_mul_f32_e32 v37, v38, v70
	v_mov_b32_e32 v34, 0x3f317218
	v_pk_mul_f32 v[34:35], v[36:37], v[34:35]
	v_ldexp_f32 v39, v38, 1
	v_fma_f32 v37, v36, s13, -v34
	v_fmamk_f32 v38, v36, 0xb102e308, v37
	v_pk_add_f32 v[36:37], v[34:35], v[38:39]
	v_mov_b32_e32 v80, v34
	v_sub_f32_e32 v39, v37, v39
	v_sub_f32_e32 v39, v35, v39
	v_add_f32_e32 v81, v66, v39
	v_pk_add_f32 v[34:35], v[36:37], v[34:35] neg_lo:[0,1] neg_hi:[0,1]
	v_pk_add_f32 v[82:83], v[36:37], v[80:81]
	v_mov_b32_e32 v39, v36
	v_mov_b32_e32 v35, v83
	v_pk_add_f32 v[84:85], v[38:39], v[34:35] neg_lo:[0,1] neg_hi:[0,1]
	v_pk_add_f32 v[34:35], v[38:39], v[34:35]
	v_mov_b32_e32 v80, v81
	v_mov_b32_e32 v38, v35
	v_pk_add_f32 v[86:87], v[38:39], v[36:37] neg_lo:[0,1] neg_hi:[0,1]
	v_mov_b32_e32 v34, v83
	v_mov_b32_e32 v39, v86
	v_pk_add_f32 v[96:97], v[82:83], v[38:39] neg_lo:[0,1] neg_hi:[0,1]
	v_mov_b32_e32 v82, v37
	v_mov_b32_e32 v83, v86
	;; [unrolled: 1-line block ×3, first 2 shown]
	v_pk_add_f32 v[34:35], v[34:35], v[82:83] neg_lo:[0,1] neg_hi:[0,1]
	v_mov_b32_e32 v81, v36
	v_pk_add_f32 v[34:35], v[80:81], v[34:35] neg_lo:[0,1] neg_hi:[0,1]
	v_mov_b32_e32 v96, v84
	v_pk_add_f32 v[36:37], v[96:97], v[34:35]
	s_mov_b32 s13, 0x33800000
	v_mov_b32_e32 v66, v37
	v_pk_add_f32 v[80:81], v[36:37], v[66:67]
	v_cmp_lt_f32_e64 s[18:19], |v69|, s13
	v_pk_add_f32 v[38:39], v[38:39], v[80:81]
	v_mov_b32_e32 v35, v80
	v_mov_b32_e32 v37, v38
	v_pk_add_f32 v[82:83], v[36:37], v[84:85] neg_lo:[0,1] neg_hi:[0,1]
	s_or_b64 vcc, vcc, s[18:19]
	v_sub_f32_e32 v36, v36, v82
	v_pk_add_f32 v[34:35], v[34:35], v[82:83] neg_lo:[0,1] neg_hi:[0,1]
	v_sub_f32_e32 v36, v84, v36
	v_add_f32_e32 v34, v34, v36
	v_add_f32_e32 v34, v34, v35
	;; [unrolled: 1-line block ×3, first 2 shown]
	v_cndmask_b32_e32 v34, v34, v69, vcc
	v_add_f32_e32 v34, v32, v34
.LBB499_65:
	s_or_b64 exec, exec, s[14:15]
	v_bfe_u32 v32, v34, 16, 1
	v_add3_u32 v32, v34, v32, s16
	v_and_b32_e32 v32, 0xffff0000, v32
	v_cmp_o_f32_e32 vcc, v34, v34
	s_movk_i32 s13, 0x1f8
	s_nop 0
	v_cndmask_b32_e32 v34, v33, v32, vcc
	v_mov_b32_e32 v32, 16
	v_lshlrev_b32_sdwa v66, v32, v27 dst_sel:DWORD dst_unused:UNUSED_PAD src0_sel:DWORD src1_sel:WORD_1
	v_max_f32_e32 v33, v34, v34
	v_max_f32_e32 v80, v66, v66
	v_min_f32_e32 v35, v33, v80
	v_cmp_u_f32_e32 vcc, v34, v34
	v_max_f32_e32 v33, v33, v80
	v_cmp_u_f32_e64 s[14:15], v66, v66
	v_cndmask_b32_e32 v35, v35, v34, vcc
	v_cndmask_b32_e32 v33, v33, v34, vcc
	v_cndmask_b32_e64 v35, v35, v66, s[14:15]
	v_cndmask_b32_e64 v33, v33, v66, s[14:15]
	v_cmp_neq_f32_e32 vcc, v35, v33
	v_cmp_class_f32_e64 s[16:17], v35, s13
	s_or_b64 s[18:19], vcc, s[16:17]
	s_and_saveexec_b64 s[16:17], s[18:19]
	s_cbranch_execz .LBB499_67
; %bb.66:
	v_sub_f32_e32 v34, v35, v33
	s_mov_b32 s18, 0x3fb8aa3b
	v_mul_f32_e32 v35, 0x3fb8aa3b, v34
	v_fma_f32 v36, v34, s18, -v35
	v_rndne_f32_e32 v37, v35
	v_fmamk_f32 v36, v34, 0x32a5705f, v36
	v_sub_f32_e32 v35, v35, v37
	v_add_f32_e32 v35, v35, v36
	v_exp_f32_e32 v35, v35
	v_cvt_i32_f32_e32 v36, v37
	s_mov_b32 s18, 0xc2ce8ed0
	v_cmp_ngt_f32_e32 vcc, s18, v34
	s_mov_b32 s18, 0x42b17218
	v_ldexp_f32 v35, v35, v36
	v_cndmask_b32_e32 v35, 0, v35, vcc
	v_mov_b32_e32 v36, 0x7f800000
	v_cmp_nlt_f32_e32 vcc, s18, v34
	s_mov_b32 s18, 0x3f2aaaab
	s_mov_b32 s19, 0x7f800000
	v_cndmask_b32_e32 v69, v36, v35, vcc
	v_add_f32_e32 v36, 1.0, v69
	v_add_f32_e32 v34, -1.0, v36
	v_sub_f32_e32 v35, v34, v36
	v_add_f32_e32 v35, 1.0, v35
	v_sub_f32_e32 v34, v69, v34
	v_add_f32_e32 v37, v34, v35
	v_frexp_mant_f32_e32 v38, v36
	v_cvt_f64_f32_e32 v[34:35], v36
	v_frexp_exp_i32_f64_e32 v34, v[34:35]
	v_cmp_gt_f32_e32 vcc, s18, v38
	s_mov_b32 s18, 0x3f317218
	s_nop 0
	v_subbrev_co_u32_e32 v70, vcc, 0, v34, vcc
	v_sub_u32_e32 v34, 0, v70
	v_ldexp_f32 v35, v36, v34
	v_add_f32_e32 v36, -1.0, v35
	v_add_f32_e32 v38, 1.0, v35
	v_ldexp_f32 v34, v37, v34
	v_add_f32_e32 v37, 1.0, v36
	v_add_f32_e32 v39, -1.0, v38
	v_sub_f32_e32 v37, v35, v37
	v_sub_f32_e32 v35, v35, v39
	v_add_f32_e32 v37, v34, v37
	v_add_f32_e32 v34, v34, v35
	;; [unrolled: 1-line block ×3, first 2 shown]
	v_rcp_f32_e32 v85, v81
	v_sub_f32_e32 v35, v38, v81
	v_add_f32_e32 v84, v34, v35
	v_add_f32_e32 v35, v36, v37
	v_mul_f32_e32 v87, v35, v85
	v_sub_f32_e32 v34, v36, v35
	v_mul_f32_e32 v36, v81, v87
	v_fma_f32 v38, v87, v81, -v36
	v_fmac_f32_e32 v38, v87, v84
	v_add_f32_e32 v86, v37, v34
	v_add_f32_e32 v34, v36, v38
	v_sub_f32_e32 v37, v35, v34
	v_pk_add_f32 v[82:83], v[34:35], v[36:37] neg_lo:[0,1] neg_hi:[0,1]
	v_mov_b32_e32 v39, v34
	v_pk_add_f32 v[34:35], v[82:83], v[38:39] neg_lo:[0,1] neg_hi:[0,1]
	v_cmp_eq_f32_e32 vcc, s19, v69
	v_add_f32_e32 v35, v86, v35
	v_add_f32_e32 v34, v34, v35
	;; [unrolled: 1-line block ×3, first 2 shown]
	v_mul_f32_e32 v86, v85, v35
	v_mul_f32_e32 v36, v81, v86
	v_fma_f32 v38, v86, v81, -v36
	v_fmac_f32_e32 v38, v86, v84
	v_sub_f32_e32 v37, v37, v35
	v_add_f32_e32 v81, v34, v37
	v_add_f32_e32 v34, v36, v38
	v_sub_f32_e32 v37, v35, v34
	v_pk_add_f32 v[82:83], v[34:35], v[36:37] neg_lo:[0,1] neg_hi:[0,1]
	v_mov_b32_e32 v39, v34
	v_pk_add_f32 v[34:35], v[82:83], v[38:39] neg_lo:[0,1] neg_hi:[0,1]
	v_cvt_f32_i32_e32 v36, v70
	v_add_f32_e32 v35, v81, v35
	v_add_f32_e32 v34, v34, v35
	;; [unrolled: 1-line block ×4, first 2 shown]
	v_sub_f32_e32 v35, v37, v87
	v_mul_f32_e32 v34, v85, v34
	v_sub_f32_e32 v35, v86, v35
	v_add_f32_e32 v34, v35, v34
	v_add_f32_e32 v38, v37, v34
	v_mul_f32_e32 v81, v38, v38
	v_mov_b32_e32 v35, 0x3ecc95a3
	v_sub_f32_e32 v37, v38, v37
	v_fmac_f32_e32 v35, 0x3e9b6dac, v81
	v_sub_f32_e32 v34, v34, v37
	v_fmaak_f32 v35, v81, v35, 0x3f2aaada
	v_ldexp_f32 v70, v34, 1
	v_mul_f32_e32 v37, v38, v81
	v_mov_b32_e32 v34, 0x3f317218
	v_pk_mul_f32 v[34:35], v[36:37], v[34:35]
	v_ldexp_f32 v39, v38, 1
	v_fma_f32 v37, v36, s18, -v34
	v_fmamk_f32 v38, v36, 0xb102e308, v37
	v_pk_add_f32 v[36:37], v[34:35], v[38:39]
	v_mov_b32_e32 v82, v34
	v_sub_f32_e32 v39, v37, v39
	v_sub_f32_e32 v39, v35, v39
	v_add_f32_e32 v83, v70, v39
	v_pk_add_f32 v[34:35], v[36:37], v[34:35] neg_lo:[0,1] neg_hi:[0,1]
	v_pk_add_f32 v[84:85], v[36:37], v[82:83]
	v_mov_b32_e32 v39, v36
	v_mov_b32_e32 v35, v85
	v_pk_add_f32 v[86:87], v[38:39], v[34:35] neg_lo:[0,1] neg_hi:[0,1]
	v_pk_add_f32 v[34:35], v[38:39], v[34:35]
	v_mov_b32_e32 v82, v83
	v_mov_b32_e32 v38, v35
	v_pk_add_f32 v[96:97], v[38:39], v[36:37] neg_lo:[0,1] neg_hi:[0,1]
	v_mov_b32_e32 v34, v85
	v_mov_b32_e32 v39, v96
	v_pk_add_f32 v[98:99], v[84:85], v[38:39] neg_lo:[0,1] neg_hi:[0,1]
	v_mov_b32_e32 v84, v37
	v_mov_b32_e32 v85, v96
	;; [unrolled: 1-line block ×3, first 2 shown]
	v_pk_add_f32 v[34:35], v[34:35], v[84:85] neg_lo:[0,1] neg_hi:[0,1]
	v_mov_b32_e32 v83, v36
	v_pk_add_f32 v[34:35], v[82:83], v[34:35] neg_lo:[0,1] neg_hi:[0,1]
	v_mov_b32_e32 v98, v86
	v_pk_add_f32 v[36:37], v[98:99], v[34:35]
	s_mov_b32 s18, 0x33800000
	v_mov_b32_e32 v70, v37
	v_pk_add_f32 v[82:83], v[36:37], v[70:71]
	v_cmp_lt_f32_e64 s[18:19], |v69|, s18
	v_pk_add_f32 v[38:39], v[38:39], v[82:83]
	v_mov_b32_e32 v35, v82
	v_mov_b32_e32 v37, v38
	v_pk_add_f32 v[84:85], v[36:37], v[86:87] neg_lo:[0,1] neg_hi:[0,1]
	s_or_b64 vcc, vcc, s[18:19]
	v_sub_f32_e32 v36, v36, v84
	v_pk_add_f32 v[34:35], v[34:35], v[84:85] neg_lo:[0,1] neg_hi:[0,1]
	v_sub_f32_e32 v36, v86, v36
	v_add_f32_e32 v34, v34, v36
	v_add_f32_e32 v34, v34, v35
	;; [unrolled: 1-line block ×3, first 2 shown]
	v_cndmask_b32_e32 v34, v34, v69, vcc
	v_add_f32_e32 v34, v33, v34
.LBB499_67:
	s_or_b64 exec, exec, s[16:17]
	v_bfe_u32 v33, v34, 16, 1
	s_movk_i32 s20, 0x7fff
	v_add3_u32 v33, v34, v33, s20
	v_and_b32_e32 v35, 0xffff0000, v33
	v_mov_b32_e32 v33, 0x7fc00000
	v_cmp_o_f32_e32 vcc, v34, v34
	v_lshlrev_b32_sdwa v69, v32, v20 dst_sel:DWORD dst_unused:UNUSED_PAD src0_sel:DWORD src1_sel:WORD_0
	v_max_f32_e32 v83, v69, v69
	v_cndmask_b32_e32 v34, v33, v35, vcc
	v_max_f32_e32 v32, v34, v34
	v_min_f32_e32 v35, v32, v83
	v_cmp_u_f32_e32 vcc, v34, v34
	v_max_f32_e32 v32, v32, v83
	v_cmp_u_f32_e64 s[16:17], v69, v69
	v_cndmask_b32_e32 v35, v35, v34, vcc
	v_cndmask_b32_e32 v32, v32, v34, vcc
	v_cndmask_b32_e64 v35, v35, v69, s[16:17]
	v_cndmask_b32_e64 v32, v32, v69, s[16:17]
	v_cmp_neq_f32_e32 vcc, v35, v32
	v_cmp_class_f32_e64 s[18:19], v35, s13
	s_or_b64 s[22:23], vcc, s[18:19]
	s_and_saveexec_b64 s[18:19], s[22:23]
	s_cbranch_execz .LBB499_69
; %bb.68:
	v_sub_f32_e32 v34, v35, v32
	s_mov_b32 s13, 0x3fb8aa3b
	v_mul_f32_e32 v35, 0x3fb8aa3b, v34
	v_fma_f32 v36, v34, s13, -v35
	v_rndne_f32_e32 v37, v35
	v_fmamk_f32 v36, v34, 0x32a5705f, v36
	v_sub_f32_e32 v35, v35, v37
	v_add_f32_e32 v35, v35, v36
	v_exp_f32_e32 v35, v35
	v_cvt_i32_f32_e32 v36, v37
	s_mov_b32 s13, 0xc2ce8ed0
	v_cmp_ngt_f32_e32 vcc, s13, v34
	s_mov_b32 s13, 0x42b17218
	v_ldexp_f32 v35, v35, v36
	v_cndmask_b32_e32 v35, 0, v35, vcc
	v_mov_b32_e32 v36, 0x7f800000
	v_cmp_nlt_f32_e32 vcc, s13, v34
	s_mov_b32 s13, 0x3f2aaaab
	s_mov_b32 s21, 0x7f800000
	v_cndmask_b32_e32 v81, v36, v35, vcc
	v_add_f32_e32 v36, 1.0, v81
	v_add_f32_e32 v34, -1.0, v36
	v_sub_f32_e32 v35, v34, v36
	v_add_f32_e32 v35, 1.0, v35
	v_sub_f32_e32 v34, v81, v34
	v_add_f32_e32 v37, v34, v35
	v_frexp_mant_f32_e32 v38, v36
	v_cvt_f64_f32_e32 v[34:35], v36
	v_frexp_exp_i32_f64_e32 v34, v[34:35]
	v_cmp_gt_f32_e32 vcc, s13, v38
	s_mov_b32 s13, 0x3f317218
	s_nop 0
	v_subbrev_co_u32_e32 v70, vcc, 0, v34, vcc
	v_sub_u32_e32 v34, 0, v70
	v_ldexp_f32 v35, v36, v34
	v_add_f32_e32 v36, -1.0, v35
	v_add_f32_e32 v38, 1.0, v35
	v_ldexp_f32 v34, v37, v34
	v_add_f32_e32 v37, 1.0, v36
	v_add_f32_e32 v39, -1.0, v38
	v_sub_f32_e32 v37, v35, v37
	v_sub_f32_e32 v35, v35, v39
	v_add_f32_e32 v37, v34, v37
	v_add_f32_e32 v34, v34, v35
	;; [unrolled: 1-line block ×3, first 2 shown]
	v_rcp_f32_e32 v87, v82
	v_sub_f32_e32 v35, v38, v82
	v_add_f32_e32 v86, v34, v35
	v_add_f32_e32 v35, v36, v37
	v_mul_f32_e32 v97, v35, v87
	v_sub_f32_e32 v34, v36, v35
	v_mul_f32_e32 v36, v82, v97
	v_fma_f32 v38, v97, v82, -v36
	v_fmac_f32_e32 v38, v97, v86
	v_add_f32_e32 v96, v37, v34
	v_add_f32_e32 v34, v36, v38
	v_sub_f32_e32 v37, v35, v34
	v_pk_add_f32 v[84:85], v[34:35], v[36:37] neg_lo:[0,1] neg_hi:[0,1]
	v_mov_b32_e32 v39, v34
	v_pk_add_f32 v[34:35], v[84:85], v[38:39] neg_lo:[0,1] neg_hi:[0,1]
	v_cmp_eq_f32_e32 vcc, s21, v81
	v_add_f32_e32 v35, v96, v35
	v_add_f32_e32 v34, v34, v35
	;; [unrolled: 1-line block ×3, first 2 shown]
	v_mul_f32_e32 v96, v87, v35
	v_mul_f32_e32 v36, v82, v96
	v_fma_f32 v38, v96, v82, -v36
	v_fmac_f32_e32 v38, v96, v86
	v_sub_f32_e32 v37, v37, v35
	v_add_f32_e32 v82, v34, v37
	v_add_f32_e32 v34, v36, v38
	v_sub_f32_e32 v37, v35, v34
	v_pk_add_f32 v[84:85], v[34:35], v[36:37] neg_lo:[0,1] neg_hi:[0,1]
	v_mov_b32_e32 v39, v34
	v_pk_add_f32 v[34:35], v[84:85], v[38:39] neg_lo:[0,1] neg_hi:[0,1]
	v_cvt_f32_i32_e32 v36, v70
	v_add_f32_e32 v35, v82, v35
	v_add_f32_e32 v34, v34, v35
	v_add_f32_e32 v34, v37, v34
	v_add_f32_e32 v37, v97, v96
	v_sub_f32_e32 v35, v37, v97
	v_mul_f32_e32 v34, v87, v34
	v_sub_f32_e32 v35, v96, v35
	v_add_f32_e32 v34, v35, v34
	v_add_f32_e32 v38, v37, v34
	v_mul_f32_e32 v82, v38, v38
	v_mov_b32_e32 v35, 0x3ecc95a3
	v_sub_f32_e32 v37, v38, v37
	v_fmac_f32_e32 v35, 0x3e9b6dac, v82
	v_sub_f32_e32 v34, v34, v37
	v_fmaak_f32 v35, v82, v35, 0x3f2aaada
	v_ldexp_f32 v70, v34, 1
	v_mul_f32_e32 v37, v38, v82
	v_mov_b32_e32 v34, 0x3f317218
	v_pk_mul_f32 v[34:35], v[36:37], v[34:35]
	v_ldexp_f32 v39, v38, 1
	v_fma_f32 v37, v36, s13, -v34
	v_fmamk_f32 v38, v36, 0xb102e308, v37
	v_pk_add_f32 v[36:37], v[34:35], v[38:39]
	v_mov_b32_e32 v84, v34
	v_sub_f32_e32 v39, v37, v39
	v_sub_f32_e32 v39, v35, v39
	v_add_f32_e32 v85, v70, v39
	v_pk_add_f32 v[34:35], v[36:37], v[34:35] neg_lo:[0,1] neg_hi:[0,1]
	v_pk_add_f32 v[86:87], v[36:37], v[84:85]
	v_mov_b32_e32 v39, v36
	v_mov_b32_e32 v35, v87
	v_pk_add_f32 v[96:97], v[38:39], v[34:35] neg_lo:[0,1] neg_hi:[0,1]
	v_pk_add_f32 v[34:35], v[38:39], v[34:35]
	v_mov_b32_e32 v84, v85
	v_mov_b32_e32 v38, v35
	v_pk_add_f32 v[98:99], v[38:39], v[36:37] neg_lo:[0,1] neg_hi:[0,1]
	v_mov_b32_e32 v34, v87
	v_mov_b32_e32 v39, v98
	v_pk_add_f32 v[100:101], v[86:87], v[38:39] neg_lo:[0,1] neg_hi:[0,1]
	v_mov_b32_e32 v86, v37
	v_mov_b32_e32 v87, v98
	;; [unrolled: 1-line block ×3, first 2 shown]
	v_pk_add_f32 v[34:35], v[34:35], v[86:87] neg_lo:[0,1] neg_hi:[0,1]
	v_mov_b32_e32 v85, v36
	v_pk_add_f32 v[34:35], v[84:85], v[34:35] neg_lo:[0,1] neg_hi:[0,1]
	v_mov_b32_e32 v100, v96
	v_pk_add_f32 v[36:37], v[100:101], v[34:35]
	s_mov_b32 s13, 0x33800000
	v_mov_b32_e32 v70, v37
	v_pk_add_f32 v[84:85], v[36:37], v[70:71]
	v_cmp_lt_f32_e64 s[22:23], |v81|, s13
	v_pk_add_f32 v[38:39], v[38:39], v[84:85]
	v_mov_b32_e32 v35, v84
	v_mov_b32_e32 v37, v38
	v_pk_add_f32 v[86:87], v[36:37], v[96:97] neg_lo:[0,1] neg_hi:[0,1]
	s_or_b64 vcc, vcc, s[22:23]
	v_sub_f32_e32 v36, v36, v86
	v_pk_add_f32 v[34:35], v[34:35], v[86:87] neg_lo:[0,1] neg_hi:[0,1]
	v_sub_f32_e32 v36, v96, v36
	v_add_f32_e32 v34, v34, v36
	v_add_f32_e32 v34, v34, v35
	;; [unrolled: 1-line block ×3, first 2 shown]
	v_cndmask_b32_e32 v34, v34, v81, vcc
	v_add_f32_e32 v34, v32, v34
.LBB499_69:
	s_or_b64 exec, exec, s[18:19]
	v_bfe_u32 v32, v34, 16, 1
	v_add3_u32 v32, v34, v32, s20
	v_and_b32_e32 v32, 0xffff0000, v32
	v_cmp_o_f32_e32 vcc, v34, v34
	s_movk_i32 s13, 0x1f8
	s_nop 0
	v_cndmask_b32_e32 v34, v33, v32, vcc
	v_mov_b32_e32 v32, 16
	v_lshlrev_b32_sdwa v70, v32, v20 dst_sel:DWORD dst_unused:UNUSED_PAD src0_sel:DWORD src1_sel:WORD_1
	v_max_f32_e32 v33, v34, v34
	v_max_f32_e32 v84, v70, v70
	v_min_f32_e32 v35, v33, v84
	v_cmp_u_f32_e32 vcc, v34, v34
	v_max_f32_e32 v33, v33, v84
	v_cmp_u_f32_e64 s[18:19], v70, v70
	v_cndmask_b32_e32 v35, v35, v34, vcc
	v_cndmask_b32_e32 v33, v33, v34, vcc
	v_cndmask_b32_e64 v35, v35, v70, s[18:19]
	v_cndmask_b32_e64 v33, v33, v70, s[18:19]
	v_cmp_neq_f32_e32 vcc, v35, v33
	v_cmp_class_f32_e64 s[20:21], v35, s13
	s_or_b64 s[22:23], vcc, s[20:21]
	s_and_saveexec_b64 s[20:21], s[22:23]
	s_cbranch_execz .LBB499_71
; %bb.70:
	v_sub_f32_e32 v34, v35, v33
	s_mov_b32 s22, 0x3fb8aa3b
	v_mul_f32_e32 v35, 0x3fb8aa3b, v34
	v_fma_f32 v36, v34, s22, -v35
	v_rndne_f32_e32 v37, v35
	v_fmamk_f32 v36, v34, 0x32a5705f, v36
	v_sub_f32_e32 v35, v35, v37
	v_add_f32_e32 v35, v35, v36
	v_exp_f32_e32 v35, v35
	v_cvt_i32_f32_e32 v36, v37
	s_mov_b32 s22, 0xc2ce8ed0
	v_cmp_ngt_f32_e32 vcc, s22, v34
	s_mov_b32 s22, 0x42b17218
	v_ldexp_f32 v35, v35, v36
	v_cndmask_b32_e32 v35, 0, v35, vcc
	v_mov_b32_e32 v36, 0x7f800000
	v_cmp_nlt_f32_e32 vcc, s22, v34
	s_mov_b32 s22, 0x3f2aaaab
	s_mov_b32 s23, 0x7f800000
	v_cndmask_b32_e32 v81, v36, v35, vcc
	v_add_f32_e32 v36, 1.0, v81
	v_add_f32_e32 v34, -1.0, v36
	v_sub_f32_e32 v35, v34, v36
	v_add_f32_e32 v35, 1.0, v35
	v_sub_f32_e32 v34, v81, v34
	v_add_f32_e32 v37, v34, v35
	v_frexp_mant_f32_e32 v38, v36
	v_cvt_f64_f32_e32 v[34:35], v36
	v_frexp_exp_i32_f64_e32 v34, v[34:35]
	v_cmp_gt_f32_e32 vcc, s22, v38
	s_mov_b32 s22, 0x3f317218
	s_nop 0
	v_subbrev_co_u32_e32 v82, vcc, 0, v34, vcc
	v_sub_u32_e32 v34, 0, v82
	v_ldexp_f32 v35, v36, v34
	v_add_f32_e32 v36, -1.0, v35
	v_add_f32_e32 v38, 1.0, v35
	v_ldexp_f32 v34, v37, v34
	v_add_f32_e32 v37, 1.0, v36
	v_add_f32_e32 v39, -1.0, v38
	v_sub_f32_e32 v37, v35, v37
	v_sub_f32_e32 v35, v35, v39
	v_add_f32_e32 v37, v34, v37
	v_add_f32_e32 v34, v34, v35
	;; [unrolled: 1-line block ×3, first 2 shown]
	v_rcp_f32_e32 v97, v85
	v_sub_f32_e32 v35, v38, v85
	v_add_f32_e32 v96, v34, v35
	v_add_f32_e32 v35, v36, v37
	v_mul_f32_e32 v99, v35, v97
	v_sub_f32_e32 v34, v36, v35
	v_mul_f32_e32 v36, v85, v99
	v_fma_f32 v38, v99, v85, -v36
	v_fmac_f32_e32 v38, v99, v96
	v_add_f32_e32 v98, v37, v34
	v_add_f32_e32 v34, v36, v38
	v_sub_f32_e32 v37, v35, v34
	v_pk_add_f32 v[86:87], v[34:35], v[36:37] neg_lo:[0,1] neg_hi:[0,1]
	v_mov_b32_e32 v39, v34
	v_pk_add_f32 v[34:35], v[86:87], v[38:39] neg_lo:[0,1] neg_hi:[0,1]
	v_cmp_eq_f32_e32 vcc, s23, v81
	v_add_f32_e32 v35, v98, v35
	v_add_f32_e32 v34, v34, v35
	v_add_f32_e32 v35, v37, v34
	v_mul_f32_e32 v98, v97, v35
	v_mul_f32_e32 v36, v85, v98
	v_fma_f32 v38, v98, v85, -v36
	v_fmac_f32_e32 v38, v98, v96
	v_sub_f32_e32 v37, v37, v35
	v_add_f32_e32 v85, v34, v37
	v_add_f32_e32 v34, v36, v38
	v_sub_f32_e32 v37, v35, v34
	v_pk_add_f32 v[86:87], v[34:35], v[36:37] neg_lo:[0,1] neg_hi:[0,1]
	v_mov_b32_e32 v39, v34
	v_pk_add_f32 v[34:35], v[86:87], v[38:39] neg_lo:[0,1] neg_hi:[0,1]
	v_cvt_f32_i32_e32 v36, v82
	v_add_f32_e32 v35, v85, v35
	v_add_f32_e32 v34, v34, v35
	;; [unrolled: 1-line block ×4, first 2 shown]
	v_sub_f32_e32 v35, v37, v99
	v_mul_f32_e32 v34, v97, v34
	v_sub_f32_e32 v35, v98, v35
	v_add_f32_e32 v34, v35, v34
	v_add_f32_e32 v38, v37, v34
	v_mul_f32_e32 v85, v38, v38
	v_mov_b32_e32 v35, 0x3ecc95a3
	v_sub_f32_e32 v37, v38, v37
	v_fmac_f32_e32 v35, 0x3e9b6dac, v85
	v_sub_f32_e32 v34, v34, v37
	v_fmaak_f32 v35, v85, v35, 0x3f2aaada
	v_ldexp_f32 v82, v34, 1
	v_mul_f32_e32 v37, v38, v85
	v_mov_b32_e32 v34, 0x3f317218
	v_pk_mul_f32 v[34:35], v[36:37], v[34:35]
	v_ldexp_f32 v39, v38, 1
	v_fma_f32 v37, v36, s22, -v34
	v_fmamk_f32 v38, v36, 0xb102e308, v37
	v_pk_add_f32 v[36:37], v[34:35], v[38:39]
	v_mov_b32_e32 v86, v34
	v_sub_f32_e32 v39, v37, v39
	v_sub_f32_e32 v39, v35, v39
	v_add_f32_e32 v87, v82, v39
	v_pk_add_f32 v[34:35], v[36:37], v[34:35] neg_lo:[0,1] neg_hi:[0,1]
	v_pk_add_f32 v[96:97], v[36:37], v[86:87]
	v_mov_b32_e32 v39, v36
	v_mov_b32_e32 v35, v97
	v_pk_add_f32 v[98:99], v[38:39], v[34:35] neg_lo:[0,1] neg_hi:[0,1]
	v_pk_add_f32 v[34:35], v[38:39], v[34:35]
	v_mov_b32_e32 v86, v87
	v_mov_b32_e32 v38, v35
	v_pk_add_f32 v[100:101], v[38:39], v[36:37] neg_lo:[0,1] neg_hi:[0,1]
	v_mov_b32_e32 v34, v97
	v_mov_b32_e32 v39, v100
	v_pk_add_f32 v[102:103], v[96:97], v[38:39] neg_lo:[0,1] neg_hi:[0,1]
	v_mov_b32_e32 v96, v37
	v_mov_b32_e32 v97, v100
	;; [unrolled: 1-line block ×3, first 2 shown]
	v_pk_add_f32 v[34:35], v[34:35], v[96:97] neg_lo:[0,1] neg_hi:[0,1]
	v_mov_b32_e32 v87, v36
	v_pk_add_f32 v[34:35], v[86:87], v[34:35] neg_lo:[0,1] neg_hi:[0,1]
	v_mov_b32_e32 v102, v98
	v_pk_add_f32 v[36:37], v[102:103], v[34:35]
	s_mov_b32 s22, 0x33800000
	v_mov_b32_e32 v82, v37
	v_pk_add_f32 v[86:87], v[36:37], v[82:83]
	v_cmp_lt_f32_e64 s[22:23], |v81|, s22
	v_pk_add_f32 v[38:39], v[38:39], v[86:87]
	v_mov_b32_e32 v35, v86
	v_mov_b32_e32 v37, v38
	v_pk_add_f32 v[96:97], v[36:37], v[98:99] neg_lo:[0,1] neg_hi:[0,1]
	s_or_b64 vcc, vcc, s[22:23]
	v_sub_f32_e32 v36, v36, v96
	v_pk_add_f32 v[34:35], v[34:35], v[96:97] neg_lo:[0,1] neg_hi:[0,1]
	v_sub_f32_e32 v36, v98, v36
	v_add_f32_e32 v34, v34, v36
	v_add_f32_e32 v34, v34, v35
	;; [unrolled: 1-line block ×3, first 2 shown]
	v_cndmask_b32_e32 v34, v34, v81, vcc
	v_add_f32_e32 v34, v33, v34
.LBB499_71:
	s_or_b64 exec, exec, s[20:21]
	v_bfe_u32 v33, v34, 16, 1
	s_movk_i32 s24, 0x7fff
	v_add3_u32 v33, v34, v33, s24
	v_and_b32_e32 v35, 0xffff0000, v33
	v_mov_b32_e32 v33, 0x7fc00000
	v_cmp_o_f32_e32 vcc, v34, v34
	v_lshlrev_b32_sdwa v81, v32, v21 dst_sel:DWORD dst_unused:UNUSED_PAD src0_sel:DWORD src1_sel:WORD_0
	v_max_f32_e32 v87, v81, v81
	v_cndmask_b32_e32 v34, v33, v35, vcc
	v_max_f32_e32 v32, v34, v34
	v_min_f32_e32 v35, v32, v87
	v_cmp_u_f32_e32 vcc, v34, v34
	v_max_f32_e32 v32, v32, v87
	v_cmp_u_f32_e64 s[20:21], v81, v81
	v_cndmask_b32_e32 v35, v35, v34, vcc
	v_cndmask_b32_e32 v32, v32, v34, vcc
	v_cndmask_b32_e64 v35, v35, v81, s[20:21]
	v_cndmask_b32_e64 v32, v32, v81, s[20:21]
	v_cmp_neq_f32_e32 vcc, v35, v32
	v_cmp_class_f32_e64 s[22:23], v35, s13
	s_or_b64 s[26:27], vcc, s[22:23]
	s_and_saveexec_b64 s[22:23], s[26:27]
	s_cbranch_execz .LBB499_73
; %bb.72:
	v_sub_f32_e32 v34, v35, v32
	s_mov_b32 s13, 0x3fb8aa3b
	v_mul_f32_e32 v35, 0x3fb8aa3b, v34
	v_fma_f32 v36, v34, s13, -v35
	v_rndne_f32_e32 v37, v35
	v_fmamk_f32 v36, v34, 0x32a5705f, v36
	v_sub_f32_e32 v35, v35, v37
	v_add_f32_e32 v35, v35, v36
	v_exp_f32_e32 v35, v35
	v_cvt_i32_f32_e32 v36, v37
	s_mov_b32 s13, 0xc2ce8ed0
	v_cmp_ngt_f32_e32 vcc, s13, v34
	s_mov_b32 s13, 0x42b17218
	v_ldexp_f32 v35, v35, v36
	v_cndmask_b32_e32 v35, 0, v35, vcc
	v_mov_b32_e32 v36, 0x7f800000
	v_cmp_nlt_f32_e32 vcc, s13, v34
	s_mov_b32 s13, 0x3f2aaaab
	s_mov_b32 s25, 0x7f800000
	v_cndmask_b32_e32 v85, v36, v35, vcc
	v_add_f32_e32 v36, 1.0, v85
	v_add_f32_e32 v34, -1.0, v36
	v_sub_f32_e32 v35, v34, v36
	v_add_f32_e32 v35, 1.0, v35
	v_sub_f32_e32 v34, v85, v34
	v_add_f32_e32 v37, v34, v35
	v_frexp_mant_f32_e32 v38, v36
	v_cvt_f64_f32_e32 v[34:35], v36
	v_frexp_exp_i32_f64_e32 v34, v[34:35]
	v_cmp_gt_f32_e32 vcc, s13, v38
	s_mov_b32 s13, 0x3f317218
	s_nop 0
	v_subbrev_co_u32_e32 v82, vcc, 0, v34, vcc
	v_sub_u32_e32 v34, 0, v82
	v_ldexp_f32 v35, v36, v34
	v_add_f32_e32 v36, -1.0, v35
	v_add_f32_e32 v38, 1.0, v35
	v_ldexp_f32 v34, v37, v34
	v_add_f32_e32 v37, 1.0, v36
	v_add_f32_e32 v39, -1.0, v38
	v_sub_f32_e32 v37, v35, v37
	v_sub_f32_e32 v35, v35, v39
	v_add_f32_e32 v37, v34, v37
	v_add_f32_e32 v34, v34, v35
	;; [unrolled: 1-line block ×3, first 2 shown]
	v_rcp_f32_e32 v99, v86
	v_sub_f32_e32 v35, v38, v86
	v_add_f32_e32 v98, v34, v35
	v_add_f32_e32 v35, v36, v37
	v_mul_f32_e32 v101, v35, v99
	v_sub_f32_e32 v34, v36, v35
	v_mul_f32_e32 v36, v86, v101
	v_fma_f32 v38, v101, v86, -v36
	v_fmac_f32_e32 v38, v101, v98
	v_add_f32_e32 v100, v37, v34
	v_add_f32_e32 v34, v36, v38
	v_sub_f32_e32 v37, v35, v34
	v_pk_add_f32 v[96:97], v[34:35], v[36:37] neg_lo:[0,1] neg_hi:[0,1]
	v_mov_b32_e32 v39, v34
	v_pk_add_f32 v[34:35], v[96:97], v[38:39] neg_lo:[0,1] neg_hi:[0,1]
	v_cmp_eq_f32_e32 vcc, s25, v85
	v_add_f32_e32 v35, v100, v35
	v_add_f32_e32 v34, v34, v35
	;; [unrolled: 1-line block ×3, first 2 shown]
	v_mul_f32_e32 v100, v99, v35
	v_mul_f32_e32 v36, v86, v100
	v_fma_f32 v38, v100, v86, -v36
	v_fmac_f32_e32 v38, v100, v98
	v_sub_f32_e32 v37, v37, v35
	v_add_f32_e32 v86, v34, v37
	v_add_f32_e32 v34, v36, v38
	v_sub_f32_e32 v37, v35, v34
	v_pk_add_f32 v[96:97], v[34:35], v[36:37] neg_lo:[0,1] neg_hi:[0,1]
	v_mov_b32_e32 v39, v34
	v_pk_add_f32 v[34:35], v[96:97], v[38:39] neg_lo:[0,1] neg_hi:[0,1]
	v_cvt_f32_i32_e32 v36, v82
	v_add_f32_e32 v35, v86, v35
	v_add_f32_e32 v34, v34, v35
	;; [unrolled: 1-line block ×4, first 2 shown]
	v_sub_f32_e32 v35, v37, v101
	v_mul_f32_e32 v34, v99, v34
	v_sub_f32_e32 v35, v100, v35
	v_add_f32_e32 v34, v35, v34
	v_add_f32_e32 v38, v37, v34
	v_mul_f32_e32 v86, v38, v38
	v_mov_b32_e32 v35, 0x3ecc95a3
	v_sub_f32_e32 v37, v38, v37
	v_fmac_f32_e32 v35, 0x3e9b6dac, v86
	v_sub_f32_e32 v34, v34, v37
	v_fmaak_f32 v35, v86, v35, 0x3f2aaada
	v_ldexp_f32 v82, v34, 1
	v_mul_f32_e32 v37, v38, v86
	v_mov_b32_e32 v34, 0x3f317218
	v_pk_mul_f32 v[34:35], v[36:37], v[34:35]
	v_ldexp_f32 v39, v38, 1
	v_fma_f32 v37, v36, s13, -v34
	v_fmamk_f32 v38, v36, 0xb102e308, v37
	v_pk_add_f32 v[36:37], v[34:35], v[38:39]
	v_mov_b32_e32 v96, v34
	v_sub_f32_e32 v39, v37, v39
	v_sub_f32_e32 v39, v35, v39
	v_add_f32_e32 v97, v82, v39
	v_pk_add_f32 v[34:35], v[36:37], v[34:35] neg_lo:[0,1] neg_hi:[0,1]
	v_pk_add_f32 v[98:99], v[36:37], v[96:97]
	v_mov_b32_e32 v39, v36
	v_mov_b32_e32 v35, v99
	v_pk_add_f32 v[100:101], v[38:39], v[34:35] neg_lo:[0,1] neg_hi:[0,1]
	v_pk_add_f32 v[34:35], v[38:39], v[34:35]
	v_mov_b32_e32 v96, v97
	v_mov_b32_e32 v38, v35
	v_pk_add_f32 v[102:103], v[38:39], v[36:37] neg_lo:[0,1] neg_hi:[0,1]
	v_mov_b32_e32 v34, v99
	v_mov_b32_e32 v39, v102
	v_pk_add_f32 v[112:113], v[98:99], v[38:39] neg_lo:[0,1] neg_hi:[0,1]
	v_mov_b32_e32 v98, v37
	v_mov_b32_e32 v99, v102
	;; [unrolled: 1-line block ×3, first 2 shown]
	v_pk_add_f32 v[34:35], v[34:35], v[98:99] neg_lo:[0,1] neg_hi:[0,1]
	v_mov_b32_e32 v97, v36
	v_pk_add_f32 v[34:35], v[96:97], v[34:35] neg_lo:[0,1] neg_hi:[0,1]
	v_mov_b32_e32 v112, v100
	v_pk_add_f32 v[36:37], v[112:113], v[34:35]
	s_mov_b32 s13, 0x33800000
	v_mov_b32_e32 v82, v37
	v_pk_add_f32 v[96:97], v[36:37], v[82:83]
	v_cmp_lt_f32_e64 s[26:27], |v85|, s13
	v_pk_add_f32 v[38:39], v[38:39], v[96:97]
	v_mov_b32_e32 v35, v96
	v_mov_b32_e32 v37, v38
	v_pk_add_f32 v[98:99], v[36:37], v[100:101] neg_lo:[0,1] neg_hi:[0,1]
	s_or_b64 vcc, vcc, s[26:27]
	v_sub_f32_e32 v36, v36, v98
	v_pk_add_f32 v[34:35], v[34:35], v[98:99] neg_lo:[0,1] neg_hi:[0,1]
	v_sub_f32_e32 v36, v100, v36
	v_add_f32_e32 v34, v34, v36
	v_add_f32_e32 v34, v34, v35
	;; [unrolled: 1-line block ×3, first 2 shown]
	v_cndmask_b32_e32 v34, v34, v85, vcc
	v_add_f32_e32 v34, v32, v34
.LBB499_73:
	s_or_b64 exec, exec, s[22:23]
	v_bfe_u32 v32, v34, 16, 1
	v_add3_u32 v32, v34, v32, s24
	v_and_b32_e32 v32, 0xffff0000, v32
	v_cmp_o_f32_e32 vcc, v34, v34
	s_movk_i32 s13, 0x1f8
	s_nop 0
	v_cndmask_b32_e32 v34, v33, v32, vcc
	v_mov_b32_e32 v32, 16
	v_lshlrev_b32_sdwa v82, v32, v21 dst_sel:DWORD dst_unused:UNUSED_PAD src0_sel:DWORD src1_sel:WORD_1
	v_max_f32_e32 v33, v34, v34
	v_max_f32_e32 v96, v82, v82
	v_min_f32_e32 v35, v33, v96
	v_cmp_u_f32_e32 vcc, v34, v34
	v_max_f32_e32 v33, v33, v96
	v_cmp_u_f32_e64 s[22:23], v82, v82
	v_cndmask_b32_e32 v35, v35, v34, vcc
	v_cndmask_b32_e32 v33, v33, v34, vcc
	v_cndmask_b32_e64 v35, v35, v82, s[22:23]
	v_cndmask_b32_e64 v33, v33, v82, s[22:23]
	v_cmp_neq_f32_e32 vcc, v35, v33
	v_cmp_class_f32_e64 s[24:25], v35, s13
	s_or_b64 s[26:27], vcc, s[24:25]
	s_and_saveexec_b64 s[24:25], s[26:27]
	s_cbranch_execz .LBB499_75
; %bb.74:
	v_sub_f32_e32 v34, v35, v33
	s_mov_b32 s26, 0x3fb8aa3b
	v_mul_f32_e32 v35, 0x3fb8aa3b, v34
	v_fma_f32 v36, v34, s26, -v35
	v_rndne_f32_e32 v37, v35
	v_fmamk_f32 v36, v34, 0x32a5705f, v36
	v_sub_f32_e32 v35, v35, v37
	v_add_f32_e32 v35, v35, v36
	v_exp_f32_e32 v35, v35
	v_cvt_i32_f32_e32 v36, v37
	s_mov_b32 s26, 0xc2ce8ed0
	v_cmp_ngt_f32_e32 vcc, s26, v34
	s_mov_b32 s26, 0x42b17218
	v_ldexp_f32 v35, v35, v36
	v_cndmask_b32_e32 v35, 0, v35, vcc
	v_mov_b32_e32 v36, 0x7f800000
	v_cmp_nlt_f32_e32 vcc, s26, v34
	s_mov_b32 s26, 0x3f2aaaab
	s_mov_b32 s27, 0x7f800000
	v_cndmask_b32_e32 v85, v36, v35, vcc
	v_add_f32_e32 v36, 1.0, v85
	v_add_f32_e32 v34, -1.0, v36
	v_sub_f32_e32 v35, v34, v36
	v_add_f32_e32 v35, 1.0, v35
	v_sub_f32_e32 v34, v85, v34
	v_add_f32_e32 v37, v34, v35
	v_frexp_mant_f32_e32 v38, v36
	v_cvt_f64_f32_e32 v[34:35], v36
	v_frexp_exp_i32_f64_e32 v34, v[34:35]
	v_cmp_gt_f32_e32 vcc, s26, v38
	s_mov_b32 s26, 0x3f317218
	s_nop 0
	v_subbrev_co_u32_e32 v86, vcc, 0, v34, vcc
	v_sub_u32_e32 v34, 0, v86
	v_ldexp_f32 v35, v36, v34
	v_add_f32_e32 v36, -1.0, v35
	v_add_f32_e32 v38, 1.0, v35
	v_ldexp_f32 v34, v37, v34
	v_add_f32_e32 v37, 1.0, v36
	v_add_f32_e32 v39, -1.0, v38
	v_sub_f32_e32 v37, v35, v37
	v_sub_f32_e32 v35, v35, v39
	v_add_f32_e32 v37, v34, v37
	v_add_f32_e32 v34, v34, v35
	;; [unrolled: 1-line block ×3, first 2 shown]
	v_rcp_f32_e32 v101, v97
	v_sub_f32_e32 v35, v38, v97
	v_add_f32_e32 v100, v34, v35
	v_add_f32_e32 v35, v36, v37
	v_mul_f32_e32 v103, v35, v101
	v_sub_f32_e32 v34, v36, v35
	v_mul_f32_e32 v36, v97, v103
	v_fma_f32 v38, v103, v97, -v36
	v_fmac_f32_e32 v38, v103, v100
	v_add_f32_e32 v102, v37, v34
	v_add_f32_e32 v34, v36, v38
	v_sub_f32_e32 v37, v35, v34
	v_pk_add_f32 v[98:99], v[34:35], v[36:37] neg_lo:[0,1] neg_hi:[0,1]
	v_mov_b32_e32 v39, v34
	v_pk_add_f32 v[34:35], v[98:99], v[38:39] neg_lo:[0,1] neg_hi:[0,1]
	v_cmp_eq_f32_e32 vcc, s27, v85
	v_add_f32_e32 v35, v102, v35
	v_add_f32_e32 v34, v34, v35
	;; [unrolled: 1-line block ×3, first 2 shown]
	v_mul_f32_e32 v102, v101, v35
	v_mul_f32_e32 v36, v97, v102
	v_fma_f32 v38, v102, v97, -v36
	v_fmac_f32_e32 v38, v102, v100
	v_sub_f32_e32 v37, v37, v35
	v_add_f32_e32 v97, v34, v37
	v_add_f32_e32 v34, v36, v38
	v_sub_f32_e32 v37, v35, v34
	v_pk_add_f32 v[98:99], v[34:35], v[36:37] neg_lo:[0,1] neg_hi:[0,1]
	v_mov_b32_e32 v39, v34
	v_pk_add_f32 v[34:35], v[98:99], v[38:39] neg_lo:[0,1] neg_hi:[0,1]
	v_cvt_f32_i32_e32 v36, v86
	v_add_f32_e32 v35, v97, v35
	v_add_f32_e32 v34, v34, v35
	;; [unrolled: 1-line block ×4, first 2 shown]
	v_sub_f32_e32 v35, v37, v103
	v_mul_f32_e32 v34, v101, v34
	v_sub_f32_e32 v35, v102, v35
	v_add_f32_e32 v34, v35, v34
	v_add_f32_e32 v38, v37, v34
	v_mul_f32_e32 v97, v38, v38
	v_mov_b32_e32 v35, 0x3ecc95a3
	v_sub_f32_e32 v37, v38, v37
	v_fmac_f32_e32 v35, 0x3e9b6dac, v97
	v_sub_f32_e32 v34, v34, v37
	v_fmaak_f32 v35, v97, v35, 0x3f2aaada
	v_ldexp_f32 v86, v34, 1
	v_mul_f32_e32 v37, v38, v97
	v_mov_b32_e32 v34, 0x3f317218
	v_pk_mul_f32 v[34:35], v[36:37], v[34:35]
	v_ldexp_f32 v39, v38, 1
	v_fma_f32 v37, v36, s26, -v34
	v_fmamk_f32 v38, v36, 0xb102e308, v37
	v_pk_add_f32 v[36:37], v[34:35], v[38:39]
	v_mov_b32_e32 v98, v34
	v_sub_f32_e32 v39, v37, v39
	v_sub_f32_e32 v39, v35, v39
	v_add_f32_e32 v99, v86, v39
	v_pk_add_f32 v[34:35], v[36:37], v[34:35] neg_lo:[0,1] neg_hi:[0,1]
	v_pk_add_f32 v[100:101], v[36:37], v[98:99]
	v_mov_b32_e32 v39, v36
	v_mov_b32_e32 v35, v101
	v_pk_add_f32 v[102:103], v[38:39], v[34:35] neg_lo:[0,1] neg_hi:[0,1]
	v_pk_add_f32 v[34:35], v[38:39], v[34:35]
	v_mov_b32_e32 v98, v99
	v_mov_b32_e32 v38, v35
	v_pk_add_f32 v[112:113], v[38:39], v[36:37] neg_lo:[0,1] neg_hi:[0,1]
	v_mov_b32_e32 v34, v101
	v_mov_b32_e32 v39, v112
	v_pk_add_f32 v[114:115], v[100:101], v[38:39] neg_lo:[0,1] neg_hi:[0,1]
	v_mov_b32_e32 v100, v37
	v_mov_b32_e32 v101, v112
	;; [unrolled: 1-line block ×3, first 2 shown]
	v_pk_add_f32 v[34:35], v[34:35], v[100:101] neg_lo:[0,1] neg_hi:[0,1]
	v_mov_b32_e32 v99, v36
	v_pk_add_f32 v[34:35], v[98:99], v[34:35] neg_lo:[0,1] neg_hi:[0,1]
	v_mov_b32_e32 v114, v102
	v_pk_add_f32 v[36:37], v[114:115], v[34:35]
	s_mov_b32 s26, 0x33800000
	v_mov_b32_e32 v86, v37
	v_pk_add_f32 v[98:99], v[36:37], v[86:87]
	v_cmp_lt_f32_e64 s[26:27], |v85|, s26
	v_pk_add_f32 v[38:39], v[38:39], v[98:99]
	v_mov_b32_e32 v35, v98
	v_mov_b32_e32 v37, v38
	v_pk_add_f32 v[100:101], v[36:37], v[102:103] neg_lo:[0,1] neg_hi:[0,1]
	s_or_b64 vcc, vcc, s[26:27]
	v_sub_f32_e32 v36, v36, v100
	v_pk_add_f32 v[34:35], v[34:35], v[100:101] neg_lo:[0,1] neg_hi:[0,1]
	v_sub_f32_e32 v36, v102, v36
	v_add_f32_e32 v34, v34, v36
	v_add_f32_e32 v34, v34, v35
	;; [unrolled: 1-line block ×3, first 2 shown]
	v_cndmask_b32_e32 v34, v34, v85, vcc
	v_add_f32_e32 v34, v33, v34
.LBB499_75:
	s_or_b64 exec, exec, s[24:25]
	v_bfe_u32 v33, v34, 16, 1
	s_movk_i32 s28, 0x7fff
	v_add3_u32 v33, v34, v33, s28
	v_and_b32_e32 v35, 0xffff0000, v33
	v_mov_b32_e32 v33, 0x7fc00000
	v_cmp_o_f32_e32 vcc, v34, v34
	v_lshlrev_b32_sdwa v85, v32, v22 dst_sel:DWORD dst_unused:UNUSED_PAD src0_sel:DWORD src1_sel:WORD_0
	v_max_f32_e32 v99, v85, v85
	v_cndmask_b32_e32 v34, v33, v35, vcc
	v_max_f32_e32 v32, v34, v34
	v_min_f32_e32 v35, v32, v99
	v_cmp_u_f32_e32 vcc, v34, v34
	v_max_f32_e32 v32, v32, v99
	v_cmp_u_f32_e64 s[24:25], v85, v85
	v_cndmask_b32_e32 v35, v35, v34, vcc
	v_cndmask_b32_e32 v32, v32, v34, vcc
	v_cndmask_b32_e64 v35, v35, v85, s[24:25]
	v_cndmask_b32_e64 v32, v32, v85, s[24:25]
	v_cmp_neq_f32_e32 vcc, v35, v32
	v_cmp_class_f32_e64 s[26:27], v35, s13
	s_or_b64 vcc, vcc, s[26:27]
	s_and_saveexec_b64 s[26:27], vcc
	s_cbranch_execz .LBB499_77
; %bb.76:
	v_sub_f32_e32 v34, v35, v32
	s_mov_b32 s13, 0x3fb8aa3b
	v_mul_f32_e32 v35, 0x3fb8aa3b, v34
	v_fma_f32 v36, v34, s13, -v35
	v_rndne_f32_e32 v37, v35
	v_fmamk_f32 v36, v34, 0x32a5705f, v36
	v_sub_f32_e32 v35, v35, v37
	v_add_f32_e32 v35, v35, v36
	v_exp_f32_e32 v35, v35
	v_cvt_i32_f32_e32 v36, v37
	s_mov_b32 s13, 0xc2ce8ed0
	v_cmp_ngt_f32_e32 vcc, s13, v34
	s_mov_b32 s13, 0x42b17218
	v_ldexp_f32 v35, v35, v36
	v_cndmask_b32_e32 v35, 0, v35, vcc
	v_mov_b32_e32 v36, 0x7f800000
	v_cmp_nlt_f32_e32 vcc, s13, v34
	s_mov_b32 s13, 0x3f2aaaab
	s_mov_b32 s29, 0x7f800000
	v_cndmask_b32_e32 v97, v36, v35, vcc
	v_add_f32_e32 v36, 1.0, v97
	v_add_f32_e32 v34, -1.0, v36
	v_sub_f32_e32 v35, v34, v36
	v_add_f32_e32 v35, 1.0, v35
	v_sub_f32_e32 v34, v97, v34
	v_add_f32_e32 v37, v34, v35
	v_frexp_mant_f32_e32 v38, v36
	v_cvt_f64_f32_e32 v[34:35], v36
	v_frexp_exp_i32_f64_e32 v34, v[34:35]
	v_cmp_gt_f32_e32 vcc, s13, v38
	s_mov_b32 s13, 0x3f317218
	s_nop 0
	v_subbrev_co_u32_e32 v86, vcc, 0, v34, vcc
	v_sub_u32_e32 v34, 0, v86
	v_ldexp_f32 v35, v36, v34
	v_add_f32_e32 v36, -1.0, v35
	v_add_f32_e32 v38, 1.0, v35
	v_ldexp_f32 v34, v37, v34
	v_add_f32_e32 v37, 1.0, v36
	v_add_f32_e32 v39, -1.0, v38
	v_sub_f32_e32 v37, v35, v37
	v_sub_f32_e32 v35, v35, v39
	v_add_f32_e32 v37, v34, v37
	v_add_f32_e32 v34, v34, v35
	;; [unrolled: 1-line block ×3, first 2 shown]
	v_rcp_f32_e32 v103, v98
	v_sub_f32_e32 v35, v38, v98
	v_add_f32_e32 v102, v34, v35
	v_add_f32_e32 v35, v36, v37
	v_mul_f32_e32 v113, v35, v103
	v_sub_f32_e32 v34, v36, v35
	v_mul_f32_e32 v36, v98, v113
	v_fma_f32 v38, v113, v98, -v36
	v_fmac_f32_e32 v38, v113, v102
	v_add_f32_e32 v112, v37, v34
	v_add_f32_e32 v34, v36, v38
	v_sub_f32_e32 v37, v35, v34
	v_pk_add_f32 v[100:101], v[34:35], v[36:37] neg_lo:[0,1] neg_hi:[0,1]
	v_mov_b32_e32 v39, v34
	v_pk_add_f32 v[34:35], v[100:101], v[38:39] neg_lo:[0,1] neg_hi:[0,1]
	v_cmp_eq_f32_e32 vcc, s29, v97
	v_add_f32_e32 v35, v112, v35
	v_add_f32_e32 v34, v34, v35
	;; [unrolled: 1-line block ×3, first 2 shown]
	v_mul_f32_e32 v112, v103, v35
	v_mul_f32_e32 v36, v98, v112
	v_fma_f32 v38, v112, v98, -v36
	v_fmac_f32_e32 v38, v112, v102
	v_sub_f32_e32 v37, v37, v35
	v_add_f32_e32 v98, v34, v37
	v_add_f32_e32 v34, v36, v38
	v_sub_f32_e32 v37, v35, v34
	v_pk_add_f32 v[100:101], v[34:35], v[36:37] neg_lo:[0,1] neg_hi:[0,1]
	v_mov_b32_e32 v39, v34
	v_pk_add_f32 v[34:35], v[100:101], v[38:39] neg_lo:[0,1] neg_hi:[0,1]
	v_cvt_f32_i32_e32 v36, v86
	v_add_f32_e32 v35, v98, v35
	v_add_f32_e32 v34, v34, v35
	;; [unrolled: 1-line block ×4, first 2 shown]
	v_sub_f32_e32 v35, v37, v113
	v_mul_f32_e32 v34, v103, v34
	v_sub_f32_e32 v35, v112, v35
	v_add_f32_e32 v34, v35, v34
	v_add_f32_e32 v38, v37, v34
	v_mul_f32_e32 v98, v38, v38
	v_mov_b32_e32 v35, 0x3ecc95a3
	v_sub_f32_e32 v37, v38, v37
	v_fmac_f32_e32 v35, 0x3e9b6dac, v98
	v_sub_f32_e32 v34, v34, v37
	v_fmaak_f32 v35, v98, v35, 0x3f2aaada
	v_ldexp_f32 v86, v34, 1
	v_mul_f32_e32 v37, v38, v98
	v_mov_b32_e32 v34, 0x3f317218
	v_pk_mul_f32 v[34:35], v[36:37], v[34:35]
	v_ldexp_f32 v39, v38, 1
	v_fma_f32 v37, v36, s13, -v34
	v_fmamk_f32 v38, v36, 0xb102e308, v37
	v_pk_add_f32 v[36:37], v[34:35], v[38:39]
	v_mov_b32_e32 v100, v34
	v_sub_f32_e32 v39, v37, v39
	v_sub_f32_e32 v39, v35, v39
	v_add_f32_e32 v101, v86, v39
	v_pk_add_f32 v[34:35], v[36:37], v[34:35] neg_lo:[0,1] neg_hi:[0,1]
	v_pk_add_f32 v[102:103], v[36:37], v[100:101]
	v_mov_b32_e32 v39, v36
	v_mov_b32_e32 v35, v103
	v_pk_add_f32 v[112:113], v[38:39], v[34:35] neg_lo:[0,1] neg_hi:[0,1]
	v_pk_add_f32 v[34:35], v[38:39], v[34:35]
	v_mov_b32_e32 v100, v101
	v_mov_b32_e32 v38, v35
	v_pk_add_f32 v[114:115], v[38:39], v[36:37] neg_lo:[0,1] neg_hi:[0,1]
	v_mov_b32_e32 v34, v103
	v_mov_b32_e32 v39, v114
	v_pk_add_f32 v[116:117], v[102:103], v[38:39] neg_lo:[0,1] neg_hi:[0,1]
	v_mov_b32_e32 v102, v37
	v_mov_b32_e32 v103, v114
	;; [unrolled: 1-line block ×3, first 2 shown]
	v_pk_add_f32 v[34:35], v[34:35], v[102:103] neg_lo:[0,1] neg_hi:[0,1]
	v_mov_b32_e32 v101, v36
	v_pk_add_f32 v[34:35], v[100:101], v[34:35] neg_lo:[0,1] neg_hi:[0,1]
	v_mov_b32_e32 v116, v112
	v_pk_add_f32 v[36:37], v[116:117], v[34:35]
	s_mov_b32 s13, 0x33800000
	v_mov_b32_e32 v86, v37
	v_pk_add_f32 v[100:101], v[36:37], v[86:87]
	v_cmp_lt_f32_e64 s[30:31], |v97|, s13
	v_pk_add_f32 v[38:39], v[38:39], v[100:101]
	v_mov_b32_e32 v35, v100
	v_mov_b32_e32 v37, v38
	v_pk_add_f32 v[102:103], v[36:37], v[112:113] neg_lo:[0,1] neg_hi:[0,1]
	s_or_b64 vcc, vcc, s[30:31]
	v_sub_f32_e32 v36, v36, v102
	v_pk_add_f32 v[34:35], v[34:35], v[102:103] neg_lo:[0,1] neg_hi:[0,1]
	v_sub_f32_e32 v36, v112, v36
	v_add_f32_e32 v34, v34, v36
	v_add_f32_e32 v34, v34, v35
	;; [unrolled: 1-line block ×3, first 2 shown]
	v_cndmask_b32_e32 v34, v34, v97, vcc
	v_add_f32_e32 v34, v32, v34
.LBB499_77:
	s_or_b64 exec, exec, s[26:27]
	v_bfe_u32 v32, v34, 16, 1
	v_add3_u32 v32, v34, v32, s28
	v_and_b32_e32 v32, 0xffff0000, v32
	v_cmp_o_f32_e32 vcc, v34, v34
	s_movk_i32 s13, 0x1f8
	s_nop 0
	v_cndmask_b32_e32 v34, v33, v32, vcc
	v_mov_b32_e32 v32, 16
	v_lshlrev_b32_sdwa v86, v32, v22 dst_sel:DWORD dst_unused:UNUSED_PAD src0_sel:DWORD src1_sel:WORD_1
	v_max_f32_e32 v33, v34, v34
	v_max_f32_e32 v100, v86, v86
	v_min_f32_e32 v35, v33, v100
	v_cmp_u_f32_e32 vcc, v34, v34
	v_max_f32_e32 v33, v33, v100
	v_cmp_u_f32_e64 s[26:27], v86, v86
	v_cndmask_b32_e32 v35, v35, v34, vcc
	v_cndmask_b32_e32 v33, v33, v34, vcc
	v_cndmask_b32_e64 v35, v35, v86, s[26:27]
	v_cndmask_b32_e64 v33, v33, v86, s[26:27]
	v_cmp_neq_f32_e32 vcc, v35, v33
	v_cmp_class_f32_e64 s[28:29], v35, s13
	s_or_b64 vcc, vcc, s[28:29]
	s_and_saveexec_b64 s[28:29], vcc
	s_cbranch_execz .LBB499_79
; %bb.78:
	v_sub_f32_e32 v34, v35, v33
	s_mov_b32 s30, 0x3fb8aa3b
	v_mul_f32_e32 v35, 0x3fb8aa3b, v34
	v_fma_f32 v36, v34, s30, -v35
	v_rndne_f32_e32 v37, v35
	v_fmamk_f32 v36, v34, 0x32a5705f, v36
	v_sub_f32_e32 v35, v35, v37
	v_add_f32_e32 v35, v35, v36
	v_exp_f32_e32 v35, v35
	v_cvt_i32_f32_e32 v36, v37
	s_mov_b32 s30, 0xc2ce8ed0
	v_cmp_ngt_f32_e32 vcc, s30, v34
	s_mov_b32 s30, 0x42b17218
	v_ldexp_f32 v35, v35, v36
	v_cndmask_b32_e32 v35, 0, v35, vcc
	v_mov_b32_e32 v36, 0x7f800000
	v_cmp_nlt_f32_e32 vcc, s30, v34
	s_mov_b32 s30, 0x3f2aaaab
	s_mov_b32 s31, 0x7f800000
	v_cndmask_b32_e32 v97, v36, v35, vcc
	v_add_f32_e32 v36, 1.0, v97
	v_add_f32_e32 v34, -1.0, v36
	v_sub_f32_e32 v35, v34, v36
	v_add_f32_e32 v35, 1.0, v35
	v_sub_f32_e32 v34, v97, v34
	v_add_f32_e32 v37, v34, v35
	v_frexp_mant_f32_e32 v38, v36
	v_cvt_f64_f32_e32 v[34:35], v36
	v_frexp_exp_i32_f64_e32 v34, v[34:35]
	v_cmp_gt_f32_e32 vcc, s30, v38
	s_mov_b32 s30, 0x3f317218
	s_nop 0
	v_subbrev_co_u32_e32 v98, vcc, 0, v34, vcc
	v_sub_u32_e32 v34, 0, v98
	v_ldexp_f32 v35, v36, v34
	v_add_f32_e32 v36, -1.0, v35
	v_add_f32_e32 v38, 1.0, v35
	v_ldexp_f32 v34, v37, v34
	v_add_f32_e32 v37, 1.0, v36
	v_add_f32_e32 v39, -1.0, v38
	v_sub_f32_e32 v37, v35, v37
	v_sub_f32_e32 v35, v35, v39
	v_add_f32_e32 v37, v34, v37
	v_add_f32_e32 v34, v34, v35
	;; [unrolled: 1-line block ×3, first 2 shown]
	v_rcp_f32_e32 v113, v101
	v_sub_f32_e32 v35, v38, v101
	v_add_f32_e32 v112, v34, v35
	v_add_f32_e32 v35, v36, v37
	v_mul_f32_e32 v115, v35, v113
	v_sub_f32_e32 v34, v36, v35
	v_mul_f32_e32 v36, v101, v115
	v_fma_f32 v38, v115, v101, -v36
	v_fmac_f32_e32 v38, v115, v112
	v_add_f32_e32 v114, v37, v34
	v_add_f32_e32 v34, v36, v38
	v_sub_f32_e32 v37, v35, v34
	v_pk_add_f32 v[102:103], v[34:35], v[36:37] neg_lo:[0,1] neg_hi:[0,1]
	v_mov_b32_e32 v39, v34
	v_pk_add_f32 v[34:35], v[102:103], v[38:39] neg_lo:[0,1] neg_hi:[0,1]
	v_cmp_eq_f32_e32 vcc, s31, v97
	v_add_f32_e32 v35, v114, v35
	v_add_f32_e32 v34, v34, v35
	;; [unrolled: 1-line block ×3, first 2 shown]
	v_mul_f32_e32 v114, v113, v35
	v_mul_f32_e32 v36, v101, v114
	v_fma_f32 v38, v114, v101, -v36
	v_fmac_f32_e32 v38, v114, v112
	v_sub_f32_e32 v37, v37, v35
	v_add_f32_e32 v101, v34, v37
	v_add_f32_e32 v34, v36, v38
	v_sub_f32_e32 v37, v35, v34
	v_pk_add_f32 v[102:103], v[34:35], v[36:37] neg_lo:[0,1] neg_hi:[0,1]
	v_mov_b32_e32 v39, v34
	v_pk_add_f32 v[34:35], v[102:103], v[38:39] neg_lo:[0,1] neg_hi:[0,1]
	v_cvt_f32_i32_e32 v36, v98
	v_add_f32_e32 v35, v101, v35
	v_add_f32_e32 v34, v34, v35
	;; [unrolled: 1-line block ×4, first 2 shown]
	v_sub_f32_e32 v35, v37, v115
	v_mul_f32_e32 v34, v113, v34
	v_sub_f32_e32 v35, v114, v35
	v_add_f32_e32 v34, v35, v34
	v_add_f32_e32 v38, v37, v34
	v_mul_f32_e32 v101, v38, v38
	v_mov_b32_e32 v35, 0x3ecc95a3
	v_sub_f32_e32 v37, v38, v37
	v_fmac_f32_e32 v35, 0x3e9b6dac, v101
	v_sub_f32_e32 v34, v34, v37
	v_fmaak_f32 v35, v101, v35, 0x3f2aaada
	v_ldexp_f32 v98, v34, 1
	v_mul_f32_e32 v37, v38, v101
	v_mov_b32_e32 v34, 0x3f317218
	v_pk_mul_f32 v[34:35], v[36:37], v[34:35]
	v_ldexp_f32 v39, v38, 1
	v_fma_f32 v37, v36, s30, -v34
	v_fmamk_f32 v38, v36, 0xb102e308, v37
	v_pk_add_f32 v[36:37], v[34:35], v[38:39]
	v_mov_b32_e32 v102, v34
	v_sub_f32_e32 v39, v37, v39
	v_sub_f32_e32 v39, v35, v39
	v_add_f32_e32 v103, v98, v39
	v_pk_add_f32 v[34:35], v[36:37], v[34:35] neg_lo:[0,1] neg_hi:[0,1]
	v_pk_add_f32 v[112:113], v[36:37], v[102:103]
	v_mov_b32_e32 v39, v36
	v_mov_b32_e32 v35, v113
	v_pk_add_f32 v[114:115], v[38:39], v[34:35] neg_lo:[0,1] neg_hi:[0,1]
	v_pk_add_f32 v[34:35], v[38:39], v[34:35]
	v_mov_b32_e32 v102, v103
	v_mov_b32_e32 v38, v35
	v_pk_add_f32 v[116:117], v[38:39], v[36:37] neg_lo:[0,1] neg_hi:[0,1]
	v_mov_b32_e32 v34, v113
	v_mov_b32_e32 v39, v116
	v_pk_add_f32 v[118:119], v[112:113], v[38:39] neg_lo:[0,1] neg_hi:[0,1]
	v_mov_b32_e32 v112, v37
	v_mov_b32_e32 v113, v116
	;; [unrolled: 1-line block ×3, first 2 shown]
	v_pk_add_f32 v[34:35], v[34:35], v[112:113] neg_lo:[0,1] neg_hi:[0,1]
	v_mov_b32_e32 v103, v36
	v_pk_add_f32 v[34:35], v[102:103], v[34:35] neg_lo:[0,1] neg_hi:[0,1]
	v_mov_b32_e32 v118, v114
	v_pk_add_f32 v[36:37], v[118:119], v[34:35]
	s_mov_b32 s30, 0x33800000
	v_mov_b32_e32 v98, v37
	v_pk_add_f32 v[102:103], v[36:37], v[98:99]
	v_cmp_lt_f32_e64 s[30:31], |v97|, s30
	v_pk_add_f32 v[38:39], v[38:39], v[102:103]
	v_mov_b32_e32 v35, v102
	v_mov_b32_e32 v37, v38
	v_pk_add_f32 v[112:113], v[36:37], v[114:115] neg_lo:[0,1] neg_hi:[0,1]
	s_or_b64 vcc, vcc, s[30:31]
	v_sub_f32_e32 v36, v36, v112
	v_pk_add_f32 v[34:35], v[34:35], v[112:113] neg_lo:[0,1] neg_hi:[0,1]
	v_sub_f32_e32 v36, v114, v36
	v_add_f32_e32 v34, v34, v36
	v_add_f32_e32 v34, v34, v35
	;; [unrolled: 1-line block ×3, first 2 shown]
	v_cndmask_b32_e32 v34, v34, v97, vcc
	v_add_f32_e32 v34, v33, v34
.LBB499_79:
	s_or_b64 exec, exec, s[28:29]
	v_bfe_u32 v33, v34, 16, 1
	s_movk_i32 s34, 0x7fff
	v_add3_u32 v33, v34, v33, s34
	v_and_b32_e32 v35, 0xffff0000, v33
	v_mov_b32_e32 v33, 0x7fc00000
	v_cmp_o_f32_e32 vcc, v34, v34
	v_lshlrev_b32_sdwa v97, v32, v23 dst_sel:DWORD dst_unused:UNUSED_PAD src0_sel:DWORD src1_sel:WORD_0
	v_max_f32_e32 v103, v97, v97
	v_cndmask_b32_e32 v34, v33, v35, vcc
	v_max_f32_e32 v32, v34, v34
	v_min_f32_e32 v35, v32, v103
	v_cmp_u_f32_e32 vcc, v34, v34
	v_max_f32_e32 v32, v32, v103
	v_cmp_u_f32_e64 s[28:29], v97, v97
	v_cndmask_b32_e32 v35, v35, v34, vcc
	v_cndmask_b32_e32 v32, v32, v34, vcc
	v_cndmask_b32_e64 v35, v35, v97, s[28:29]
	v_cndmask_b32_e64 v32, v32, v97, s[28:29]
	v_cmp_neq_f32_e32 vcc, v35, v32
	v_cmp_class_f32_e64 s[30:31], v35, s13
	s_or_b64 vcc, vcc, s[30:31]
	s_and_saveexec_b64 s[30:31], vcc
	s_cbranch_execz .LBB499_81
; %bb.80:
	v_sub_f32_e32 v34, v35, v32
	s_mov_b32 s13, 0x3fb8aa3b
	v_mul_f32_e32 v35, 0x3fb8aa3b, v34
	v_fma_f32 v36, v34, s13, -v35
	v_rndne_f32_e32 v37, v35
	v_fmamk_f32 v36, v34, 0x32a5705f, v36
	v_sub_f32_e32 v35, v35, v37
	v_add_f32_e32 v35, v35, v36
	v_exp_f32_e32 v35, v35
	v_cvt_i32_f32_e32 v36, v37
	s_mov_b32 s13, 0xc2ce8ed0
	v_cmp_ngt_f32_e32 vcc, s13, v34
	s_mov_b32 s13, 0x42b17218
	v_ldexp_f32 v35, v35, v36
	v_cndmask_b32_e32 v35, 0, v35, vcc
	v_mov_b32_e32 v36, 0x7f800000
	v_cmp_nlt_f32_e32 vcc, s13, v34
	s_mov_b32 s13, 0x3f2aaaab
	s_mov_b32 s35, 0x7f800000
	v_cndmask_b32_e32 v101, v36, v35, vcc
	v_add_f32_e32 v36, 1.0, v101
	v_add_f32_e32 v34, -1.0, v36
	v_sub_f32_e32 v35, v34, v36
	v_add_f32_e32 v35, 1.0, v35
	v_sub_f32_e32 v34, v101, v34
	v_add_f32_e32 v37, v34, v35
	v_frexp_mant_f32_e32 v38, v36
	v_cvt_f64_f32_e32 v[34:35], v36
	v_frexp_exp_i32_f64_e32 v34, v[34:35]
	v_cmp_gt_f32_e32 vcc, s13, v38
	s_mov_b32 s13, 0x3f317218
	s_nop 0
	v_subbrev_co_u32_e32 v98, vcc, 0, v34, vcc
	v_sub_u32_e32 v34, 0, v98
	v_ldexp_f32 v35, v36, v34
	v_add_f32_e32 v36, -1.0, v35
	v_add_f32_e32 v38, 1.0, v35
	v_ldexp_f32 v34, v37, v34
	v_add_f32_e32 v37, 1.0, v36
	v_add_f32_e32 v39, -1.0, v38
	v_sub_f32_e32 v37, v35, v37
	v_sub_f32_e32 v35, v35, v39
	v_add_f32_e32 v37, v34, v37
	v_add_f32_e32 v34, v34, v35
	;; [unrolled: 1-line block ×3, first 2 shown]
	v_rcp_f32_e32 v115, v102
	v_sub_f32_e32 v35, v38, v102
	v_add_f32_e32 v114, v34, v35
	v_add_f32_e32 v35, v36, v37
	v_mul_f32_e32 v117, v35, v115
	v_sub_f32_e32 v34, v36, v35
	v_mul_f32_e32 v36, v102, v117
	v_fma_f32 v38, v117, v102, -v36
	v_fmac_f32_e32 v38, v117, v114
	v_add_f32_e32 v116, v37, v34
	v_add_f32_e32 v34, v36, v38
	v_sub_f32_e32 v37, v35, v34
	v_pk_add_f32 v[112:113], v[34:35], v[36:37] neg_lo:[0,1] neg_hi:[0,1]
	v_mov_b32_e32 v39, v34
	v_pk_add_f32 v[34:35], v[112:113], v[38:39] neg_lo:[0,1] neg_hi:[0,1]
	v_cmp_eq_f32_e32 vcc, s35, v101
	v_add_f32_e32 v35, v116, v35
	v_add_f32_e32 v34, v34, v35
	;; [unrolled: 1-line block ×3, first 2 shown]
	v_mul_f32_e32 v116, v115, v35
	v_mul_f32_e32 v36, v102, v116
	v_fma_f32 v38, v116, v102, -v36
	v_fmac_f32_e32 v38, v116, v114
	v_sub_f32_e32 v37, v37, v35
	v_add_f32_e32 v102, v34, v37
	v_add_f32_e32 v34, v36, v38
	v_sub_f32_e32 v37, v35, v34
	v_pk_add_f32 v[112:113], v[34:35], v[36:37] neg_lo:[0,1] neg_hi:[0,1]
	v_mov_b32_e32 v39, v34
	v_pk_add_f32 v[34:35], v[112:113], v[38:39] neg_lo:[0,1] neg_hi:[0,1]
	v_cvt_f32_i32_e32 v36, v98
	v_add_f32_e32 v35, v102, v35
	v_add_f32_e32 v34, v34, v35
	;; [unrolled: 1-line block ×4, first 2 shown]
	v_sub_f32_e32 v35, v37, v117
	v_mul_f32_e32 v34, v115, v34
	v_sub_f32_e32 v35, v116, v35
	v_add_f32_e32 v34, v35, v34
	v_add_f32_e32 v38, v37, v34
	v_mul_f32_e32 v102, v38, v38
	v_mov_b32_e32 v35, 0x3ecc95a3
	v_sub_f32_e32 v37, v38, v37
	v_fmac_f32_e32 v35, 0x3e9b6dac, v102
	v_sub_f32_e32 v34, v34, v37
	v_fmaak_f32 v35, v102, v35, 0x3f2aaada
	v_ldexp_f32 v98, v34, 1
	v_mul_f32_e32 v37, v38, v102
	v_mov_b32_e32 v34, 0x3f317218
	v_pk_mul_f32 v[34:35], v[36:37], v[34:35]
	v_ldexp_f32 v39, v38, 1
	v_fma_f32 v37, v36, s13, -v34
	v_fmamk_f32 v38, v36, 0xb102e308, v37
	v_pk_add_f32 v[36:37], v[34:35], v[38:39]
	v_mov_b32_e32 v112, v34
	v_sub_f32_e32 v39, v37, v39
	v_sub_f32_e32 v39, v35, v39
	v_add_f32_e32 v113, v98, v39
	v_pk_add_f32 v[34:35], v[36:37], v[34:35] neg_lo:[0,1] neg_hi:[0,1]
	v_pk_add_f32 v[114:115], v[36:37], v[112:113]
	v_mov_b32_e32 v39, v36
	v_mov_b32_e32 v35, v115
	v_pk_add_f32 v[116:117], v[38:39], v[34:35] neg_lo:[0,1] neg_hi:[0,1]
	v_pk_add_f32 v[34:35], v[38:39], v[34:35]
	v_mov_b32_e32 v112, v113
	v_mov_b32_e32 v38, v35
	v_pk_add_f32 v[118:119], v[38:39], v[36:37] neg_lo:[0,1] neg_hi:[0,1]
	v_mov_b32_e32 v34, v115
	v_mov_b32_e32 v39, v118
	v_pk_add_f32 v[128:129], v[114:115], v[38:39] neg_lo:[0,1] neg_hi:[0,1]
	v_mov_b32_e32 v114, v37
	v_mov_b32_e32 v115, v118
	;; [unrolled: 1-line block ×3, first 2 shown]
	v_pk_add_f32 v[34:35], v[34:35], v[114:115] neg_lo:[0,1] neg_hi:[0,1]
	v_mov_b32_e32 v113, v36
	v_pk_add_f32 v[34:35], v[112:113], v[34:35] neg_lo:[0,1] neg_hi:[0,1]
	v_mov_b32_e32 v128, v116
	v_pk_add_f32 v[36:37], v[128:129], v[34:35]
	s_mov_b32 s13, 0x33800000
	v_mov_b32_e32 v98, v37
	v_pk_add_f32 v[112:113], v[36:37], v[98:99]
	v_cmp_lt_f32_e64 s[36:37], |v101|, s13
	v_pk_add_f32 v[38:39], v[38:39], v[112:113]
	v_mov_b32_e32 v35, v112
	v_mov_b32_e32 v37, v38
	v_pk_add_f32 v[114:115], v[36:37], v[116:117] neg_lo:[0,1] neg_hi:[0,1]
	s_or_b64 vcc, vcc, s[36:37]
	v_sub_f32_e32 v36, v36, v114
	v_pk_add_f32 v[34:35], v[34:35], v[114:115] neg_lo:[0,1] neg_hi:[0,1]
	v_sub_f32_e32 v36, v116, v36
	v_add_f32_e32 v34, v34, v36
	v_add_f32_e32 v34, v34, v35
	;; [unrolled: 1-line block ×3, first 2 shown]
	v_cndmask_b32_e32 v34, v34, v101, vcc
	v_add_f32_e32 v34, v32, v34
.LBB499_81:
	s_or_b64 exec, exec, s[30:31]
	v_bfe_u32 v32, v34, 16, 1
	v_add3_u32 v32, v34, v32, s34
	v_and_b32_e32 v32, 0xffff0000, v32
	v_cmp_o_f32_e32 vcc, v34, v34
	s_movk_i32 s13, 0x1f8
	s_nop 0
	v_cndmask_b32_e32 v34, v33, v32, vcc
	v_mov_b32_e32 v32, 16
	v_lshlrev_b32_sdwa v98, v32, v23 dst_sel:DWORD dst_unused:UNUSED_PAD src0_sel:DWORD src1_sel:WORD_1
	v_max_f32_e32 v33, v34, v34
	v_max_f32_e32 v112, v98, v98
	v_min_f32_e32 v35, v33, v112
	v_cmp_u_f32_e32 vcc, v34, v34
	v_max_f32_e32 v33, v33, v112
	v_cmp_u_f32_e64 s[30:31], v98, v98
	v_cndmask_b32_e32 v35, v35, v34, vcc
	v_cndmask_b32_e32 v33, v33, v34, vcc
	v_cndmask_b32_e64 v35, v35, v98, s[30:31]
	v_cndmask_b32_e64 v33, v33, v98, s[30:31]
	v_cmp_neq_f32_e32 vcc, v35, v33
	v_cmp_class_f32_e64 s[34:35], v35, s13
	s_or_b64 vcc, vcc, s[34:35]
	s_and_saveexec_b64 s[34:35], vcc
	s_cbranch_execz .LBB499_83
; %bb.82:
	v_sub_f32_e32 v34, v35, v33
	s_mov_b32 s36, 0x3fb8aa3b
	v_mul_f32_e32 v35, 0x3fb8aa3b, v34
	v_fma_f32 v36, v34, s36, -v35
	v_rndne_f32_e32 v37, v35
	v_fmamk_f32 v36, v34, 0x32a5705f, v36
	v_sub_f32_e32 v35, v35, v37
	v_add_f32_e32 v35, v35, v36
	v_exp_f32_e32 v35, v35
	v_cvt_i32_f32_e32 v36, v37
	s_mov_b32 s36, 0xc2ce8ed0
	v_cmp_ngt_f32_e32 vcc, s36, v34
	s_mov_b32 s36, 0x42b17218
	v_ldexp_f32 v35, v35, v36
	v_cndmask_b32_e32 v35, 0, v35, vcc
	v_mov_b32_e32 v36, 0x7f800000
	v_cmp_nlt_f32_e32 vcc, s36, v34
	s_mov_b32 s36, 0x3f2aaaab
	s_mov_b32 s37, 0x7f800000
	v_cndmask_b32_e32 v101, v36, v35, vcc
	v_add_f32_e32 v36, 1.0, v101
	v_add_f32_e32 v34, -1.0, v36
	v_sub_f32_e32 v35, v34, v36
	v_add_f32_e32 v35, 1.0, v35
	v_sub_f32_e32 v34, v101, v34
	v_add_f32_e32 v37, v34, v35
	v_frexp_mant_f32_e32 v38, v36
	v_cvt_f64_f32_e32 v[34:35], v36
	v_frexp_exp_i32_f64_e32 v34, v[34:35]
	v_cmp_gt_f32_e32 vcc, s36, v38
	s_mov_b32 s36, 0x3f317218
	s_nop 0
	v_subbrev_co_u32_e32 v102, vcc, 0, v34, vcc
	v_sub_u32_e32 v34, 0, v102
	v_ldexp_f32 v35, v36, v34
	v_add_f32_e32 v36, -1.0, v35
	v_add_f32_e32 v38, 1.0, v35
	v_ldexp_f32 v34, v37, v34
	v_add_f32_e32 v37, 1.0, v36
	v_add_f32_e32 v39, -1.0, v38
	v_sub_f32_e32 v37, v35, v37
	v_sub_f32_e32 v35, v35, v39
	v_add_f32_e32 v37, v34, v37
	v_add_f32_e32 v34, v34, v35
	;; [unrolled: 1-line block ×3, first 2 shown]
	v_rcp_f32_e32 v117, v113
	v_sub_f32_e32 v35, v38, v113
	v_add_f32_e32 v116, v34, v35
	v_add_f32_e32 v35, v36, v37
	v_mul_f32_e32 v119, v35, v117
	v_sub_f32_e32 v34, v36, v35
	v_mul_f32_e32 v36, v113, v119
	v_fma_f32 v38, v119, v113, -v36
	v_fmac_f32_e32 v38, v119, v116
	v_add_f32_e32 v118, v37, v34
	v_add_f32_e32 v34, v36, v38
	v_sub_f32_e32 v37, v35, v34
	v_pk_add_f32 v[114:115], v[34:35], v[36:37] neg_lo:[0,1] neg_hi:[0,1]
	v_mov_b32_e32 v39, v34
	v_pk_add_f32 v[34:35], v[114:115], v[38:39] neg_lo:[0,1] neg_hi:[0,1]
	v_cmp_eq_f32_e32 vcc, s37, v101
	v_add_f32_e32 v35, v118, v35
	v_add_f32_e32 v34, v34, v35
	v_add_f32_e32 v35, v37, v34
	v_mul_f32_e32 v118, v117, v35
	v_mul_f32_e32 v36, v113, v118
	v_fma_f32 v38, v118, v113, -v36
	v_fmac_f32_e32 v38, v118, v116
	v_sub_f32_e32 v37, v37, v35
	v_add_f32_e32 v113, v34, v37
	v_add_f32_e32 v34, v36, v38
	v_sub_f32_e32 v37, v35, v34
	v_pk_add_f32 v[114:115], v[34:35], v[36:37] neg_lo:[0,1] neg_hi:[0,1]
	v_mov_b32_e32 v39, v34
	v_pk_add_f32 v[34:35], v[114:115], v[38:39] neg_lo:[0,1] neg_hi:[0,1]
	v_cvt_f32_i32_e32 v36, v102
	v_add_f32_e32 v35, v113, v35
	v_add_f32_e32 v34, v34, v35
	;; [unrolled: 1-line block ×4, first 2 shown]
	v_sub_f32_e32 v35, v37, v119
	v_mul_f32_e32 v34, v117, v34
	v_sub_f32_e32 v35, v118, v35
	v_add_f32_e32 v34, v35, v34
	v_add_f32_e32 v38, v37, v34
	v_mul_f32_e32 v113, v38, v38
	v_mov_b32_e32 v35, 0x3ecc95a3
	v_sub_f32_e32 v37, v38, v37
	v_fmac_f32_e32 v35, 0x3e9b6dac, v113
	v_sub_f32_e32 v34, v34, v37
	v_fmaak_f32 v35, v113, v35, 0x3f2aaada
	v_ldexp_f32 v102, v34, 1
	v_mul_f32_e32 v37, v38, v113
	v_mov_b32_e32 v34, 0x3f317218
	v_pk_mul_f32 v[34:35], v[36:37], v[34:35]
	v_ldexp_f32 v39, v38, 1
	v_fma_f32 v37, v36, s36, -v34
	v_fmamk_f32 v38, v36, 0xb102e308, v37
	v_pk_add_f32 v[36:37], v[34:35], v[38:39]
	v_mov_b32_e32 v114, v34
	v_sub_f32_e32 v39, v37, v39
	v_sub_f32_e32 v39, v35, v39
	v_add_f32_e32 v115, v102, v39
	v_pk_add_f32 v[34:35], v[36:37], v[34:35] neg_lo:[0,1] neg_hi:[0,1]
	v_pk_add_f32 v[116:117], v[36:37], v[114:115]
	v_mov_b32_e32 v39, v36
	v_mov_b32_e32 v35, v117
	v_pk_add_f32 v[118:119], v[38:39], v[34:35] neg_lo:[0,1] neg_hi:[0,1]
	v_pk_add_f32 v[34:35], v[38:39], v[34:35]
	v_mov_b32_e32 v114, v115
	v_mov_b32_e32 v38, v35
	v_pk_add_f32 v[128:129], v[38:39], v[36:37] neg_lo:[0,1] neg_hi:[0,1]
	v_mov_b32_e32 v34, v117
	v_mov_b32_e32 v39, v128
	v_pk_add_f32 v[130:131], v[116:117], v[38:39] neg_lo:[0,1] neg_hi:[0,1]
	v_mov_b32_e32 v116, v37
	v_mov_b32_e32 v117, v128
	;; [unrolled: 1-line block ×3, first 2 shown]
	v_pk_add_f32 v[34:35], v[34:35], v[116:117] neg_lo:[0,1] neg_hi:[0,1]
	v_mov_b32_e32 v115, v36
	v_pk_add_f32 v[34:35], v[114:115], v[34:35] neg_lo:[0,1] neg_hi:[0,1]
	v_mov_b32_e32 v130, v118
	v_pk_add_f32 v[36:37], v[130:131], v[34:35]
	s_mov_b32 s36, 0x33800000
	v_mov_b32_e32 v102, v37
	v_pk_add_f32 v[114:115], v[36:37], v[102:103]
	v_cmp_lt_f32_e64 s[36:37], |v101|, s36
	v_pk_add_f32 v[38:39], v[38:39], v[114:115]
	v_mov_b32_e32 v35, v114
	v_mov_b32_e32 v37, v38
	v_pk_add_f32 v[116:117], v[36:37], v[118:119] neg_lo:[0,1] neg_hi:[0,1]
	s_or_b64 vcc, vcc, s[36:37]
	v_sub_f32_e32 v36, v36, v116
	v_pk_add_f32 v[34:35], v[34:35], v[116:117] neg_lo:[0,1] neg_hi:[0,1]
	v_sub_f32_e32 v36, v118, v36
	v_add_f32_e32 v34, v34, v36
	v_add_f32_e32 v34, v34, v35
	v_add_f32_e32 v34, v38, v34
	v_cndmask_b32_e32 v34, v34, v101, vcc
	v_add_f32_e32 v34, v33, v34
.LBB499_83:
	s_or_b64 exec, exec, s[34:35]
	v_bfe_u32 v33, v34, 16, 1
	s_movk_i32 s38, 0x7fff
	v_add3_u32 v33, v34, v33, s38
	v_and_b32_e32 v35, 0xffff0000, v33
	v_mov_b32_e32 v33, 0x7fc00000
	v_cmp_o_f32_e32 vcc, v34, v34
	v_lshlrev_b32_sdwa v101, v32, v16 dst_sel:DWORD dst_unused:UNUSED_PAD src0_sel:DWORD src1_sel:WORD_0
	v_max_f32_e32 v115, v101, v101
	v_cndmask_b32_e32 v34, v33, v35, vcc
	v_max_f32_e32 v32, v34, v34
	v_min_f32_e32 v35, v32, v115
	v_cmp_u_f32_e32 vcc, v34, v34
	v_max_f32_e32 v32, v32, v115
	v_cmp_u_f32_e64 s[34:35], v101, v101
	v_cndmask_b32_e32 v35, v35, v34, vcc
	v_cndmask_b32_e32 v32, v32, v34, vcc
	v_cndmask_b32_e64 v35, v35, v101, s[34:35]
	v_cndmask_b32_e64 v32, v32, v101, s[34:35]
	v_cmp_neq_f32_e32 vcc, v35, v32
	v_cmp_class_f32_e64 s[36:37], v35, s13
	s_or_b64 vcc, vcc, s[36:37]
	s_and_saveexec_b64 s[36:37], vcc
	s_cbranch_execz .LBB499_85
; %bb.84:
	v_sub_f32_e32 v34, v35, v32
	s_mov_b32 s13, 0x3fb8aa3b
	v_mul_f32_e32 v35, 0x3fb8aa3b, v34
	v_fma_f32 v36, v34, s13, -v35
	v_rndne_f32_e32 v37, v35
	v_fmamk_f32 v36, v34, 0x32a5705f, v36
	v_sub_f32_e32 v35, v35, v37
	v_add_f32_e32 v35, v35, v36
	v_exp_f32_e32 v35, v35
	v_cvt_i32_f32_e32 v36, v37
	s_mov_b32 s13, 0xc2ce8ed0
	v_cmp_ngt_f32_e32 vcc, s13, v34
	s_mov_b32 s13, 0x42b17218
	v_ldexp_f32 v35, v35, v36
	v_cndmask_b32_e32 v35, 0, v35, vcc
	v_mov_b32_e32 v36, 0x7f800000
	v_cmp_nlt_f32_e32 vcc, s13, v34
	s_mov_b32 s13, 0x3f2aaaab
	s_mov_b32 s39, 0x7f800000
	v_cndmask_b32_e32 v113, v36, v35, vcc
	v_add_f32_e32 v36, 1.0, v113
	v_add_f32_e32 v34, -1.0, v36
	v_sub_f32_e32 v35, v34, v36
	v_add_f32_e32 v35, 1.0, v35
	v_sub_f32_e32 v34, v113, v34
	v_add_f32_e32 v37, v34, v35
	v_frexp_mant_f32_e32 v38, v36
	v_cvt_f64_f32_e32 v[34:35], v36
	v_frexp_exp_i32_f64_e32 v34, v[34:35]
	v_cmp_gt_f32_e32 vcc, s13, v38
	s_mov_b32 s13, 0x3f317218
	s_nop 0
	v_subbrev_co_u32_e32 v102, vcc, 0, v34, vcc
	v_sub_u32_e32 v34, 0, v102
	v_ldexp_f32 v35, v36, v34
	v_add_f32_e32 v36, -1.0, v35
	v_add_f32_e32 v38, 1.0, v35
	v_ldexp_f32 v34, v37, v34
	v_add_f32_e32 v37, 1.0, v36
	v_add_f32_e32 v39, -1.0, v38
	v_sub_f32_e32 v37, v35, v37
	v_sub_f32_e32 v35, v35, v39
	v_add_f32_e32 v37, v34, v37
	v_add_f32_e32 v34, v34, v35
	;; [unrolled: 1-line block ×3, first 2 shown]
	v_rcp_f32_e32 v119, v114
	v_sub_f32_e32 v35, v38, v114
	v_add_f32_e32 v118, v34, v35
	v_add_f32_e32 v35, v36, v37
	v_mul_f32_e32 v129, v35, v119
	v_sub_f32_e32 v34, v36, v35
	v_mul_f32_e32 v36, v114, v129
	v_fma_f32 v38, v129, v114, -v36
	v_fmac_f32_e32 v38, v129, v118
	v_add_f32_e32 v128, v37, v34
	v_add_f32_e32 v34, v36, v38
	v_sub_f32_e32 v37, v35, v34
	v_pk_add_f32 v[116:117], v[34:35], v[36:37] neg_lo:[0,1] neg_hi:[0,1]
	v_mov_b32_e32 v39, v34
	v_pk_add_f32 v[34:35], v[116:117], v[38:39] neg_lo:[0,1] neg_hi:[0,1]
	v_cmp_eq_f32_e32 vcc, s39, v113
	v_add_f32_e32 v35, v128, v35
	v_add_f32_e32 v34, v34, v35
	;; [unrolled: 1-line block ×3, first 2 shown]
	v_mul_f32_e32 v128, v119, v35
	v_mul_f32_e32 v36, v114, v128
	v_fma_f32 v38, v128, v114, -v36
	v_fmac_f32_e32 v38, v128, v118
	v_sub_f32_e32 v37, v37, v35
	v_add_f32_e32 v114, v34, v37
	v_add_f32_e32 v34, v36, v38
	v_sub_f32_e32 v37, v35, v34
	v_pk_add_f32 v[116:117], v[34:35], v[36:37] neg_lo:[0,1] neg_hi:[0,1]
	v_mov_b32_e32 v39, v34
	v_pk_add_f32 v[34:35], v[116:117], v[38:39] neg_lo:[0,1] neg_hi:[0,1]
	v_cvt_f32_i32_e32 v36, v102
	v_add_f32_e32 v35, v114, v35
	v_add_f32_e32 v34, v34, v35
	;; [unrolled: 1-line block ×4, first 2 shown]
	v_sub_f32_e32 v35, v37, v129
	v_mul_f32_e32 v34, v119, v34
	v_sub_f32_e32 v35, v128, v35
	v_add_f32_e32 v34, v35, v34
	v_add_f32_e32 v38, v37, v34
	v_mul_f32_e32 v114, v38, v38
	v_mov_b32_e32 v35, 0x3ecc95a3
	v_sub_f32_e32 v37, v38, v37
	v_fmac_f32_e32 v35, 0x3e9b6dac, v114
	v_sub_f32_e32 v34, v34, v37
	v_fmaak_f32 v35, v114, v35, 0x3f2aaada
	v_ldexp_f32 v102, v34, 1
	v_mul_f32_e32 v37, v38, v114
	v_mov_b32_e32 v34, 0x3f317218
	v_pk_mul_f32 v[34:35], v[36:37], v[34:35]
	v_ldexp_f32 v39, v38, 1
	v_fma_f32 v37, v36, s13, -v34
	v_fmamk_f32 v38, v36, 0xb102e308, v37
	v_pk_add_f32 v[36:37], v[34:35], v[38:39]
	v_mov_b32_e32 v116, v34
	v_sub_f32_e32 v39, v37, v39
	v_sub_f32_e32 v39, v35, v39
	v_add_f32_e32 v117, v102, v39
	v_pk_add_f32 v[34:35], v[36:37], v[34:35] neg_lo:[0,1] neg_hi:[0,1]
	v_pk_add_f32 v[118:119], v[36:37], v[116:117]
	v_mov_b32_e32 v39, v36
	v_mov_b32_e32 v35, v119
	v_pk_add_f32 v[128:129], v[38:39], v[34:35] neg_lo:[0,1] neg_hi:[0,1]
	v_pk_add_f32 v[34:35], v[38:39], v[34:35]
	v_mov_b32_e32 v116, v117
	v_mov_b32_e32 v38, v35
	v_pk_add_f32 v[130:131], v[38:39], v[36:37] neg_lo:[0,1] neg_hi:[0,1]
	v_mov_b32_e32 v34, v119
	v_mov_b32_e32 v39, v130
	v_pk_add_f32 v[132:133], v[118:119], v[38:39] neg_lo:[0,1] neg_hi:[0,1]
	v_mov_b32_e32 v118, v37
	v_mov_b32_e32 v119, v130
	;; [unrolled: 1-line block ×3, first 2 shown]
	v_pk_add_f32 v[34:35], v[34:35], v[118:119] neg_lo:[0,1] neg_hi:[0,1]
	v_mov_b32_e32 v117, v36
	v_pk_add_f32 v[34:35], v[116:117], v[34:35] neg_lo:[0,1] neg_hi:[0,1]
	v_mov_b32_e32 v132, v128
	v_pk_add_f32 v[36:37], v[132:133], v[34:35]
	s_mov_b32 s13, 0x33800000
	v_mov_b32_e32 v102, v37
	v_pk_add_f32 v[116:117], v[36:37], v[102:103]
	v_cmp_lt_f32_e64 s[40:41], |v113|, s13
	v_pk_add_f32 v[38:39], v[38:39], v[116:117]
	v_mov_b32_e32 v35, v116
	v_mov_b32_e32 v37, v38
	v_pk_add_f32 v[118:119], v[36:37], v[128:129] neg_lo:[0,1] neg_hi:[0,1]
	s_or_b64 vcc, vcc, s[40:41]
	v_sub_f32_e32 v36, v36, v118
	v_pk_add_f32 v[34:35], v[34:35], v[118:119] neg_lo:[0,1] neg_hi:[0,1]
	v_sub_f32_e32 v36, v128, v36
	v_add_f32_e32 v34, v34, v36
	v_add_f32_e32 v34, v34, v35
	;; [unrolled: 1-line block ×3, first 2 shown]
	v_cndmask_b32_e32 v34, v34, v113, vcc
	v_add_f32_e32 v34, v32, v34
.LBB499_85:
	s_or_b64 exec, exec, s[36:37]
	v_bfe_u32 v32, v34, 16, 1
	v_add3_u32 v32, v34, v32, s38
	v_and_b32_e32 v32, 0xffff0000, v32
	v_cmp_o_f32_e32 vcc, v34, v34
	s_movk_i32 s13, 0x1f8
	s_nop 0
	v_cndmask_b32_e32 v34, v33, v32, vcc
	v_mov_b32_e32 v32, 16
	v_lshlrev_b32_sdwa v102, v32, v16 dst_sel:DWORD dst_unused:UNUSED_PAD src0_sel:DWORD src1_sel:WORD_1
	v_max_f32_e32 v33, v34, v34
	v_max_f32_e32 v116, v102, v102
	v_min_f32_e32 v35, v33, v116
	v_cmp_u_f32_e32 vcc, v34, v34
	v_max_f32_e32 v33, v33, v116
	v_cmp_u_f32_e64 s[36:37], v102, v102
	v_cndmask_b32_e32 v35, v35, v34, vcc
	v_cndmask_b32_e32 v33, v33, v34, vcc
	v_cndmask_b32_e64 v35, v35, v102, s[36:37]
	v_cndmask_b32_e64 v33, v33, v102, s[36:37]
	v_cmp_neq_f32_e32 vcc, v35, v33
	v_cmp_class_f32_e64 s[38:39], v35, s13
	s_or_b64 vcc, vcc, s[38:39]
	s_and_saveexec_b64 s[38:39], vcc
	s_cbranch_execz .LBB499_87
; %bb.86:
	v_sub_f32_e32 v34, v35, v33
	s_mov_b32 s40, 0x3fb8aa3b
	v_mul_f32_e32 v35, 0x3fb8aa3b, v34
	v_fma_f32 v36, v34, s40, -v35
	v_rndne_f32_e32 v37, v35
	v_fmamk_f32 v36, v34, 0x32a5705f, v36
	v_sub_f32_e32 v35, v35, v37
	v_add_f32_e32 v35, v35, v36
	v_exp_f32_e32 v35, v35
	v_cvt_i32_f32_e32 v36, v37
	s_mov_b32 s40, 0xc2ce8ed0
	v_cmp_ngt_f32_e32 vcc, s40, v34
	s_mov_b32 s40, 0x42b17218
	v_ldexp_f32 v35, v35, v36
	v_cndmask_b32_e32 v35, 0, v35, vcc
	v_mov_b32_e32 v36, 0x7f800000
	v_cmp_nlt_f32_e32 vcc, s40, v34
	s_mov_b32 s40, 0x3f2aaaab
	s_mov_b32 s41, 0x7f800000
	v_cndmask_b32_e32 v113, v36, v35, vcc
	v_add_f32_e32 v36, 1.0, v113
	v_add_f32_e32 v34, -1.0, v36
	v_sub_f32_e32 v35, v34, v36
	v_add_f32_e32 v35, 1.0, v35
	v_sub_f32_e32 v34, v113, v34
	v_add_f32_e32 v37, v34, v35
	v_frexp_mant_f32_e32 v38, v36
	v_cvt_f64_f32_e32 v[34:35], v36
	v_frexp_exp_i32_f64_e32 v34, v[34:35]
	v_cmp_gt_f32_e32 vcc, s40, v38
	s_mov_b32 s40, 0x3f317218
	s_nop 0
	v_subbrev_co_u32_e32 v114, vcc, 0, v34, vcc
	v_sub_u32_e32 v34, 0, v114
	v_ldexp_f32 v35, v36, v34
	v_add_f32_e32 v36, -1.0, v35
	v_add_f32_e32 v38, 1.0, v35
	v_ldexp_f32 v34, v37, v34
	v_add_f32_e32 v37, 1.0, v36
	v_add_f32_e32 v39, -1.0, v38
	v_sub_f32_e32 v37, v35, v37
	v_sub_f32_e32 v35, v35, v39
	v_add_f32_e32 v37, v34, v37
	v_add_f32_e32 v34, v34, v35
	;; [unrolled: 1-line block ×3, first 2 shown]
	v_rcp_f32_e32 v129, v117
	v_sub_f32_e32 v35, v38, v117
	v_add_f32_e32 v128, v34, v35
	v_add_f32_e32 v35, v36, v37
	v_mul_f32_e32 v131, v35, v129
	v_sub_f32_e32 v34, v36, v35
	v_mul_f32_e32 v36, v117, v131
	v_fma_f32 v38, v131, v117, -v36
	v_fmac_f32_e32 v38, v131, v128
	v_add_f32_e32 v130, v37, v34
	v_add_f32_e32 v34, v36, v38
	v_sub_f32_e32 v37, v35, v34
	v_pk_add_f32 v[118:119], v[34:35], v[36:37] neg_lo:[0,1] neg_hi:[0,1]
	v_mov_b32_e32 v39, v34
	v_pk_add_f32 v[34:35], v[118:119], v[38:39] neg_lo:[0,1] neg_hi:[0,1]
	v_cmp_eq_f32_e32 vcc, s41, v113
	v_add_f32_e32 v35, v130, v35
	v_add_f32_e32 v34, v34, v35
	;; [unrolled: 1-line block ×3, first 2 shown]
	v_mul_f32_e32 v130, v129, v35
	v_mul_f32_e32 v36, v117, v130
	v_fma_f32 v38, v130, v117, -v36
	v_fmac_f32_e32 v38, v130, v128
	v_sub_f32_e32 v37, v37, v35
	v_add_f32_e32 v117, v34, v37
	v_add_f32_e32 v34, v36, v38
	v_sub_f32_e32 v37, v35, v34
	v_pk_add_f32 v[118:119], v[34:35], v[36:37] neg_lo:[0,1] neg_hi:[0,1]
	v_mov_b32_e32 v39, v34
	v_pk_add_f32 v[34:35], v[118:119], v[38:39] neg_lo:[0,1] neg_hi:[0,1]
	v_cvt_f32_i32_e32 v36, v114
	v_add_f32_e32 v35, v117, v35
	v_add_f32_e32 v34, v34, v35
	;; [unrolled: 1-line block ×4, first 2 shown]
	v_sub_f32_e32 v35, v37, v131
	v_mul_f32_e32 v34, v129, v34
	v_sub_f32_e32 v35, v130, v35
	v_add_f32_e32 v34, v35, v34
	v_add_f32_e32 v38, v37, v34
	v_mul_f32_e32 v117, v38, v38
	v_mov_b32_e32 v35, 0x3ecc95a3
	v_sub_f32_e32 v37, v38, v37
	v_fmac_f32_e32 v35, 0x3e9b6dac, v117
	v_sub_f32_e32 v34, v34, v37
	v_fmaak_f32 v35, v117, v35, 0x3f2aaada
	v_ldexp_f32 v114, v34, 1
	v_mul_f32_e32 v37, v38, v117
	v_mov_b32_e32 v34, 0x3f317218
	v_pk_mul_f32 v[34:35], v[36:37], v[34:35]
	v_ldexp_f32 v39, v38, 1
	v_fma_f32 v37, v36, s40, -v34
	v_fmamk_f32 v38, v36, 0xb102e308, v37
	v_pk_add_f32 v[36:37], v[34:35], v[38:39]
	v_mov_b32_e32 v118, v34
	v_sub_f32_e32 v39, v37, v39
	v_sub_f32_e32 v39, v35, v39
	v_add_f32_e32 v119, v114, v39
	v_pk_add_f32 v[34:35], v[36:37], v[34:35] neg_lo:[0,1] neg_hi:[0,1]
	v_pk_add_f32 v[128:129], v[36:37], v[118:119]
	v_mov_b32_e32 v39, v36
	v_mov_b32_e32 v35, v129
	v_pk_add_f32 v[130:131], v[38:39], v[34:35] neg_lo:[0,1] neg_hi:[0,1]
	v_pk_add_f32 v[34:35], v[38:39], v[34:35]
	v_mov_b32_e32 v118, v119
	v_mov_b32_e32 v38, v35
	v_pk_add_f32 v[132:133], v[38:39], v[36:37] neg_lo:[0,1] neg_hi:[0,1]
	v_mov_b32_e32 v34, v129
	v_mov_b32_e32 v39, v132
	v_pk_add_f32 v[144:145], v[128:129], v[38:39] neg_lo:[0,1] neg_hi:[0,1]
	v_mov_b32_e32 v128, v37
	v_mov_b32_e32 v129, v132
	v_mov_b32_e32 v131, v35
	v_pk_add_f32 v[34:35], v[34:35], v[128:129] neg_lo:[0,1] neg_hi:[0,1]
	v_mov_b32_e32 v119, v36
	v_pk_add_f32 v[34:35], v[118:119], v[34:35] neg_lo:[0,1] neg_hi:[0,1]
	v_mov_b32_e32 v144, v130
	v_pk_add_f32 v[36:37], v[144:145], v[34:35]
	s_mov_b32 s40, 0x33800000
	v_mov_b32_e32 v114, v37
	v_pk_add_f32 v[118:119], v[36:37], v[114:115]
	v_cmp_lt_f32_e64 s[40:41], |v113|, s40
	v_pk_add_f32 v[38:39], v[38:39], v[118:119]
	v_mov_b32_e32 v35, v118
	v_mov_b32_e32 v37, v38
	v_pk_add_f32 v[128:129], v[36:37], v[130:131] neg_lo:[0,1] neg_hi:[0,1]
	s_or_b64 vcc, vcc, s[40:41]
	v_sub_f32_e32 v36, v36, v128
	v_pk_add_f32 v[34:35], v[34:35], v[128:129] neg_lo:[0,1] neg_hi:[0,1]
	v_sub_f32_e32 v36, v130, v36
	v_add_f32_e32 v34, v34, v36
	v_add_f32_e32 v34, v34, v35
	;; [unrolled: 1-line block ×3, first 2 shown]
	v_cndmask_b32_e32 v34, v34, v113, vcc
	v_add_f32_e32 v34, v33, v34
.LBB499_87:
	s_or_b64 exec, exec, s[38:39]
	v_bfe_u32 v33, v34, 16, 1
	s_movk_i32 s42, 0x7fff
	v_add3_u32 v33, v34, v33, s42
	v_and_b32_e32 v35, 0xffff0000, v33
	v_mov_b32_e32 v33, 0x7fc00000
	v_cmp_o_f32_e32 vcc, v34, v34
	v_lshlrev_b32_sdwa v113, v32, v17 dst_sel:DWORD dst_unused:UNUSED_PAD src0_sel:DWORD src1_sel:WORD_0
	v_max_f32_e32 v119, v113, v113
	v_cndmask_b32_e32 v34, v33, v35, vcc
	v_max_f32_e32 v32, v34, v34
	v_min_f32_e32 v35, v32, v119
	v_cmp_u_f32_e32 vcc, v34, v34
	v_max_f32_e32 v32, v32, v119
	v_cmp_u_f32_e64 s[38:39], v113, v113
	v_cndmask_b32_e32 v35, v35, v34, vcc
	v_cndmask_b32_e32 v32, v32, v34, vcc
	v_cndmask_b32_e64 v35, v35, v113, s[38:39]
	v_cndmask_b32_e64 v32, v32, v113, s[38:39]
	v_cmp_neq_f32_e32 vcc, v35, v32
	v_cmp_class_f32_e64 s[40:41], v35, s13
	s_or_b64 vcc, vcc, s[40:41]
	s_and_saveexec_b64 s[40:41], vcc
	s_cbranch_execz .LBB499_89
; %bb.88:
	v_sub_f32_e32 v34, v35, v32
	s_mov_b32 s13, 0x3fb8aa3b
	v_mul_f32_e32 v35, 0x3fb8aa3b, v34
	v_fma_f32 v36, v34, s13, -v35
	v_rndne_f32_e32 v37, v35
	v_fmamk_f32 v36, v34, 0x32a5705f, v36
	v_sub_f32_e32 v35, v35, v37
	v_add_f32_e32 v35, v35, v36
	v_exp_f32_e32 v35, v35
	v_cvt_i32_f32_e32 v36, v37
	s_mov_b32 s13, 0xc2ce8ed0
	v_cmp_ngt_f32_e32 vcc, s13, v34
	s_mov_b32 s13, 0x42b17218
	v_ldexp_f32 v35, v35, v36
	v_cndmask_b32_e32 v35, 0, v35, vcc
	v_mov_b32_e32 v36, 0x7f800000
	v_cmp_nlt_f32_e32 vcc, s13, v34
	s_mov_b32 s13, 0x3f2aaaab
	s_mov_b32 s43, 0x7f800000
	v_cndmask_b32_e32 v117, v36, v35, vcc
	v_add_f32_e32 v36, 1.0, v117
	v_add_f32_e32 v34, -1.0, v36
	v_sub_f32_e32 v35, v34, v36
	v_add_f32_e32 v35, 1.0, v35
	v_sub_f32_e32 v34, v117, v34
	v_add_f32_e32 v37, v34, v35
	v_frexp_mant_f32_e32 v38, v36
	v_cvt_f64_f32_e32 v[34:35], v36
	v_frexp_exp_i32_f64_e32 v34, v[34:35]
	v_cmp_gt_f32_e32 vcc, s13, v38
	s_mov_b32 s13, 0x3f317218
	s_nop 0
	v_subbrev_co_u32_e32 v114, vcc, 0, v34, vcc
	v_sub_u32_e32 v34, 0, v114
	v_ldexp_f32 v35, v36, v34
	v_add_f32_e32 v36, -1.0, v35
	v_add_f32_e32 v38, 1.0, v35
	v_ldexp_f32 v34, v37, v34
	v_add_f32_e32 v37, 1.0, v36
	v_add_f32_e32 v39, -1.0, v38
	v_sub_f32_e32 v37, v35, v37
	v_sub_f32_e32 v35, v35, v39
	v_add_f32_e32 v37, v34, v37
	v_add_f32_e32 v34, v34, v35
	;; [unrolled: 1-line block ×3, first 2 shown]
	v_rcp_f32_e32 v131, v118
	v_sub_f32_e32 v35, v38, v118
	v_add_f32_e32 v130, v34, v35
	v_add_f32_e32 v35, v36, v37
	v_mul_f32_e32 v133, v35, v131
	v_sub_f32_e32 v34, v36, v35
	v_mul_f32_e32 v36, v118, v133
	v_fma_f32 v38, v133, v118, -v36
	v_fmac_f32_e32 v38, v133, v130
	v_add_f32_e32 v132, v37, v34
	v_add_f32_e32 v34, v36, v38
	v_sub_f32_e32 v37, v35, v34
	v_pk_add_f32 v[128:129], v[34:35], v[36:37] neg_lo:[0,1] neg_hi:[0,1]
	v_mov_b32_e32 v39, v34
	v_pk_add_f32 v[34:35], v[128:129], v[38:39] neg_lo:[0,1] neg_hi:[0,1]
	v_cmp_eq_f32_e32 vcc, s43, v117
	v_add_f32_e32 v35, v132, v35
	v_add_f32_e32 v34, v34, v35
	;; [unrolled: 1-line block ×3, first 2 shown]
	v_mul_f32_e32 v132, v131, v35
	v_mul_f32_e32 v36, v118, v132
	v_fma_f32 v38, v132, v118, -v36
	v_fmac_f32_e32 v38, v132, v130
	v_sub_f32_e32 v37, v37, v35
	v_add_f32_e32 v118, v34, v37
	v_add_f32_e32 v34, v36, v38
	v_sub_f32_e32 v37, v35, v34
	v_pk_add_f32 v[128:129], v[34:35], v[36:37] neg_lo:[0,1] neg_hi:[0,1]
	v_mov_b32_e32 v39, v34
	v_pk_add_f32 v[34:35], v[128:129], v[38:39] neg_lo:[0,1] neg_hi:[0,1]
	v_cvt_f32_i32_e32 v36, v114
	v_add_f32_e32 v35, v118, v35
	v_add_f32_e32 v34, v34, v35
	;; [unrolled: 1-line block ×4, first 2 shown]
	v_sub_f32_e32 v35, v37, v133
	v_mul_f32_e32 v34, v131, v34
	v_sub_f32_e32 v35, v132, v35
	v_add_f32_e32 v34, v35, v34
	v_add_f32_e32 v38, v37, v34
	v_mul_f32_e32 v118, v38, v38
	v_mov_b32_e32 v35, 0x3ecc95a3
	v_sub_f32_e32 v37, v38, v37
	v_fmac_f32_e32 v35, 0x3e9b6dac, v118
	v_sub_f32_e32 v34, v34, v37
	v_fmaak_f32 v35, v118, v35, 0x3f2aaada
	v_ldexp_f32 v114, v34, 1
	v_mul_f32_e32 v37, v38, v118
	v_mov_b32_e32 v34, 0x3f317218
	v_pk_mul_f32 v[34:35], v[36:37], v[34:35]
	v_ldexp_f32 v39, v38, 1
	v_fma_f32 v37, v36, s13, -v34
	v_fmamk_f32 v38, v36, 0xb102e308, v37
	v_pk_add_f32 v[36:37], v[34:35], v[38:39]
	v_mov_b32_e32 v128, v34
	v_sub_f32_e32 v39, v37, v39
	v_sub_f32_e32 v39, v35, v39
	v_add_f32_e32 v129, v114, v39
	v_pk_add_f32 v[34:35], v[36:37], v[34:35] neg_lo:[0,1] neg_hi:[0,1]
	v_pk_add_f32 v[130:131], v[36:37], v[128:129]
	v_mov_b32_e32 v39, v36
	v_mov_b32_e32 v35, v131
	v_pk_add_f32 v[132:133], v[38:39], v[34:35] neg_lo:[0,1] neg_hi:[0,1]
	v_pk_add_f32 v[34:35], v[38:39], v[34:35]
	v_mov_b32_e32 v128, v129
	v_mov_b32_e32 v38, v35
	v_pk_add_f32 v[144:145], v[38:39], v[36:37] neg_lo:[0,1] neg_hi:[0,1]
	v_mov_b32_e32 v34, v131
	v_mov_b32_e32 v39, v144
	v_pk_add_f32 v[146:147], v[130:131], v[38:39] neg_lo:[0,1] neg_hi:[0,1]
	v_mov_b32_e32 v130, v37
	v_mov_b32_e32 v131, v144
	;; [unrolled: 1-line block ×3, first 2 shown]
	v_pk_add_f32 v[34:35], v[34:35], v[130:131] neg_lo:[0,1] neg_hi:[0,1]
	v_mov_b32_e32 v129, v36
	v_pk_add_f32 v[34:35], v[128:129], v[34:35] neg_lo:[0,1] neg_hi:[0,1]
	v_mov_b32_e32 v146, v132
	v_pk_add_f32 v[36:37], v[146:147], v[34:35]
	s_mov_b32 s13, 0x33800000
	v_mov_b32_e32 v114, v37
	v_pk_add_f32 v[128:129], v[36:37], v[114:115]
	v_cmp_lt_f32_e64 s[44:45], |v117|, s13
	v_pk_add_f32 v[38:39], v[38:39], v[128:129]
	v_mov_b32_e32 v35, v128
	v_mov_b32_e32 v37, v38
	v_pk_add_f32 v[130:131], v[36:37], v[132:133] neg_lo:[0,1] neg_hi:[0,1]
	s_or_b64 vcc, vcc, s[44:45]
	v_sub_f32_e32 v36, v36, v130
	v_pk_add_f32 v[34:35], v[34:35], v[130:131] neg_lo:[0,1] neg_hi:[0,1]
	v_sub_f32_e32 v36, v132, v36
	v_add_f32_e32 v34, v34, v36
	v_add_f32_e32 v34, v34, v35
	;; [unrolled: 1-line block ×3, first 2 shown]
	v_cndmask_b32_e32 v34, v34, v117, vcc
	v_add_f32_e32 v34, v32, v34
.LBB499_89:
	s_or_b64 exec, exec, s[40:41]
	v_bfe_u32 v32, v34, 16, 1
	v_add3_u32 v32, v34, v32, s42
	v_and_b32_e32 v32, 0xffff0000, v32
	v_cmp_o_f32_e32 vcc, v34, v34
	s_movk_i32 s13, 0x1f8
	s_nop 0
	v_cndmask_b32_e32 v34, v33, v32, vcc
	v_mov_b32_e32 v32, 16
	v_lshlrev_b32_sdwa v114, v32, v17 dst_sel:DWORD dst_unused:UNUSED_PAD src0_sel:DWORD src1_sel:WORD_1
	v_max_f32_e32 v33, v34, v34
	v_max_f32_e32 v128, v114, v114
	v_min_f32_e32 v35, v33, v128
	v_cmp_u_f32_e32 vcc, v34, v34
	v_max_f32_e32 v33, v33, v128
	v_cmp_u_f32_e64 s[40:41], v114, v114
	v_cndmask_b32_e32 v35, v35, v34, vcc
	v_cndmask_b32_e32 v33, v33, v34, vcc
	v_cndmask_b32_e64 v35, v35, v114, s[40:41]
	v_cndmask_b32_e64 v33, v33, v114, s[40:41]
	v_cmp_neq_f32_e32 vcc, v35, v33
	v_cmp_class_f32_e64 s[42:43], v35, s13
	s_or_b64 vcc, vcc, s[42:43]
	s_and_saveexec_b64 s[42:43], vcc
	s_cbranch_execz .LBB499_91
; %bb.90:
	v_sub_f32_e32 v34, v35, v33
	s_mov_b32 s44, 0x3fb8aa3b
	v_mul_f32_e32 v35, 0x3fb8aa3b, v34
	v_fma_f32 v36, v34, s44, -v35
	v_rndne_f32_e32 v37, v35
	v_fmamk_f32 v36, v34, 0x32a5705f, v36
	v_sub_f32_e32 v35, v35, v37
	v_add_f32_e32 v35, v35, v36
	v_exp_f32_e32 v35, v35
	v_cvt_i32_f32_e32 v36, v37
	s_mov_b32 s44, 0xc2ce8ed0
	v_cmp_ngt_f32_e32 vcc, s44, v34
	s_mov_b32 s44, 0x42b17218
	v_ldexp_f32 v35, v35, v36
	v_cndmask_b32_e32 v35, 0, v35, vcc
	v_mov_b32_e32 v36, 0x7f800000
	v_cmp_nlt_f32_e32 vcc, s44, v34
	s_mov_b32 s44, 0x3f2aaaab
	s_mov_b32 s45, 0x7f800000
	v_cndmask_b32_e32 v117, v36, v35, vcc
	v_add_f32_e32 v36, 1.0, v117
	v_add_f32_e32 v34, -1.0, v36
	v_sub_f32_e32 v35, v34, v36
	v_add_f32_e32 v35, 1.0, v35
	v_sub_f32_e32 v34, v117, v34
	v_add_f32_e32 v37, v34, v35
	v_frexp_mant_f32_e32 v38, v36
	v_cvt_f64_f32_e32 v[34:35], v36
	v_frexp_exp_i32_f64_e32 v34, v[34:35]
	v_cmp_gt_f32_e32 vcc, s44, v38
	s_mov_b32 s44, 0x3f317218
	s_nop 0
	v_subbrev_co_u32_e32 v118, vcc, 0, v34, vcc
	v_sub_u32_e32 v34, 0, v118
	v_ldexp_f32 v35, v36, v34
	v_add_f32_e32 v36, -1.0, v35
	v_add_f32_e32 v38, 1.0, v35
	v_ldexp_f32 v34, v37, v34
	v_add_f32_e32 v37, 1.0, v36
	v_add_f32_e32 v39, -1.0, v38
	v_sub_f32_e32 v37, v35, v37
	v_sub_f32_e32 v35, v35, v39
	v_add_f32_e32 v37, v34, v37
	v_add_f32_e32 v34, v34, v35
	;; [unrolled: 1-line block ×3, first 2 shown]
	v_rcp_f32_e32 v133, v129
	v_sub_f32_e32 v35, v38, v129
	v_add_f32_e32 v132, v34, v35
	v_add_f32_e32 v35, v36, v37
	v_mul_f32_e32 v144, v35, v133
	v_sub_f32_e32 v34, v36, v35
	v_mul_f32_e32 v36, v129, v144
	v_fma_f32 v38, v144, v129, -v36
	v_fmac_f32_e32 v38, v144, v132
	v_add_f32_e32 v134, v37, v34
	v_add_f32_e32 v34, v36, v38
	v_sub_f32_e32 v37, v35, v34
	v_pk_add_f32 v[130:131], v[34:35], v[36:37] neg_lo:[0,1] neg_hi:[0,1]
	v_mov_b32_e32 v39, v34
	v_pk_add_f32 v[34:35], v[130:131], v[38:39] neg_lo:[0,1] neg_hi:[0,1]
	v_cmp_eq_f32_e32 vcc, s45, v117
	v_add_f32_e32 v35, v134, v35
	v_add_f32_e32 v34, v34, v35
	;; [unrolled: 1-line block ×3, first 2 shown]
	v_mul_f32_e32 v134, v133, v35
	v_mul_f32_e32 v36, v129, v134
	v_fma_f32 v38, v134, v129, -v36
	v_fmac_f32_e32 v38, v134, v132
	v_sub_f32_e32 v37, v37, v35
	v_add_f32_e32 v129, v34, v37
	v_add_f32_e32 v34, v36, v38
	v_sub_f32_e32 v37, v35, v34
	v_pk_add_f32 v[130:131], v[34:35], v[36:37] neg_lo:[0,1] neg_hi:[0,1]
	v_mov_b32_e32 v39, v34
	v_pk_add_f32 v[34:35], v[130:131], v[38:39] neg_lo:[0,1] neg_hi:[0,1]
	v_cvt_f32_i32_e32 v36, v118
	v_add_f32_e32 v35, v129, v35
	v_add_f32_e32 v34, v34, v35
	;; [unrolled: 1-line block ×4, first 2 shown]
	v_sub_f32_e32 v35, v37, v144
	v_mul_f32_e32 v34, v133, v34
	v_sub_f32_e32 v35, v134, v35
	v_add_f32_e32 v34, v35, v34
	v_add_f32_e32 v38, v37, v34
	v_mul_f32_e32 v129, v38, v38
	v_mov_b32_e32 v35, 0x3ecc95a3
	v_sub_f32_e32 v37, v38, v37
	v_fmac_f32_e32 v35, 0x3e9b6dac, v129
	v_sub_f32_e32 v34, v34, v37
	v_fmaak_f32 v35, v129, v35, 0x3f2aaada
	v_ldexp_f32 v118, v34, 1
	v_mul_f32_e32 v37, v38, v129
	v_mov_b32_e32 v34, 0x3f317218
	v_pk_mul_f32 v[34:35], v[36:37], v[34:35]
	v_ldexp_f32 v39, v38, 1
	v_fma_f32 v37, v36, s44, -v34
	v_fmamk_f32 v38, v36, 0xb102e308, v37
	v_pk_add_f32 v[36:37], v[34:35], v[38:39]
	v_mov_b32_e32 v130, v34
	v_sub_f32_e32 v39, v37, v39
	v_sub_f32_e32 v39, v35, v39
	v_add_f32_e32 v131, v118, v39
	v_pk_add_f32 v[34:35], v[36:37], v[34:35] neg_lo:[0,1] neg_hi:[0,1]
	v_pk_add_f32 v[132:133], v[36:37], v[130:131]
	v_mov_b32_e32 v39, v36
	v_mov_b32_e32 v35, v133
	v_pk_add_f32 v[144:145], v[38:39], v[34:35] neg_lo:[0,1] neg_hi:[0,1]
	v_pk_add_f32 v[34:35], v[38:39], v[34:35]
	v_mov_b32_e32 v130, v131
	v_mov_b32_e32 v38, v35
	v_pk_add_f32 v[146:147], v[38:39], v[36:37] neg_lo:[0,1] neg_hi:[0,1]
	v_mov_b32_e32 v34, v133
	v_mov_b32_e32 v39, v146
	v_pk_add_f32 v[148:149], v[132:133], v[38:39] neg_lo:[0,1] neg_hi:[0,1]
	v_mov_b32_e32 v132, v37
	v_mov_b32_e32 v133, v146
	;; [unrolled: 1-line block ×3, first 2 shown]
	v_pk_add_f32 v[34:35], v[34:35], v[132:133] neg_lo:[0,1] neg_hi:[0,1]
	v_mov_b32_e32 v131, v36
	v_pk_add_f32 v[34:35], v[130:131], v[34:35] neg_lo:[0,1] neg_hi:[0,1]
	v_mov_b32_e32 v148, v144
	v_pk_add_f32 v[36:37], v[148:149], v[34:35]
	s_mov_b32 s44, 0x33800000
	v_mov_b32_e32 v118, v37
	v_pk_add_f32 v[130:131], v[36:37], v[118:119]
	v_cmp_lt_f32_e64 s[44:45], |v117|, s44
	v_pk_add_f32 v[38:39], v[38:39], v[130:131]
	v_mov_b32_e32 v35, v130
	v_mov_b32_e32 v37, v38
	v_pk_add_f32 v[132:133], v[36:37], v[144:145] neg_lo:[0,1] neg_hi:[0,1]
	s_or_b64 vcc, vcc, s[44:45]
	v_sub_f32_e32 v36, v36, v132
	v_pk_add_f32 v[34:35], v[34:35], v[132:133] neg_lo:[0,1] neg_hi:[0,1]
	v_sub_f32_e32 v36, v144, v36
	v_add_f32_e32 v34, v34, v36
	v_add_f32_e32 v34, v34, v35
	;; [unrolled: 1-line block ×3, first 2 shown]
	v_cndmask_b32_e32 v34, v34, v117, vcc
	v_add_f32_e32 v34, v33, v34
.LBB499_91:
	s_or_b64 exec, exec, s[42:43]
	v_bfe_u32 v33, v34, 16, 1
	s_movk_i32 s46, 0x7fff
	v_add3_u32 v33, v34, v33, s46
	v_and_b32_e32 v35, 0xffff0000, v33
	v_mov_b32_e32 v33, 0x7fc00000
	v_cmp_o_f32_e32 vcc, v34, v34
	v_lshlrev_b32_sdwa v117, v32, v18 dst_sel:DWORD dst_unused:UNUSED_PAD src0_sel:DWORD src1_sel:WORD_0
	v_max_f32_e32 v131, v117, v117
	v_cndmask_b32_e32 v34, v33, v35, vcc
	v_max_f32_e32 v32, v34, v34
	v_min_f32_e32 v35, v32, v131
	v_cmp_u_f32_e32 vcc, v34, v34
	v_max_f32_e32 v32, v32, v131
	v_cmp_u_f32_e64 s[42:43], v117, v117
	v_cndmask_b32_e32 v35, v35, v34, vcc
	v_cndmask_b32_e32 v32, v32, v34, vcc
	v_cndmask_b32_e64 v35, v35, v117, s[42:43]
	v_cndmask_b32_e64 v32, v32, v117, s[42:43]
	v_cmp_neq_f32_e32 vcc, v35, v32
	v_cmp_class_f32_e64 s[44:45], v35, s13
	s_or_b64 vcc, vcc, s[44:45]
	s_and_saveexec_b64 s[44:45], vcc
	s_cbranch_execz .LBB499_93
; %bb.92:
	v_sub_f32_e32 v34, v35, v32
	s_mov_b32 s13, 0x3fb8aa3b
	v_mul_f32_e32 v35, 0x3fb8aa3b, v34
	v_fma_f32 v36, v34, s13, -v35
	v_rndne_f32_e32 v37, v35
	v_fmamk_f32 v36, v34, 0x32a5705f, v36
	v_sub_f32_e32 v35, v35, v37
	v_add_f32_e32 v35, v35, v36
	v_exp_f32_e32 v35, v35
	v_cvt_i32_f32_e32 v36, v37
	s_mov_b32 s13, 0xc2ce8ed0
	v_cmp_ngt_f32_e32 vcc, s13, v34
	s_mov_b32 s13, 0x42b17218
	v_ldexp_f32 v35, v35, v36
	v_cndmask_b32_e32 v35, 0, v35, vcc
	v_mov_b32_e32 v36, 0x7f800000
	v_cmp_nlt_f32_e32 vcc, s13, v34
	s_mov_b32 s13, 0x3f2aaaab
	s_mov_b32 s47, 0x7f800000
	v_cndmask_b32_e32 v129, v36, v35, vcc
	v_add_f32_e32 v36, 1.0, v129
	v_add_f32_e32 v34, -1.0, v36
	v_sub_f32_e32 v35, v34, v36
	v_add_f32_e32 v35, 1.0, v35
	v_sub_f32_e32 v34, v129, v34
	v_add_f32_e32 v37, v34, v35
	v_frexp_mant_f32_e32 v38, v36
	v_cvt_f64_f32_e32 v[34:35], v36
	v_frexp_exp_i32_f64_e32 v34, v[34:35]
	v_cmp_gt_f32_e32 vcc, s13, v38
	s_mov_b32 s13, 0x3f317218
	s_nop 0
	v_subbrev_co_u32_e32 v118, vcc, 0, v34, vcc
	v_sub_u32_e32 v34, 0, v118
	v_ldexp_f32 v35, v36, v34
	v_add_f32_e32 v36, -1.0, v35
	v_add_f32_e32 v38, 1.0, v35
	v_ldexp_f32 v34, v37, v34
	v_add_f32_e32 v37, 1.0, v36
	v_add_f32_e32 v39, -1.0, v38
	v_sub_f32_e32 v37, v35, v37
	v_sub_f32_e32 v35, v35, v39
	v_add_f32_e32 v37, v34, v37
	v_add_f32_e32 v34, v34, v35
	;; [unrolled: 1-line block ×3, first 2 shown]
	v_rcp_f32_e32 v144, v130
	v_sub_f32_e32 v35, v38, v130
	v_add_f32_e32 v134, v34, v35
	v_add_f32_e32 v35, v36, v37
	v_mul_f32_e32 v146, v35, v144
	v_sub_f32_e32 v34, v36, v35
	v_mul_f32_e32 v36, v130, v146
	v_fma_f32 v38, v146, v130, -v36
	v_fmac_f32_e32 v38, v146, v134
	v_add_f32_e32 v145, v37, v34
	v_add_f32_e32 v34, v36, v38
	v_sub_f32_e32 v37, v35, v34
	v_pk_add_f32 v[132:133], v[34:35], v[36:37] neg_lo:[0,1] neg_hi:[0,1]
	v_mov_b32_e32 v39, v34
	v_pk_add_f32 v[34:35], v[132:133], v[38:39] neg_lo:[0,1] neg_hi:[0,1]
	v_cmp_eq_f32_e32 vcc, s47, v129
	v_add_f32_e32 v35, v145, v35
	v_add_f32_e32 v34, v34, v35
	v_add_f32_e32 v35, v37, v34
	v_mul_f32_e32 v145, v144, v35
	v_mul_f32_e32 v36, v130, v145
	v_fma_f32 v38, v145, v130, -v36
	v_fmac_f32_e32 v38, v145, v134
	v_sub_f32_e32 v37, v37, v35
	v_add_f32_e32 v130, v34, v37
	v_add_f32_e32 v34, v36, v38
	v_sub_f32_e32 v37, v35, v34
	v_pk_add_f32 v[132:133], v[34:35], v[36:37] neg_lo:[0,1] neg_hi:[0,1]
	v_mov_b32_e32 v39, v34
	v_pk_add_f32 v[34:35], v[132:133], v[38:39] neg_lo:[0,1] neg_hi:[0,1]
	v_cvt_f32_i32_e32 v36, v118
	v_add_f32_e32 v35, v130, v35
	v_add_f32_e32 v34, v34, v35
	v_add_f32_e32 v34, v37, v34
	v_add_f32_e32 v37, v146, v145
	v_sub_f32_e32 v35, v37, v146
	v_mul_f32_e32 v34, v144, v34
	v_sub_f32_e32 v35, v145, v35
	v_add_f32_e32 v34, v35, v34
	v_add_f32_e32 v38, v37, v34
	v_mul_f32_e32 v130, v38, v38
	v_mov_b32_e32 v35, 0x3ecc95a3
	v_sub_f32_e32 v37, v38, v37
	v_fmac_f32_e32 v35, 0x3e9b6dac, v130
	v_sub_f32_e32 v34, v34, v37
	v_fmaak_f32 v35, v130, v35, 0x3f2aaada
	v_ldexp_f32 v118, v34, 1
	v_mul_f32_e32 v37, v38, v130
	v_mov_b32_e32 v34, 0x3f317218
	v_pk_mul_f32 v[34:35], v[36:37], v[34:35]
	v_ldexp_f32 v39, v38, 1
	v_fma_f32 v37, v36, s13, -v34
	v_fmamk_f32 v38, v36, 0xb102e308, v37
	v_pk_add_f32 v[36:37], v[34:35], v[38:39]
	v_mov_b32_e32 v132, v34
	v_sub_f32_e32 v39, v37, v39
	v_sub_f32_e32 v39, v35, v39
	v_add_f32_e32 v133, v118, v39
	v_pk_add_f32 v[34:35], v[36:37], v[34:35] neg_lo:[0,1] neg_hi:[0,1]
	v_pk_add_f32 v[144:145], v[36:37], v[132:133]
	v_mov_b32_e32 v39, v36
	v_mov_b32_e32 v35, v145
	v_pk_add_f32 v[146:147], v[38:39], v[34:35] neg_lo:[0,1] neg_hi:[0,1]
	v_pk_add_f32 v[34:35], v[38:39], v[34:35]
	v_mov_b32_e32 v132, v133
	v_mov_b32_e32 v38, v35
	v_pk_add_f32 v[148:149], v[38:39], v[36:37] neg_lo:[0,1] neg_hi:[0,1]
	v_mov_b32_e32 v34, v145
	v_mov_b32_e32 v39, v148
	v_pk_add_f32 v[150:151], v[144:145], v[38:39] neg_lo:[0,1] neg_hi:[0,1]
	v_mov_b32_e32 v144, v37
	v_mov_b32_e32 v145, v148
	;; [unrolled: 1-line block ×3, first 2 shown]
	v_pk_add_f32 v[34:35], v[34:35], v[144:145] neg_lo:[0,1] neg_hi:[0,1]
	v_mov_b32_e32 v133, v36
	v_pk_add_f32 v[34:35], v[132:133], v[34:35] neg_lo:[0,1] neg_hi:[0,1]
	v_mov_b32_e32 v150, v146
	v_pk_add_f32 v[36:37], v[150:151], v[34:35]
	s_mov_b32 s13, 0x33800000
	v_mov_b32_e32 v118, v37
	v_pk_add_f32 v[132:133], v[36:37], v[118:119]
	v_cmp_lt_f32_e64 s[48:49], |v129|, s13
	v_pk_add_f32 v[38:39], v[38:39], v[132:133]
	v_mov_b32_e32 v35, v132
	v_mov_b32_e32 v37, v38
	v_pk_add_f32 v[144:145], v[36:37], v[146:147] neg_lo:[0,1] neg_hi:[0,1]
	s_or_b64 vcc, vcc, s[48:49]
	v_sub_f32_e32 v36, v36, v144
	v_pk_add_f32 v[34:35], v[34:35], v[144:145] neg_lo:[0,1] neg_hi:[0,1]
	v_sub_f32_e32 v36, v146, v36
	v_add_f32_e32 v34, v34, v36
	v_add_f32_e32 v34, v34, v35
	;; [unrolled: 1-line block ×3, first 2 shown]
	v_cndmask_b32_e32 v34, v34, v129, vcc
	v_add_f32_e32 v34, v32, v34
.LBB499_93:
	s_or_b64 exec, exec, s[44:45]
	v_bfe_u32 v32, v34, 16, 1
	v_add3_u32 v32, v34, v32, s46
	v_and_b32_e32 v32, 0xffff0000, v32
	v_cmp_o_f32_e32 vcc, v34, v34
	s_movk_i32 s13, 0x1f8
	s_nop 0
	v_cndmask_b32_e32 v34, v33, v32, vcc
	v_mov_b32_e32 v32, 16
	v_lshlrev_b32_sdwa v118, v32, v18 dst_sel:DWORD dst_unused:UNUSED_PAD src0_sel:DWORD src1_sel:WORD_1
	v_max_f32_e32 v33, v34, v34
	v_max_f32_e32 v132, v118, v118
	v_min_f32_e32 v35, v33, v132
	v_cmp_u_f32_e32 vcc, v34, v34
	v_max_f32_e32 v33, v33, v132
	v_cmp_u_f32_e64 s[44:45], v118, v118
	v_cndmask_b32_e32 v35, v35, v34, vcc
	v_cndmask_b32_e32 v33, v33, v34, vcc
	v_cndmask_b32_e64 v35, v35, v118, s[44:45]
	v_cndmask_b32_e64 v33, v33, v118, s[44:45]
	v_cmp_neq_f32_e32 vcc, v35, v33
	v_cmp_class_f32_e64 s[46:47], v35, s13
	s_or_b64 vcc, vcc, s[46:47]
	s_and_saveexec_b64 s[46:47], vcc
	s_cbranch_execz .LBB499_95
; %bb.94:
	v_sub_f32_e32 v34, v35, v33
	s_mov_b32 s48, 0x3fb8aa3b
	v_mul_f32_e32 v35, 0x3fb8aa3b, v34
	v_fma_f32 v36, v34, s48, -v35
	v_rndne_f32_e32 v37, v35
	v_fmamk_f32 v36, v34, 0x32a5705f, v36
	v_sub_f32_e32 v35, v35, v37
	v_add_f32_e32 v35, v35, v36
	v_exp_f32_e32 v35, v35
	v_cvt_i32_f32_e32 v36, v37
	s_mov_b32 s48, 0xc2ce8ed0
	v_cmp_ngt_f32_e32 vcc, s48, v34
	s_mov_b32 s48, 0x42b17218
	v_ldexp_f32 v35, v35, v36
	v_cndmask_b32_e32 v35, 0, v35, vcc
	v_mov_b32_e32 v36, 0x7f800000
	v_cmp_nlt_f32_e32 vcc, s48, v34
	s_mov_b32 s48, 0x3f2aaaab
	s_mov_b32 s49, 0x7f800000
	v_cndmask_b32_e32 v129, v36, v35, vcc
	v_add_f32_e32 v36, 1.0, v129
	v_add_f32_e32 v34, -1.0, v36
	v_sub_f32_e32 v35, v34, v36
	v_add_f32_e32 v35, 1.0, v35
	v_sub_f32_e32 v34, v129, v34
	v_add_f32_e32 v37, v34, v35
	v_frexp_mant_f32_e32 v38, v36
	v_cvt_f64_f32_e32 v[34:35], v36
	v_frexp_exp_i32_f64_e32 v34, v[34:35]
	v_cmp_gt_f32_e32 vcc, s48, v38
	s_mov_b32 s48, 0x3f317218
	s_nop 0
	v_subbrev_co_u32_e32 v130, vcc, 0, v34, vcc
	v_sub_u32_e32 v34, 0, v130
	v_ldexp_f32 v35, v36, v34
	v_add_f32_e32 v36, -1.0, v35
	v_add_f32_e32 v38, 1.0, v35
	v_ldexp_f32 v34, v37, v34
	v_add_f32_e32 v37, 1.0, v36
	v_add_f32_e32 v39, -1.0, v38
	v_sub_f32_e32 v37, v35, v37
	v_sub_f32_e32 v35, v35, v39
	v_add_f32_e32 v37, v34, v37
	v_add_f32_e32 v34, v34, v35
	;; [unrolled: 1-line block ×3, first 2 shown]
	v_rcp_f32_e32 v146, v133
	v_sub_f32_e32 v35, v38, v133
	v_add_f32_e32 v134, v34, v35
	v_add_f32_e32 v35, v36, v37
	v_mul_f32_e32 v148, v35, v146
	v_sub_f32_e32 v34, v36, v35
	v_mul_f32_e32 v36, v133, v148
	v_fma_f32 v38, v148, v133, -v36
	v_fmac_f32_e32 v38, v148, v134
	v_add_f32_e32 v147, v37, v34
	v_add_f32_e32 v34, v36, v38
	v_sub_f32_e32 v37, v35, v34
	v_pk_add_f32 v[144:145], v[34:35], v[36:37] neg_lo:[0,1] neg_hi:[0,1]
	v_mov_b32_e32 v39, v34
	v_pk_add_f32 v[34:35], v[144:145], v[38:39] neg_lo:[0,1] neg_hi:[0,1]
	v_cmp_eq_f32_e32 vcc, s49, v129
	v_add_f32_e32 v35, v147, v35
	v_add_f32_e32 v34, v34, v35
	;; [unrolled: 1-line block ×3, first 2 shown]
	v_mul_f32_e32 v147, v146, v35
	v_mul_f32_e32 v36, v133, v147
	v_fma_f32 v38, v147, v133, -v36
	v_fmac_f32_e32 v38, v147, v134
	v_sub_f32_e32 v37, v37, v35
	v_add_f32_e32 v133, v34, v37
	v_add_f32_e32 v34, v36, v38
	v_sub_f32_e32 v37, v35, v34
	v_pk_add_f32 v[144:145], v[34:35], v[36:37] neg_lo:[0,1] neg_hi:[0,1]
	v_mov_b32_e32 v39, v34
	v_pk_add_f32 v[34:35], v[144:145], v[38:39] neg_lo:[0,1] neg_hi:[0,1]
	v_cvt_f32_i32_e32 v36, v130
	v_add_f32_e32 v35, v133, v35
	v_add_f32_e32 v34, v34, v35
	;; [unrolled: 1-line block ×4, first 2 shown]
	v_sub_f32_e32 v35, v37, v148
	v_mul_f32_e32 v34, v146, v34
	v_sub_f32_e32 v35, v147, v35
	v_add_f32_e32 v34, v35, v34
	v_add_f32_e32 v38, v37, v34
	v_mul_f32_e32 v133, v38, v38
	v_mov_b32_e32 v35, 0x3ecc95a3
	v_sub_f32_e32 v37, v38, v37
	v_fmac_f32_e32 v35, 0x3e9b6dac, v133
	v_sub_f32_e32 v34, v34, v37
	v_fmaak_f32 v35, v133, v35, 0x3f2aaada
	v_ldexp_f32 v130, v34, 1
	v_mul_f32_e32 v37, v38, v133
	v_mov_b32_e32 v34, 0x3f317218
	v_pk_mul_f32 v[34:35], v[36:37], v[34:35]
	v_ldexp_f32 v39, v38, 1
	v_fma_f32 v37, v36, s48, -v34
	v_fmamk_f32 v38, v36, 0xb102e308, v37
	v_pk_add_f32 v[36:37], v[34:35], v[38:39]
	v_mov_b32_e32 v144, v34
	v_sub_f32_e32 v39, v37, v39
	v_sub_f32_e32 v39, v35, v39
	v_add_f32_e32 v145, v130, v39
	v_pk_add_f32 v[34:35], v[36:37], v[34:35] neg_lo:[0,1] neg_hi:[0,1]
	v_pk_add_f32 v[146:147], v[36:37], v[144:145]
	v_mov_b32_e32 v39, v36
	v_mov_b32_e32 v35, v147
	v_pk_add_f32 v[148:149], v[38:39], v[34:35] neg_lo:[0,1] neg_hi:[0,1]
	v_pk_add_f32 v[34:35], v[38:39], v[34:35]
	v_mov_b32_e32 v144, v145
	v_mov_b32_e32 v38, v35
	v_pk_add_f32 v[150:151], v[38:39], v[36:37] neg_lo:[0,1] neg_hi:[0,1]
	v_mov_b32_e32 v34, v147
	v_mov_b32_e32 v39, v150
	v_pk_add_f32 v[160:161], v[146:147], v[38:39] neg_lo:[0,1] neg_hi:[0,1]
	v_mov_b32_e32 v146, v37
	v_mov_b32_e32 v147, v150
	;; [unrolled: 1-line block ×3, first 2 shown]
	v_pk_add_f32 v[34:35], v[34:35], v[146:147] neg_lo:[0,1] neg_hi:[0,1]
	v_mov_b32_e32 v145, v36
	v_pk_add_f32 v[34:35], v[144:145], v[34:35] neg_lo:[0,1] neg_hi:[0,1]
	v_mov_b32_e32 v160, v148
	v_pk_add_f32 v[36:37], v[160:161], v[34:35]
	s_mov_b32 s48, 0x33800000
	v_mov_b32_e32 v130, v37
	v_pk_add_f32 v[144:145], v[36:37], v[130:131]
	v_cmp_lt_f32_e64 s[48:49], |v129|, s48
	v_pk_add_f32 v[38:39], v[38:39], v[144:145]
	v_mov_b32_e32 v35, v144
	v_mov_b32_e32 v37, v38
	v_pk_add_f32 v[146:147], v[36:37], v[148:149] neg_lo:[0,1] neg_hi:[0,1]
	s_or_b64 vcc, vcc, s[48:49]
	v_sub_f32_e32 v36, v36, v146
	v_pk_add_f32 v[34:35], v[34:35], v[146:147] neg_lo:[0,1] neg_hi:[0,1]
	v_sub_f32_e32 v36, v148, v36
	v_add_f32_e32 v34, v34, v36
	v_add_f32_e32 v34, v34, v35
	v_add_f32_e32 v34, v38, v34
	v_cndmask_b32_e32 v34, v34, v129, vcc
	v_add_f32_e32 v34, v33, v34
.LBB499_95:
	s_or_b64 exec, exec, s[46:47]
	v_bfe_u32 v33, v34, 16, 1
	s_movk_i32 s52, 0x7fff
	v_add3_u32 v33, v34, v33, s52
	v_and_b32_e32 v35, 0xffff0000, v33
	v_mov_b32_e32 v33, 0x7fc00000
	v_cmp_o_f32_e32 vcc, v34, v34
	v_lshlrev_b32_sdwa v129, v32, v19 dst_sel:DWORD dst_unused:UNUSED_PAD src0_sel:DWORD src1_sel:WORD_0
	v_max_f32_e32 v133, v129, v129
	v_cndmask_b32_e32 v34, v33, v35, vcc
	v_max_f32_e32 v32, v34, v34
	v_min_f32_e32 v35, v32, v133
	v_cmp_u_f32_e32 vcc, v34, v34
	v_max_f32_e32 v32, v32, v133
	v_cmp_u_f32_e64 s[46:47], v129, v129
	v_cndmask_b32_e32 v35, v35, v34, vcc
	v_cndmask_b32_e32 v32, v32, v34, vcc
	v_cndmask_b32_e64 v35, v35, v129, s[46:47]
	v_cndmask_b32_e64 v32, v32, v129, s[46:47]
	v_cmp_neq_f32_e32 vcc, v35, v32
	v_cmp_class_f32_e64 s[48:49], v35, s13
	s_or_b64 vcc, vcc, s[48:49]
	s_and_saveexec_b64 s[48:49], vcc
	s_cbranch_execz .LBB499_97
; %bb.96:
	v_sub_f32_e32 v34, v35, v32
	s_mov_b32 s13, 0x3fb8aa3b
	v_mul_f32_e32 v35, 0x3fb8aa3b, v34
	v_fma_f32 v36, v34, s13, -v35
	v_rndne_f32_e32 v37, v35
	v_fmamk_f32 v36, v34, 0x32a5705f, v36
	v_sub_f32_e32 v35, v35, v37
	v_add_f32_e32 v35, v35, v36
	v_exp_f32_e32 v35, v35
	v_cvt_i32_f32_e32 v36, v37
	s_mov_b32 s13, 0xc2ce8ed0
	v_cmp_ngt_f32_e32 vcc, s13, v34
	s_mov_b32 s13, 0x42b17218
	v_ldexp_f32 v35, v35, v36
	v_cndmask_b32_e32 v35, 0, v35, vcc
	v_mov_b32_e32 v36, 0x7f800000
	v_cmp_nlt_f32_e32 vcc, s13, v34
	s_mov_b32 s13, 0x3f2aaaab
	s_mov_b32 s53, 0x7f800000
	v_cndmask_b32_e32 v134, v36, v35, vcc
	v_add_f32_e32 v36, 1.0, v134
	v_add_f32_e32 v34, -1.0, v36
	v_sub_f32_e32 v35, v34, v36
	v_add_f32_e32 v35, 1.0, v35
	v_sub_f32_e32 v34, v134, v34
	v_add_f32_e32 v37, v34, v35
	v_frexp_mant_f32_e32 v38, v36
	v_cvt_f64_f32_e32 v[34:35], v36
	v_frexp_exp_i32_f64_e32 v34, v[34:35]
	v_cmp_gt_f32_e32 vcc, s13, v38
	s_mov_b32 s13, 0x3f317218
	s_nop 0
	v_subbrev_co_u32_e32 v130, vcc, 0, v34, vcc
	v_sub_u32_e32 v34, 0, v130
	v_ldexp_f32 v35, v36, v34
	v_add_f32_e32 v36, -1.0, v35
	v_add_f32_e32 v38, 1.0, v35
	v_ldexp_f32 v34, v37, v34
	v_add_f32_e32 v37, 1.0, v36
	v_add_f32_e32 v39, -1.0, v38
	v_sub_f32_e32 v37, v35, v37
	v_sub_f32_e32 v35, v35, v39
	v_add_f32_e32 v37, v34, v37
	v_add_f32_e32 v34, v34, v35
	;; [unrolled: 1-line block ×3, first 2 shown]
	v_rcp_f32_e32 v148, v146
	v_sub_f32_e32 v35, v38, v146
	v_add_f32_e32 v147, v34, v35
	v_add_f32_e32 v35, v36, v37
	v_mul_f32_e32 v150, v35, v148
	v_sub_f32_e32 v34, v36, v35
	v_mul_f32_e32 v36, v146, v150
	v_fma_f32 v38, v150, v146, -v36
	v_fmac_f32_e32 v38, v150, v147
	v_add_f32_e32 v149, v37, v34
	v_add_f32_e32 v34, v36, v38
	v_sub_f32_e32 v37, v35, v34
	v_pk_add_f32 v[144:145], v[34:35], v[36:37] neg_lo:[0,1] neg_hi:[0,1]
	v_mov_b32_e32 v39, v34
	v_pk_add_f32 v[34:35], v[144:145], v[38:39] neg_lo:[0,1] neg_hi:[0,1]
	v_cmp_eq_f32_e32 vcc, s53, v134
	v_add_f32_e32 v35, v149, v35
	v_add_f32_e32 v34, v34, v35
	;; [unrolled: 1-line block ×3, first 2 shown]
	v_mul_f32_e32 v149, v148, v35
	v_mul_f32_e32 v36, v146, v149
	v_fma_f32 v38, v149, v146, -v36
	v_fmac_f32_e32 v38, v149, v147
	v_sub_f32_e32 v37, v37, v35
	v_add_f32_e32 v146, v34, v37
	v_add_f32_e32 v34, v36, v38
	v_sub_f32_e32 v37, v35, v34
	v_pk_add_f32 v[144:145], v[34:35], v[36:37] neg_lo:[0,1] neg_hi:[0,1]
	v_mov_b32_e32 v39, v34
	v_pk_add_f32 v[34:35], v[144:145], v[38:39] neg_lo:[0,1] neg_hi:[0,1]
	v_cvt_f32_i32_e32 v36, v130
	v_add_f32_e32 v35, v146, v35
	v_add_f32_e32 v34, v34, v35
	;; [unrolled: 1-line block ×4, first 2 shown]
	v_sub_f32_e32 v35, v37, v150
	v_mul_f32_e32 v34, v148, v34
	v_sub_f32_e32 v35, v149, v35
	v_add_f32_e32 v34, v35, v34
	v_add_f32_e32 v38, v37, v34
	v_mul_f32_e32 v144, v38, v38
	v_mov_b32_e32 v35, 0x3ecc95a3
	v_sub_f32_e32 v37, v38, v37
	v_fmac_f32_e32 v35, 0x3e9b6dac, v144
	v_sub_f32_e32 v34, v34, v37
	v_fmaak_f32 v35, v144, v35, 0x3f2aaada
	v_ldexp_f32 v130, v34, 1
	v_mul_f32_e32 v37, v38, v144
	v_mov_b32_e32 v34, 0x3f317218
	v_pk_mul_f32 v[34:35], v[36:37], v[34:35]
	v_ldexp_f32 v39, v38, 1
	v_fma_f32 v37, v36, s13, -v34
	v_fmamk_f32 v38, v36, 0xb102e308, v37
	v_pk_add_f32 v[36:37], v[34:35], v[38:39]
	v_mov_b32_e32 v144, v34
	v_sub_f32_e32 v39, v37, v39
	v_sub_f32_e32 v39, v35, v39
	v_add_f32_e32 v145, v130, v39
	v_pk_add_f32 v[34:35], v[36:37], v[34:35] neg_lo:[0,1] neg_hi:[0,1]
	v_pk_add_f32 v[146:147], v[36:37], v[144:145]
	v_mov_b32_e32 v39, v36
	v_mov_b32_e32 v35, v147
	v_pk_add_f32 v[148:149], v[38:39], v[34:35] neg_lo:[0,1] neg_hi:[0,1]
	v_pk_add_f32 v[34:35], v[38:39], v[34:35]
	v_mov_b32_e32 v144, v145
	v_mov_b32_e32 v38, v35
	v_pk_add_f32 v[150:151], v[38:39], v[36:37] neg_lo:[0,1] neg_hi:[0,1]
	v_mov_b32_e32 v34, v147
	v_mov_b32_e32 v39, v150
	v_pk_add_f32 v[160:161], v[146:147], v[38:39] neg_lo:[0,1] neg_hi:[0,1]
	v_mov_b32_e32 v146, v37
	v_mov_b32_e32 v147, v150
	;; [unrolled: 1-line block ×3, first 2 shown]
	v_pk_add_f32 v[34:35], v[34:35], v[146:147] neg_lo:[0,1] neg_hi:[0,1]
	v_mov_b32_e32 v145, v36
	v_pk_add_f32 v[34:35], v[144:145], v[34:35] neg_lo:[0,1] neg_hi:[0,1]
	v_mov_b32_e32 v160, v148
	v_pk_add_f32 v[36:37], v[160:161], v[34:35]
	s_mov_b32 s13, 0x33800000
	v_mov_b32_e32 v130, v37
	v_pk_add_f32 v[144:145], v[36:37], v[130:131]
	v_cmp_lt_f32_e64 s[56:57], |v134|, s13
	v_pk_add_f32 v[38:39], v[38:39], v[144:145]
	v_mov_b32_e32 v35, v144
	v_mov_b32_e32 v37, v38
	v_pk_add_f32 v[146:147], v[36:37], v[148:149] neg_lo:[0,1] neg_hi:[0,1]
	s_or_b64 vcc, vcc, s[56:57]
	v_sub_f32_e32 v36, v36, v146
	v_pk_add_f32 v[34:35], v[34:35], v[146:147] neg_lo:[0,1] neg_hi:[0,1]
	v_sub_f32_e32 v36, v148, v36
	v_add_f32_e32 v34, v34, v36
	v_add_f32_e32 v34, v34, v35
	;; [unrolled: 1-line block ×3, first 2 shown]
	v_cndmask_b32_e32 v34, v34, v134, vcc
	v_add_f32_e32 v34, v32, v34
.LBB499_97:
	s_or_b64 exec, exec, s[48:49]
	v_bfe_u32 v32, v34, 16, 1
	v_add3_u32 v32, v34, v32, s52
	v_and_b32_e32 v32, 0xffff0000, v32
	v_cmp_o_f32_e32 vcc, v34, v34
	s_movk_i32 s13, 0x1f8
	s_nop 0
	v_cndmask_b32_e32 v33, v33, v32, vcc
	v_mov_b32_e32 v32, 16
	v_lshlrev_b32_sdwa v130, v32, v19 dst_sel:DWORD dst_unused:UNUSED_PAD src0_sel:DWORD src1_sel:WORD_1
	v_max_f32_e32 v32, v33, v33
	v_max_f32_e32 v134, v130, v130
	v_min_f32_e32 v34, v32, v134
	v_cmp_u_f32_e32 vcc, v33, v33
	v_max_f32_e32 v32, v32, v134
	v_cmp_u_f32_e64 s[48:49], v130, v130
	v_cndmask_b32_e32 v34, v34, v33, vcc
	v_cndmask_b32_e32 v32, v32, v33, vcc
	v_cndmask_b32_e64 v34, v34, v130, s[48:49]
	v_cndmask_b32_e64 v32, v32, v130, s[48:49]
	v_cmp_neq_f32_e32 vcc, v34, v32
	v_cmp_class_f32_e64 s[52:53], v34, s13
	s_or_b64 vcc, vcc, s[52:53]
	s_and_saveexec_b64 s[52:53], vcc
	s_cbranch_execz .LBB499_99
; %bb.98:
	v_sub_f32_e32 v33, v34, v32
	s_mov_b32 s13, 0x3fb8aa3b
	v_mul_f32_e32 v34, 0x3fb8aa3b, v33
	v_fma_f32 v35, v33, s13, -v34
	v_rndne_f32_e32 v36, v34
	v_fmamk_f32 v35, v33, 0x32a5705f, v35
	v_sub_f32_e32 v34, v34, v36
	v_add_f32_e32 v34, v34, v35
	v_exp_f32_e32 v34, v34
	v_cvt_i32_f32_e32 v35, v36
	s_mov_b32 s13, 0xc2ce8ed0
	v_cmp_ngt_f32_e32 vcc, s13, v33
	s_mov_b32 s13, 0x42b17218
	v_ldexp_f32 v34, v34, v35
	v_cndmask_b32_e32 v34, 0, v34, vcc
	v_mov_b32_e32 v35, 0x7f800000
	v_cmp_nlt_f32_e32 vcc, s13, v33
	s_mov_b32 s13, 0x3f2aaaab
	s_mov_b32 s56, 0x7f800000
	v_cndmask_b32_e32 v162, v35, v34, vcc
	v_add_f32_e32 v33, 1.0, v162
	v_add_f32_e32 v34, -1.0, v33
	v_sub_f32_e32 v35, v34, v33
	v_add_f32_e32 v35, 1.0, v35
	v_sub_f32_e32 v34, v162, v34
	v_add_f32_e32 v36, v34, v35
	v_frexp_mant_f32_e32 v37, v33
	v_cvt_f64_f32_e32 v[34:35], v33
	v_frexp_exp_i32_f64_e32 v34, v[34:35]
	v_cmp_gt_f32_e32 vcc, s13, v37
	s_mov_b32 s13, 0x3f317218
	s_nop 0
	v_subbrev_co_u32_e32 v146, vcc, 0, v34, vcc
	v_sub_u32_e32 v34, 0, v146
	v_ldexp_f32 v33, v33, v34
	v_ldexp_f32 v34, v36, v34
	v_add_f32_e32 v36, -1.0, v33
	v_add_f32_e32 v35, 1.0, v36
	v_sub_f32_e32 v35, v33, v35
	v_add_f32_e32 v37, v34, v35
	v_add_f32_e32 v35, 1.0, v33
	v_add_f32_e32 v38, -1.0, v35
	v_sub_f32_e32 v33, v33, v38
	v_add_f32_e32 v33, v34, v33
	v_add_f32_e32 v147, v35, v33
	v_rcp_f32_e32 v148, v147
	v_sub_f32_e32 v34, v35, v147
	v_add_f32_e32 v35, v36, v37
	v_add_f32_e32 v33, v33, v34
	v_mul_f32_e32 v150, v35, v148
	v_sub_f32_e32 v34, v36, v35
	v_mul_f32_e32 v36, v147, v150
	v_fma_f32 v38, v150, v147, -v36
	v_fmac_f32_e32 v38, v150, v33
	v_add_f32_e32 v149, v37, v34
	v_add_f32_e32 v34, v36, v38
	v_sub_f32_e32 v37, v35, v34
	v_pk_add_f32 v[144:145], v[34:35], v[36:37] neg_lo:[0,1] neg_hi:[0,1]
	v_mov_b32_e32 v39, v34
	v_pk_add_f32 v[34:35], v[144:145], v[38:39] neg_lo:[0,1] neg_hi:[0,1]
	v_cmp_eq_f32_e32 vcc, s56, v162
	v_add_f32_e32 v35, v149, v35
	v_add_f32_e32 v34, v34, v35
	v_add_f32_e32 v35, v37, v34
	v_mul_f32_e32 v149, v148, v35
	v_mul_f32_e32 v36, v147, v149
	v_fma_f32 v38, v149, v147, -v36
	v_fmac_f32_e32 v38, v149, v33
	v_sub_f32_e32 v33, v37, v35
	v_add_f32_e32 v33, v34, v33
	v_add_f32_e32 v34, v36, v38
	v_sub_f32_e32 v37, v35, v34
	v_pk_add_f32 v[144:145], v[34:35], v[36:37] neg_lo:[0,1] neg_hi:[0,1]
	v_mov_b32_e32 v39, v34
	v_pk_add_f32 v[34:35], v[144:145], v[38:39] neg_lo:[0,1] neg_hi:[0,1]
	v_cvt_f32_i32_e32 v36, v146
	v_add_f32_e32 v33, v33, v35
	v_add_f32_e32 v33, v34, v33
	v_add_f32_e32 v34, v150, v149
	v_add_f32_e32 v33, v37, v33
	v_sub_f32_e32 v35, v34, v150
	v_mul_f32_e32 v33, v148, v33
	v_sub_f32_e32 v35, v149, v35
	v_add_f32_e32 v33, v35, v33
	v_add_f32_e32 v37, v34, v33
	v_mul_f32_e32 v38, v37, v37
	v_mov_b32_e32 v35, 0x3ecc95a3
	v_fmac_f32_e32 v35, 0x3e9b6dac, v38
	v_sub_f32_e32 v34, v37, v34
	v_fmaak_f32 v35, v38, v35, 0x3f2aaada
	v_sub_f32_e32 v33, v33, v34
	v_ldexp_f32 v39, v37, 1
	v_mul_f32_e32 v37, v37, v38
	v_mov_b32_e32 v34, 0x3f317218
	v_pk_mul_f32 v[34:35], v[36:37], v[34:35]
	v_ldexp_f32 v33, v33, 1
	v_fma_f32 v37, v36, s13, -v34
	v_fmamk_f32 v38, v36, 0xb102e308, v37
	v_pk_add_f32 v[36:37], v[34:35], v[38:39]
	v_mov_b32_e32 v144, v34
	v_sub_f32_e32 v39, v37, v39
	v_sub_f32_e32 v39, v35, v39
	v_add_f32_e32 v145, v33, v39
	v_pk_add_f32 v[34:35], v[36:37], v[34:35] neg_lo:[0,1] neg_hi:[0,1]
	v_pk_add_f32 v[146:147], v[36:37], v[144:145]
	v_mov_b32_e32 v39, v36
	v_mov_b32_e32 v35, v147
	v_pk_add_f32 v[148:149], v[38:39], v[34:35] neg_lo:[0,1] neg_hi:[0,1]
	v_pk_add_f32 v[34:35], v[38:39], v[34:35]
	v_mov_b32_e32 v144, v145
	v_mov_b32_e32 v38, v35
	v_pk_add_f32 v[150:151], v[38:39], v[36:37] neg_lo:[0,1] neg_hi:[0,1]
	v_mov_b32_e32 v34, v147
	v_mov_b32_e32 v33, v150
	v_pk_add_f32 v[160:161], v[146:147], v[32:33] neg_lo:[0,1] neg_hi:[0,1]
	v_mov_b32_e32 v146, v37
	v_mov_b32_e32 v147, v150
	;; [unrolled: 1-line block ×3, first 2 shown]
	v_pk_add_f32 v[34:35], v[34:35], v[146:147] neg_lo:[0,1] neg_hi:[0,1]
	v_mov_b32_e32 v145, v36
	v_pk_add_f32 v[34:35], v[144:145], v[34:35] neg_lo:[0,1] neg_hi:[0,1]
	v_mov_b32_e32 v160, v148
	v_pk_add_f32 v[36:37], v[160:161], v[34:35]
	s_mov_b32 s13, 0x33800000
	v_mov_b32_e32 v144, v37
	v_pk_add_f32 v[144:145], v[36:37], v[144:145]
	v_cmp_lt_f32_e64 s[56:57], |v162|, s13
	v_pk_add_f32 v[38:39], v[38:39], v[144:145]
	v_mov_b32_e32 v35, v144
	v_mov_b32_e32 v37, v38
	v_pk_add_f32 v[146:147], v[36:37], v[148:149] neg_lo:[0,1] neg_hi:[0,1]
	s_or_b64 vcc, vcc, s[56:57]
	v_sub_f32_e32 v33, v36, v146
	v_pk_add_f32 v[34:35], v[34:35], v[146:147] neg_lo:[0,1] neg_hi:[0,1]
	v_sub_f32_e32 v33, v148, v33
	v_add_f32_e32 v33, v34, v33
	v_add_f32_e32 v33, v33, v35
	;; [unrolled: 1-line block ×3, first 2 shown]
	v_cndmask_b32_e32 v33, v33, v162, vcc
	v_add_f32_e32 v33, v32, v33
.LBB499_99:
	s_or_b64 exec, exec, s[52:53]
	v_bfe_u32 v32, v33, 16, 1
	s_movk_i32 s13, 0x7fff
	v_add3_u32 v32, v33, v32, s13
	v_lshrrev_b32_e32 v32, 16, v32
	v_mov_b32_e32 v34, 0x7fc0
	v_cmp_o_f32_e32 vcc, v33, v33
	s_nop 1
	v_cndmask_b32_e32 v34, v34, v32, vcc
	v_mbcnt_lo_u32_b32 v32, -1, 0
	v_mbcnt_hi_u32_b32 v33, -1, v32
	v_and_b32_e32 v32, 15, v33
	v_and_b32_e32 v35, 0xffff, v34
	v_cmp_ne_u32_e32 vcc, 0, v32
	s_nop 0
	v_mov_b32_dpp v36, v35 row_shr:1 row_mask:0xf bank_mask:0xf
	s_and_saveexec_b64 s[56:57], vcc
	s_cbranch_execz .LBB499_103
; %bb.100:
	v_lshlrev_b32_e32 v36, 16, v36
	v_lshlrev_b32_e32 v34, 16, v35
	v_max_f32_e32 v37, v34, v34
	v_max_f32_e32 v38, v36, v36
	v_min_f32_e32 v35, v38, v37
	v_cmp_u_f32_e32 vcc, v36, v36
	v_max_f32_e32 v37, v38, v37
	v_cmp_u_f32_e64 s[52:53], v34, v34
	v_cndmask_b32_e32 v35, v35, v36, vcc
	v_cndmask_b32_e32 v37, v37, v36, vcc
	v_cndmask_b32_e64 v35, v35, v34, s[52:53]
	v_cndmask_b32_e64 v34, v37, v34, s[52:53]
	s_movk_i32 s13, 0x1f8
	v_cmp_neq_f32_e32 vcc, v35, v34
	v_cmp_class_f32_e64 s[52:53], v35, s13
	s_or_b64 vcc, vcc, s[52:53]
	s_and_saveexec_b64 s[52:53], vcc
	s_cbranch_execz .LBB499_102
; %bb.101:
	v_sub_f32_e32 v35, v35, v34
	s_mov_b32 s13, 0x3fb8aa3b
	v_mul_f32_e32 v36, 0x3fb8aa3b, v35
	v_fma_f32 v37, v35, s13, -v36
	v_rndne_f32_e32 v38, v36
	v_fmamk_f32 v37, v35, 0x32a5705f, v37
	v_sub_f32_e32 v36, v36, v38
	v_add_f32_e32 v36, v36, v37
	v_exp_f32_e32 v36, v36
	v_cvt_i32_f32_e32 v37, v38
	s_mov_b32 s13, 0xc2ce8ed0
	v_cmp_ngt_f32_e32 vcc, s13, v35
	s_mov_b32 s13, 0x42b17218
	v_ldexp_f32 v36, v36, v37
	v_cndmask_b32_e32 v36, 0, v36, vcc
	v_mov_b32_e32 v37, 0x7f800000
	v_cmp_nlt_f32_e32 vcc, s13, v35
	s_mov_b32 s13, 0x3f2aaaab
	s_mov_b32 s60, 0x7f800000
	v_cndmask_b32_e32 v164, v37, v36, vcc
	v_add_f32_e32 v35, 1.0, v164
	v_add_f32_e32 v36, -1.0, v35
	v_sub_f32_e32 v37, v36, v35
	v_add_f32_e32 v37, 1.0, v37
	v_sub_f32_e32 v36, v164, v36
	v_add_f32_e32 v38, v36, v37
	v_frexp_mant_f32_e32 v39, v35
	v_cvt_f64_f32_e32 v[36:37], v35
	v_frexp_exp_i32_f64_e32 v36, v[36:37]
	v_cmp_gt_f32_e32 vcc, s13, v39
	s_mov_b32 s13, 0x3f317218
	s_nop 0
	v_subbrev_co_u32_e32 v148, vcc, 0, v36, vcc
	v_sub_u32_e32 v36, 0, v148
	v_ldexp_f32 v35, v35, v36
	v_ldexp_f32 v36, v38, v36
	v_add_f32_e32 v38, -1.0, v35
	v_add_f32_e32 v37, 1.0, v38
	v_sub_f32_e32 v37, v35, v37
	v_add_f32_e32 v39, v36, v37
	v_add_f32_e32 v37, 1.0, v35
	v_add_f32_e32 v144, -1.0, v37
	v_sub_f32_e32 v35, v35, v144
	v_add_f32_e32 v35, v36, v35
	v_add_f32_e32 v149, v37, v35
	v_rcp_f32_e32 v150, v149
	v_sub_f32_e32 v36, v37, v149
	v_add_f32_e32 v37, v38, v39
	v_add_f32_e32 v35, v35, v36
	v_mul_f32_e32 v160, v37, v150
	v_sub_f32_e32 v36, v38, v37
	v_mul_f32_e32 v38, v149, v160
	v_fma_f32 v144, v160, v149, -v38
	v_fmac_f32_e32 v144, v160, v35
	v_add_f32_e32 v151, v39, v36
	v_add_f32_e32 v36, v38, v144
	v_sub_f32_e32 v39, v37, v36
	v_pk_add_f32 v[146:147], v[36:37], v[38:39] neg_lo:[0,1] neg_hi:[0,1]
	v_mov_b32_e32 v145, v36
	v_pk_add_f32 v[36:37], v[146:147], v[144:145] neg_lo:[0,1] neg_hi:[0,1]
	v_cmp_eq_f32_e32 vcc, s60, v164
	v_add_f32_e32 v37, v151, v37
	v_add_f32_e32 v36, v36, v37
	;; [unrolled: 1-line block ×3, first 2 shown]
	v_mul_f32_e32 v151, v150, v37
	v_mul_f32_e32 v38, v149, v151
	v_fma_f32 v144, v151, v149, -v38
	v_fmac_f32_e32 v144, v151, v35
	v_sub_f32_e32 v35, v39, v37
	v_add_f32_e32 v35, v36, v35
	v_add_f32_e32 v36, v38, v144
	v_sub_f32_e32 v39, v37, v36
	v_pk_add_f32 v[146:147], v[36:37], v[38:39] neg_lo:[0,1] neg_hi:[0,1]
	v_mov_b32_e32 v145, v36
	v_pk_add_f32 v[36:37], v[146:147], v[144:145] neg_lo:[0,1] neg_hi:[0,1]
	v_cvt_f32_i32_e32 v38, v148
	v_add_f32_e32 v35, v35, v37
	v_add_f32_e32 v35, v36, v35
	;; [unrolled: 1-line block ×4, first 2 shown]
	v_sub_f32_e32 v37, v36, v160
	v_mul_f32_e32 v35, v150, v35
	v_sub_f32_e32 v37, v151, v37
	v_add_f32_e32 v35, v37, v35
	v_add_f32_e32 v39, v36, v35
	v_mul_f32_e32 v144, v39, v39
	v_mov_b32_e32 v37, 0x3ecc95a3
	v_fmac_f32_e32 v37, 0x3e9b6dac, v144
	v_sub_f32_e32 v36, v39, v36
	v_fmaak_f32 v37, v144, v37, 0x3f2aaada
	v_sub_f32_e32 v35, v35, v36
	v_ldexp_f32 v145, v39, 1
	v_mul_f32_e32 v39, v39, v144
	v_mov_b32_e32 v36, 0x3f317218
	v_pk_mul_f32 v[36:37], v[38:39], v[36:37]
	v_ldexp_f32 v35, v35, 1
	v_fma_f32 v39, v38, s13, -v36
	v_fmamk_f32 v144, v38, 0xb102e308, v39
	v_pk_add_f32 v[38:39], v[36:37], v[144:145]
	v_mov_b32_e32 v146, v36
	v_sub_f32_e32 v145, v39, v145
	v_sub_f32_e32 v145, v37, v145
	v_add_f32_e32 v147, v35, v145
	v_pk_add_f32 v[36:37], v[38:39], v[36:37] neg_lo:[0,1] neg_hi:[0,1]
	v_pk_add_f32 v[148:149], v[38:39], v[146:147]
	v_mov_b32_e32 v145, v38
	v_mov_b32_e32 v37, v149
	v_pk_add_f32 v[150:151], v[144:145], v[36:37] neg_lo:[0,1] neg_hi:[0,1]
	v_pk_add_f32 v[36:37], v[144:145], v[36:37]
	v_mov_b32_e32 v146, v147
	v_mov_b32_e32 v144, v37
	v_pk_add_f32 v[160:161], v[144:145], v[38:39] neg_lo:[0,1] neg_hi:[0,1]
	v_mov_b32_e32 v36, v149
	v_mov_b32_e32 v35, v160
	v_pk_add_f32 v[162:163], v[148:149], v[34:35] neg_lo:[0,1] neg_hi:[0,1]
	v_mov_b32_e32 v148, v39
	v_mov_b32_e32 v149, v160
	;; [unrolled: 1-line block ×3, first 2 shown]
	v_pk_add_f32 v[36:37], v[36:37], v[148:149] neg_lo:[0,1] neg_hi:[0,1]
	v_mov_b32_e32 v147, v38
	v_pk_add_f32 v[36:37], v[146:147], v[36:37] neg_lo:[0,1] neg_hi:[0,1]
	v_mov_b32_e32 v162, v150
	v_pk_add_f32 v[38:39], v[162:163], v[36:37]
	s_mov_b32 s13, 0x33800000
	v_mov_b32_e32 v146, v39
	v_pk_add_f32 v[146:147], v[38:39], v[146:147]
	v_cmp_lt_f32_e64 s[60:61], |v164|, s13
	v_pk_add_f32 v[144:145], v[144:145], v[146:147]
	v_mov_b32_e32 v37, v146
	v_mov_b32_e32 v39, v144
	v_pk_add_f32 v[148:149], v[38:39], v[150:151] neg_lo:[0,1] neg_hi:[0,1]
	s_or_b64 vcc, vcc, s[60:61]
	v_sub_f32_e32 v35, v38, v148
	v_pk_add_f32 v[36:37], v[36:37], v[148:149] neg_lo:[0,1] neg_hi:[0,1]
	v_sub_f32_e32 v35, v150, v35
	v_add_f32_e32 v35, v36, v35
	v_add_f32_e32 v35, v35, v37
	v_add_f32_e32 v35, v144, v35
	v_cndmask_b32_e32 v35, v35, v164, vcc
	v_add_f32_e32 v36, v34, v35
.LBB499_102:
	s_or_b64 exec, exec, s[52:53]
	v_bfe_u32 v34, v36, 16, 1
	s_movk_i32 s13, 0x7fff
	v_add3_u32 v34, v36, v34, s13
	v_lshrrev_b32_e32 v34, 16, v34
	v_mov_b32_e32 v35, 0x7fc0
	v_cmp_o_f32_e32 vcc, v36, v36
	s_nop 1
	v_cndmask_b32_e32 v34, v35, v34, vcc
	v_and_b32_e32 v35, 0xffff, v34
.LBB499_103:
	s_or_b64 exec, exec, s[56:57]
	s_nop 0
	v_mov_b32_dpp v36, v35 row_shr:2 row_mask:0xf bank_mask:0xf
	v_cmp_lt_u32_e32 vcc, 1, v32
	s_and_saveexec_b64 s[56:57], vcc
	s_cbranch_execz .LBB499_107
; %bb.104:
	v_lshlrev_b32_e32 v36, 16, v36
	v_lshlrev_b32_e32 v34, 16, v35
	v_max_f32_e32 v37, v34, v34
	v_max_f32_e32 v38, v36, v36
	v_min_f32_e32 v35, v38, v37
	v_cmp_u_f32_e32 vcc, v36, v36
	v_max_f32_e32 v37, v38, v37
	v_cmp_u_f32_e64 s[52:53], v34, v34
	v_cndmask_b32_e32 v35, v35, v36, vcc
	v_cndmask_b32_e32 v37, v37, v36, vcc
	v_cndmask_b32_e64 v35, v35, v34, s[52:53]
	v_cndmask_b32_e64 v34, v37, v34, s[52:53]
	s_movk_i32 s13, 0x1f8
	v_cmp_neq_f32_e32 vcc, v35, v34
	v_cmp_class_f32_e64 s[52:53], v35, s13
	s_or_b64 vcc, vcc, s[52:53]
	s_and_saveexec_b64 s[52:53], vcc
	s_cbranch_execz .LBB499_106
; %bb.105:
	v_sub_f32_e32 v35, v35, v34
	s_mov_b32 s13, 0x3fb8aa3b
	v_mul_f32_e32 v36, 0x3fb8aa3b, v35
	v_fma_f32 v37, v35, s13, -v36
	v_rndne_f32_e32 v38, v36
	v_fmamk_f32 v37, v35, 0x32a5705f, v37
	v_sub_f32_e32 v36, v36, v38
	v_add_f32_e32 v36, v36, v37
	v_exp_f32_e32 v36, v36
	v_cvt_i32_f32_e32 v37, v38
	s_mov_b32 s13, 0xc2ce8ed0
	v_cmp_ngt_f32_e32 vcc, s13, v35
	s_mov_b32 s13, 0x42b17218
	v_ldexp_f32 v36, v36, v37
	v_cndmask_b32_e32 v36, 0, v36, vcc
	v_mov_b32_e32 v37, 0x7f800000
	v_cmp_nlt_f32_e32 vcc, s13, v35
	s_mov_b32 s13, 0x3f2aaaab
	s_mov_b32 s60, 0x7f800000
	v_cndmask_b32_e32 v164, v37, v36, vcc
	v_add_f32_e32 v35, 1.0, v164
	v_add_f32_e32 v36, -1.0, v35
	v_sub_f32_e32 v37, v36, v35
	v_add_f32_e32 v37, 1.0, v37
	v_sub_f32_e32 v36, v164, v36
	v_add_f32_e32 v38, v36, v37
	v_frexp_mant_f32_e32 v39, v35
	v_cvt_f64_f32_e32 v[36:37], v35
	v_frexp_exp_i32_f64_e32 v36, v[36:37]
	v_cmp_gt_f32_e32 vcc, s13, v39
	s_mov_b32 s13, 0x3f317218
	s_nop 0
	v_subbrev_co_u32_e32 v148, vcc, 0, v36, vcc
	v_sub_u32_e32 v36, 0, v148
	v_ldexp_f32 v35, v35, v36
	v_ldexp_f32 v36, v38, v36
	v_add_f32_e32 v38, -1.0, v35
	v_add_f32_e32 v37, 1.0, v38
	v_sub_f32_e32 v37, v35, v37
	v_add_f32_e32 v39, v36, v37
	v_add_f32_e32 v37, 1.0, v35
	v_add_f32_e32 v144, -1.0, v37
	v_sub_f32_e32 v35, v35, v144
	v_add_f32_e32 v35, v36, v35
	v_add_f32_e32 v149, v37, v35
	v_rcp_f32_e32 v150, v149
	v_sub_f32_e32 v36, v37, v149
	v_add_f32_e32 v37, v38, v39
	v_add_f32_e32 v35, v35, v36
	v_mul_f32_e32 v160, v37, v150
	v_sub_f32_e32 v36, v38, v37
	v_mul_f32_e32 v38, v149, v160
	v_fma_f32 v144, v160, v149, -v38
	v_fmac_f32_e32 v144, v160, v35
	v_add_f32_e32 v151, v39, v36
	v_add_f32_e32 v36, v38, v144
	v_sub_f32_e32 v39, v37, v36
	v_pk_add_f32 v[146:147], v[36:37], v[38:39] neg_lo:[0,1] neg_hi:[0,1]
	v_mov_b32_e32 v145, v36
	v_pk_add_f32 v[36:37], v[146:147], v[144:145] neg_lo:[0,1] neg_hi:[0,1]
	v_cmp_eq_f32_e32 vcc, s60, v164
	v_add_f32_e32 v37, v151, v37
	v_add_f32_e32 v36, v36, v37
	;; [unrolled: 1-line block ×3, first 2 shown]
	v_mul_f32_e32 v151, v150, v37
	v_mul_f32_e32 v38, v149, v151
	v_fma_f32 v144, v151, v149, -v38
	v_fmac_f32_e32 v144, v151, v35
	v_sub_f32_e32 v35, v39, v37
	v_add_f32_e32 v35, v36, v35
	v_add_f32_e32 v36, v38, v144
	v_sub_f32_e32 v39, v37, v36
	v_pk_add_f32 v[146:147], v[36:37], v[38:39] neg_lo:[0,1] neg_hi:[0,1]
	v_mov_b32_e32 v145, v36
	v_pk_add_f32 v[36:37], v[146:147], v[144:145] neg_lo:[0,1] neg_hi:[0,1]
	v_cvt_f32_i32_e32 v38, v148
	v_add_f32_e32 v35, v35, v37
	v_add_f32_e32 v35, v36, v35
	;; [unrolled: 1-line block ×4, first 2 shown]
	v_sub_f32_e32 v37, v36, v160
	v_mul_f32_e32 v35, v150, v35
	v_sub_f32_e32 v37, v151, v37
	v_add_f32_e32 v35, v37, v35
	v_add_f32_e32 v39, v36, v35
	v_mul_f32_e32 v144, v39, v39
	v_mov_b32_e32 v37, 0x3ecc95a3
	v_fmac_f32_e32 v37, 0x3e9b6dac, v144
	v_sub_f32_e32 v36, v39, v36
	v_fmaak_f32 v37, v144, v37, 0x3f2aaada
	v_sub_f32_e32 v35, v35, v36
	v_ldexp_f32 v145, v39, 1
	v_mul_f32_e32 v39, v39, v144
	v_mov_b32_e32 v36, 0x3f317218
	v_pk_mul_f32 v[36:37], v[38:39], v[36:37]
	v_ldexp_f32 v35, v35, 1
	v_fma_f32 v39, v38, s13, -v36
	v_fmamk_f32 v144, v38, 0xb102e308, v39
	v_pk_add_f32 v[38:39], v[36:37], v[144:145]
	v_mov_b32_e32 v146, v36
	v_sub_f32_e32 v145, v39, v145
	v_sub_f32_e32 v145, v37, v145
	v_add_f32_e32 v147, v35, v145
	v_pk_add_f32 v[36:37], v[38:39], v[36:37] neg_lo:[0,1] neg_hi:[0,1]
	v_pk_add_f32 v[148:149], v[38:39], v[146:147]
	v_mov_b32_e32 v145, v38
	v_mov_b32_e32 v37, v149
	v_pk_add_f32 v[150:151], v[144:145], v[36:37] neg_lo:[0,1] neg_hi:[0,1]
	v_pk_add_f32 v[36:37], v[144:145], v[36:37]
	v_mov_b32_e32 v146, v147
	v_mov_b32_e32 v144, v37
	v_pk_add_f32 v[160:161], v[144:145], v[38:39] neg_lo:[0,1] neg_hi:[0,1]
	v_mov_b32_e32 v36, v149
	v_mov_b32_e32 v35, v160
	v_pk_add_f32 v[162:163], v[148:149], v[34:35] neg_lo:[0,1] neg_hi:[0,1]
	v_mov_b32_e32 v148, v39
	v_mov_b32_e32 v149, v160
	;; [unrolled: 1-line block ×3, first 2 shown]
	v_pk_add_f32 v[36:37], v[36:37], v[148:149] neg_lo:[0,1] neg_hi:[0,1]
	v_mov_b32_e32 v147, v38
	v_pk_add_f32 v[36:37], v[146:147], v[36:37] neg_lo:[0,1] neg_hi:[0,1]
	v_mov_b32_e32 v162, v150
	v_pk_add_f32 v[38:39], v[162:163], v[36:37]
	s_mov_b32 s13, 0x33800000
	v_mov_b32_e32 v146, v39
	v_pk_add_f32 v[146:147], v[38:39], v[146:147]
	v_cmp_lt_f32_e64 s[60:61], |v164|, s13
	v_pk_add_f32 v[144:145], v[144:145], v[146:147]
	v_mov_b32_e32 v37, v146
	v_mov_b32_e32 v39, v144
	v_pk_add_f32 v[148:149], v[38:39], v[150:151] neg_lo:[0,1] neg_hi:[0,1]
	s_or_b64 vcc, vcc, s[60:61]
	v_sub_f32_e32 v35, v38, v148
	v_pk_add_f32 v[36:37], v[36:37], v[148:149] neg_lo:[0,1] neg_hi:[0,1]
	v_sub_f32_e32 v35, v150, v35
	v_add_f32_e32 v35, v36, v35
	v_add_f32_e32 v35, v35, v37
	;; [unrolled: 1-line block ×3, first 2 shown]
	v_cndmask_b32_e32 v35, v35, v164, vcc
	v_add_f32_e32 v36, v34, v35
.LBB499_106:
	s_or_b64 exec, exec, s[52:53]
	v_bfe_u32 v34, v36, 16, 1
	s_movk_i32 s13, 0x7fff
	v_add3_u32 v34, v36, v34, s13
	v_lshrrev_b32_e32 v34, 16, v34
	v_mov_b32_e32 v35, 0x7fc0
	v_cmp_o_f32_e32 vcc, v36, v36
	s_nop 1
	v_cndmask_b32_e32 v34, v35, v34, vcc
	v_and_b32_e32 v35, 0xffff, v34
.LBB499_107:
	s_or_b64 exec, exec, s[56:57]
	s_nop 0
	v_mov_b32_dpp v36, v35 row_shr:4 row_mask:0xf bank_mask:0xf
	v_cmp_lt_u32_e32 vcc, 3, v32
	s_and_saveexec_b64 s[56:57], vcc
	s_cbranch_execz .LBB499_111
; %bb.108:
	v_lshlrev_b32_e32 v36, 16, v36
	v_lshlrev_b32_e32 v34, 16, v35
	v_max_f32_e32 v37, v34, v34
	v_max_f32_e32 v38, v36, v36
	v_min_f32_e32 v35, v38, v37
	v_cmp_u_f32_e32 vcc, v36, v36
	v_max_f32_e32 v37, v38, v37
	v_cmp_u_f32_e64 s[52:53], v34, v34
	v_cndmask_b32_e32 v35, v35, v36, vcc
	v_cndmask_b32_e32 v37, v37, v36, vcc
	v_cndmask_b32_e64 v35, v35, v34, s[52:53]
	v_cndmask_b32_e64 v34, v37, v34, s[52:53]
	s_movk_i32 s13, 0x1f8
	v_cmp_neq_f32_e32 vcc, v35, v34
	v_cmp_class_f32_e64 s[52:53], v35, s13
	s_or_b64 vcc, vcc, s[52:53]
	s_and_saveexec_b64 s[52:53], vcc
	s_cbranch_execz .LBB499_110
; %bb.109:
	v_sub_f32_e32 v35, v35, v34
	s_mov_b32 s13, 0x3fb8aa3b
	v_mul_f32_e32 v36, 0x3fb8aa3b, v35
	v_fma_f32 v37, v35, s13, -v36
	v_rndne_f32_e32 v38, v36
	v_fmamk_f32 v37, v35, 0x32a5705f, v37
	v_sub_f32_e32 v36, v36, v38
	v_add_f32_e32 v36, v36, v37
	v_exp_f32_e32 v36, v36
	v_cvt_i32_f32_e32 v37, v38
	s_mov_b32 s13, 0xc2ce8ed0
	v_cmp_ngt_f32_e32 vcc, s13, v35
	s_mov_b32 s13, 0x42b17218
	v_ldexp_f32 v36, v36, v37
	v_cndmask_b32_e32 v36, 0, v36, vcc
	v_mov_b32_e32 v37, 0x7f800000
	v_cmp_nlt_f32_e32 vcc, s13, v35
	s_mov_b32 s13, 0x3f2aaaab
	s_mov_b32 s60, 0x7f800000
	v_cndmask_b32_e32 v164, v37, v36, vcc
	v_add_f32_e32 v35, 1.0, v164
	v_add_f32_e32 v36, -1.0, v35
	v_sub_f32_e32 v37, v36, v35
	v_add_f32_e32 v37, 1.0, v37
	v_sub_f32_e32 v36, v164, v36
	v_add_f32_e32 v38, v36, v37
	v_frexp_mant_f32_e32 v39, v35
	v_cvt_f64_f32_e32 v[36:37], v35
	v_frexp_exp_i32_f64_e32 v36, v[36:37]
	v_cmp_gt_f32_e32 vcc, s13, v39
	s_mov_b32 s13, 0x3f317218
	s_nop 0
	v_subbrev_co_u32_e32 v148, vcc, 0, v36, vcc
	v_sub_u32_e32 v36, 0, v148
	v_ldexp_f32 v35, v35, v36
	v_ldexp_f32 v36, v38, v36
	v_add_f32_e32 v38, -1.0, v35
	v_add_f32_e32 v37, 1.0, v38
	v_sub_f32_e32 v37, v35, v37
	v_add_f32_e32 v39, v36, v37
	v_add_f32_e32 v37, 1.0, v35
	v_add_f32_e32 v144, -1.0, v37
	v_sub_f32_e32 v35, v35, v144
	v_add_f32_e32 v35, v36, v35
	v_add_f32_e32 v149, v37, v35
	v_rcp_f32_e32 v150, v149
	v_sub_f32_e32 v36, v37, v149
	v_add_f32_e32 v37, v38, v39
	v_add_f32_e32 v35, v35, v36
	v_mul_f32_e32 v160, v37, v150
	v_sub_f32_e32 v36, v38, v37
	v_mul_f32_e32 v38, v149, v160
	v_fma_f32 v144, v160, v149, -v38
	v_fmac_f32_e32 v144, v160, v35
	v_add_f32_e32 v151, v39, v36
	v_add_f32_e32 v36, v38, v144
	v_sub_f32_e32 v39, v37, v36
	v_pk_add_f32 v[146:147], v[36:37], v[38:39] neg_lo:[0,1] neg_hi:[0,1]
	v_mov_b32_e32 v145, v36
	v_pk_add_f32 v[36:37], v[146:147], v[144:145] neg_lo:[0,1] neg_hi:[0,1]
	v_cmp_eq_f32_e32 vcc, s60, v164
	v_add_f32_e32 v37, v151, v37
	v_add_f32_e32 v36, v36, v37
	;; [unrolled: 1-line block ×3, first 2 shown]
	v_mul_f32_e32 v151, v150, v37
	v_mul_f32_e32 v38, v149, v151
	v_fma_f32 v144, v151, v149, -v38
	v_fmac_f32_e32 v144, v151, v35
	v_sub_f32_e32 v35, v39, v37
	v_add_f32_e32 v35, v36, v35
	v_add_f32_e32 v36, v38, v144
	v_sub_f32_e32 v39, v37, v36
	v_pk_add_f32 v[146:147], v[36:37], v[38:39] neg_lo:[0,1] neg_hi:[0,1]
	v_mov_b32_e32 v145, v36
	v_pk_add_f32 v[36:37], v[146:147], v[144:145] neg_lo:[0,1] neg_hi:[0,1]
	v_cvt_f32_i32_e32 v38, v148
	v_add_f32_e32 v35, v35, v37
	v_add_f32_e32 v35, v36, v35
	;; [unrolled: 1-line block ×4, first 2 shown]
	v_sub_f32_e32 v37, v36, v160
	v_mul_f32_e32 v35, v150, v35
	v_sub_f32_e32 v37, v151, v37
	v_add_f32_e32 v35, v37, v35
	v_add_f32_e32 v39, v36, v35
	v_mul_f32_e32 v144, v39, v39
	v_mov_b32_e32 v37, 0x3ecc95a3
	v_fmac_f32_e32 v37, 0x3e9b6dac, v144
	v_sub_f32_e32 v36, v39, v36
	v_fmaak_f32 v37, v144, v37, 0x3f2aaada
	v_sub_f32_e32 v35, v35, v36
	v_ldexp_f32 v145, v39, 1
	v_mul_f32_e32 v39, v39, v144
	v_mov_b32_e32 v36, 0x3f317218
	v_pk_mul_f32 v[36:37], v[38:39], v[36:37]
	v_ldexp_f32 v35, v35, 1
	v_fma_f32 v39, v38, s13, -v36
	v_fmamk_f32 v144, v38, 0xb102e308, v39
	v_pk_add_f32 v[38:39], v[36:37], v[144:145]
	v_mov_b32_e32 v146, v36
	v_sub_f32_e32 v145, v39, v145
	v_sub_f32_e32 v145, v37, v145
	v_add_f32_e32 v147, v35, v145
	v_pk_add_f32 v[36:37], v[38:39], v[36:37] neg_lo:[0,1] neg_hi:[0,1]
	v_pk_add_f32 v[148:149], v[38:39], v[146:147]
	v_mov_b32_e32 v145, v38
	v_mov_b32_e32 v37, v149
	v_pk_add_f32 v[150:151], v[144:145], v[36:37] neg_lo:[0,1] neg_hi:[0,1]
	v_pk_add_f32 v[36:37], v[144:145], v[36:37]
	v_mov_b32_e32 v146, v147
	v_mov_b32_e32 v144, v37
	v_pk_add_f32 v[160:161], v[144:145], v[38:39] neg_lo:[0,1] neg_hi:[0,1]
	v_mov_b32_e32 v36, v149
	v_mov_b32_e32 v35, v160
	v_pk_add_f32 v[162:163], v[148:149], v[34:35] neg_lo:[0,1] neg_hi:[0,1]
	v_mov_b32_e32 v148, v39
	v_mov_b32_e32 v149, v160
	;; [unrolled: 1-line block ×3, first 2 shown]
	v_pk_add_f32 v[36:37], v[36:37], v[148:149] neg_lo:[0,1] neg_hi:[0,1]
	v_mov_b32_e32 v147, v38
	v_pk_add_f32 v[36:37], v[146:147], v[36:37] neg_lo:[0,1] neg_hi:[0,1]
	v_mov_b32_e32 v162, v150
	v_pk_add_f32 v[38:39], v[162:163], v[36:37]
	s_mov_b32 s13, 0x33800000
	v_mov_b32_e32 v146, v39
	v_pk_add_f32 v[146:147], v[38:39], v[146:147]
	v_cmp_lt_f32_e64 s[60:61], |v164|, s13
	v_pk_add_f32 v[144:145], v[144:145], v[146:147]
	v_mov_b32_e32 v37, v146
	v_mov_b32_e32 v39, v144
	v_pk_add_f32 v[148:149], v[38:39], v[150:151] neg_lo:[0,1] neg_hi:[0,1]
	s_or_b64 vcc, vcc, s[60:61]
	v_sub_f32_e32 v35, v38, v148
	v_pk_add_f32 v[36:37], v[36:37], v[148:149] neg_lo:[0,1] neg_hi:[0,1]
	v_sub_f32_e32 v35, v150, v35
	v_add_f32_e32 v35, v36, v35
	v_add_f32_e32 v35, v35, v37
	;; [unrolled: 1-line block ×3, first 2 shown]
	v_cndmask_b32_e32 v35, v35, v164, vcc
	v_add_f32_e32 v36, v34, v35
.LBB499_110:
	s_or_b64 exec, exec, s[52:53]
	v_bfe_u32 v34, v36, 16, 1
	s_movk_i32 s13, 0x7fff
	v_add3_u32 v34, v36, v34, s13
	v_lshrrev_b32_e32 v34, 16, v34
	v_mov_b32_e32 v35, 0x7fc0
	v_cmp_o_f32_e32 vcc, v36, v36
	s_nop 1
	v_cndmask_b32_e32 v34, v35, v34, vcc
	v_and_b32_e32 v35, 0xffff, v34
.LBB499_111:
	s_or_b64 exec, exec, s[56:57]
	s_nop 0
	v_mov_b32_dpp v36, v35 row_shr:8 row_mask:0xf bank_mask:0xf
	v_cmp_lt_u32_e32 vcc, 7, v32
	s_and_saveexec_b64 s[56:57], vcc
	s_cbranch_execz .LBB499_115
; %bb.112:
	v_lshlrev_b32_e32 v34, 16, v36
	v_lshlrev_b32_e32 v32, 16, v35
	v_max_f32_e32 v36, v32, v32
	v_max_f32_e32 v37, v34, v34
	v_min_f32_e32 v35, v37, v36
	v_cmp_u_f32_e32 vcc, v34, v34
	v_max_f32_e32 v36, v37, v36
	v_cmp_u_f32_e64 s[52:53], v32, v32
	v_cndmask_b32_e32 v35, v35, v34, vcc
	v_cndmask_b32_e32 v36, v36, v34, vcc
	v_cndmask_b32_e64 v35, v35, v32, s[52:53]
	v_cndmask_b32_e64 v32, v36, v32, s[52:53]
	s_movk_i32 s13, 0x1f8
	v_cmp_neq_f32_e32 vcc, v35, v32
	v_cmp_class_f32_e64 s[52:53], v35, s13
	s_or_b64 vcc, vcc, s[52:53]
	s_and_saveexec_b64 s[52:53], vcc
	s_cbranch_execz .LBB499_114
; %bb.113:
	v_sub_f32_e32 v34, v35, v32
	s_mov_b32 s13, 0x3fb8aa3b
	v_mul_f32_e32 v35, 0x3fb8aa3b, v34
	v_fma_f32 v36, v34, s13, -v35
	v_rndne_f32_e32 v37, v35
	v_fmamk_f32 v36, v34, 0x32a5705f, v36
	v_sub_f32_e32 v35, v35, v37
	v_add_f32_e32 v35, v35, v36
	v_exp_f32_e32 v35, v35
	v_cvt_i32_f32_e32 v36, v37
	s_mov_b32 s13, 0xc2ce8ed0
	v_cmp_ngt_f32_e32 vcc, s13, v34
	s_mov_b32 s13, 0x42b17218
	v_ldexp_f32 v35, v35, v36
	v_cndmask_b32_e32 v35, 0, v35, vcc
	v_mov_b32_e32 v36, 0x7f800000
	v_cmp_nlt_f32_e32 vcc, s13, v34
	s_mov_b32 s13, 0x3f2aaaab
	s_mov_b32 s60, 0x7f800000
	v_cndmask_b32_e32 v162, v36, v35, vcc
	v_add_f32_e32 v36, 1.0, v162
	v_add_f32_e32 v34, -1.0, v36
	v_sub_f32_e32 v35, v34, v36
	v_add_f32_e32 v35, 1.0, v35
	v_sub_f32_e32 v34, v162, v34
	v_add_f32_e32 v37, v34, v35
	v_frexp_mant_f32_e32 v38, v36
	v_cvt_f64_f32_e32 v[34:35], v36
	v_frexp_exp_i32_f64_e32 v34, v[34:35]
	v_cmp_gt_f32_e32 vcc, s13, v38
	s_mov_b32 s13, 0x3f317218
	s_nop 0
	v_subbrev_co_u32_e32 v146, vcc, 0, v34, vcc
	v_sub_u32_e32 v34, 0, v146
	v_ldexp_f32 v35, v36, v34
	v_add_f32_e32 v36, -1.0, v35
	v_add_f32_e32 v38, 1.0, v35
	v_ldexp_f32 v34, v37, v34
	v_add_f32_e32 v37, 1.0, v36
	v_add_f32_e32 v39, -1.0, v38
	v_sub_f32_e32 v37, v35, v37
	v_sub_f32_e32 v35, v35, v39
	v_add_f32_e32 v37, v34, v37
	v_add_f32_e32 v34, v34, v35
	;; [unrolled: 1-line block ×3, first 2 shown]
	v_rcp_f32_e32 v149, v147
	v_sub_f32_e32 v35, v38, v147
	v_add_f32_e32 v148, v34, v35
	v_add_f32_e32 v35, v36, v37
	v_mul_f32_e32 v151, v35, v149
	v_sub_f32_e32 v34, v36, v35
	v_mul_f32_e32 v36, v147, v151
	v_fma_f32 v38, v151, v147, -v36
	v_fmac_f32_e32 v38, v151, v148
	v_add_f32_e32 v150, v37, v34
	v_add_f32_e32 v34, v36, v38
	v_sub_f32_e32 v37, v35, v34
	v_pk_add_f32 v[144:145], v[34:35], v[36:37] neg_lo:[0,1] neg_hi:[0,1]
	v_mov_b32_e32 v39, v34
	v_pk_add_f32 v[34:35], v[144:145], v[38:39] neg_lo:[0,1] neg_hi:[0,1]
	v_cmp_eq_f32_e32 vcc, s60, v162
	v_add_f32_e32 v35, v150, v35
	v_add_f32_e32 v34, v34, v35
	;; [unrolled: 1-line block ×3, first 2 shown]
	v_mul_f32_e32 v150, v149, v35
	v_mul_f32_e32 v36, v147, v150
	v_fma_f32 v38, v150, v147, -v36
	v_fmac_f32_e32 v38, v150, v148
	v_sub_f32_e32 v37, v37, v35
	v_add_f32_e32 v147, v34, v37
	v_add_f32_e32 v34, v36, v38
	v_sub_f32_e32 v37, v35, v34
	v_pk_add_f32 v[144:145], v[34:35], v[36:37] neg_lo:[0,1] neg_hi:[0,1]
	v_mov_b32_e32 v39, v34
	v_pk_add_f32 v[34:35], v[144:145], v[38:39] neg_lo:[0,1] neg_hi:[0,1]
	v_cvt_f32_i32_e32 v36, v146
	v_add_f32_e32 v35, v147, v35
	v_add_f32_e32 v34, v34, v35
	v_add_f32_e32 v34, v37, v34
	v_add_f32_e32 v37, v151, v150
	v_sub_f32_e32 v35, v37, v151
	v_mul_f32_e32 v34, v149, v34
	v_sub_f32_e32 v35, v150, v35
	v_add_f32_e32 v34, v35, v34
	v_add_f32_e32 v38, v37, v34
	v_mul_f32_e32 v144, v38, v38
	v_mov_b32_e32 v35, 0x3ecc95a3
	v_sub_f32_e32 v37, v38, v37
	v_fmac_f32_e32 v35, 0x3e9b6dac, v144
	v_sub_f32_e32 v34, v34, v37
	v_fmaak_f32 v35, v144, v35, 0x3f2aaada
	v_ldexp_f32 v145, v34, 1
	v_mul_f32_e32 v37, v38, v144
	v_mov_b32_e32 v34, 0x3f317218
	v_pk_mul_f32 v[34:35], v[36:37], v[34:35]
	v_ldexp_f32 v39, v38, 1
	v_fma_f32 v37, v36, s13, -v34
	v_fmamk_f32 v38, v36, 0xb102e308, v37
	v_pk_add_f32 v[36:37], v[34:35], v[38:39]
	v_mov_b32_e32 v144, v34
	v_sub_f32_e32 v39, v37, v39
	v_sub_f32_e32 v39, v35, v39
	v_add_f32_e32 v145, v145, v39
	v_pk_add_f32 v[34:35], v[36:37], v[34:35] neg_lo:[0,1] neg_hi:[0,1]
	v_pk_add_f32 v[146:147], v[36:37], v[144:145]
	v_mov_b32_e32 v39, v36
	v_mov_b32_e32 v35, v147
	v_pk_add_f32 v[148:149], v[38:39], v[34:35] neg_lo:[0,1] neg_hi:[0,1]
	v_pk_add_f32 v[34:35], v[38:39], v[34:35]
	v_mov_b32_e32 v144, v145
	v_mov_b32_e32 v38, v35
	v_pk_add_f32 v[150:151], v[38:39], v[36:37] neg_lo:[0,1] neg_hi:[0,1]
	v_mov_b32_e32 v34, v147
	v_mov_b32_e32 v39, v150
	v_pk_add_f32 v[160:161], v[146:147], v[38:39] neg_lo:[0,1] neg_hi:[0,1]
	v_mov_b32_e32 v146, v37
	v_mov_b32_e32 v147, v150
	;; [unrolled: 1-line block ×3, first 2 shown]
	v_pk_add_f32 v[34:35], v[34:35], v[146:147] neg_lo:[0,1] neg_hi:[0,1]
	v_mov_b32_e32 v145, v36
	v_pk_add_f32 v[34:35], v[144:145], v[34:35] neg_lo:[0,1] neg_hi:[0,1]
	v_mov_b32_e32 v160, v148
	v_pk_add_f32 v[36:37], v[160:161], v[34:35]
	s_mov_b32 s13, 0x33800000
	v_mov_b32_e32 v144, v37
	v_pk_add_f32 v[144:145], v[36:37], v[144:145]
	v_cmp_lt_f32_e64 s[60:61], |v162|, s13
	v_pk_add_f32 v[38:39], v[38:39], v[144:145]
	v_mov_b32_e32 v35, v144
	v_mov_b32_e32 v37, v38
	v_pk_add_f32 v[146:147], v[36:37], v[148:149] neg_lo:[0,1] neg_hi:[0,1]
	s_or_b64 vcc, vcc, s[60:61]
	v_sub_f32_e32 v36, v36, v146
	v_pk_add_f32 v[34:35], v[34:35], v[146:147] neg_lo:[0,1] neg_hi:[0,1]
	v_sub_f32_e32 v36, v148, v36
	v_add_f32_e32 v34, v34, v36
	v_add_f32_e32 v34, v34, v35
	;; [unrolled: 1-line block ×3, first 2 shown]
	v_cndmask_b32_e32 v34, v34, v162, vcc
	v_add_f32_e32 v34, v32, v34
.LBB499_114:
	s_or_b64 exec, exec, s[52:53]
	v_bfe_u32 v32, v34, 16, 1
	s_movk_i32 s13, 0x7fff
	v_add3_u32 v32, v34, v32, s13
	v_lshrrev_b32_e32 v32, 16, v32
	v_mov_b32_e32 v35, 0x7fc0
	v_cmp_o_f32_e32 vcc, v34, v34
	s_nop 1
	v_cndmask_b32_e32 v34, v35, v32, vcc
	v_and_b32_e32 v35, 0xffff, v34
.LBB499_115:
	s_or_b64 exec, exec, s[56:57]
	v_and_b32_e32 v36, 16, v33
	v_mov_b32_dpp v32, v35 row_bcast:15 row_mask:0xf bank_mask:0xf
	v_cmp_ne_u32_e32 vcc, 0, v36
	s_and_saveexec_b64 s[56:57], vcc
	s_cbranch_execz .LBB499_119
; %bb.116:
	v_lshlrev_b32_e32 v34, 16, v32
	v_lshlrev_b32_e32 v32, 16, v35
	v_max_f32_e32 v36, v32, v32
	v_max_f32_e32 v37, v34, v34
	v_min_f32_e32 v35, v37, v36
	v_cmp_u_f32_e32 vcc, v34, v34
	v_max_f32_e32 v36, v37, v36
	v_cmp_u_f32_e64 s[52:53], v32, v32
	v_cndmask_b32_e32 v35, v35, v34, vcc
	v_cndmask_b32_e32 v36, v36, v34, vcc
	v_cndmask_b32_e64 v35, v35, v32, s[52:53]
	v_cndmask_b32_e64 v32, v36, v32, s[52:53]
	s_movk_i32 s13, 0x1f8
	v_cmp_neq_f32_e32 vcc, v35, v32
	v_cmp_class_f32_e64 s[52:53], v35, s13
	s_or_b64 vcc, vcc, s[52:53]
	s_and_saveexec_b64 s[52:53], vcc
	s_cbranch_execz .LBB499_118
; %bb.117:
	v_sub_f32_e32 v34, v35, v32
	s_mov_b32 s13, 0x3fb8aa3b
	v_mul_f32_e32 v35, 0x3fb8aa3b, v34
	v_fma_f32 v36, v34, s13, -v35
	v_rndne_f32_e32 v37, v35
	v_fmamk_f32 v36, v34, 0x32a5705f, v36
	v_sub_f32_e32 v35, v35, v37
	v_add_f32_e32 v35, v35, v36
	v_exp_f32_e32 v35, v35
	v_cvt_i32_f32_e32 v36, v37
	s_mov_b32 s13, 0xc2ce8ed0
	v_cmp_ngt_f32_e32 vcc, s13, v34
	s_mov_b32 s13, 0x42b17218
	v_ldexp_f32 v35, v35, v36
	v_cndmask_b32_e32 v35, 0, v35, vcc
	v_mov_b32_e32 v36, 0x7f800000
	v_cmp_nlt_f32_e32 vcc, s13, v34
	s_mov_b32 s13, 0x3f2aaaab
	s_mov_b32 s60, 0x7f800000
	v_cndmask_b32_e32 v162, v36, v35, vcc
	v_add_f32_e32 v36, 1.0, v162
	v_add_f32_e32 v34, -1.0, v36
	v_sub_f32_e32 v35, v34, v36
	v_add_f32_e32 v35, 1.0, v35
	v_sub_f32_e32 v34, v162, v34
	v_add_f32_e32 v37, v34, v35
	v_frexp_mant_f32_e32 v38, v36
	v_cvt_f64_f32_e32 v[34:35], v36
	v_frexp_exp_i32_f64_e32 v34, v[34:35]
	v_cmp_gt_f32_e32 vcc, s13, v38
	s_mov_b32 s13, 0x3f317218
	s_nop 0
	v_subbrev_co_u32_e32 v146, vcc, 0, v34, vcc
	v_sub_u32_e32 v34, 0, v146
	v_ldexp_f32 v35, v36, v34
	v_add_f32_e32 v36, -1.0, v35
	v_add_f32_e32 v38, 1.0, v35
	v_ldexp_f32 v34, v37, v34
	v_add_f32_e32 v37, 1.0, v36
	v_add_f32_e32 v39, -1.0, v38
	v_sub_f32_e32 v37, v35, v37
	v_sub_f32_e32 v35, v35, v39
	v_add_f32_e32 v37, v34, v37
	v_add_f32_e32 v34, v34, v35
	;; [unrolled: 1-line block ×3, first 2 shown]
	v_rcp_f32_e32 v149, v147
	v_sub_f32_e32 v35, v38, v147
	v_add_f32_e32 v148, v34, v35
	v_add_f32_e32 v35, v36, v37
	v_mul_f32_e32 v151, v35, v149
	v_sub_f32_e32 v34, v36, v35
	v_mul_f32_e32 v36, v147, v151
	v_fma_f32 v38, v151, v147, -v36
	v_fmac_f32_e32 v38, v151, v148
	v_add_f32_e32 v150, v37, v34
	v_add_f32_e32 v34, v36, v38
	v_sub_f32_e32 v37, v35, v34
	v_pk_add_f32 v[144:145], v[34:35], v[36:37] neg_lo:[0,1] neg_hi:[0,1]
	v_mov_b32_e32 v39, v34
	v_pk_add_f32 v[34:35], v[144:145], v[38:39] neg_lo:[0,1] neg_hi:[0,1]
	v_cmp_eq_f32_e32 vcc, s60, v162
	v_add_f32_e32 v35, v150, v35
	v_add_f32_e32 v34, v34, v35
	;; [unrolled: 1-line block ×3, first 2 shown]
	v_mul_f32_e32 v150, v149, v35
	v_mul_f32_e32 v36, v147, v150
	v_fma_f32 v38, v150, v147, -v36
	v_fmac_f32_e32 v38, v150, v148
	v_sub_f32_e32 v37, v37, v35
	v_add_f32_e32 v147, v34, v37
	v_add_f32_e32 v34, v36, v38
	v_sub_f32_e32 v37, v35, v34
	v_pk_add_f32 v[144:145], v[34:35], v[36:37] neg_lo:[0,1] neg_hi:[0,1]
	v_mov_b32_e32 v39, v34
	v_pk_add_f32 v[34:35], v[144:145], v[38:39] neg_lo:[0,1] neg_hi:[0,1]
	v_cvt_f32_i32_e32 v36, v146
	v_add_f32_e32 v35, v147, v35
	v_add_f32_e32 v34, v34, v35
	v_add_f32_e32 v34, v37, v34
	v_add_f32_e32 v37, v151, v150
	v_sub_f32_e32 v35, v37, v151
	v_mul_f32_e32 v34, v149, v34
	v_sub_f32_e32 v35, v150, v35
	v_add_f32_e32 v34, v35, v34
	v_add_f32_e32 v38, v37, v34
	v_mul_f32_e32 v144, v38, v38
	v_mov_b32_e32 v35, 0x3ecc95a3
	v_sub_f32_e32 v37, v38, v37
	v_fmac_f32_e32 v35, 0x3e9b6dac, v144
	v_sub_f32_e32 v34, v34, v37
	v_fmaak_f32 v35, v144, v35, 0x3f2aaada
	v_ldexp_f32 v145, v34, 1
	v_mul_f32_e32 v37, v38, v144
	v_mov_b32_e32 v34, 0x3f317218
	v_pk_mul_f32 v[34:35], v[36:37], v[34:35]
	v_ldexp_f32 v39, v38, 1
	v_fma_f32 v37, v36, s13, -v34
	v_fmamk_f32 v38, v36, 0xb102e308, v37
	v_pk_add_f32 v[36:37], v[34:35], v[38:39]
	v_mov_b32_e32 v144, v34
	v_sub_f32_e32 v39, v37, v39
	v_sub_f32_e32 v39, v35, v39
	v_add_f32_e32 v145, v145, v39
	v_pk_add_f32 v[34:35], v[36:37], v[34:35] neg_lo:[0,1] neg_hi:[0,1]
	v_pk_add_f32 v[146:147], v[36:37], v[144:145]
	v_mov_b32_e32 v39, v36
	v_mov_b32_e32 v35, v147
	v_pk_add_f32 v[148:149], v[38:39], v[34:35] neg_lo:[0,1] neg_hi:[0,1]
	v_pk_add_f32 v[34:35], v[38:39], v[34:35]
	v_mov_b32_e32 v144, v145
	v_mov_b32_e32 v38, v35
	v_pk_add_f32 v[150:151], v[38:39], v[36:37] neg_lo:[0,1] neg_hi:[0,1]
	v_mov_b32_e32 v34, v147
	v_mov_b32_e32 v39, v150
	v_pk_add_f32 v[160:161], v[146:147], v[38:39] neg_lo:[0,1] neg_hi:[0,1]
	v_mov_b32_e32 v146, v37
	v_mov_b32_e32 v147, v150
	;; [unrolled: 1-line block ×3, first 2 shown]
	v_pk_add_f32 v[34:35], v[34:35], v[146:147] neg_lo:[0,1] neg_hi:[0,1]
	v_mov_b32_e32 v145, v36
	v_pk_add_f32 v[34:35], v[144:145], v[34:35] neg_lo:[0,1] neg_hi:[0,1]
	v_mov_b32_e32 v160, v148
	v_pk_add_f32 v[36:37], v[160:161], v[34:35]
	s_mov_b32 s13, 0x33800000
	v_mov_b32_e32 v144, v37
	v_pk_add_f32 v[144:145], v[36:37], v[144:145]
	v_cmp_lt_f32_e64 s[60:61], |v162|, s13
	v_pk_add_f32 v[38:39], v[38:39], v[144:145]
	v_mov_b32_e32 v35, v144
	v_mov_b32_e32 v37, v38
	v_pk_add_f32 v[146:147], v[36:37], v[148:149] neg_lo:[0,1] neg_hi:[0,1]
	s_or_b64 vcc, vcc, s[60:61]
	v_sub_f32_e32 v36, v36, v146
	v_pk_add_f32 v[34:35], v[34:35], v[146:147] neg_lo:[0,1] neg_hi:[0,1]
	v_sub_f32_e32 v36, v148, v36
	v_add_f32_e32 v34, v34, v36
	v_add_f32_e32 v34, v34, v35
	;; [unrolled: 1-line block ×3, first 2 shown]
	v_cndmask_b32_e32 v34, v34, v162, vcc
	v_add_f32_e32 v34, v32, v34
.LBB499_118:
	s_or_b64 exec, exec, s[52:53]
	v_bfe_u32 v32, v34, 16, 1
	s_movk_i32 s13, 0x7fff
	v_add3_u32 v32, v34, v32, s13
	v_lshrrev_b32_e32 v32, 16, v32
	v_mov_b32_e32 v35, 0x7fc0
	v_cmp_o_f32_e32 vcc, v34, v34
	s_nop 1
	v_cndmask_b32_e32 v34, v35, v32, vcc
	v_and_b32_e32 v35, 0xffff, v34
.LBB499_119:
	s_or_b64 exec, exec, s[56:57]
	s_nop 0
	v_mov_b32_dpp v32, v35 row_bcast:31 row_mask:0xf bank_mask:0xf
	v_cmp_lt_u32_e32 vcc, 31, v33
	s_and_saveexec_b64 s[56:57], vcc
	s_cbranch_execz .LBB499_123
; %bb.120:
	v_lshlrev_b32_e32 v34, 16, v32
	v_lshlrev_b32_e32 v32, 16, v35
	v_max_f32_e32 v36, v32, v32
	v_max_f32_e32 v37, v34, v34
	v_min_f32_e32 v35, v37, v36
	v_cmp_u_f32_e32 vcc, v34, v34
	v_max_f32_e32 v36, v37, v36
	v_cmp_u_f32_e64 s[52:53], v32, v32
	v_cndmask_b32_e32 v35, v35, v34, vcc
	v_cndmask_b32_e32 v36, v36, v34, vcc
	v_cndmask_b32_e64 v35, v35, v32, s[52:53]
	v_cndmask_b32_e64 v32, v36, v32, s[52:53]
	s_movk_i32 s13, 0x1f8
	v_cmp_neq_f32_e32 vcc, v35, v32
	v_cmp_class_f32_e64 s[52:53], v35, s13
	s_or_b64 vcc, vcc, s[52:53]
	s_and_saveexec_b64 s[52:53], vcc
	s_cbranch_execz .LBB499_122
; %bb.121:
	v_sub_f32_e32 v34, v35, v32
	s_mov_b32 s13, 0x3fb8aa3b
	v_mul_f32_e32 v35, 0x3fb8aa3b, v34
	v_fma_f32 v36, v34, s13, -v35
	v_rndne_f32_e32 v37, v35
	v_fmamk_f32 v36, v34, 0x32a5705f, v36
	v_sub_f32_e32 v35, v35, v37
	v_add_f32_e32 v35, v35, v36
	v_exp_f32_e32 v35, v35
	v_cvt_i32_f32_e32 v36, v37
	s_mov_b32 s13, 0xc2ce8ed0
	v_cmp_ngt_f32_e32 vcc, s13, v34
	s_mov_b32 s13, 0x42b17218
	v_ldexp_f32 v35, v35, v36
	v_cndmask_b32_e32 v35, 0, v35, vcc
	v_mov_b32_e32 v36, 0x7f800000
	v_cmp_nlt_f32_e32 vcc, s13, v34
	s_mov_b32 s13, 0x3f2aaaab
	s_mov_b32 s60, 0x7f800000
	v_cndmask_b32_e32 v162, v36, v35, vcc
	v_add_f32_e32 v36, 1.0, v162
	v_add_f32_e32 v34, -1.0, v36
	v_sub_f32_e32 v35, v34, v36
	v_add_f32_e32 v35, 1.0, v35
	v_sub_f32_e32 v34, v162, v34
	v_add_f32_e32 v37, v34, v35
	v_frexp_mant_f32_e32 v38, v36
	v_cvt_f64_f32_e32 v[34:35], v36
	v_frexp_exp_i32_f64_e32 v34, v[34:35]
	v_cmp_gt_f32_e32 vcc, s13, v38
	s_mov_b32 s13, 0x3f317218
	s_nop 0
	v_subbrev_co_u32_e32 v146, vcc, 0, v34, vcc
	v_sub_u32_e32 v34, 0, v146
	v_ldexp_f32 v35, v36, v34
	v_add_f32_e32 v36, -1.0, v35
	v_add_f32_e32 v38, 1.0, v35
	v_ldexp_f32 v34, v37, v34
	v_add_f32_e32 v37, 1.0, v36
	v_add_f32_e32 v39, -1.0, v38
	v_sub_f32_e32 v37, v35, v37
	v_sub_f32_e32 v35, v35, v39
	v_add_f32_e32 v37, v34, v37
	v_add_f32_e32 v34, v34, v35
	v_add_f32_e32 v147, v38, v34
	v_rcp_f32_e32 v149, v147
	v_sub_f32_e32 v35, v38, v147
	v_add_f32_e32 v148, v34, v35
	v_add_f32_e32 v35, v36, v37
	v_mul_f32_e32 v151, v35, v149
	v_sub_f32_e32 v34, v36, v35
	v_mul_f32_e32 v36, v147, v151
	v_fma_f32 v38, v151, v147, -v36
	v_fmac_f32_e32 v38, v151, v148
	v_add_f32_e32 v150, v37, v34
	v_add_f32_e32 v34, v36, v38
	v_sub_f32_e32 v37, v35, v34
	v_pk_add_f32 v[144:145], v[34:35], v[36:37] neg_lo:[0,1] neg_hi:[0,1]
	v_mov_b32_e32 v39, v34
	v_pk_add_f32 v[34:35], v[144:145], v[38:39] neg_lo:[0,1] neg_hi:[0,1]
	v_cmp_eq_f32_e32 vcc, s60, v162
	v_add_f32_e32 v35, v150, v35
	v_add_f32_e32 v34, v34, v35
	;; [unrolled: 1-line block ×3, first 2 shown]
	v_mul_f32_e32 v150, v149, v35
	v_mul_f32_e32 v36, v147, v150
	v_fma_f32 v38, v150, v147, -v36
	v_fmac_f32_e32 v38, v150, v148
	v_sub_f32_e32 v37, v37, v35
	v_add_f32_e32 v147, v34, v37
	v_add_f32_e32 v34, v36, v38
	v_sub_f32_e32 v37, v35, v34
	v_pk_add_f32 v[144:145], v[34:35], v[36:37] neg_lo:[0,1] neg_hi:[0,1]
	v_mov_b32_e32 v39, v34
	v_pk_add_f32 v[34:35], v[144:145], v[38:39] neg_lo:[0,1] neg_hi:[0,1]
	v_cvt_f32_i32_e32 v36, v146
	v_add_f32_e32 v35, v147, v35
	v_add_f32_e32 v34, v34, v35
	;; [unrolled: 1-line block ×4, first 2 shown]
	v_sub_f32_e32 v35, v37, v151
	v_mul_f32_e32 v34, v149, v34
	v_sub_f32_e32 v35, v150, v35
	v_add_f32_e32 v34, v35, v34
	v_add_f32_e32 v38, v37, v34
	v_mul_f32_e32 v144, v38, v38
	v_mov_b32_e32 v35, 0x3ecc95a3
	v_sub_f32_e32 v37, v38, v37
	v_fmac_f32_e32 v35, 0x3e9b6dac, v144
	v_sub_f32_e32 v34, v34, v37
	v_fmaak_f32 v35, v144, v35, 0x3f2aaada
	v_ldexp_f32 v145, v34, 1
	v_mul_f32_e32 v37, v38, v144
	v_mov_b32_e32 v34, 0x3f317218
	v_pk_mul_f32 v[34:35], v[36:37], v[34:35]
	v_ldexp_f32 v39, v38, 1
	v_fma_f32 v37, v36, s13, -v34
	v_fmamk_f32 v38, v36, 0xb102e308, v37
	v_pk_add_f32 v[36:37], v[34:35], v[38:39]
	v_mov_b32_e32 v144, v34
	v_sub_f32_e32 v39, v37, v39
	v_sub_f32_e32 v39, v35, v39
	v_add_f32_e32 v145, v145, v39
	v_pk_add_f32 v[34:35], v[36:37], v[34:35] neg_lo:[0,1] neg_hi:[0,1]
	v_pk_add_f32 v[146:147], v[36:37], v[144:145]
	v_mov_b32_e32 v39, v36
	v_mov_b32_e32 v35, v147
	v_pk_add_f32 v[148:149], v[38:39], v[34:35] neg_lo:[0,1] neg_hi:[0,1]
	v_pk_add_f32 v[34:35], v[38:39], v[34:35]
	v_mov_b32_e32 v144, v145
	v_mov_b32_e32 v38, v35
	v_pk_add_f32 v[150:151], v[38:39], v[36:37] neg_lo:[0,1] neg_hi:[0,1]
	v_mov_b32_e32 v34, v147
	v_mov_b32_e32 v39, v150
	v_pk_add_f32 v[160:161], v[146:147], v[38:39] neg_lo:[0,1] neg_hi:[0,1]
	v_mov_b32_e32 v146, v37
	v_mov_b32_e32 v147, v150
	;; [unrolled: 1-line block ×3, first 2 shown]
	v_pk_add_f32 v[34:35], v[34:35], v[146:147] neg_lo:[0,1] neg_hi:[0,1]
	v_mov_b32_e32 v145, v36
	v_pk_add_f32 v[34:35], v[144:145], v[34:35] neg_lo:[0,1] neg_hi:[0,1]
	v_mov_b32_e32 v160, v148
	v_pk_add_f32 v[36:37], v[160:161], v[34:35]
	s_mov_b32 s13, 0x33800000
	v_mov_b32_e32 v144, v37
	v_pk_add_f32 v[144:145], v[36:37], v[144:145]
	v_cmp_lt_f32_e64 s[60:61], |v162|, s13
	v_pk_add_f32 v[38:39], v[38:39], v[144:145]
	v_mov_b32_e32 v35, v144
	v_mov_b32_e32 v37, v38
	v_pk_add_f32 v[146:147], v[36:37], v[148:149] neg_lo:[0,1] neg_hi:[0,1]
	s_or_b64 vcc, vcc, s[60:61]
	v_sub_f32_e32 v36, v36, v146
	v_pk_add_f32 v[34:35], v[34:35], v[146:147] neg_lo:[0,1] neg_hi:[0,1]
	v_sub_f32_e32 v36, v148, v36
	v_add_f32_e32 v34, v34, v36
	v_add_f32_e32 v34, v34, v35
	;; [unrolled: 1-line block ×3, first 2 shown]
	v_cndmask_b32_e32 v34, v34, v162, vcc
	v_add_f32_e32 v34, v32, v34
.LBB499_122:
	s_or_b64 exec, exec, s[52:53]
	v_bfe_u32 v32, v34, 16, 1
	s_movk_i32 s13, 0x7fff
	v_add3_u32 v32, v34, v32, s13
	v_lshrrev_b32_e32 v32, 16, v32
	v_mov_b32_e32 v35, 0x7fc0
	v_cmp_o_f32_e32 vcc, v34, v34
	s_nop 1
	v_cndmask_b32_e32 v34, v35, v32, vcc
.LBB499_123:
	s_or_b64 exec, exec, s[56:57]
	v_and_b32_e32 v35, 0x3c0, v0
	v_min_u32_e32 v35, 0xc0, v35
	v_or_b32_e32 v35, 63, v35
	v_lshrrev_b32_e32 v32, 6, v0
	v_cmp_eq_u32_e32 vcc, v35, v0
	s_and_saveexec_b64 s[52:53], vcc
	s_cbranch_execz .LBB499_125
; %bb.124:
	v_lshlrev_b32_e32 v35, 1, v32
	ds_write_b16 v35, v34
.LBB499_125:
	s_or_b64 exec, exec, s[52:53]
	v_cmp_gt_u32_e32 vcc, 4, v0
	s_waitcnt lgkmcnt(0)
	s_barrier
	s_and_saveexec_b64 s[56:57], vcc
	s_cbranch_execz .LBB499_135
; %bb.126:
	ds_read_u16 v36, v10
	v_and_b32_e32 v35, 3, v33
	v_cmp_ne_u32_e32 vcc, 0, v35
	s_waitcnt lgkmcnt(0)
	v_and_b32_e32 v38, 0xffff, v36
	s_nop 1
	v_mov_b32_dpp v37, v38 row_shr:1 row_mask:0xf bank_mask:0xf
	s_and_saveexec_b64 s[60:61], vcc
	s_cbranch_execz .LBB499_130
; %bb.127:
	v_lshlrev_b32_e32 v37, 16, v37
	v_lshlrev_b32_e32 v36, 16, v38
	v_max_f32_e32 v39, v36, v36
	v_max_f32_e32 v144, v37, v37
	v_min_f32_e32 v38, v144, v39
	v_cmp_u_f32_e32 vcc, v37, v37
	v_max_f32_e32 v39, v144, v39
	v_cmp_u_f32_e64 s[52:53], v36, v36
	v_cndmask_b32_e32 v38, v38, v37, vcc
	v_cndmask_b32_e32 v39, v39, v37, vcc
	v_cndmask_b32_e64 v38, v38, v36, s[52:53]
	v_cndmask_b32_e64 v36, v39, v36, s[52:53]
	s_movk_i32 s13, 0x1f8
	v_cmp_neq_f32_e32 vcc, v38, v36
	v_cmp_class_f32_e64 s[52:53], v38, s13
	s_or_b64 vcc, vcc, s[52:53]
	s_and_saveexec_b64 s[52:53], vcc
	s_cbranch_execz .LBB499_129
; %bb.128:
	v_sub_f32_e32 v37, v38, v36
	s_mov_b32 s13, 0x3fb8aa3b
	v_mul_f32_e32 v38, 0x3fb8aa3b, v37
	v_fma_f32 v39, v37, s13, -v38
	v_rndne_f32_e32 v144, v38
	v_fmamk_f32 v39, v37, 0x32a5705f, v39
	v_sub_f32_e32 v38, v38, v144
	v_add_f32_e32 v38, v38, v39
	v_exp_f32_e32 v38, v38
	v_cvt_i32_f32_e32 v39, v144
	s_mov_b32 s13, 0xc2ce8ed0
	v_cmp_ngt_f32_e32 vcc, s13, v37
	s_mov_b32 s13, 0x42b17218
	v_ldexp_f32 v38, v38, v39
	v_cndmask_b32_e32 v38, 0, v38, vcc
	v_mov_b32_e32 v39, 0x7f800000
	v_cmp_nlt_f32_e32 vcc, s13, v37
	s_mov_b32 s13, 0x3f2aaaab
	s_mov_b32 s62, 0x7f800000
	v_cndmask_b32_e32 v166, v39, v38, vcc
	v_add_f32_e32 v37, 1.0, v166
	v_add_f32_e32 v38, -1.0, v37
	v_sub_f32_e32 v39, v38, v37
	v_add_f32_e32 v39, 1.0, v39
	v_sub_f32_e32 v38, v166, v38
	v_add_f32_e32 v144, v38, v39
	v_frexp_mant_f32_e32 v145, v37
	v_cvt_f64_f32_e32 v[38:39], v37
	v_frexp_exp_i32_f64_e32 v38, v[38:39]
	v_cmp_gt_f32_e32 vcc, s13, v145
	s_mov_b32 s13, 0x3f317218
	s_nop 0
	v_subbrev_co_u32_e32 v150, vcc, 0, v38, vcc
	v_sub_u32_e32 v38, 0, v150
	v_ldexp_f32 v37, v37, v38
	v_ldexp_f32 v38, v144, v38
	v_add_f32_e32 v144, -1.0, v37
	v_add_f32_e32 v39, 1.0, v144
	v_sub_f32_e32 v39, v37, v39
	v_add_f32_e32 v145, v38, v39
	v_add_f32_e32 v39, 1.0, v37
	v_add_f32_e32 v146, -1.0, v39
	v_sub_f32_e32 v37, v37, v146
	v_add_f32_e32 v37, v38, v37
	v_add_f32_e32 v151, v39, v37
	v_rcp_f32_e32 v160, v151
	v_sub_f32_e32 v38, v39, v151
	v_add_f32_e32 v39, v144, v145
	v_add_f32_e32 v37, v37, v38
	v_mul_f32_e32 v162, v39, v160
	v_sub_f32_e32 v38, v144, v39
	v_mul_f32_e32 v144, v151, v162
	v_fma_f32 v146, v162, v151, -v144
	v_fmac_f32_e32 v146, v162, v37
	v_add_f32_e32 v161, v145, v38
	v_add_f32_e32 v38, v144, v146
	v_sub_f32_e32 v145, v39, v38
	v_pk_add_f32 v[148:149], v[38:39], v[144:145] neg_lo:[0,1] neg_hi:[0,1]
	v_mov_b32_e32 v147, v38
	v_pk_add_f32 v[38:39], v[148:149], v[146:147] neg_lo:[0,1] neg_hi:[0,1]
	v_cmp_eq_f32_e32 vcc, s62, v166
	v_add_f32_e32 v39, v161, v39
	v_add_f32_e32 v38, v38, v39
	;; [unrolled: 1-line block ×3, first 2 shown]
	v_mul_f32_e32 v161, v160, v39
	v_mul_f32_e32 v144, v151, v161
	v_fma_f32 v146, v161, v151, -v144
	v_fmac_f32_e32 v146, v161, v37
	v_sub_f32_e32 v37, v145, v39
	v_add_f32_e32 v37, v38, v37
	v_add_f32_e32 v38, v144, v146
	v_sub_f32_e32 v145, v39, v38
	v_pk_add_f32 v[148:149], v[38:39], v[144:145] neg_lo:[0,1] neg_hi:[0,1]
	v_mov_b32_e32 v147, v38
	v_pk_add_f32 v[38:39], v[148:149], v[146:147] neg_lo:[0,1] neg_hi:[0,1]
	v_cvt_f32_i32_e32 v144, v150
	v_add_f32_e32 v37, v37, v39
	v_add_f32_e32 v37, v38, v37
	;; [unrolled: 1-line block ×4, first 2 shown]
	v_sub_f32_e32 v39, v38, v162
	v_mul_f32_e32 v37, v160, v37
	v_sub_f32_e32 v39, v161, v39
	v_add_f32_e32 v37, v39, v37
	v_add_f32_e32 v145, v38, v37
	v_mul_f32_e32 v146, v145, v145
	v_mov_b32_e32 v39, 0x3ecc95a3
	v_fmac_f32_e32 v39, 0x3e9b6dac, v146
	v_sub_f32_e32 v38, v145, v38
	v_fmaak_f32 v39, v146, v39, 0x3f2aaada
	v_sub_f32_e32 v37, v37, v38
	v_ldexp_f32 v147, v145, 1
	v_mul_f32_e32 v145, v145, v146
	v_mov_b32_e32 v38, 0x3f317218
	v_pk_mul_f32 v[38:39], v[144:145], v[38:39]
	v_ldexp_f32 v37, v37, 1
	v_fma_f32 v145, v144, s13, -v38
	v_fmamk_f32 v146, v144, 0xb102e308, v145
	v_pk_add_f32 v[144:145], v[38:39], v[146:147]
	v_mov_b32_e32 v148, v38
	v_sub_f32_e32 v147, v145, v147
	v_sub_f32_e32 v147, v39, v147
	v_add_f32_e32 v149, v37, v147
	v_pk_add_f32 v[38:39], v[144:145], v[38:39] neg_lo:[0,1] neg_hi:[0,1]
	v_pk_add_f32 v[150:151], v[144:145], v[148:149]
	v_mov_b32_e32 v147, v144
	v_mov_b32_e32 v39, v151
	v_pk_add_f32 v[160:161], v[146:147], v[38:39] neg_lo:[0,1] neg_hi:[0,1]
	v_pk_add_f32 v[38:39], v[146:147], v[38:39]
	v_mov_b32_e32 v148, v149
	v_mov_b32_e32 v146, v39
	v_pk_add_f32 v[162:163], v[146:147], v[144:145] neg_lo:[0,1] neg_hi:[0,1]
	v_mov_b32_e32 v38, v151
	v_mov_b32_e32 v37, v162
	v_pk_add_f32 v[164:165], v[150:151], v[36:37] neg_lo:[0,1] neg_hi:[0,1]
	v_mov_b32_e32 v150, v145
	v_mov_b32_e32 v151, v162
	;; [unrolled: 1-line block ×3, first 2 shown]
	v_pk_add_f32 v[38:39], v[38:39], v[150:151] neg_lo:[0,1] neg_hi:[0,1]
	v_mov_b32_e32 v149, v144
	v_pk_add_f32 v[38:39], v[148:149], v[38:39] neg_lo:[0,1] neg_hi:[0,1]
	v_mov_b32_e32 v164, v160
	v_pk_add_f32 v[144:145], v[164:165], v[38:39]
	s_mov_b32 s13, 0x33800000
	v_mov_b32_e32 v148, v145
	v_pk_add_f32 v[148:149], v[144:145], v[148:149]
	v_cmp_lt_f32_e64 s[62:63], |v166|, s13
	v_pk_add_f32 v[146:147], v[146:147], v[148:149]
	v_mov_b32_e32 v39, v148
	v_mov_b32_e32 v145, v146
	v_pk_add_f32 v[150:151], v[144:145], v[160:161] neg_lo:[0,1] neg_hi:[0,1]
	s_or_b64 vcc, vcc, s[62:63]
	v_sub_f32_e32 v37, v144, v150
	v_pk_add_f32 v[38:39], v[38:39], v[150:151] neg_lo:[0,1] neg_hi:[0,1]
	v_sub_f32_e32 v37, v160, v37
	v_add_f32_e32 v37, v38, v37
	v_add_f32_e32 v37, v37, v39
	;; [unrolled: 1-line block ×3, first 2 shown]
	v_cndmask_b32_e32 v37, v37, v166, vcc
	v_add_f32_e32 v37, v36, v37
.LBB499_129:
	s_or_b64 exec, exec, s[52:53]
	v_bfe_u32 v36, v37, 16, 1
	s_movk_i32 s13, 0x7fff
	v_add3_u32 v36, v37, v36, s13
	v_lshrrev_b32_e32 v36, 16, v36
	v_mov_b32_e32 v38, 0x7fc0
	v_cmp_o_f32_e32 vcc, v37, v37
	s_nop 1
	v_cndmask_b32_e32 v36, v38, v36, vcc
	v_and_b32_e32 v38, 0xffff, v36
.LBB499_130:
	s_or_b64 exec, exec, s[60:61]
	s_nop 0
	v_mov_b32_dpp v37, v38 row_shr:2 row_mask:0xf bank_mask:0xf
	v_cmp_lt_u32_e32 vcc, 1, v35
	s_and_saveexec_b64 s[60:61], vcc
	s_cbranch_execz .LBB499_134
; %bb.131:
	v_lshlrev_b32_e32 v36, 16, v37
	v_lshlrev_b32_e32 v35, 16, v38
	v_max_f32_e32 v38, v35, v35
	v_max_f32_e32 v39, v36, v36
	v_min_f32_e32 v37, v39, v38
	v_cmp_u_f32_e32 vcc, v36, v36
	v_max_f32_e32 v38, v39, v38
	v_cmp_u_f32_e64 s[52:53], v35, v35
	v_cndmask_b32_e32 v37, v37, v36, vcc
	v_cndmask_b32_e32 v38, v38, v36, vcc
	v_cndmask_b32_e64 v37, v37, v35, s[52:53]
	v_cndmask_b32_e64 v35, v38, v35, s[52:53]
	s_movk_i32 s13, 0x1f8
	v_cmp_neq_f32_e32 vcc, v37, v35
	v_cmp_class_f32_e64 s[52:53], v37, s13
	s_or_b64 vcc, vcc, s[52:53]
	s_and_saveexec_b64 s[52:53], vcc
	s_cbranch_execz .LBB499_133
; %bb.132:
	v_sub_f32_e32 v36, v37, v35
	s_mov_b32 s13, 0x3fb8aa3b
	v_mul_f32_e32 v37, 0x3fb8aa3b, v36
	v_fma_f32 v38, v36, s13, -v37
	v_rndne_f32_e32 v39, v37
	v_fmamk_f32 v38, v36, 0x32a5705f, v38
	v_sub_f32_e32 v37, v37, v39
	v_add_f32_e32 v37, v37, v38
	v_exp_f32_e32 v37, v37
	v_cvt_i32_f32_e32 v38, v39
	s_mov_b32 s13, 0xc2ce8ed0
	v_cmp_ngt_f32_e32 vcc, s13, v36
	s_mov_b32 s13, 0x42b17218
	v_ldexp_f32 v37, v37, v38
	v_cndmask_b32_e32 v37, 0, v37, vcc
	v_mov_b32_e32 v38, 0x7f800000
	v_cmp_nlt_f32_e32 vcc, s13, v36
	s_mov_b32 s13, 0x3f2aaaab
	s_mov_b32 s62, 0x7f800000
	v_cndmask_b32_e32 v164, v38, v37, vcc
	v_add_f32_e32 v38, 1.0, v164
	v_add_f32_e32 v36, -1.0, v38
	v_sub_f32_e32 v37, v36, v38
	v_add_f32_e32 v37, 1.0, v37
	v_sub_f32_e32 v36, v164, v36
	v_add_f32_e32 v39, v36, v37
	v_frexp_mant_f32_e32 v144, v38
	v_cvt_f64_f32_e32 v[36:37], v38
	v_frexp_exp_i32_f64_e32 v36, v[36:37]
	v_cmp_gt_f32_e32 vcc, s13, v144
	s_mov_b32 s13, 0x3f317218
	s_nop 0
	v_subbrev_co_u32_e32 v148, vcc, 0, v36, vcc
	v_sub_u32_e32 v36, 0, v148
	v_ldexp_f32 v37, v38, v36
	v_add_f32_e32 v38, -1.0, v37
	v_add_f32_e32 v144, 1.0, v37
	v_ldexp_f32 v36, v39, v36
	v_add_f32_e32 v39, 1.0, v38
	v_add_f32_e32 v145, -1.0, v144
	v_sub_f32_e32 v39, v37, v39
	v_sub_f32_e32 v37, v37, v145
	v_add_f32_e32 v39, v36, v39
	v_add_f32_e32 v36, v36, v37
	;; [unrolled: 1-line block ×3, first 2 shown]
	v_rcp_f32_e32 v151, v149
	v_sub_f32_e32 v37, v144, v149
	v_add_f32_e32 v150, v36, v37
	v_add_f32_e32 v37, v38, v39
	v_mul_f32_e32 v161, v37, v151
	v_sub_f32_e32 v36, v38, v37
	v_mul_f32_e32 v38, v149, v161
	v_fma_f32 v144, v161, v149, -v38
	v_fmac_f32_e32 v144, v161, v150
	v_add_f32_e32 v160, v39, v36
	v_add_f32_e32 v36, v38, v144
	v_sub_f32_e32 v39, v37, v36
	v_pk_add_f32 v[146:147], v[36:37], v[38:39] neg_lo:[0,1] neg_hi:[0,1]
	v_mov_b32_e32 v145, v36
	v_pk_add_f32 v[36:37], v[146:147], v[144:145] neg_lo:[0,1] neg_hi:[0,1]
	v_cmp_eq_f32_e32 vcc, s62, v164
	v_add_f32_e32 v37, v160, v37
	v_add_f32_e32 v36, v36, v37
	;; [unrolled: 1-line block ×3, first 2 shown]
	v_mul_f32_e32 v160, v151, v37
	v_mul_f32_e32 v38, v149, v160
	v_fma_f32 v144, v160, v149, -v38
	v_fmac_f32_e32 v144, v160, v150
	v_sub_f32_e32 v39, v39, v37
	v_add_f32_e32 v149, v36, v39
	v_add_f32_e32 v36, v38, v144
	v_sub_f32_e32 v39, v37, v36
	v_pk_add_f32 v[146:147], v[36:37], v[38:39] neg_lo:[0,1] neg_hi:[0,1]
	v_mov_b32_e32 v145, v36
	v_pk_add_f32 v[36:37], v[146:147], v[144:145] neg_lo:[0,1] neg_hi:[0,1]
	v_cvt_f32_i32_e32 v38, v148
	v_add_f32_e32 v37, v149, v37
	v_add_f32_e32 v36, v36, v37
	v_add_f32_e32 v36, v39, v36
	v_add_f32_e32 v39, v161, v160
	v_sub_f32_e32 v37, v39, v161
	v_mul_f32_e32 v36, v151, v36
	v_sub_f32_e32 v37, v160, v37
	v_add_f32_e32 v36, v37, v36
	v_add_f32_e32 v144, v39, v36
	v_mul_f32_e32 v146, v144, v144
	v_mov_b32_e32 v37, 0x3ecc95a3
	v_sub_f32_e32 v39, v144, v39
	v_fmac_f32_e32 v37, 0x3e9b6dac, v146
	v_sub_f32_e32 v36, v36, v39
	v_fmaak_f32 v37, v146, v37, 0x3f2aaada
	v_ldexp_f32 v147, v36, 1
	v_mul_f32_e32 v39, v144, v146
	v_mov_b32_e32 v36, 0x3f317218
	v_pk_mul_f32 v[36:37], v[38:39], v[36:37]
	v_ldexp_f32 v145, v144, 1
	v_fma_f32 v39, v38, s13, -v36
	v_fmamk_f32 v144, v38, 0xb102e308, v39
	v_pk_add_f32 v[38:39], v[36:37], v[144:145]
	v_mov_b32_e32 v146, v36
	v_sub_f32_e32 v145, v39, v145
	v_sub_f32_e32 v145, v37, v145
	v_add_f32_e32 v147, v147, v145
	v_pk_add_f32 v[36:37], v[38:39], v[36:37] neg_lo:[0,1] neg_hi:[0,1]
	v_pk_add_f32 v[148:149], v[38:39], v[146:147]
	v_mov_b32_e32 v145, v38
	v_mov_b32_e32 v37, v149
	v_pk_add_f32 v[150:151], v[144:145], v[36:37] neg_lo:[0,1] neg_hi:[0,1]
	v_pk_add_f32 v[36:37], v[144:145], v[36:37]
	v_mov_b32_e32 v146, v147
	v_mov_b32_e32 v144, v37
	v_pk_add_f32 v[160:161], v[144:145], v[38:39] neg_lo:[0,1] neg_hi:[0,1]
	v_mov_b32_e32 v36, v149
	v_mov_b32_e32 v145, v160
	v_pk_add_f32 v[162:163], v[148:149], v[144:145] neg_lo:[0,1] neg_hi:[0,1]
	v_mov_b32_e32 v148, v39
	v_mov_b32_e32 v149, v160
	;; [unrolled: 1-line block ×3, first 2 shown]
	v_pk_add_f32 v[36:37], v[36:37], v[148:149] neg_lo:[0,1] neg_hi:[0,1]
	v_mov_b32_e32 v147, v38
	v_pk_add_f32 v[36:37], v[146:147], v[36:37] neg_lo:[0,1] neg_hi:[0,1]
	v_mov_b32_e32 v162, v150
	v_pk_add_f32 v[38:39], v[162:163], v[36:37]
	s_mov_b32 s13, 0x33800000
	v_mov_b32_e32 v146, v39
	v_pk_add_f32 v[146:147], v[38:39], v[146:147]
	v_cmp_lt_f32_e64 s[62:63], |v164|, s13
	v_pk_add_f32 v[144:145], v[144:145], v[146:147]
	v_mov_b32_e32 v37, v146
	v_mov_b32_e32 v39, v144
	v_pk_add_f32 v[148:149], v[38:39], v[150:151] neg_lo:[0,1] neg_hi:[0,1]
	s_or_b64 vcc, vcc, s[62:63]
	v_sub_f32_e32 v38, v38, v148
	v_pk_add_f32 v[36:37], v[36:37], v[148:149] neg_lo:[0,1] neg_hi:[0,1]
	v_sub_f32_e32 v38, v150, v38
	v_add_f32_e32 v36, v36, v38
	v_add_f32_e32 v36, v36, v37
	v_add_f32_e32 v36, v144, v36
	v_cndmask_b32_e32 v36, v36, v164, vcc
	v_add_f32_e32 v36, v35, v36
.LBB499_133:
	s_or_b64 exec, exec, s[52:53]
	v_bfe_u32 v35, v36, 16, 1
	s_movk_i32 s13, 0x7fff
	v_add3_u32 v35, v36, v35, s13
	v_lshrrev_b32_e32 v35, 16, v35
	v_mov_b32_e32 v37, 0x7fc0
	v_cmp_o_f32_e32 vcc, v36, v36
	s_nop 1
	v_cndmask_b32_e32 v36, v37, v35, vcc
.LBB499_134:
	s_or_b64 exec, exec, s[60:61]
	ds_write_b16 v10, v36
.LBB499_135:
	s_or_b64 exec, exec, s[56:57]
	v_cmp_gt_u32_e32 vcc, 64, v0
	v_cmp_lt_u32_e64 s[52:53], 63, v0
	s_waitcnt lgkmcnt(0)
	s_barrier
	s_waitcnt lgkmcnt(0)
                                        ; implicit-def: $vgpr144
	s_and_saveexec_b64 s[60:61], s[52:53]
	s_cbranch_execz .LBB499_139
; %bb.136:
	v_lshl_add_u32 v32, v32, 1, -2
	ds_read_u16 v144, v32
	v_lshlrev_b32_e32 v32, 16, v34
	v_max_f32_e32 v36, v32, v32
	v_cmp_u_f32_e64 s[56:57], v32, v32
	s_movk_i32 s13, 0x1f8
	s_waitcnt lgkmcnt(0)
	v_lshlrev_b32_e32 v34, 16, v144
	v_max_f32_e32 v37, v34, v34
	v_min_f32_e32 v35, v37, v36
	v_cmp_u_f32_e64 s[52:53], v34, v34
	v_max_f32_e32 v36, v37, v36
	s_nop 0
	v_cndmask_b32_e64 v35, v35, v34, s[52:53]
	v_cndmask_b32_e64 v36, v36, v34, s[52:53]
	;; [unrolled: 1-line block ×4, first 2 shown]
	v_cmp_neq_f32_e64 s[52:53], v35, v32
	v_cmp_class_f32_e64 s[56:57], v35, s13
	s_or_b64 s[52:53], s[52:53], s[56:57]
	s_and_saveexec_b64 s[56:57], s[52:53]
	s_cbranch_execz .LBB499_138
; %bb.137:
	v_sub_f32_e32 v34, v35, v32
	s_mov_b32 s13, 0x3fb8aa3b
	v_mul_f32_e32 v35, 0x3fb8aa3b, v34
	v_fma_f32 v36, v34, s13, -v35
	v_rndne_f32_e32 v37, v35
	v_fmamk_f32 v36, v34, 0x32a5705f, v36
	v_sub_f32_e32 v35, v35, v37
	v_add_f32_e32 v35, v35, v36
	v_exp_f32_e32 v35, v35
	v_cvt_i32_f32_e32 v36, v37
	s_mov_b32 s13, 0xc2ce8ed0
	v_cmp_ngt_f32_e64 s[52:53], s13, v34
	s_mov_b32 s13, 0x42b17218
	v_ldexp_f32 v35, v35, v36
	v_cndmask_b32_e64 v35, 0, v35, s[52:53]
	v_mov_b32_e32 v36, 0x7f800000
	v_cmp_nlt_f32_e64 s[52:53], s13, v34
	s_mov_b32 s13, 0x3f2aaaab
	s_mov_b32 s62, 0x7f800000
	v_cndmask_b32_e64 v145, v36, v35, s[52:53]
	v_add_f32_e32 v36, 1.0, v145
	v_add_f32_e32 v34, -1.0, v36
	v_sub_f32_e32 v35, v34, v36
	v_add_f32_e32 v35, 1.0, v35
	v_sub_f32_e32 v34, v145, v34
	v_add_f32_e32 v37, v34, v35
	v_frexp_mant_f32_e32 v38, v36
	v_cvt_f64_f32_e32 v[34:35], v36
	v_frexp_exp_i32_f64_e32 v34, v[34:35]
	v_cmp_gt_f32_e64 s[52:53], s13, v38
	s_mov_b32 s13, 0x3f317218
	s_nop 0
	v_subbrev_co_u32_e64 v148, s[52:53], 0, v34, s[52:53]
	v_sub_u32_e32 v34, 0, v148
	v_ldexp_f32 v35, v36, v34
	v_add_f32_e32 v36, -1.0, v35
	v_add_f32_e32 v38, 1.0, v35
	v_ldexp_f32 v34, v37, v34
	v_add_f32_e32 v37, 1.0, v36
	v_add_f32_e32 v39, -1.0, v38
	v_sub_f32_e32 v37, v35, v37
	v_sub_f32_e32 v35, v35, v39
	v_add_f32_e32 v37, v34, v37
	v_add_f32_e32 v34, v34, v35
	;; [unrolled: 1-line block ×3, first 2 shown]
	v_rcp_f32_e32 v151, v149
	v_sub_f32_e32 v35, v38, v149
	v_add_f32_e32 v150, v34, v35
	v_add_f32_e32 v35, v36, v37
	v_mul_f32_e32 v161, v35, v151
	v_sub_f32_e32 v34, v36, v35
	v_mul_f32_e32 v36, v149, v161
	v_fma_f32 v38, v161, v149, -v36
	v_fmac_f32_e32 v38, v161, v150
	v_add_f32_e32 v160, v37, v34
	v_add_f32_e32 v34, v36, v38
	v_sub_f32_e32 v37, v35, v34
	v_pk_add_f32 v[146:147], v[34:35], v[36:37] neg_lo:[0,1] neg_hi:[0,1]
	v_mov_b32_e32 v39, v34
	v_pk_add_f32 v[34:35], v[146:147], v[38:39] neg_lo:[0,1] neg_hi:[0,1]
	v_cmp_eq_f32_e64 s[52:53], s62, v145
	v_add_f32_e32 v35, v160, v35
	v_add_f32_e32 v34, v34, v35
	;; [unrolled: 1-line block ×3, first 2 shown]
	v_mul_f32_e32 v160, v151, v35
	v_mul_f32_e32 v36, v149, v160
	v_fma_f32 v38, v160, v149, -v36
	v_fmac_f32_e32 v38, v160, v150
	v_sub_f32_e32 v37, v37, v35
	v_add_f32_e32 v149, v34, v37
	v_add_f32_e32 v34, v36, v38
	v_sub_f32_e32 v37, v35, v34
	v_pk_add_f32 v[146:147], v[34:35], v[36:37] neg_lo:[0,1] neg_hi:[0,1]
	v_mov_b32_e32 v39, v34
	v_pk_add_f32 v[34:35], v[146:147], v[38:39] neg_lo:[0,1] neg_hi:[0,1]
	v_cvt_f32_i32_e32 v36, v148
	v_add_f32_e32 v35, v149, v35
	v_add_f32_e32 v34, v34, v35
	;; [unrolled: 1-line block ×4, first 2 shown]
	v_sub_f32_e32 v35, v37, v161
	v_mul_f32_e32 v34, v151, v34
	v_sub_f32_e32 v35, v160, v35
	v_add_f32_e32 v34, v35, v34
	v_add_f32_e32 v38, v37, v34
	v_mul_f32_e32 v146, v38, v38
	v_mov_b32_e32 v35, 0x3ecc95a3
	v_sub_f32_e32 v37, v38, v37
	v_fmac_f32_e32 v35, 0x3e9b6dac, v146
	v_sub_f32_e32 v34, v34, v37
	v_fmaak_f32 v35, v146, v35, 0x3f2aaada
	v_ldexp_f32 v147, v34, 1
	v_mul_f32_e32 v37, v38, v146
	v_mov_b32_e32 v34, 0x3f317218
	v_pk_mul_f32 v[34:35], v[36:37], v[34:35]
	v_ldexp_f32 v39, v38, 1
	v_fma_f32 v37, v36, s13, -v34
	v_fmamk_f32 v38, v36, 0xb102e308, v37
	v_pk_add_f32 v[36:37], v[34:35], v[38:39]
	v_mov_b32_e32 v146, v34
	v_sub_f32_e32 v39, v37, v39
	v_sub_f32_e32 v39, v35, v39
	v_add_f32_e32 v147, v147, v39
	v_pk_add_f32 v[34:35], v[36:37], v[34:35] neg_lo:[0,1] neg_hi:[0,1]
	v_pk_add_f32 v[148:149], v[36:37], v[146:147]
	v_mov_b32_e32 v39, v36
	v_mov_b32_e32 v35, v149
	v_pk_add_f32 v[150:151], v[38:39], v[34:35] neg_lo:[0,1] neg_hi:[0,1]
	v_pk_add_f32 v[34:35], v[38:39], v[34:35]
	v_mov_b32_e32 v146, v147
	v_mov_b32_e32 v38, v35
	v_pk_add_f32 v[160:161], v[38:39], v[36:37] neg_lo:[0,1] neg_hi:[0,1]
	v_mov_b32_e32 v34, v149
	v_mov_b32_e32 v39, v160
	v_pk_add_f32 v[162:163], v[148:149], v[38:39] neg_lo:[0,1] neg_hi:[0,1]
	v_mov_b32_e32 v148, v37
	v_mov_b32_e32 v149, v160
	;; [unrolled: 1-line block ×3, first 2 shown]
	v_pk_add_f32 v[34:35], v[34:35], v[148:149] neg_lo:[0,1] neg_hi:[0,1]
	v_mov_b32_e32 v147, v36
	v_pk_add_f32 v[34:35], v[146:147], v[34:35] neg_lo:[0,1] neg_hi:[0,1]
	v_mov_b32_e32 v162, v150
	v_pk_add_f32 v[36:37], v[162:163], v[34:35]
	s_mov_b32 s13, 0x33800000
	v_mov_b32_e32 v146, v37
	v_pk_add_f32 v[146:147], v[36:37], v[146:147]
	v_cmp_lt_f32_e64 s[62:63], |v145|, s13
	v_pk_add_f32 v[38:39], v[38:39], v[146:147]
	v_mov_b32_e32 v35, v146
	v_mov_b32_e32 v37, v38
	v_pk_add_f32 v[148:149], v[36:37], v[150:151] neg_lo:[0,1] neg_hi:[0,1]
	s_or_b64 s[52:53], s[52:53], s[62:63]
	v_sub_f32_e32 v36, v36, v148
	v_pk_add_f32 v[34:35], v[34:35], v[148:149] neg_lo:[0,1] neg_hi:[0,1]
	v_sub_f32_e32 v36, v150, v36
	v_add_f32_e32 v34, v34, v36
	v_add_f32_e32 v34, v34, v35
	;; [unrolled: 1-line block ×3, first 2 shown]
	v_cndmask_b32_e64 v34, v34, v145, s[52:53]
	v_add_f32_e32 v34, v32, v34
.LBB499_138:
	s_or_b64 exec, exec, s[56:57]
	v_bfe_u32 v32, v34, 16, 1
	s_movk_i32 s13, 0x7fff
	v_add3_u32 v32, v34, v32, s13
	v_lshrrev_b32_e32 v32, 16, v32
	v_mov_b32_e32 v35, 0x7fc0
	v_cmp_o_f32_e64 s[52:53], v34, v34
	s_nop 1
	v_cndmask_b32_e64 v34, v35, v32, s[52:53]
.LBB499_139:
	s_or_b64 exec, exec, s[60:61]
	v_and_b32_e32 v32, 0xffff, v34
	v_add_u32_e32 v34, -1, v33
	v_and_b32_e32 v35, 64, v33
	v_cmp_lt_i32_e64 s[52:53], v34, v35
	s_nop 1
	v_cndmask_b32_e64 v34, v34, v33, s[52:53]
	v_lshlrev_b32_e32 v34, 2, v34
	ds_bpermute_b32 v145, v34, v32
	v_cmp_eq_u32_e64 s[52:53], 0, v33
	s_and_saveexec_b64 s[60:61], vcc
	s_cbranch_execz .LBB499_214
; %bb.140:
	v_mov_b32_e32 v37, 0
	ds_read_u16 v146, v37 offset:6
	s_and_saveexec_b64 vcc, s[52:53]
	s_cbranch_execz .LBB499_142
; %bb.141:
	s_add_i32 s56, s12, 64
	s_mov_b32 s57, 0
	v_lshl_add_u64 v[34:35], s[56:57], 2, v[28:29]
	s_waitcnt lgkmcnt(0)
	v_or_b32_e32 v32, 0x10000, v146
	flat_store_dword v[34:35], v32 sc1
.LBB499_142:
	s_or_b64 exec, exec, vcc
	v_xad_u32 v32, v33, -1, s12
	v_add_u32_e32 v36, 64, v32
	v_lshl_add_u64 v[34:35], v[36:37], 2, v[28:29]
	flat_load_dword v38, v[34:35] sc1
	s_waitcnt vmcnt(0) lgkmcnt(0)
	v_lshrrev_b32_e32 v149, 16, v38
	v_cmp_eq_u16_sdwa s[56:57], v149, v37 src0_sel:BYTE_0 src1_sel:DWORD
	s_and_saveexec_b64 vcc, s[56:57]
	s_cbranch_execz .LBB499_148
; %bb.143:
	s_mov_b32 s13, 1
	s_mov_b64 s[56:57], 0
	v_mov_b32_e32 v36, 0
.LBB499_144:                            ; =>This Loop Header: Depth=1
                                        ;     Child Loop BB499_145 Depth 2
	s_max_u32 s62, s13, 1
.LBB499_145:                            ;   Parent Loop BB499_144 Depth=1
                                        ; =>  This Inner Loop Header: Depth=2
	s_add_i32 s62, s62, -1
	s_cmp_eq_u32 s62, 0
	s_sleep 1
	s_cbranch_scc0 .LBB499_145
; %bb.146:                              ;   in Loop: Header=BB499_144 Depth=1
	flat_load_dword v38, v[34:35] sc1
	s_cmp_lt_u32 s13, 32
	s_cselect_b64 s[62:63], -1, 0
	s_cmp_lg_u64 s[62:63], 0
	s_addc_u32 s13, s13, 0
	s_waitcnt vmcnt(0) lgkmcnt(0)
	v_lshrrev_b32_e32 v149, 16, v38
	v_cmp_ne_u16_sdwa s[62:63], v149, v36 src0_sel:BYTE_0 src1_sel:DWORD
	s_or_b64 s[56:57], s[62:63], s[56:57]
	s_andn2_b64 exec, exec, s[56:57]
	s_cbranch_execnz .LBB499_144
; %bb.147:
	s_or_b64 exec, exec, s[56:57]
.LBB499_148:
	s_or_b64 exec, exec, vcc
	v_mov_b32_e32 v34, 2
	v_cmp_eq_u16_sdwa vcc, v149, v34 src0_sel:BYTE_0 src1_sel:DWORD
	v_lshlrev_b64 v[34:35], v33, -1
	v_and_b32_e32 v147, 63, v33
	v_and_b32_e32 v36, vcc_hi, v35
	v_and_b32_e32 v150, vcc_lo, v34
	v_cmp_ne_u32_e32 vcc, 63, v147
	v_and_b32_e32 v37, 0xffff, v38
	v_or_b32_e32 v36, 0x80000000, v36
	v_addc_co_u32_e32 v39, vcc, 0, v33, vcc
	v_lshlrev_b32_e32 v148, 2, v39
	ds_bpermute_b32 v39, v148, v37
	v_ffbl_b32_e32 v36, v36
	v_add_u32_e32 v36, 32, v36
	v_ffbl_b32_e32 v150, v150
	v_min_u32_e32 v36, v150, v36
	v_cmp_lt_u32_e32 vcc, v147, v36
	s_and_saveexec_b64 s[62:63], vcc
	s_cbranch_execz .LBB499_152
; %bb.149:
	s_waitcnt lgkmcnt(0)
	v_lshlrev_b32_e32 v38, 16, v39
	v_lshlrev_b32_e32 v37, 16, v37
	v_max_f32_e32 v150, v37, v37
	v_max_f32_e32 v151, v38, v38
	v_min_f32_e32 v39, v151, v150
	v_cmp_u_f32_e32 vcc, v38, v38
	v_max_f32_e32 v150, v151, v150
	v_cmp_u_f32_e64 s[56:57], v37, v37
	v_cndmask_b32_e32 v39, v39, v38, vcc
	v_cndmask_b32_e32 v150, v150, v38, vcc
	v_cndmask_b32_e64 v39, v39, v37, s[56:57]
	v_cndmask_b32_e64 v37, v150, v37, s[56:57]
	s_movk_i32 s13, 0x1f8
	v_cmp_neq_f32_e32 vcc, v39, v37
	v_cmp_class_f32_e64 s[56:57], v39, s13
	s_or_b64 vcc, vcc, s[56:57]
	s_and_saveexec_b64 s[56:57], vcc
	s_cbranch_execz .LBB499_151
; %bb.150:
	v_sub_f32_e32 v38, v39, v37
	s_mov_b32 s13, 0x3fb8aa3b
	v_mul_f32_e32 v39, 0x3fb8aa3b, v38
	v_fma_f32 v150, v38, s13, -v39
	v_rndne_f32_e32 v151, v39
	v_fmamk_f32 v150, v38, 0x32a5705f, v150
	v_sub_f32_e32 v39, v39, v151
	v_add_f32_e32 v39, v39, v150
	v_exp_f32_e32 v39, v39
	v_cvt_i32_f32_e32 v150, v151
	s_mov_b32 s13, 0xc2ce8ed0
	v_cmp_ngt_f32_e32 vcc, s13, v38
	s_mov_b32 s13, 0x42b17218
	v_ldexp_f32 v39, v39, v150
	v_cndmask_b32_e32 v39, 0, v39, vcc
	v_mov_b32_e32 v150, 0x7f800000
	v_cmp_nlt_f32_e32 vcc, s13, v38
	s_mov_b32 s13, 0x3f2aaaab
	s_mov_b32 s64, 0x7f800000
	v_cndmask_b32_e32 v180, v150, v39, vcc
	v_add_f32_e32 v150, 1.0, v180
	v_add_f32_e32 v38, -1.0, v150
	v_sub_f32_e32 v39, v38, v150
	v_add_f32_e32 v39, 1.0, v39
	v_sub_f32_e32 v38, v180, v38
	v_add_f32_e32 v151, v38, v39
	v_frexp_mant_f32_e32 v160, v150
	v_cvt_f64_f32_e32 v[38:39], v150
	v_frexp_exp_i32_f64_e32 v38, v[38:39]
	v_cmp_gt_f32_e32 vcc, s13, v160
	s_mov_b32 s13, 0x3f317218
	s_nop 0
	v_subbrev_co_u32_e32 v164, vcc, 0, v38, vcc
	v_sub_u32_e32 v38, 0, v164
	v_ldexp_f32 v39, v150, v38
	v_add_f32_e32 v150, -1.0, v39
	v_add_f32_e32 v160, 1.0, v39
	v_ldexp_f32 v38, v151, v38
	v_add_f32_e32 v151, 1.0, v150
	v_add_f32_e32 v161, -1.0, v160
	v_sub_f32_e32 v151, v39, v151
	v_sub_f32_e32 v39, v39, v161
	v_add_f32_e32 v151, v38, v151
	v_add_f32_e32 v38, v38, v39
	;; [unrolled: 1-line block ×3, first 2 shown]
	v_rcp_f32_e32 v167, v165
	v_sub_f32_e32 v39, v160, v165
	v_add_f32_e32 v166, v38, v39
	v_add_f32_e32 v39, v150, v151
	v_mul_f32_e32 v177, v39, v167
	v_sub_f32_e32 v38, v150, v39
	v_mul_f32_e32 v150, v165, v177
	v_fma_f32 v160, v177, v165, -v150
	v_fmac_f32_e32 v160, v177, v166
	v_add_f32_e32 v176, v151, v38
	v_add_f32_e32 v38, v150, v160
	v_sub_f32_e32 v151, v39, v38
	v_pk_add_f32 v[162:163], v[38:39], v[150:151] neg_lo:[0,1] neg_hi:[0,1]
	v_mov_b32_e32 v161, v38
	v_pk_add_f32 v[38:39], v[162:163], v[160:161] neg_lo:[0,1] neg_hi:[0,1]
	v_cmp_eq_f32_e32 vcc, s64, v180
	v_add_f32_e32 v39, v176, v39
	v_add_f32_e32 v38, v38, v39
	;; [unrolled: 1-line block ×3, first 2 shown]
	v_mul_f32_e32 v176, v167, v39
	v_mul_f32_e32 v150, v165, v176
	v_fma_f32 v160, v176, v165, -v150
	v_fmac_f32_e32 v160, v176, v166
	v_sub_f32_e32 v151, v151, v39
	v_add_f32_e32 v165, v38, v151
	v_add_f32_e32 v38, v150, v160
	v_sub_f32_e32 v151, v39, v38
	v_pk_add_f32 v[162:163], v[38:39], v[150:151] neg_lo:[0,1] neg_hi:[0,1]
	v_mov_b32_e32 v161, v38
	v_pk_add_f32 v[38:39], v[162:163], v[160:161] neg_lo:[0,1] neg_hi:[0,1]
	v_cvt_f32_i32_e32 v150, v164
	v_add_f32_e32 v39, v165, v39
	v_add_f32_e32 v38, v38, v39
	;; [unrolled: 1-line block ×4, first 2 shown]
	v_sub_f32_e32 v39, v151, v177
	v_mul_f32_e32 v38, v167, v38
	v_sub_f32_e32 v39, v176, v39
	v_add_f32_e32 v38, v39, v38
	v_add_f32_e32 v160, v151, v38
	v_mul_f32_e32 v162, v160, v160
	v_mov_b32_e32 v39, 0x3ecc95a3
	v_sub_f32_e32 v151, v160, v151
	v_fmac_f32_e32 v39, 0x3e9b6dac, v162
	v_sub_f32_e32 v38, v38, v151
	v_fmaak_f32 v39, v162, v39, 0x3f2aaada
	v_ldexp_f32 v163, v38, 1
	v_mul_f32_e32 v151, v160, v162
	v_mov_b32_e32 v38, 0x3f317218
	v_pk_mul_f32 v[38:39], v[150:151], v[38:39]
	v_ldexp_f32 v161, v160, 1
	v_fma_f32 v151, v150, s13, -v38
	v_fmamk_f32 v160, v150, 0xb102e308, v151
	v_pk_add_f32 v[150:151], v[38:39], v[160:161]
	v_mov_b32_e32 v162, v38
	v_sub_f32_e32 v161, v151, v161
	v_sub_f32_e32 v161, v39, v161
	v_add_f32_e32 v163, v163, v161
	v_pk_add_f32 v[38:39], v[150:151], v[38:39] neg_lo:[0,1] neg_hi:[0,1]
	v_pk_add_f32 v[164:165], v[150:151], v[162:163]
	v_mov_b32_e32 v161, v150
	v_mov_b32_e32 v39, v165
	v_pk_add_f32 v[166:167], v[160:161], v[38:39] neg_lo:[0,1] neg_hi:[0,1]
	v_pk_add_f32 v[38:39], v[160:161], v[38:39]
	v_mov_b32_e32 v162, v163
	v_mov_b32_e32 v160, v39
	v_pk_add_f32 v[176:177], v[160:161], v[150:151] neg_lo:[0,1] neg_hi:[0,1]
	v_mov_b32_e32 v38, v165
	v_mov_b32_e32 v161, v176
	v_pk_add_f32 v[178:179], v[164:165], v[160:161] neg_lo:[0,1] neg_hi:[0,1]
	v_mov_b32_e32 v164, v151
	v_mov_b32_e32 v165, v176
	;; [unrolled: 1-line block ×3, first 2 shown]
	v_pk_add_f32 v[38:39], v[38:39], v[164:165] neg_lo:[0,1] neg_hi:[0,1]
	v_mov_b32_e32 v163, v150
	v_pk_add_f32 v[38:39], v[162:163], v[38:39] neg_lo:[0,1] neg_hi:[0,1]
	v_mov_b32_e32 v178, v166
	v_pk_add_f32 v[150:151], v[178:179], v[38:39]
	s_mov_b32 s13, 0x33800000
	v_mov_b32_e32 v162, v151
	v_pk_add_f32 v[162:163], v[150:151], v[162:163]
	v_cmp_lt_f32_e64 s[64:65], |v180|, s13
	v_pk_add_f32 v[160:161], v[160:161], v[162:163]
	v_mov_b32_e32 v39, v162
	v_mov_b32_e32 v151, v160
	v_pk_add_f32 v[164:165], v[150:151], v[166:167] neg_lo:[0,1] neg_hi:[0,1]
	s_or_b64 vcc, vcc, s[64:65]
	v_sub_f32_e32 v150, v150, v164
	v_pk_add_f32 v[38:39], v[38:39], v[164:165] neg_lo:[0,1] neg_hi:[0,1]
	v_sub_f32_e32 v150, v166, v150
	v_add_f32_e32 v38, v38, v150
	v_add_f32_e32 v38, v38, v39
	;; [unrolled: 1-line block ×3, first 2 shown]
	v_cndmask_b32_e32 v38, v38, v180, vcc
	v_add_f32_e32 v38, v37, v38
.LBB499_151:
	s_or_b64 exec, exec, s[56:57]
	v_bfe_u32 v37, v38, 16, 1
	s_movk_i32 s13, 0x7fff
	v_add3_u32 v37, v38, v37, s13
	v_lshrrev_b32_e32 v37, 16, v37
	v_mov_b32_e32 v39, 0x7fc0
	v_cmp_o_f32_e32 vcc, v38, v38
	s_nop 1
	v_cndmask_b32_e32 v38, v39, v37, vcc
	v_and_b32_e32 v37, 0xffff, v38
.LBB499_152:
	s_or_b64 exec, exec, s[62:63]
	v_cmp_gt_u32_e32 vcc, 62, v147
	v_add_u32_e32 v151, 2, v147
	s_waitcnt lgkmcnt(0)
	v_cndmask_b32_e64 v39, 0, 1, vcc
	v_lshlrev_b32_e32 v39, 1, v39
	v_add_lshl_u32 v150, v39, v33, 2
	ds_bpermute_b32 v39, v150, v37
	v_cmp_le_u32_e32 vcc, v151, v36
	s_and_saveexec_b64 s[62:63], vcc
	s_cbranch_execz .LBB499_156
; %bb.153:
	s_waitcnt lgkmcnt(0)
	v_lshlrev_b32_e32 v38, 16, v39
	v_lshlrev_b32_e32 v37, 16, v37
	v_max_f32_e32 v160, v37, v37
	v_max_f32_e32 v161, v38, v38
	v_min_f32_e32 v39, v161, v160
	v_cmp_u_f32_e32 vcc, v38, v38
	v_max_f32_e32 v160, v161, v160
	v_cmp_u_f32_e64 s[56:57], v37, v37
	v_cndmask_b32_e32 v39, v39, v38, vcc
	v_cndmask_b32_e32 v160, v160, v38, vcc
	v_cndmask_b32_e64 v39, v39, v37, s[56:57]
	v_cndmask_b32_e64 v37, v160, v37, s[56:57]
	s_movk_i32 s13, 0x1f8
	v_cmp_neq_f32_e32 vcc, v39, v37
	v_cmp_class_f32_e64 s[56:57], v39, s13
	s_or_b64 vcc, vcc, s[56:57]
	s_and_saveexec_b64 s[56:57], vcc
	s_cbranch_execz .LBB499_155
; %bb.154:
	v_sub_f32_e32 v38, v39, v37
	s_mov_b32 s13, 0x3fb8aa3b
	v_mul_f32_e32 v39, 0x3fb8aa3b, v38
	v_fma_f32 v160, v38, s13, -v39
	v_rndne_f32_e32 v161, v39
	v_fmamk_f32 v160, v38, 0x32a5705f, v160
	v_sub_f32_e32 v39, v39, v161
	v_add_f32_e32 v39, v39, v160
	v_exp_f32_e32 v39, v39
	v_cvt_i32_f32_e32 v160, v161
	s_mov_b32 s13, 0xc2ce8ed0
	v_cmp_ngt_f32_e32 vcc, s13, v38
	s_mov_b32 s13, 0x42b17218
	v_ldexp_f32 v39, v39, v160
	v_cndmask_b32_e32 v39, 0, v39, vcc
	v_mov_b32_e32 v160, 0x7f800000
	v_cmp_nlt_f32_e32 vcc, s13, v38
	s_mov_b32 s13, 0x3f2aaaab
	s_mov_b32 s64, 0x7f800000
	v_cndmask_b32_e32 v182, v160, v39, vcc
	v_add_f32_e32 v160, 1.0, v182
	v_add_f32_e32 v38, -1.0, v160
	v_sub_f32_e32 v39, v38, v160
	v_add_f32_e32 v39, 1.0, v39
	v_sub_f32_e32 v38, v182, v38
	v_add_f32_e32 v161, v38, v39
	v_frexp_mant_f32_e32 v162, v160
	v_cvt_f64_f32_e32 v[38:39], v160
	v_frexp_exp_i32_f64_e32 v38, v[38:39]
	v_cmp_gt_f32_e32 vcc, s13, v162
	s_mov_b32 s13, 0x3f317218
	s_nop 0
	v_subbrev_co_u32_e32 v166, vcc, 0, v38, vcc
	v_sub_u32_e32 v38, 0, v166
	v_ldexp_f32 v39, v160, v38
	v_add_f32_e32 v160, -1.0, v39
	v_add_f32_e32 v162, 1.0, v39
	v_ldexp_f32 v38, v161, v38
	v_add_f32_e32 v161, 1.0, v160
	v_add_f32_e32 v163, -1.0, v162
	v_sub_f32_e32 v161, v39, v161
	v_sub_f32_e32 v39, v39, v163
	v_add_f32_e32 v161, v38, v161
	v_add_f32_e32 v38, v38, v39
	;; [unrolled: 1-line block ×3, first 2 shown]
	v_rcp_f32_e32 v177, v167
	v_sub_f32_e32 v39, v162, v167
	v_add_f32_e32 v176, v38, v39
	v_add_f32_e32 v39, v160, v161
	v_mul_f32_e32 v179, v39, v177
	v_sub_f32_e32 v38, v160, v39
	v_mul_f32_e32 v160, v167, v179
	v_fma_f32 v162, v179, v167, -v160
	v_fmac_f32_e32 v162, v179, v176
	v_add_f32_e32 v178, v161, v38
	v_add_f32_e32 v38, v160, v162
	v_sub_f32_e32 v161, v39, v38
	v_pk_add_f32 v[164:165], v[38:39], v[160:161] neg_lo:[0,1] neg_hi:[0,1]
	v_mov_b32_e32 v163, v38
	v_pk_add_f32 v[38:39], v[164:165], v[162:163] neg_lo:[0,1] neg_hi:[0,1]
	v_cmp_eq_f32_e32 vcc, s64, v182
	v_add_f32_e32 v39, v178, v39
	v_add_f32_e32 v38, v38, v39
	;; [unrolled: 1-line block ×3, first 2 shown]
	v_mul_f32_e32 v178, v177, v39
	v_mul_f32_e32 v160, v167, v178
	v_fma_f32 v162, v178, v167, -v160
	v_fmac_f32_e32 v162, v178, v176
	v_sub_f32_e32 v161, v161, v39
	v_add_f32_e32 v167, v38, v161
	v_add_f32_e32 v38, v160, v162
	v_sub_f32_e32 v161, v39, v38
	v_pk_add_f32 v[164:165], v[38:39], v[160:161] neg_lo:[0,1] neg_hi:[0,1]
	v_mov_b32_e32 v163, v38
	v_pk_add_f32 v[38:39], v[164:165], v[162:163] neg_lo:[0,1] neg_hi:[0,1]
	v_cvt_f32_i32_e32 v160, v166
	v_add_f32_e32 v39, v167, v39
	v_add_f32_e32 v38, v38, v39
	;; [unrolled: 1-line block ×4, first 2 shown]
	v_sub_f32_e32 v39, v161, v179
	v_mul_f32_e32 v38, v177, v38
	v_sub_f32_e32 v39, v178, v39
	v_add_f32_e32 v38, v39, v38
	v_add_f32_e32 v162, v161, v38
	v_mul_f32_e32 v164, v162, v162
	v_mov_b32_e32 v39, 0x3ecc95a3
	v_sub_f32_e32 v161, v162, v161
	v_fmac_f32_e32 v39, 0x3e9b6dac, v164
	v_sub_f32_e32 v38, v38, v161
	v_fmaak_f32 v39, v164, v39, 0x3f2aaada
	v_ldexp_f32 v165, v38, 1
	v_mul_f32_e32 v161, v162, v164
	v_mov_b32_e32 v38, 0x3f317218
	v_pk_mul_f32 v[38:39], v[160:161], v[38:39]
	v_ldexp_f32 v163, v162, 1
	v_fma_f32 v161, v160, s13, -v38
	v_fmamk_f32 v162, v160, 0xb102e308, v161
	v_pk_add_f32 v[160:161], v[38:39], v[162:163]
	v_mov_b32_e32 v164, v38
	v_sub_f32_e32 v163, v161, v163
	v_sub_f32_e32 v163, v39, v163
	v_add_f32_e32 v165, v165, v163
	v_pk_add_f32 v[38:39], v[160:161], v[38:39] neg_lo:[0,1] neg_hi:[0,1]
	v_pk_add_f32 v[166:167], v[160:161], v[164:165]
	v_mov_b32_e32 v163, v160
	v_mov_b32_e32 v39, v167
	v_pk_add_f32 v[176:177], v[162:163], v[38:39] neg_lo:[0,1] neg_hi:[0,1]
	v_pk_add_f32 v[38:39], v[162:163], v[38:39]
	v_mov_b32_e32 v164, v165
	v_mov_b32_e32 v162, v39
	v_pk_add_f32 v[178:179], v[162:163], v[160:161] neg_lo:[0,1] neg_hi:[0,1]
	v_mov_b32_e32 v38, v167
	v_mov_b32_e32 v163, v178
	v_pk_add_f32 v[180:181], v[166:167], v[162:163] neg_lo:[0,1] neg_hi:[0,1]
	v_mov_b32_e32 v166, v161
	v_mov_b32_e32 v167, v178
	;; [unrolled: 1-line block ×3, first 2 shown]
	v_pk_add_f32 v[38:39], v[38:39], v[166:167] neg_lo:[0,1] neg_hi:[0,1]
	v_mov_b32_e32 v165, v160
	v_pk_add_f32 v[38:39], v[164:165], v[38:39] neg_lo:[0,1] neg_hi:[0,1]
	v_mov_b32_e32 v180, v176
	v_pk_add_f32 v[160:161], v[180:181], v[38:39]
	s_mov_b32 s13, 0x33800000
	v_mov_b32_e32 v164, v161
	v_pk_add_f32 v[164:165], v[160:161], v[164:165]
	v_cmp_lt_f32_e64 s[64:65], |v182|, s13
	v_pk_add_f32 v[162:163], v[162:163], v[164:165]
	v_mov_b32_e32 v39, v164
	v_mov_b32_e32 v161, v162
	v_pk_add_f32 v[166:167], v[160:161], v[176:177] neg_lo:[0,1] neg_hi:[0,1]
	s_or_b64 vcc, vcc, s[64:65]
	v_sub_f32_e32 v160, v160, v166
	v_pk_add_f32 v[38:39], v[38:39], v[166:167] neg_lo:[0,1] neg_hi:[0,1]
	v_sub_f32_e32 v160, v176, v160
	v_add_f32_e32 v38, v38, v160
	v_add_f32_e32 v38, v38, v39
	;; [unrolled: 1-line block ×3, first 2 shown]
	v_cndmask_b32_e32 v38, v38, v182, vcc
	v_add_f32_e32 v38, v37, v38
.LBB499_155:
	s_or_b64 exec, exec, s[56:57]
	v_bfe_u32 v37, v38, 16, 1
	s_movk_i32 s13, 0x7fff
	v_add3_u32 v37, v38, v37, s13
	v_lshrrev_b32_e32 v37, 16, v37
	v_mov_b32_e32 v39, 0x7fc0
	v_cmp_o_f32_e32 vcc, v38, v38
	s_nop 1
	v_cndmask_b32_e32 v38, v39, v37, vcc
	v_and_b32_e32 v37, 0xffff, v38
.LBB499_156:
	s_or_b64 exec, exec, s[62:63]
	v_cmp_gt_u32_e32 vcc, 60, v147
	v_add_u32_e32 v161, 4, v147
	s_waitcnt lgkmcnt(0)
	v_cndmask_b32_e64 v39, 0, 1, vcc
	v_lshlrev_b32_e32 v39, 2, v39
	v_add_lshl_u32 v160, v39, v33, 2
	ds_bpermute_b32 v39, v160, v37
	v_cmp_le_u32_e32 vcc, v161, v36
	s_and_saveexec_b64 s[62:63], vcc
	s_cbranch_execz .LBB499_160
; %bb.157:
	s_waitcnt lgkmcnt(0)
	v_lshlrev_b32_e32 v38, 16, v39
	v_lshlrev_b32_e32 v37, 16, v37
	v_max_f32_e32 v162, v37, v37
	v_max_f32_e32 v163, v38, v38
	v_min_f32_e32 v39, v163, v162
	v_cmp_u_f32_e32 vcc, v38, v38
	v_max_f32_e32 v162, v163, v162
	v_cmp_u_f32_e64 s[56:57], v37, v37
	v_cndmask_b32_e32 v39, v39, v38, vcc
	v_cndmask_b32_e32 v162, v162, v38, vcc
	v_cndmask_b32_e64 v39, v39, v37, s[56:57]
	v_cndmask_b32_e64 v37, v162, v37, s[56:57]
	s_movk_i32 s13, 0x1f8
	v_cmp_neq_f32_e32 vcc, v39, v37
	v_cmp_class_f32_e64 s[56:57], v39, s13
	s_or_b64 vcc, vcc, s[56:57]
	s_and_saveexec_b64 s[56:57], vcc
	s_cbranch_execz .LBB499_159
; %bb.158:
	v_sub_f32_e32 v38, v39, v37
	s_mov_b32 s13, 0x3fb8aa3b
	v_mul_f32_e32 v39, 0x3fb8aa3b, v38
	v_fma_f32 v162, v38, s13, -v39
	v_rndne_f32_e32 v163, v39
	v_fmamk_f32 v162, v38, 0x32a5705f, v162
	v_sub_f32_e32 v39, v39, v163
	v_add_f32_e32 v39, v39, v162
	v_exp_f32_e32 v39, v39
	v_cvt_i32_f32_e32 v162, v163
	s_mov_b32 s13, 0xc2ce8ed0
	v_cmp_ngt_f32_e32 vcc, s13, v38
	s_mov_b32 s13, 0x42b17218
	v_ldexp_f32 v39, v39, v162
	v_cndmask_b32_e32 v39, 0, v39, vcc
	v_mov_b32_e32 v162, 0x7f800000
	v_cmp_nlt_f32_e32 vcc, s13, v38
	s_mov_b32 s13, 0x3f2aaaab
	s_mov_b32 s64, 0x7f800000
	v_cndmask_b32_e32 v192, v162, v39, vcc
	v_add_f32_e32 v162, 1.0, v192
	v_add_f32_e32 v38, -1.0, v162
	v_sub_f32_e32 v39, v38, v162
	v_add_f32_e32 v39, 1.0, v39
	v_sub_f32_e32 v38, v192, v38
	v_add_f32_e32 v163, v38, v39
	v_frexp_mant_f32_e32 v164, v162
	v_cvt_f64_f32_e32 v[38:39], v162
	v_frexp_exp_i32_f64_e32 v38, v[38:39]
	v_cmp_gt_f32_e32 vcc, s13, v164
	s_mov_b32 s13, 0x3f317218
	s_nop 0
	v_subbrev_co_u32_e32 v176, vcc, 0, v38, vcc
	v_sub_u32_e32 v38, 0, v176
	v_ldexp_f32 v39, v162, v38
	v_add_f32_e32 v162, -1.0, v39
	v_add_f32_e32 v164, 1.0, v39
	v_ldexp_f32 v38, v163, v38
	v_add_f32_e32 v163, 1.0, v162
	v_add_f32_e32 v165, -1.0, v164
	v_sub_f32_e32 v163, v39, v163
	v_sub_f32_e32 v39, v39, v165
	v_add_f32_e32 v163, v38, v163
	v_add_f32_e32 v38, v38, v39
	;; [unrolled: 1-line block ×3, first 2 shown]
	v_rcp_f32_e32 v179, v177
	v_sub_f32_e32 v39, v164, v177
	v_add_f32_e32 v178, v38, v39
	v_add_f32_e32 v39, v162, v163
	v_mul_f32_e32 v181, v39, v179
	v_sub_f32_e32 v38, v162, v39
	v_mul_f32_e32 v162, v177, v181
	v_fma_f32 v164, v181, v177, -v162
	v_fmac_f32_e32 v164, v181, v178
	v_add_f32_e32 v180, v163, v38
	v_add_f32_e32 v38, v162, v164
	v_sub_f32_e32 v163, v39, v38
	v_pk_add_f32 v[166:167], v[38:39], v[162:163] neg_lo:[0,1] neg_hi:[0,1]
	v_mov_b32_e32 v165, v38
	v_pk_add_f32 v[38:39], v[166:167], v[164:165] neg_lo:[0,1] neg_hi:[0,1]
	v_cmp_eq_f32_e32 vcc, s64, v192
	v_add_f32_e32 v39, v180, v39
	v_add_f32_e32 v38, v38, v39
	;; [unrolled: 1-line block ×3, first 2 shown]
	v_mul_f32_e32 v180, v179, v39
	v_mul_f32_e32 v162, v177, v180
	v_fma_f32 v164, v180, v177, -v162
	v_fmac_f32_e32 v164, v180, v178
	v_sub_f32_e32 v163, v163, v39
	v_add_f32_e32 v177, v38, v163
	v_add_f32_e32 v38, v162, v164
	v_sub_f32_e32 v163, v39, v38
	v_pk_add_f32 v[166:167], v[38:39], v[162:163] neg_lo:[0,1] neg_hi:[0,1]
	v_mov_b32_e32 v165, v38
	v_pk_add_f32 v[38:39], v[166:167], v[164:165] neg_lo:[0,1] neg_hi:[0,1]
	v_cvt_f32_i32_e32 v162, v176
	v_add_f32_e32 v39, v177, v39
	v_add_f32_e32 v38, v38, v39
	;; [unrolled: 1-line block ×4, first 2 shown]
	v_sub_f32_e32 v39, v163, v181
	v_mul_f32_e32 v38, v179, v38
	v_sub_f32_e32 v39, v180, v39
	v_add_f32_e32 v38, v39, v38
	v_add_f32_e32 v164, v163, v38
	v_mul_f32_e32 v166, v164, v164
	v_mov_b32_e32 v39, 0x3ecc95a3
	v_sub_f32_e32 v163, v164, v163
	v_fmac_f32_e32 v39, 0x3e9b6dac, v166
	v_sub_f32_e32 v38, v38, v163
	v_fmaak_f32 v39, v166, v39, 0x3f2aaada
	v_ldexp_f32 v167, v38, 1
	v_mul_f32_e32 v163, v164, v166
	v_mov_b32_e32 v38, 0x3f317218
	v_pk_mul_f32 v[38:39], v[162:163], v[38:39]
	v_ldexp_f32 v165, v164, 1
	v_fma_f32 v163, v162, s13, -v38
	v_fmamk_f32 v164, v162, 0xb102e308, v163
	v_pk_add_f32 v[162:163], v[38:39], v[164:165]
	v_mov_b32_e32 v166, v38
	v_sub_f32_e32 v165, v163, v165
	v_sub_f32_e32 v165, v39, v165
	v_add_f32_e32 v167, v167, v165
	v_pk_add_f32 v[38:39], v[162:163], v[38:39] neg_lo:[0,1] neg_hi:[0,1]
	v_pk_add_f32 v[176:177], v[162:163], v[166:167]
	v_mov_b32_e32 v165, v162
	v_mov_b32_e32 v39, v177
	v_pk_add_f32 v[178:179], v[164:165], v[38:39] neg_lo:[0,1] neg_hi:[0,1]
	v_pk_add_f32 v[38:39], v[164:165], v[38:39]
	v_mov_b32_e32 v166, v167
	v_mov_b32_e32 v164, v39
	v_pk_add_f32 v[180:181], v[164:165], v[162:163] neg_lo:[0,1] neg_hi:[0,1]
	v_mov_b32_e32 v38, v177
	v_mov_b32_e32 v165, v180
	v_pk_add_f32 v[182:183], v[176:177], v[164:165] neg_lo:[0,1] neg_hi:[0,1]
	v_mov_b32_e32 v176, v163
	v_mov_b32_e32 v177, v180
	v_mov_b32_e32 v179, v39
	v_pk_add_f32 v[38:39], v[38:39], v[176:177] neg_lo:[0,1] neg_hi:[0,1]
	v_mov_b32_e32 v167, v162
	v_pk_add_f32 v[38:39], v[166:167], v[38:39] neg_lo:[0,1] neg_hi:[0,1]
	v_mov_b32_e32 v182, v178
	v_pk_add_f32 v[162:163], v[182:183], v[38:39]
	s_mov_b32 s13, 0x33800000
	v_mov_b32_e32 v166, v163
	v_pk_add_f32 v[166:167], v[162:163], v[166:167]
	v_cmp_lt_f32_e64 s[64:65], |v192|, s13
	v_pk_add_f32 v[164:165], v[164:165], v[166:167]
	v_mov_b32_e32 v39, v166
	v_mov_b32_e32 v163, v164
	v_pk_add_f32 v[176:177], v[162:163], v[178:179] neg_lo:[0,1] neg_hi:[0,1]
	s_or_b64 vcc, vcc, s[64:65]
	v_sub_f32_e32 v162, v162, v176
	v_pk_add_f32 v[38:39], v[38:39], v[176:177] neg_lo:[0,1] neg_hi:[0,1]
	v_sub_f32_e32 v162, v178, v162
	v_add_f32_e32 v38, v38, v162
	v_add_f32_e32 v38, v38, v39
	;; [unrolled: 1-line block ×3, first 2 shown]
	v_cndmask_b32_e32 v38, v38, v192, vcc
	v_add_f32_e32 v38, v37, v38
.LBB499_159:
	s_or_b64 exec, exec, s[56:57]
	v_bfe_u32 v37, v38, 16, 1
	s_movk_i32 s13, 0x7fff
	v_add3_u32 v37, v38, v37, s13
	v_lshrrev_b32_e32 v37, 16, v37
	v_mov_b32_e32 v39, 0x7fc0
	v_cmp_o_f32_e32 vcc, v38, v38
	s_nop 1
	v_cndmask_b32_e32 v38, v39, v37, vcc
	v_and_b32_e32 v37, 0xffff, v38
.LBB499_160:
	s_or_b64 exec, exec, s[62:63]
	v_cmp_gt_u32_e32 vcc, 56, v147
	v_add_u32_e32 v163, 8, v147
	s_waitcnt lgkmcnt(0)
	v_cndmask_b32_e64 v39, 0, 1, vcc
	v_lshlrev_b32_e32 v39, 3, v39
	v_add_lshl_u32 v162, v39, v33, 2
	ds_bpermute_b32 v39, v162, v37
	v_cmp_le_u32_e32 vcc, v163, v36
	s_and_saveexec_b64 s[62:63], vcc
	s_cbranch_execz .LBB499_164
; %bb.161:
	s_waitcnt lgkmcnt(0)
	v_lshlrev_b32_e32 v38, 16, v39
	v_lshlrev_b32_e32 v37, 16, v37
	v_max_f32_e32 v164, v37, v37
	v_max_f32_e32 v165, v38, v38
	v_min_f32_e32 v39, v165, v164
	v_cmp_u_f32_e32 vcc, v38, v38
	v_max_f32_e32 v164, v165, v164
	v_cmp_u_f32_e64 s[56:57], v37, v37
	v_cndmask_b32_e32 v39, v39, v38, vcc
	v_cndmask_b32_e32 v164, v164, v38, vcc
	v_cndmask_b32_e64 v39, v39, v37, s[56:57]
	v_cndmask_b32_e64 v37, v164, v37, s[56:57]
	s_movk_i32 s13, 0x1f8
	v_cmp_neq_f32_e32 vcc, v39, v37
	v_cmp_class_f32_e64 s[56:57], v39, s13
	s_or_b64 vcc, vcc, s[56:57]
	s_and_saveexec_b64 s[56:57], vcc
	s_cbranch_execz .LBB499_163
; %bb.162:
	v_sub_f32_e32 v38, v39, v37
	s_mov_b32 s13, 0x3fb8aa3b
	v_mul_f32_e32 v39, 0x3fb8aa3b, v38
	v_fma_f32 v164, v38, s13, -v39
	v_rndne_f32_e32 v165, v39
	v_fmamk_f32 v164, v38, 0x32a5705f, v164
	v_sub_f32_e32 v39, v39, v165
	v_add_f32_e32 v39, v39, v164
	v_exp_f32_e32 v39, v39
	v_cvt_i32_f32_e32 v164, v165
	s_mov_b32 s13, 0xc2ce8ed0
	v_cmp_ngt_f32_e32 vcc, s13, v38
	s_mov_b32 s13, 0x42b17218
	v_ldexp_f32 v39, v39, v164
	v_cndmask_b32_e32 v39, 0, v39, vcc
	v_mov_b32_e32 v164, 0x7f800000
	v_cmp_nlt_f32_e32 vcc, s13, v38
	s_mov_b32 s13, 0x3f2aaaab
	s_mov_b32 s64, 0x7f800000
	v_cndmask_b32_e32 v194, v164, v39, vcc
	v_add_f32_e32 v164, 1.0, v194
	v_add_f32_e32 v38, -1.0, v164
	v_sub_f32_e32 v39, v38, v164
	v_add_f32_e32 v39, 1.0, v39
	v_sub_f32_e32 v38, v194, v38
	v_add_f32_e32 v165, v38, v39
	v_frexp_mant_f32_e32 v166, v164
	v_cvt_f64_f32_e32 v[38:39], v164
	v_frexp_exp_i32_f64_e32 v38, v[38:39]
	v_cmp_gt_f32_e32 vcc, s13, v166
	s_mov_b32 s13, 0x3f317218
	s_nop 0
	v_subbrev_co_u32_e32 v178, vcc, 0, v38, vcc
	v_sub_u32_e32 v38, 0, v178
	v_ldexp_f32 v39, v164, v38
	v_add_f32_e32 v164, -1.0, v39
	v_add_f32_e32 v166, 1.0, v39
	v_ldexp_f32 v38, v165, v38
	v_add_f32_e32 v165, 1.0, v164
	v_add_f32_e32 v167, -1.0, v166
	v_sub_f32_e32 v165, v39, v165
	v_sub_f32_e32 v39, v39, v167
	v_add_f32_e32 v165, v38, v165
	v_add_f32_e32 v38, v38, v39
	;; [unrolled: 1-line block ×3, first 2 shown]
	v_rcp_f32_e32 v181, v179
	v_sub_f32_e32 v39, v166, v179
	v_add_f32_e32 v180, v38, v39
	v_add_f32_e32 v39, v164, v165
	v_mul_f32_e32 v183, v39, v181
	v_sub_f32_e32 v38, v164, v39
	v_mul_f32_e32 v164, v179, v183
	v_fma_f32 v166, v183, v179, -v164
	v_fmac_f32_e32 v166, v183, v180
	v_add_f32_e32 v182, v165, v38
	v_add_f32_e32 v38, v164, v166
	v_sub_f32_e32 v165, v39, v38
	v_pk_add_f32 v[176:177], v[38:39], v[164:165] neg_lo:[0,1] neg_hi:[0,1]
	v_mov_b32_e32 v167, v38
	v_pk_add_f32 v[38:39], v[176:177], v[166:167] neg_lo:[0,1] neg_hi:[0,1]
	v_cmp_eq_f32_e32 vcc, s64, v194
	v_add_f32_e32 v39, v182, v39
	v_add_f32_e32 v38, v38, v39
	;; [unrolled: 1-line block ×3, first 2 shown]
	v_mul_f32_e32 v182, v181, v39
	v_mul_f32_e32 v164, v179, v182
	v_fma_f32 v166, v182, v179, -v164
	v_fmac_f32_e32 v166, v182, v180
	v_sub_f32_e32 v165, v165, v39
	v_add_f32_e32 v179, v38, v165
	v_add_f32_e32 v38, v164, v166
	v_sub_f32_e32 v165, v39, v38
	v_pk_add_f32 v[176:177], v[38:39], v[164:165] neg_lo:[0,1] neg_hi:[0,1]
	v_mov_b32_e32 v167, v38
	v_pk_add_f32 v[38:39], v[176:177], v[166:167] neg_lo:[0,1] neg_hi:[0,1]
	v_cvt_f32_i32_e32 v164, v178
	v_add_f32_e32 v39, v179, v39
	v_add_f32_e32 v38, v38, v39
	;; [unrolled: 1-line block ×4, first 2 shown]
	v_sub_f32_e32 v39, v165, v183
	v_mul_f32_e32 v38, v181, v38
	v_sub_f32_e32 v39, v182, v39
	v_add_f32_e32 v38, v39, v38
	v_add_f32_e32 v166, v165, v38
	v_mul_f32_e32 v176, v166, v166
	v_mov_b32_e32 v39, 0x3ecc95a3
	v_sub_f32_e32 v165, v166, v165
	v_fmac_f32_e32 v39, 0x3e9b6dac, v176
	v_sub_f32_e32 v38, v38, v165
	v_fmaak_f32 v39, v176, v39, 0x3f2aaada
	v_ldexp_f32 v177, v38, 1
	v_mul_f32_e32 v165, v166, v176
	v_mov_b32_e32 v38, 0x3f317218
	v_pk_mul_f32 v[38:39], v[164:165], v[38:39]
	v_ldexp_f32 v167, v166, 1
	v_fma_f32 v165, v164, s13, -v38
	v_fmamk_f32 v166, v164, 0xb102e308, v165
	v_pk_add_f32 v[164:165], v[38:39], v[166:167]
	v_mov_b32_e32 v176, v38
	v_sub_f32_e32 v167, v165, v167
	v_sub_f32_e32 v167, v39, v167
	v_add_f32_e32 v177, v177, v167
	v_pk_add_f32 v[38:39], v[164:165], v[38:39] neg_lo:[0,1] neg_hi:[0,1]
	v_pk_add_f32 v[178:179], v[164:165], v[176:177]
	v_mov_b32_e32 v167, v164
	v_mov_b32_e32 v39, v179
	v_pk_add_f32 v[180:181], v[166:167], v[38:39] neg_lo:[0,1] neg_hi:[0,1]
	v_pk_add_f32 v[38:39], v[166:167], v[38:39]
	v_mov_b32_e32 v176, v177
	v_mov_b32_e32 v166, v39
	v_pk_add_f32 v[182:183], v[166:167], v[164:165] neg_lo:[0,1] neg_hi:[0,1]
	v_mov_b32_e32 v38, v179
	v_mov_b32_e32 v167, v182
	v_pk_add_f32 v[192:193], v[178:179], v[166:167] neg_lo:[0,1] neg_hi:[0,1]
	v_mov_b32_e32 v178, v165
	v_mov_b32_e32 v179, v182
	;; [unrolled: 1-line block ×3, first 2 shown]
	v_pk_add_f32 v[38:39], v[38:39], v[178:179] neg_lo:[0,1] neg_hi:[0,1]
	v_mov_b32_e32 v177, v164
	v_pk_add_f32 v[38:39], v[176:177], v[38:39] neg_lo:[0,1] neg_hi:[0,1]
	v_mov_b32_e32 v192, v180
	v_pk_add_f32 v[164:165], v[192:193], v[38:39]
	s_mov_b32 s13, 0x33800000
	v_mov_b32_e32 v176, v165
	v_pk_add_f32 v[176:177], v[164:165], v[176:177]
	v_cmp_lt_f32_e64 s[64:65], |v194|, s13
	v_pk_add_f32 v[166:167], v[166:167], v[176:177]
	v_mov_b32_e32 v39, v176
	v_mov_b32_e32 v165, v166
	v_pk_add_f32 v[178:179], v[164:165], v[180:181] neg_lo:[0,1] neg_hi:[0,1]
	s_or_b64 vcc, vcc, s[64:65]
	v_sub_f32_e32 v164, v164, v178
	v_pk_add_f32 v[38:39], v[38:39], v[178:179] neg_lo:[0,1] neg_hi:[0,1]
	v_sub_f32_e32 v164, v180, v164
	v_add_f32_e32 v38, v38, v164
	v_add_f32_e32 v38, v38, v39
	;; [unrolled: 1-line block ×3, first 2 shown]
	v_cndmask_b32_e32 v38, v38, v194, vcc
	v_add_f32_e32 v38, v37, v38
.LBB499_163:
	s_or_b64 exec, exec, s[56:57]
	v_bfe_u32 v37, v38, 16, 1
	s_movk_i32 s13, 0x7fff
	v_add3_u32 v37, v38, v37, s13
	v_lshrrev_b32_e32 v37, 16, v37
	v_mov_b32_e32 v39, 0x7fc0
	v_cmp_o_f32_e32 vcc, v38, v38
	s_nop 1
	v_cndmask_b32_e32 v38, v39, v37, vcc
	v_and_b32_e32 v37, 0xffff, v38
.LBB499_164:
	s_or_b64 exec, exec, s[62:63]
	v_cmp_gt_u32_e32 vcc, 48, v147
	v_add_u32_e32 v165, 16, v147
	s_waitcnt lgkmcnt(0)
	v_cndmask_b32_e64 v39, 0, 1, vcc
	v_lshlrev_b32_e32 v39, 4, v39
	v_add_lshl_u32 v164, v39, v33, 2
	ds_bpermute_b32 v39, v164, v37
	v_cmp_le_u32_e32 vcc, v165, v36
	s_and_saveexec_b64 s[62:63], vcc
	s_cbranch_execz .LBB499_168
; %bb.165:
	s_waitcnt lgkmcnt(0)
	v_lshlrev_b32_e32 v38, 16, v39
	v_lshlrev_b32_e32 v37, 16, v37
	v_max_f32_e32 v166, v37, v37
	v_max_f32_e32 v167, v38, v38
	v_min_f32_e32 v39, v167, v166
	v_cmp_u_f32_e32 vcc, v38, v38
	v_max_f32_e32 v166, v167, v166
	v_cmp_u_f32_e64 s[56:57], v37, v37
	v_cndmask_b32_e32 v39, v39, v38, vcc
	v_cndmask_b32_e32 v166, v166, v38, vcc
	v_cndmask_b32_e64 v39, v39, v37, s[56:57]
	v_cndmask_b32_e64 v37, v166, v37, s[56:57]
	s_movk_i32 s13, 0x1f8
	v_cmp_neq_f32_e32 vcc, v39, v37
	v_cmp_class_f32_e64 s[56:57], v39, s13
	s_or_b64 vcc, vcc, s[56:57]
	s_and_saveexec_b64 s[56:57], vcc
	s_cbranch_execz .LBB499_167
; %bb.166:
	v_sub_f32_e32 v38, v39, v37
	s_mov_b32 s13, 0x3fb8aa3b
	v_mul_f32_e32 v39, 0x3fb8aa3b, v38
	v_fma_f32 v166, v38, s13, -v39
	v_rndne_f32_e32 v167, v39
	v_fmamk_f32 v166, v38, 0x32a5705f, v166
	v_sub_f32_e32 v39, v39, v167
	v_add_f32_e32 v39, v39, v166
	v_exp_f32_e32 v39, v39
	v_cvt_i32_f32_e32 v166, v167
	s_mov_b32 s13, 0xc2ce8ed0
	v_cmp_ngt_f32_e32 vcc, s13, v38
	s_mov_b32 s13, 0x42b17218
	v_ldexp_f32 v39, v39, v166
	v_cndmask_b32_e32 v39, 0, v39, vcc
	v_mov_b32_e32 v166, 0x7f800000
	v_cmp_nlt_f32_e32 vcc, s13, v38
	s_mov_b32 s13, 0x3f2aaaab
	s_mov_b32 s64, 0x7f800000
	v_cndmask_b32_e32 v196, v166, v39, vcc
	v_add_f32_e32 v166, 1.0, v196
	v_add_f32_e32 v38, -1.0, v166
	v_sub_f32_e32 v39, v38, v166
	v_add_f32_e32 v39, 1.0, v39
	v_sub_f32_e32 v38, v196, v38
	v_add_f32_e32 v167, v38, v39
	v_frexp_mant_f32_e32 v176, v166
	v_cvt_f64_f32_e32 v[38:39], v166
	v_frexp_exp_i32_f64_e32 v38, v[38:39]
	v_cmp_gt_f32_e32 vcc, s13, v176
	s_mov_b32 s13, 0x3f317218
	s_nop 0
	v_subbrev_co_u32_e32 v180, vcc, 0, v38, vcc
	v_sub_u32_e32 v38, 0, v180
	v_ldexp_f32 v39, v166, v38
	v_add_f32_e32 v166, -1.0, v39
	v_add_f32_e32 v176, 1.0, v39
	v_ldexp_f32 v38, v167, v38
	v_add_f32_e32 v167, 1.0, v166
	v_add_f32_e32 v177, -1.0, v176
	v_sub_f32_e32 v167, v39, v167
	v_sub_f32_e32 v39, v39, v177
	v_add_f32_e32 v167, v38, v167
	v_add_f32_e32 v38, v38, v39
	;; [unrolled: 1-line block ×3, first 2 shown]
	v_rcp_f32_e32 v183, v181
	v_sub_f32_e32 v39, v176, v181
	v_add_f32_e32 v182, v38, v39
	v_add_f32_e32 v39, v166, v167
	v_mul_f32_e32 v193, v39, v183
	v_sub_f32_e32 v38, v166, v39
	v_mul_f32_e32 v166, v181, v193
	v_fma_f32 v176, v193, v181, -v166
	v_fmac_f32_e32 v176, v193, v182
	v_add_f32_e32 v192, v167, v38
	v_add_f32_e32 v38, v166, v176
	v_sub_f32_e32 v167, v39, v38
	v_pk_add_f32 v[178:179], v[38:39], v[166:167] neg_lo:[0,1] neg_hi:[0,1]
	v_mov_b32_e32 v177, v38
	v_pk_add_f32 v[38:39], v[178:179], v[176:177] neg_lo:[0,1] neg_hi:[0,1]
	v_cmp_eq_f32_e32 vcc, s64, v196
	v_add_f32_e32 v39, v192, v39
	v_add_f32_e32 v38, v38, v39
	;; [unrolled: 1-line block ×3, first 2 shown]
	v_mul_f32_e32 v192, v183, v39
	v_mul_f32_e32 v166, v181, v192
	v_fma_f32 v176, v192, v181, -v166
	v_fmac_f32_e32 v176, v192, v182
	v_sub_f32_e32 v167, v167, v39
	v_add_f32_e32 v181, v38, v167
	v_add_f32_e32 v38, v166, v176
	v_sub_f32_e32 v167, v39, v38
	v_pk_add_f32 v[178:179], v[38:39], v[166:167] neg_lo:[0,1] neg_hi:[0,1]
	v_mov_b32_e32 v177, v38
	v_pk_add_f32 v[38:39], v[178:179], v[176:177] neg_lo:[0,1] neg_hi:[0,1]
	v_cvt_f32_i32_e32 v166, v180
	v_add_f32_e32 v39, v181, v39
	v_add_f32_e32 v38, v38, v39
	;; [unrolled: 1-line block ×4, first 2 shown]
	v_sub_f32_e32 v39, v167, v193
	v_mul_f32_e32 v38, v183, v38
	v_sub_f32_e32 v39, v192, v39
	v_add_f32_e32 v38, v39, v38
	v_add_f32_e32 v176, v167, v38
	v_mul_f32_e32 v178, v176, v176
	v_mov_b32_e32 v39, 0x3ecc95a3
	v_sub_f32_e32 v167, v176, v167
	v_fmac_f32_e32 v39, 0x3e9b6dac, v178
	v_sub_f32_e32 v38, v38, v167
	v_fmaak_f32 v39, v178, v39, 0x3f2aaada
	v_ldexp_f32 v179, v38, 1
	v_mul_f32_e32 v167, v176, v178
	v_mov_b32_e32 v38, 0x3f317218
	v_pk_mul_f32 v[38:39], v[166:167], v[38:39]
	v_ldexp_f32 v177, v176, 1
	v_fma_f32 v167, v166, s13, -v38
	v_fmamk_f32 v176, v166, 0xb102e308, v167
	v_pk_add_f32 v[166:167], v[38:39], v[176:177]
	v_mov_b32_e32 v178, v38
	v_sub_f32_e32 v177, v167, v177
	v_sub_f32_e32 v177, v39, v177
	v_add_f32_e32 v179, v179, v177
	v_pk_add_f32 v[38:39], v[166:167], v[38:39] neg_lo:[0,1] neg_hi:[0,1]
	v_pk_add_f32 v[180:181], v[166:167], v[178:179]
	v_mov_b32_e32 v177, v166
	v_mov_b32_e32 v39, v181
	v_pk_add_f32 v[182:183], v[176:177], v[38:39] neg_lo:[0,1] neg_hi:[0,1]
	v_pk_add_f32 v[38:39], v[176:177], v[38:39]
	v_mov_b32_e32 v178, v179
	v_mov_b32_e32 v176, v39
	v_pk_add_f32 v[192:193], v[176:177], v[166:167] neg_lo:[0,1] neg_hi:[0,1]
	v_mov_b32_e32 v38, v181
	v_mov_b32_e32 v177, v192
	v_pk_add_f32 v[194:195], v[180:181], v[176:177] neg_lo:[0,1] neg_hi:[0,1]
	v_mov_b32_e32 v180, v167
	v_mov_b32_e32 v181, v192
	;; [unrolled: 1-line block ×3, first 2 shown]
	v_pk_add_f32 v[38:39], v[38:39], v[180:181] neg_lo:[0,1] neg_hi:[0,1]
	v_mov_b32_e32 v179, v166
	v_pk_add_f32 v[38:39], v[178:179], v[38:39] neg_lo:[0,1] neg_hi:[0,1]
	v_mov_b32_e32 v194, v182
	v_pk_add_f32 v[166:167], v[194:195], v[38:39]
	s_mov_b32 s13, 0x33800000
	v_mov_b32_e32 v178, v167
	v_pk_add_f32 v[178:179], v[166:167], v[178:179]
	v_cmp_lt_f32_e64 s[64:65], |v196|, s13
	v_pk_add_f32 v[176:177], v[176:177], v[178:179]
	v_mov_b32_e32 v39, v178
	v_mov_b32_e32 v167, v176
	v_pk_add_f32 v[180:181], v[166:167], v[182:183] neg_lo:[0,1] neg_hi:[0,1]
	s_or_b64 vcc, vcc, s[64:65]
	v_sub_f32_e32 v166, v166, v180
	v_pk_add_f32 v[38:39], v[38:39], v[180:181] neg_lo:[0,1] neg_hi:[0,1]
	v_sub_f32_e32 v166, v182, v166
	v_add_f32_e32 v38, v38, v166
	v_add_f32_e32 v38, v38, v39
	;; [unrolled: 1-line block ×3, first 2 shown]
	v_cndmask_b32_e32 v38, v38, v196, vcc
	v_add_f32_e32 v38, v37, v38
.LBB499_167:
	s_or_b64 exec, exec, s[56:57]
	v_bfe_u32 v37, v38, 16, 1
	s_movk_i32 s13, 0x7fff
	v_add3_u32 v37, v38, v37, s13
	v_lshrrev_b32_e32 v37, 16, v37
	v_mov_b32_e32 v39, 0x7fc0
	v_cmp_o_f32_e32 vcc, v38, v38
	s_nop 1
	v_cndmask_b32_e32 v38, v39, v37, vcc
	v_and_b32_e32 v37, 0xffff, v38
.LBB499_168:
	s_or_b64 exec, exec, s[62:63]
	v_cmp_gt_u32_e32 vcc, 32, v147
	v_add_u32_e32 v167, 32, v147
	s_waitcnt lgkmcnt(0)
	v_cndmask_b32_e64 v39, 0, 1, vcc
	v_lshlrev_b32_e32 v39, 5, v39
	v_add_lshl_u32 v166, v39, v33, 2
	ds_bpermute_b32 v33, v166, v37
	v_cmp_le_u32_e32 vcc, v167, v36
	s_and_saveexec_b64 s[62:63], vcc
	s_cbranch_execz .LBB499_172
; %bb.169:
	s_waitcnt lgkmcnt(0)
	v_lshlrev_b32_e32 v36, 16, v33
	v_lshlrev_b32_e32 v33, 16, v37
	v_max_f32_e32 v38, v33, v33
	v_max_f32_e32 v39, v36, v36
	v_min_f32_e32 v37, v39, v38
	v_cmp_u_f32_e32 vcc, v36, v36
	v_max_f32_e32 v38, v39, v38
	v_cmp_u_f32_e64 s[56:57], v33, v33
	v_cndmask_b32_e32 v37, v37, v36, vcc
	v_cndmask_b32_e32 v38, v38, v36, vcc
	v_cndmask_b32_e64 v37, v37, v33, s[56:57]
	v_cndmask_b32_e64 v33, v38, v33, s[56:57]
	s_movk_i32 s13, 0x1f8
	v_cmp_neq_f32_e32 vcc, v37, v33
	v_cmp_class_f32_e64 s[56:57], v37, s13
	s_or_b64 vcc, vcc, s[56:57]
	s_and_saveexec_b64 s[56:57], vcc
	s_cbranch_execz .LBB499_171
; %bb.170:
	v_sub_f32_e32 v36, v37, v33
	s_mov_b32 s13, 0x3fb8aa3b
	v_mul_f32_e32 v37, 0x3fb8aa3b, v36
	v_fma_f32 v38, v36, s13, -v37
	v_rndne_f32_e32 v39, v37
	v_fmamk_f32 v38, v36, 0x32a5705f, v38
	v_sub_f32_e32 v37, v37, v39
	v_add_f32_e32 v37, v37, v38
	v_exp_f32_e32 v37, v37
	v_cvt_i32_f32_e32 v38, v39
	s_mov_b32 s13, 0xc2ce8ed0
	v_cmp_ngt_f32_e32 vcc, s13, v36
	s_mov_b32 s13, 0x42b17218
	v_ldexp_f32 v37, v37, v38
	v_cndmask_b32_e32 v37, 0, v37, vcc
	v_mov_b32_e32 v38, 0x7f800000
	v_cmp_nlt_f32_e32 vcc, s13, v36
	s_mov_b32 s13, 0x3f2aaaab
	s_mov_b32 s64, 0x7f800000
	v_cndmask_b32_e32 v196, v38, v37, vcc
	v_add_f32_e32 v38, 1.0, v196
	v_add_f32_e32 v36, -1.0, v38
	v_sub_f32_e32 v37, v36, v38
	v_add_f32_e32 v37, 1.0, v37
	v_sub_f32_e32 v36, v196, v36
	v_add_f32_e32 v39, v36, v37
	v_frexp_mant_f32_e32 v176, v38
	v_cvt_f64_f32_e32 v[36:37], v38
	v_frexp_exp_i32_f64_e32 v36, v[36:37]
	v_cmp_gt_f32_e32 vcc, s13, v176
	s_mov_b32 s13, 0x3f317218
	s_nop 0
	v_subbrev_co_u32_e32 v180, vcc, 0, v36, vcc
	v_sub_u32_e32 v36, 0, v180
	v_ldexp_f32 v37, v38, v36
	v_add_f32_e32 v38, -1.0, v37
	v_add_f32_e32 v176, 1.0, v37
	v_ldexp_f32 v36, v39, v36
	v_add_f32_e32 v39, 1.0, v38
	v_add_f32_e32 v177, -1.0, v176
	v_sub_f32_e32 v39, v37, v39
	v_sub_f32_e32 v37, v37, v177
	v_add_f32_e32 v39, v36, v39
	v_add_f32_e32 v36, v36, v37
	;; [unrolled: 1-line block ×3, first 2 shown]
	v_rcp_f32_e32 v183, v181
	v_sub_f32_e32 v37, v176, v181
	v_add_f32_e32 v182, v36, v37
	v_add_f32_e32 v37, v38, v39
	v_mul_f32_e32 v193, v37, v183
	v_sub_f32_e32 v36, v38, v37
	v_mul_f32_e32 v38, v181, v193
	v_fma_f32 v176, v193, v181, -v38
	v_fmac_f32_e32 v176, v193, v182
	v_add_f32_e32 v192, v39, v36
	v_add_f32_e32 v36, v38, v176
	v_sub_f32_e32 v39, v37, v36
	v_pk_add_f32 v[178:179], v[36:37], v[38:39] neg_lo:[0,1] neg_hi:[0,1]
	v_mov_b32_e32 v177, v36
	v_pk_add_f32 v[36:37], v[178:179], v[176:177] neg_lo:[0,1] neg_hi:[0,1]
	v_cmp_eq_f32_e32 vcc, s64, v196
	v_add_f32_e32 v37, v192, v37
	v_add_f32_e32 v36, v36, v37
	;; [unrolled: 1-line block ×3, first 2 shown]
	v_mul_f32_e32 v192, v183, v37
	v_mul_f32_e32 v38, v181, v192
	v_fma_f32 v176, v192, v181, -v38
	v_fmac_f32_e32 v176, v192, v182
	v_sub_f32_e32 v39, v39, v37
	v_add_f32_e32 v181, v36, v39
	v_add_f32_e32 v36, v38, v176
	v_sub_f32_e32 v39, v37, v36
	v_pk_add_f32 v[178:179], v[36:37], v[38:39] neg_lo:[0,1] neg_hi:[0,1]
	v_mov_b32_e32 v177, v36
	v_pk_add_f32 v[36:37], v[178:179], v[176:177] neg_lo:[0,1] neg_hi:[0,1]
	v_cvt_f32_i32_e32 v38, v180
	v_add_f32_e32 v37, v181, v37
	v_add_f32_e32 v36, v36, v37
	;; [unrolled: 1-line block ×4, first 2 shown]
	v_sub_f32_e32 v37, v39, v193
	v_mul_f32_e32 v36, v183, v36
	v_sub_f32_e32 v37, v192, v37
	v_add_f32_e32 v36, v37, v36
	v_add_f32_e32 v176, v39, v36
	v_mul_f32_e32 v178, v176, v176
	v_mov_b32_e32 v37, 0x3ecc95a3
	v_sub_f32_e32 v39, v176, v39
	v_fmac_f32_e32 v37, 0x3e9b6dac, v178
	v_sub_f32_e32 v36, v36, v39
	v_fmaak_f32 v37, v178, v37, 0x3f2aaada
	v_ldexp_f32 v179, v36, 1
	v_mul_f32_e32 v39, v176, v178
	v_mov_b32_e32 v36, 0x3f317218
	v_pk_mul_f32 v[36:37], v[38:39], v[36:37]
	v_ldexp_f32 v177, v176, 1
	v_fma_f32 v39, v38, s13, -v36
	v_fmamk_f32 v176, v38, 0xb102e308, v39
	v_pk_add_f32 v[38:39], v[36:37], v[176:177]
	v_mov_b32_e32 v178, v36
	v_sub_f32_e32 v177, v39, v177
	v_sub_f32_e32 v177, v37, v177
	v_add_f32_e32 v179, v179, v177
	v_pk_add_f32 v[36:37], v[38:39], v[36:37] neg_lo:[0,1] neg_hi:[0,1]
	v_pk_add_f32 v[180:181], v[38:39], v[178:179]
	v_mov_b32_e32 v177, v38
	v_mov_b32_e32 v37, v181
	v_pk_add_f32 v[182:183], v[176:177], v[36:37] neg_lo:[0,1] neg_hi:[0,1]
	v_pk_add_f32 v[36:37], v[176:177], v[36:37]
	v_mov_b32_e32 v178, v179
	v_mov_b32_e32 v176, v37
	v_pk_add_f32 v[192:193], v[176:177], v[38:39] neg_lo:[0,1] neg_hi:[0,1]
	v_mov_b32_e32 v36, v181
	v_mov_b32_e32 v177, v192
	v_pk_add_f32 v[194:195], v[180:181], v[176:177] neg_lo:[0,1] neg_hi:[0,1]
	v_mov_b32_e32 v180, v39
	v_mov_b32_e32 v181, v192
	;; [unrolled: 1-line block ×3, first 2 shown]
	v_pk_add_f32 v[36:37], v[36:37], v[180:181] neg_lo:[0,1] neg_hi:[0,1]
	v_mov_b32_e32 v179, v38
	v_pk_add_f32 v[36:37], v[178:179], v[36:37] neg_lo:[0,1] neg_hi:[0,1]
	v_mov_b32_e32 v194, v182
	v_pk_add_f32 v[38:39], v[194:195], v[36:37]
	s_mov_b32 s13, 0x33800000
	v_mov_b32_e32 v178, v39
	v_pk_add_f32 v[178:179], v[38:39], v[178:179]
	v_cmp_lt_f32_e64 s[64:65], |v196|, s13
	v_pk_add_f32 v[176:177], v[176:177], v[178:179]
	v_mov_b32_e32 v37, v178
	v_mov_b32_e32 v39, v176
	v_pk_add_f32 v[180:181], v[38:39], v[182:183] neg_lo:[0,1] neg_hi:[0,1]
	s_or_b64 vcc, vcc, s[64:65]
	v_sub_f32_e32 v38, v38, v180
	v_pk_add_f32 v[36:37], v[36:37], v[180:181] neg_lo:[0,1] neg_hi:[0,1]
	v_sub_f32_e32 v38, v182, v38
	v_add_f32_e32 v36, v36, v38
	v_add_f32_e32 v36, v36, v37
	;; [unrolled: 1-line block ×3, first 2 shown]
	v_cndmask_b32_e32 v36, v36, v196, vcc
	v_add_f32_e32 v36, v33, v36
.LBB499_171:
	s_or_b64 exec, exec, s[56:57]
	v_bfe_u32 v33, v36, 16, 1
	s_movk_i32 s13, 0x7fff
	v_add3_u32 v33, v36, v33, s13
	v_lshrrev_b32_e32 v33, 16, v33
	v_mov_b32_e32 v37, 0x7fc0
	v_cmp_o_f32_e32 vcc, v36, v36
	s_nop 1
	v_cndmask_b32_e32 v38, v37, v33, vcc
.LBB499_172:
	s_or_b64 exec, exec, s[62:63]
                                        ; implicit-def: $vgpr36
	s_waitcnt lgkmcnt(0)
	v_mov_b32_e32 v33, 0
	s_movk_i32 s13, 0x1f8
	s_mov_b32 s64, 0x3fb8aa3b
	s_mov_b32 s65, 0xc2ce8ed0
	;; [unrolled: 1-line block ×5, first 2 shown]
	v_mov_b32_e32 v177, 0x3ecc95a3
	s_mov_b32 s69, 0x3f317218
	s_mov_b32 s70, 0x33800000
	s_movk_i32 s71, 0x7fff
	v_mov_b32_e32 v178, 2
	v_mov_b32_e32 v179, 0x7f800000
	;; [unrolled: 1-line block ×4, first 2 shown]
	s_branch .LBB499_174
.LBB499_173:                            ;   in Loop: Header=BB499_174 Depth=1
                                        ; implicit-def: $vgpr38
                                        ; implicit-def: $vgpr149
	s_cbranch_execnz .LBB499_208
.LBB499_174:                            ; =>This Loop Header: Depth=1
                                        ;     Child Loop BB499_177 Depth 2
                                        ;       Child Loop BB499_178 Depth 3
	v_cmp_ne_u16_sdwa vcc, v149, v178 src0_sel:BYTE_0 src1_sel:DWORD
	v_mov_b32_e32 v176, v38
	s_nop 0
	v_cndmask_b32_e64 v37, 0, 1, vcc
	;;#ASMSTART
	;;#ASMEND
	s_nop 0
	v_cmp_ne_u32_e32 vcc, 0, v37
	s_cmp_lg_u64 vcc, exec
	s_cbranch_scc1 .LBB499_173
; %bb.175:                              ;   in Loop: Header=BB499_174 Depth=1
	v_lshl_add_u64 v[38:39], v[32:33], 2, v[28:29]
	flat_load_dword v37, v[38:39] sc1
	s_waitcnt vmcnt(0) lgkmcnt(0)
	v_lshrrev_b32_e32 v149, 16, v37
	v_cmp_eq_u16_sdwa s[56:57], v149, v33 src0_sel:BYTE_0 src1_sel:DWORD
	s_and_saveexec_b64 vcc, s[56:57]
	s_cbranch_execz .LBB499_181
; %bb.176:                              ;   in Loop: Header=BB499_174 Depth=1
	s_mov_b32 s62, 1
	s_mov_b64 s[56:57], 0
.LBB499_177:                            ;   Parent Loop BB499_174 Depth=1
                                        ; =>  This Loop Header: Depth=2
                                        ;       Child Loop BB499_178 Depth 3
	s_max_u32 s63, s62, 1
.LBB499_178:                            ;   Parent Loop BB499_174 Depth=1
                                        ;     Parent Loop BB499_177 Depth=2
                                        ; =>    This Inner Loop Header: Depth=3
	s_add_i32 s63, s63, -1
	s_cmp_eq_u32 s63, 0
	s_sleep 1
	s_cbranch_scc0 .LBB499_178
; %bb.179:                              ;   in Loop: Header=BB499_177 Depth=2
	flat_load_dword v37, v[38:39] sc1
	s_cmp_lt_u32 s62, 32
	s_cselect_b64 s[72:73], -1, 0
	s_cmp_lg_u64 s[72:73], 0
	s_addc_u32 s62, s62, 0
	s_waitcnt vmcnt(0) lgkmcnt(0)
	v_lshrrev_b32_e32 v149, 16, v37
	v_cmp_ne_u16_sdwa s[72:73], v149, v33 src0_sel:BYTE_0 src1_sel:DWORD
	s_or_b64 s[56:57], s[72:73], s[56:57]
	s_andn2_b64 exec, exec, s[56:57]
	s_cbranch_execnz .LBB499_177
; %bb.180:                              ;   in Loop: Header=BB499_174 Depth=1
	s_or_b64 exec, exec, s[56:57]
.LBB499_181:                            ;   in Loop: Header=BB499_174 Depth=1
	s_or_b64 exec, exec, vcc
	v_cmp_eq_u16_sdwa vcc, v149, v178 src0_sel:BYTE_0 src1_sel:DWORD
	v_and_b32_e32 v39, 0xffff, v37
	ds_bpermute_b32 v181, v148, v39
	v_and_b32_e32 v38, vcc_hi, v35
	v_or_b32_e32 v38, 0x80000000, v38
	v_and_b32_e32 v182, vcc_lo, v34
	v_ffbl_b32_e32 v38, v38
	v_add_u32_e32 v38, 32, v38
	v_ffbl_b32_e32 v182, v182
	v_min_u32_e32 v38, v182, v38
	v_cmp_lt_u32_e32 vcc, v147, v38
	s_and_saveexec_b64 s[62:63], vcc
	s_cbranch_execz .LBB499_185
; %bb.182:                              ;   in Loop: Header=BB499_174 Depth=1
	s_waitcnt lgkmcnt(0)
	v_lshlrev_b32_e32 v37, 16, v181
	v_lshlrev_b32_e32 v39, 16, v39
	v_max_f32_e32 v182, v39, v39
	v_max_f32_e32 v183, v37, v37
	v_min_f32_e32 v181, v183, v182
	v_cmp_u_f32_e32 vcc, v37, v37
	v_max_f32_e32 v182, v183, v182
	v_cmp_u_f32_e64 s[56:57], v39, v39
	v_cndmask_b32_e32 v181, v181, v37, vcc
	v_cndmask_b32_e32 v182, v182, v37, vcc
	v_cndmask_b32_e64 v181, v181, v39, s[56:57]
	v_cndmask_b32_e64 v39, v182, v39, s[56:57]
	v_cmp_neq_f32_e32 vcc, v181, v39
	v_cmp_class_f32_e64 s[56:57], v181, s13
	s_or_b64 vcc, vcc, s[56:57]
	s_and_saveexec_b64 s[56:57], vcc
	s_cbranch_execz .LBB499_184
; %bb.183:                              ;   in Loop: Header=BB499_174 Depth=1
	v_sub_f32_e32 v37, v181, v39
	v_mul_f32_e32 v181, 0x3fb8aa3b, v37
	v_fma_f32 v182, v37, s64, -v181
	v_rndne_f32_e32 v183, v181
	v_fmac_f32_e32 v182, 0x32a5705f, v37
	v_sub_f32_e32 v181, v181, v183
	v_add_f32_e32 v181, v181, v182
	v_cvt_i32_f32_e32 v182, v183
	v_exp_f32_e32 v181, v181
	v_cmp_ngt_f32_e32 vcc, s65, v37
	v_ldexp_f32 v181, v181, v182
	s_nop 0
	v_cndmask_b32_e32 v181, 0, v181, vcc
	v_cmp_nlt_f32_e32 vcc, s66, v37
	s_nop 1
	v_cndmask_b32_e32 v181, v179, v181, vcc
	v_add_f32_e32 v37, 1.0, v181
	v_add_f32_e32 v182, -1.0, v37
	v_sub_f32_e32 v183, v182, v37
	v_add_f32_e32 v183, 1.0, v183
	v_sub_f32_e32 v182, v181, v182
	v_add_f32_e32 v192, v182, v183
	v_frexp_mant_f32_e32 v193, v37
	v_cvt_f64_f32_e32 v[182:183], v37
	v_frexp_exp_i32_f64_e32 v182, v[182:183]
	v_cmp_gt_f32_e32 vcc, s68, v193
	v_cmp_lt_f32_e64 s[72:73], |v181|, s70
	s_nop 0
	v_subbrev_co_u32_e32 v198, vcc, 0, v182, vcc
	v_sub_u32_e32 v182, 0, v198
	v_ldexp_f32 v37, v37, v182
	v_ldexp_f32 v182, v192, v182
	v_add_f32_e32 v192, -1.0, v37
	v_add_f32_e32 v183, 1.0, v192
	v_sub_f32_e32 v183, v37, v183
	v_add_f32_e32 v193, v182, v183
	v_add_f32_e32 v183, 1.0, v37
	v_add_f32_e32 v194, -1.0, v183
	v_sub_f32_e32 v37, v37, v194
	v_add_f32_e32 v37, v182, v37
	v_add_f32_e32 v199, v183, v37
	v_rcp_f32_e32 v208, v199
	v_sub_f32_e32 v182, v183, v199
	v_add_f32_e32 v183, v192, v193
	v_add_f32_e32 v37, v37, v182
	v_mul_f32_e32 v210, v183, v208
	v_sub_f32_e32 v182, v192, v183
	v_mul_f32_e32 v192, v199, v210
	v_fma_f32 v194, v210, v199, -v192
	v_fmac_f32_e32 v194, v210, v37
	v_add_f32_e32 v209, v193, v182
	v_add_f32_e32 v182, v192, v194
	v_sub_f32_e32 v193, v183, v182
	v_pk_add_f32 v[196:197], v[182:183], v[192:193] neg_lo:[0,1] neg_hi:[0,1]
	v_mov_b32_e32 v195, v182
	v_pk_add_f32 v[182:183], v[196:197], v[194:195] neg_lo:[0,1] neg_hi:[0,1]
	v_cmp_eq_f32_e32 vcc, s67, v181
	v_add_f32_e32 v183, v209, v183
	v_add_f32_e32 v182, v182, v183
	;; [unrolled: 1-line block ×3, first 2 shown]
	v_mul_f32_e32 v209, v208, v183
	v_mul_f32_e32 v192, v199, v209
	v_fma_f32 v194, v209, v199, -v192
	v_fmac_f32_e32 v194, v209, v37
	v_sub_f32_e32 v37, v193, v183
	v_add_f32_e32 v37, v182, v37
	v_add_f32_e32 v182, v192, v194
	v_sub_f32_e32 v193, v183, v182
	v_pk_add_f32 v[196:197], v[182:183], v[192:193] neg_lo:[0,1] neg_hi:[0,1]
	v_mov_b32_e32 v195, v182
	v_pk_add_f32 v[182:183], v[196:197], v[194:195] neg_lo:[0,1] neg_hi:[0,1]
	s_or_b64 vcc, vcc, s[72:73]
	v_add_f32_e32 v37, v37, v183
	v_add_f32_e32 v37, v182, v37
	;; [unrolled: 1-line block ×4, first 2 shown]
	v_sub_f32_e32 v182, v183, v210
	v_mul_f32_e32 v37, v208, v37
	v_sub_f32_e32 v182, v209, v182
	v_add_f32_e32 v192, v182, v37
	v_add_f32_e32 v194, v183, v192
	v_cvt_f32_i32_e32 v182, v198
	v_mul_f32_e32 v195, v194, v194
	v_sub_f32_e32 v183, v194, v183
	v_fmamk_f32 v37, v195, 0x3e9b6dac, v177
	v_sub_f32_e32 v183, v192, v183
	v_fmaak_f32 v37, v195, v37, 0x3f2aaada
	v_ldexp_f32 v196, v183, 1
	v_mul_f32_e32 v183, v194, v195
	v_ldexp_f32 v193, v194, 1
	v_pk_mul_f32 v[194:195], v[182:183], v[36:37]
	s_nop 0
	v_fma_f32 v192, v182, s69, -v194
	v_fmac_f32_e32 v192, 0xb102e308, v182
	v_pk_add_f32 v[182:183], v[194:195], v[192:193]
	s_nop 0
	v_sub_f32_e32 v37, v183, v193
	v_sub_f32_e32 v37, v195, v37
	v_add_f32_e32 v197, v196, v37
	v_mov_b32_e32 v196, v194
	v_pk_add_f32 v[194:195], v[182:183], v[194:195] neg_lo:[0,1] neg_hi:[0,1]
	v_pk_add_f32 v[198:199], v[182:183], v[196:197]
	v_mov_b32_e32 v193, v182
	v_mov_b32_e32 v195, v199
	v_pk_add_f32 v[208:209], v[192:193], v[194:195] neg_lo:[0,1] neg_hi:[0,1]
	v_pk_add_f32 v[192:193], v[192:193], v[194:195]
	v_mov_b32_e32 v196, v197
	v_mov_b32_e32 v194, v193
	v_pk_add_f32 v[210:211], v[194:195], v[182:183] neg_lo:[0,1] neg_hi:[0,1]
	v_mov_b32_e32 v192, v199
	v_mov_b32_e32 v37, v210
	v_pk_add_f32 v[212:213], v[198:199], v[36:37] neg_lo:[0,1] neg_hi:[0,1]
	v_mov_b32_e32 v198, v183
	v_mov_b32_e32 v199, v210
	;; [unrolled: 1-line block ×3, first 2 shown]
	v_pk_add_f32 v[192:193], v[192:193], v[198:199] neg_lo:[0,1] neg_hi:[0,1]
	v_mov_b32_e32 v197, v182
	v_pk_add_f32 v[182:183], v[196:197], v[192:193] neg_lo:[0,1] neg_hi:[0,1]
	v_mov_b32_e32 v212, v208
	v_pk_add_f32 v[192:193], v[212:213], v[182:183]
	s_nop 0
	v_mov_b32_e32 v196, v193
	v_pk_add_f32 v[196:197], v[192:193], v[196:197]
	s_nop 0
	v_pk_add_f32 v[194:195], v[194:195], v[196:197]
	v_mov_b32_e32 v183, v196
	v_mov_b32_e32 v193, v194
	v_pk_add_f32 v[198:199], v[192:193], v[208:209] neg_lo:[0,1] neg_hi:[0,1]
	s_nop 0
	v_sub_f32_e32 v37, v192, v198
	v_pk_add_f32 v[182:183], v[182:183], v[198:199] neg_lo:[0,1] neg_hi:[0,1]
	v_sub_f32_e32 v37, v208, v37
	v_add_f32_e32 v37, v182, v37
	v_add_f32_e32 v37, v37, v183
	;; [unrolled: 1-line block ×3, first 2 shown]
	v_cndmask_b32_e32 v37, v37, v181, vcc
	v_add_f32_e32 v37, v39, v37
.LBB499_184:                            ;   in Loop: Header=BB499_174 Depth=1
	s_or_b64 exec, exec, s[56:57]
	v_bfe_u32 v39, v37, 16, 1
	v_add3_u32 v39, v37, v39, s71
	v_lshrrev_b32_e32 v39, 16, v39
	v_cmp_o_f32_e32 vcc, v37, v37
	s_nop 1
	v_cndmask_b32_e32 v37, v180, v39, vcc
	v_and_b32_e32 v39, 0xffff, v37
.LBB499_185:                            ;   in Loop: Header=BB499_174 Depth=1
	s_or_b64 exec, exec, s[62:63]
	s_waitcnt lgkmcnt(0)
	ds_bpermute_b32 v181, v150, v39
	v_cmp_le_u32_e32 vcc, v151, v38
	s_and_saveexec_b64 s[62:63], vcc
	s_cbranch_execz .LBB499_189
; %bb.186:                              ;   in Loop: Header=BB499_174 Depth=1
	s_waitcnt lgkmcnt(0)
	v_lshlrev_b32_e32 v37, 16, v181
	v_lshlrev_b32_e32 v39, 16, v39
	v_max_f32_e32 v182, v39, v39
	v_max_f32_e32 v183, v37, v37
	v_min_f32_e32 v181, v183, v182
	v_cmp_u_f32_e32 vcc, v37, v37
	v_max_f32_e32 v182, v183, v182
	v_cmp_u_f32_e64 s[56:57], v39, v39
	v_cndmask_b32_e32 v181, v181, v37, vcc
	v_cndmask_b32_e32 v182, v182, v37, vcc
	v_cndmask_b32_e64 v181, v181, v39, s[56:57]
	v_cndmask_b32_e64 v39, v182, v39, s[56:57]
	v_cmp_neq_f32_e32 vcc, v181, v39
	v_cmp_class_f32_e64 s[56:57], v181, s13
	s_or_b64 vcc, vcc, s[56:57]
	s_and_saveexec_b64 s[56:57], vcc
	s_cbranch_execz .LBB499_188
; %bb.187:                              ;   in Loop: Header=BB499_174 Depth=1
	v_sub_f32_e32 v37, v181, v39
	v_mul_f32_e32 v181, 0x3fb8aa3b, v37
	v_fma_f32 v182, v37, s64, -v181
	v_rndne_f32_e32 v183, v181
	v_fmac_f32_e32 v182, 0x32a5705f, v37
	v_sub_f32_e32 v181, v181, v183
	v_add_f32_e32 v181, v181, v182
	v_cvt_i32_f32_e32 v182, v183
	v_exp_f32_e32 v181, v181
	v_cmp_ngt_f32_e32 vcc, s65, v37
	v_ldexp_f32 v181, v181, v182
	s_nop 0
	v_cndmask_b32_e32 v181, 0, v181, vcc
	v_cmp_nlt_f32_e32 vcc, s66, v37
	s_nop 1
	v_cndmask_b32_e32 v181, v179, v181, vcc
	v_add_f32_e32 v37, 1.0, v181
	v_add_f32_e32 v182, -1.0, v37
	v_sub_f32_e32 v183, v182, v37
	v_add_f32_e32 v183, 1.0, v183
	v_sub_f32_e32 v182, v181, v182
	v_add_f32_e32 v192, v182, v183
	v_frexp_mant_f32_e32 v193, v37
	v_cvt_f64_f32_e32 v[182:183], v37
	v_frexp_exp_i32_f64_e32 v182, v[182:183]
	v_cmp_gt_f32_e32 vcc, s68, v193
	v_cmp_lt_f32_e64 s[72:73], |v181|, s70
	s_nop 0
	v_subbrev_co_u32_e32 v198, vcc, 0, v182, vcc
	v_sub_u32_e32 v182, 0, v198
	v_ldexp_f32 v37, v37, v182
	v_ldexp_f32 v182, v192, v182
	v_add_f32_e32 v192, -1.0, v37
	v_add_f32_e32 v183, 1.0, v192
	v_sub_f32_e32 v183, v37, v183
	v_add_f32_e32 v193, v182, v183
	v_add_f32_e32 v183, 1.0, v37
	v_add_f32_e32 v194, -1.0, v183
	v_sub_f32_e32 v37, v37, v194
	v_add_f32_e32 v37, v182, v37
	v_add_f32_e32 v199, v183, v37
	v_rcp_f32_e32 v208, v199
	v_sub_f32_e32 v182, v183, v199
	v_add_f32_e32 v183, v192, v193
	v_add_f32_e32 v37, v37, v182
	v_mul_f32_e32 v210, v183, v208
	v_sub_f32_e32 v182, v192, v183
	v_mul_f32_e32 v192, v199, v210
	v_fma_f32 v194, v210, v199, -v192
	v_fmac_f32_e32 v194, v210, v37
	v_add_f32_e32 v209, v193, v182
	v_add_f32_e32 v182, v192, v194
	v_sub_f32_e32 v193, v183, v182
	v_pk_add_f32 v[196:197], v[182:183], v[192:193] neg_lo:[0,1] neg_hi:[0,1]
	v_mov_b32_e32 v195, v182
	v_pk_add_f32 v[182:183], v[196:197], v[194:195] neg_lo:[0,1] neg_hi:[0,1]
	v_cmp_eq_f32_e32 vcc, s67, v181
	v_add_f32_e32 v183, v209, v183
	v_add_f32_e32 v182, v182, v183
	;; [unrolled: 1-line block ×3, first 2 shown]
	v_mul_f32_e32 v209, v208, v183
	v_mul_f32_e32 v192, v199, v209
	v_fma_f32 v194, v209, v199, -v192
	v_fmac_f32_e32 v194, v209, v37
	v_sub_f32_e32 v37, v193, v183
	v_add_f32_e32 v37, v182, v37
	v_add_f32_e32 v182, v192, v194
	v_sub_f32_e32 v193, v183, v182
	v_pk_add_f32 v[196:197], v[182:183], v[192:193] neg_lo:[0,1] neg_hi:[0,1]
	v_mov_b32_e32 v195, v182
	v_pk_add_f32 v[182:183], v[196:197], v[194:195] neg_lo:[0,1] neg_hi:[0,1]
	s_or_b64 vcc, vcc, s[72:73]
	v_add_f32_e32 v37, v37, v183
	v_add_f32_e32 v37, v182, v37
	;; [unrolled: 1-line block ×4, first 2 shown]
	v_sub_f32_e32 v182, v183, v210
	v_mul_f32_e32 v37, v208, v37
	v_sub_f32_e32 v182, v209, v182
	v_add_f32_e32 v192, v182, v37
	v_add_f32_e32 v194, v183, v192
	v_cvt_f32_i32_e32 v182, v198
	v_mul_f32_e32 v195, v194, v194
	v_sub_f32_e32 v183, v194, v183
	v_fmamk_f32 v37, v195, 0x3e9b6dac, v177
	v_sub_f32_e32 v183, v192, v183
	v_fmaak_f32 v37, v195, v37, 0x3f2aaada
	v_ldexp_f32 v196, v183, 1
	v_mul_f32_e32 v183, v194, v195
	v_ldexp_f32 v193, v194, 1
	v_pk_mul_f32 v[194:195], v[182:183], v[36:37]
	s_nop 0
	v_fma_f32 v192, v182, s69, -v194
	v_fmac_f32_e32 v192, 0xb102e308, v182
	v_pk_add_f32 v[182:183], v[194:195], v[192:193]
	s_nop 0
	v_sub_f32_e32 v37, v183, v193
	v_sub_f32_e32 v37, v195, v37
	v_add_f32_e32 v197, v196, v37
	v_mov_b32_e32 v196, v194
	v_pk_add_f32 v[194:195], v[182:183], v[194:195] neg_lo:[0,1] neg_hi:[0,1]
	v_pk_add_f32 v[198:199], v[182:183], v[196:197]
	v_mov_b32_e32 v193, v182
	v_mov_b32_e32 v195, v199
	v_pk_add_f32 v[208:209], v[192:193], v[194:195] neg_lo:[0,1] neg_hi:[0,1]
	v_pk_add_f32 v[192:193], v[192:193], v[194:195]
	v_mov_b32_e32 v196, v197
	v_mov_b32_e32 v194, v193
	v_pk_add_f32 v[210:211], v[194:195], v[182:183] neg_lo:[0,1] neg_hi:[0,1]
	v_mov_b32_e32 v192, v199
	v_mov_b32_e32 v37, v210
	v_pk_add_f32 v[212:213], v[198:199], v[36:37] neg_lo:[0,1] neg_hi:[0,1]
	v_mov_b32_e32 v198, v183
	v_mov_b32_e32 v199, v210
	v_mov_b32_e32 v209, v193
	v_pk_add_f32 v[192:193], v[192:193], v[198:199] neg_lo:[0,1] neg_hi:[0,1]
	v_mov_b32_e32 v197, v182
	v_pk_add_f32 v[182:183], v[196:197], v[192:193] neg_lo:[0,1] neg_hi:[0,1]
	v_mov_b32_e32 v212, v208
	v_pk_add_f32 v[192:193], v[212:213], v[182:183]
	s_nop 0
	v_mov_b32_e32 v196, v193
	v_pk_add_f32 v[196:197], v[192:193], v[196:197]
	s_nop 0
	v_pk_add_f32 v[194:195], v[194:195], v[196:197]
	v_mov_b32_e32 v183, v196
	v_mov_b32_e32 v193, v194
	v_pk_add_f32 v[198:199], v[192:193], v[208:209] neg_lo:[0,1] neg_hi:[0,1]
	s_nop 0
	v_sub_f32_e32 v37, v192, v198
	v_pk_add_f32 v[182:183], v[182:183], v[198:199] neg_lo:[0,1] neg_hi:[0,1]
	v_sub_f32_e32 v37, v208, v37
	v_add_f32_e32 v37, v182, v37
	v_add_f32_e32 v37, v37, v183
	;; [unrolled: 1-line block ×3, first 2 shown]
	v_cndmask_b32_e32 v37, v37, v181, vcc
	v_add_f32_e32 v37, v39, v37
.LBB499_188:                            ;   in Loop: Header=BB499_174 Depth=1
	s_or_b64 exec, exec, s[56:57]
	v_bfe_u32 v39, v37, 16, 1
	v_add3_u32 v39, v37, v39, s71
	v_lshrrev_b32_e32 v39, 16, v39
	v_cmp_o_f32_e32 vcc, v37, v37
	s_nop 1
	v_cndmask_b32_e32 v37, v180, v39, vcc
	v_and_b32_e32 v39, 0xffff, v37
.LBB499_189:                            ;   in Loop: Header=BB499_174 Depth=1
	s_or_b64 exec, exec, s[62:63]
	s_waitcnt lgkmcnt(0)
	ds_bpermute_b32 v181, v160, v39
	v_cmp_le_u32_e32 vcc, v161, v38
	s_and_saveexec_b64 s[62:63], vcc
	s_cbranch_execz .LBB499_193
; %bb.190:                              ;   in Loop: Header=BB499_174 Depth=1
	s_waitcnt lgkmcnt(0)
	v_lshlrev_b32_e32 v37, 16, v181
	v_lshlrev_b32_e32 v39, 16, v39
	v_max_f32_e32 v182, v39, v39
	v_max_f32_e32 v183, v37, v37
	v_min_f32_e32 v181, v183, v182
	v_cmp_u_f32_e32 vcc, v37, v37
	v_max_f32_e32 v182, v183, v182
	v_cmp_u_f32_e64 s[56:57], v39, v39
	v_cndmask_b32_e32 v181, v181, v37, vcc
	v_cndmask_b32_e32 v182, v182, v37, vcc
	v_cndmask_b32_e64 v181, v181, v39, s[56:57]
	v_cndmask_b32_e64 v39, v182, v39, s[56:57]
	v_cmp_neq_f32_e32 vcc, v181, v39
	v_cmp_class_f32_e64 s[56:57], v181, s13
	s_or_b64 vcc, vcc, s[56:57]
	s_and_saveexec_b64 s[56:57], vcc
	s_cbranch_execz .LBB499_192
; %bb.191:                              ;   in Loop: Header=BB499_174 Depth=1
	v_sub_f32_e32 v37, v181, v39
	v_mul_f32_e32 v181, 0x3fb8aa3b, v37
	v_fma_f32 v182, v37, s64, -v181
	v_rndne_f32_e32 v183, v181
	v_fmac_f32_e32 v182, 0x32a5705f, v37
	v_sub_f32_e32 v181, v181, v183
	v_add_f32_e32 v181, v181, v182
	v_cvt_i32_f32_e32 v182, v183
	v_exp_f32_e32 v181, v181
	v_cmp_ngt_f32_e32 vcc, s65, v37
	v_ldexp_f32 v181, v181, v182
	s_nop 0
	v_cndmask_b32_e32 v181, 0, v181, vcc
	v_cmp_nlt_f32_e32 vcc, s66, v37
	s_nop 1
	v_cndmask_b32_e32 v181, v179, v181, vcc
	v_add_f32_e32 v37, 1.0, v181
	v_add_f32_e32 v182, -1.0, v37
	v_sub_f32_e32 v183, v182, v37
	v_add_f32_e32 v183, 1.0, v183
	v_sub_f32_e32 v182, v181, v182
	v_add_f32_e32 v192, v182, v183
	v_frexp_mant_f32_e32 v193, v37
	v_cvt_f64_f32_e32 v[182:183], v37
	v_frexp_exp_i32_f64_e32 v182, v[182:183]
	v_cmp_gt_f32_e32 vcc, s68, v193
	v_cmp_lt_f32_e64 s[72:73], |v181|, s70
	s_nop 0
	v_subbrev_co_u32_e32 v198, vcc, 0, v182, vcc
	v_sub_u32_e32 v182, 0, v198
	v_ldexp_f32 v37, v37, v182
	v_ldexp_f32 v182, v192, v182
	v_add_f32_e32 v192, -1.0, v37
	v_add_f32_e32 v183, 1.0, v192
	v_sub_f32_e32 v183, v37, v183
	v_add_f32_e32 v193, v182, v183
	v_add_f32_e32 v183, 1.0, v37
	v_add_f32_e32 v194, -1.0, v183
	v_sub_f32_e32 v37, v37, v194
	v_add_f32_e32 v37, v182, v37
	v_add_f32_e32 v199, v183, v37
	v_rcp_f32_e32 v208, v199
	v_sub_f32_e32 v182, v183, v199
	v_add_f32_e32 v183, v192, v193
	v_add_f32_e32 v37, v37, v182
	v_mul_f32_e32 v210, v183, v208
	v_sub_f32_e32 v182, v192, v183
	v_mul_f32_e32 v192, v199, v210
	v_fma_f32 v194, v210, v199, -v192
	v_fmac_f32_e32 v194, v210, v37
	v_add_f32_e32 v209, v193, v182
	v_add_f32_e32 v182, v192, v194
	v_sub_f32_e32 v193, v183, v182
	v_pk_add_f32 v[196:197], v[182:183], v[192:193] neg_lo:[0,1] neg_hi:[0,1]
	v_mov_b32_e32 v195, v182
	v_pk_add_f32 v[182:183], v[196:197], v[194:195] neg_lo:[0,1] neg_hi:[0,1]
	v_cmp_eq_f32_e32 vcc, s67, v181
	v_add_f32_e32 v183, v209, v183
	v_add_f32_e32 v182, v182, v183
	;; [unrolled: 1-line block ×3, first 2 shown]
	v_mul_f32_e32 v209, v208, v183
	v_mul_f32_e32 v192, v199, v209
	v_fma_f32 v194, v209, v199, -v192
	v_fmac_f32_e32 v194, v209, v37
	v_sub_f32_e32 v37, v193, v183
	v_add_f32_e32 v37, v182, v37
	v_add_f32_e32 v182, v192, v194
	v_sub_f32_e32 v193, v183, v182
	v_pk_add_f32 v[196:197], v[182:183], v[192:193] neg_lo:[0,1] neg_hi:[0,1]
	v_mov_b32_e32 v195, v182
	v_pk_add_f32 v[182:183], v[196:197], v[194:195] neg_lo:[0,1] neg_hi:[0,1]
	s_or_b64 vcc, vcc, s[72:73]
	v_add_f32_e32 v37, v37, v183
	v_add_f32_e32 v37, v182, v37
	;; [unrolled: 1-line block ×4, first 2 shown]
	v_sub_f32_e32 v182, v183, v210
	v_mul_f32_e32 v37, v208, v37
	v_sub_f32_e32 v182, v209, v182
	v_add_f32_e32 v192, v182, v37
	v_add_f32_e32 v194, v183, v192
	v_cvt_f32_i32_e32 v182, v198
	v_mul_f32_e32 v195, v194, v194
	v_sub_f32_e32 v183, v194, v183
	v_fmamk_f32 v37, v195, 0x3e9b6dac, v177
	v_sub_f32_e32 v183, v192, v183
	v_fmaak_f32 v37, v195, v37, 0x3f2aaada
	v_ldexp_f32 v196, v183, 1
	v_mul_f32_e32 v183, v194, v195
	v_ldexp_f32 v193, v194, 1
	v_pk_mul_f32 v[194:195], v[182:183], v[36:37]
	s_nop 0
	v_fma_f32 v192, v182, s69, -v194
	v_fmac_f32_e32 v192, 0xb102e308, v182
	v_pk_add_f32 v[182:183], v[194:195], v[192:193]
	s_nop 0
	v_sub_f32_e32 v37, v183, v193
	v_sub_f32_e32 v37, v195, v37
	v_add_f32_e32 v197, v196, v37
	v_mov_b32_e32 v196, v194
	v_pk_add_f32 v[194:195], v[182:183], v[194:195] neg_lo:[0,1] neg_hi:[0,1]
	v_pk_add_f32 v[198:199], v[182:183], v[196:197]
	v_mov_b32_e32 v193, v182
	v_mov_b32_e32 v195, v199
	v_pk_add_f32 v[208:209], v[192:193], v[194:195] neg_lo:[0,1] neg_hi:[0,1]
	v_pk_add_f32 v[192:193], v[192:193], v[194:195]
	v_mov_b32_e32 v196, v197
	v_mov_b32_e32 v194, v193
	v_pk_add_f32 v[210:211], v[194:195], v[182:183] neg_lo:[0,1] neg_hi:[0,1]
	v_mov_b32_e32 v192, v199
	v_mov_b32_e32 v37, v210
	v_pk_add_f32 v[212:213], v[198:199], v[36:37] neg_lo:[0,1] neg_hi:[0,1]
	v_mov_b32_e32 v198, v183
	v_mov_b32_e32 v199, v210
	;; [unrolled: 1-line block ×3, first 2 shown]
	v_pk_add_f32 v[192:193], v[192:193], v[198:199] neg_lo:[0,1] neg_hi:[0,1]
	v_mov_b32_e32 v197, v182
	v_pk_add_f32 v[182:183], v[196:197], v[192:193] neg_lo:[0,1] neg_hi:[0,1]
	v_mov_b32_e32 v212, v208
	v_pk_add_f32 v[192:193], v[212:213], v[182:183]
	s_nop 0
	v_mov_b32_e32 v196, v193
	v_pk_add_f32 v[196:197], v[192:193], v[196:197]
	s_nop 0
	v_pk_add_f32 v[194:195], v[194:195], v[196:197]
	v_mov_b32_e32 v183, v196
	v_mov_b32_e32 v193, v194
	v_pk_add_f32 v[198:199], v[192:193], v[208:209] neg_lo:[0,1] neg_hi:[0,1]
	s_nop 0
	v_sub_f32_e32 v37, v192, v198
	v_pk_add_f32 v[182:183], v[182:183], v[198:199] neg_lo:[0,1] neg_hi:[0,1]
	v_sub_f32_e32 v37, v208, v37
	v_add_f32_e32 v37, v182, v37
	v_add_f32_e32 v37, v37, v183
	;; [unrolled: 1-line block ×3, first 2 shown]
	v_cndmask_b32_e32 v37, v37, v181, vcc
	v_add_f32_e32 v37, v39, v37
.LBB499_192:                            ;   in Loop: Header=BB499_174 Depth=1
	s_or_b64 exec, exec, s[56:57]
	v_bfe_u32 v39, v37, 16, 1
	v_add3_u32 v39, v37, v39, s71
	v_lshrrev_b32_e32 v39, 16, v39
	v_cmp_o_f32_e32 vcc, v37, v37
	s_nop 1
	v_cndmask_b32_e32 v37, v180, v39, vcc
	v_and_b32_e32 v39, 0xffff, v37
.LBB499_193:                            ;   in Loop: Header=BB499_174 Depth=1
	s_or_b64 exec, exec, s[62:63]
	s_waitcnt lgkmcnt(0)
	ds_bpermute_b32 v181, v162, v39
	v_cmp_le_u32_e32 vcc, v163, v38
	s_and_saveexec_b64 s[62:63], vcc
	s_cbranch_execz .LBB499_197
; %bb.194:                              ;   in Loop: Header=BB499_174 Depth=1
	s_waitcnt lgkmcnt(0)
	v_lshlrev_b32_e32 v37, 16, v181
	v_lshlrev_b32_e32 v39, 16, v39
	v_max_f32_e32 v182, v39, v39
	v_max_f32_e32 v183, v37, v37
	v_min_f32_e32 v181, v183, v182
	v_cmp_u_f32_e32 vcc, v37, v37
	v_max_f32_e32 v182, v183, v182
	v_cmp_u_f32_e64 s[56:57], v39, v39
	v_cndmask_b32_e32 v181, v181, v37, vcc
	v_cndmask_b32_e32 v182, v182, v37, vcc
	v_cndmask_b32_e64 v181, v181, v39, s[56:57]
	v_cndmask_b32_e64 v39, v182, v39, s[56:57]
	v_cmp_neq_f32_e32 vcc, v181, v39
	v_cmp_class_f32_e64 s[56:57], v181, s13
	s_or_b64 vcc, vcc, s[56:57]
	s_and_saveexec_b64 s[56:57], vcc
	s_cbranch_execz .LBB499_196
; %bb.195:                              ;   in Loop: Header=BB499_174 Depth=1
	v_sub_f32_e32 v37, v181, v39
	v_mul_f32_e32 v181, 0x3fb8aa3b, v37
	v_fma_f32 v182, v37, s64, -v181
	v_rndne_f32_e32 v183, v181
	v_fmac_f32_e32 v182, 0x32a5705f, v37
	v_sub_f32_e32 v181, v181, v183
	v_add_f32_e32 v181, v181, v182
	v_cvt_i32_f32_e32 v182, v183
	v_exp_f32_e32 v181, v181
	v_cmp_ngt_f32_e32 vcc, s65, v37
	v_ldexp_f32 v181, v181, v182
	s_nop 0
	v_cndmask_b32_e32 v181, 0, v181, vcc
	v_cmp_nlt_f32_e32 vcc, s66, v37
	s_nop 1
	v_cndmask_b32_e32 v181, v179, v181, vcc
	v_add_f32_e32 v37, 1.0, v181
	v_add_f32_e32 v182, -1.0, v37
	v_sub_f32_e32 v183, v182, v37
	v_add_f32_e32 v183, 1.0, v183
	v_sub_f32_e32 v182, v181, v182
	v_add_f32_e32 v192, v182, v183
	v_frexp_mant_f32_e32 v193, v37
	v_cvt_f64_f32_e32 v[182:183], v37
	v_frexp_exp_i32_f64_e32 v182, v[182:183]
	v_cmp_gt_f32_e32 vcc, s68, v193
	v_cmp_lt_f32_e64 s[72:73], |v181|, s70
	s_nop 0
	v_subbrev_co_u32_e32 v198, vcc, 0, v182, vcc
	v_sub_u32_e32 v182, 0, v198
	v_ldexp_f32 v37, v37, v182
	v_ldexp_f32 v182, v192, v182
	v_add_f32_e32 v192, -1.0, v37
	v_add_f32_e32 v183, 1.0, v192
	v_sub_f32_e32 v183, v37, v183
	v_add_f32_e32 v193, v182, v183
	v_add_f32_e32 v183, 1.0, v37
	v_add_f32_e32 v194, -1.0, v183
	v_sub_f32_e32 v37, v37, v194
	v_add_f32_e32 v37, v182, v37
	v_add_f32_e32 v199, v183, v37
	v_rcp_f32_e32 v208, v199
	v_sub_f32_e32 v182, v183, v199
	v_add_f32_e32 v183, v192, v193
	v_add_f32_e32 v37, v37, v182
	v_mul_f32_e32 v210, v183, v208
	v_sub_f32_e32 v182, v192, v183
	v_mul_f32_e32 v192, v199, v210
	v_fma_f32 v194, v210, v199, -v192
	v_fmac_f32_e32 v194, v210, v37
	v_add_f32_e32 v209, v193, v182
	v_add_f32_e32 v182, v192, v194
	v_sub_f32_e32 v193, v183, v182
	v_pk_add_f32 v[196:197], v[182:183], v[192:193] neg_lo:[0,1] neg_hi:[0,1]
	v_mov_b32_e32 v195, v182
	v_pk_add_f32 v[182:183], v[196:197], v[194:195] neg_lo:[0,1] neg_hi:[0,1]
	v_cmp_eq_f32_e32 vcc, s67, v181
	v_add_f32_e32 v183, v209, v183
	v_add_f32_e32 v182, v182, v183
	;; [unrolled: 1-line block ×3, first 2 shown]
	v_mul_f32_e32 v209, v208, v183
	v_mul_f32_e32 v192, v199, v209
	v_fma_f32 v194, v209, v199, -v192
	v_fmac_f32_e32 v194, v209, v37
	v_sub_f32_e32 v37, v193, v183
	v_add_f32_e32 v37, v182, v37
	v_add_f32_e32 v182, v192, v194
	v_sub_f32_e32 v193, v183, v182
	v_pk_add_f32 v[196:197], v[182:183], v[192:193] neg_lo:[0,1] neg_hi:[0,1]
	v_mov_b32_e32 v195, v182
	v_pk_add_f32 v[182:183], v[196:197], v[194:195] neg_lo:[0,1] neg_hi:[0,1]
	s_or_b64 vcc, vcc, s[72:73]
	v_add_f32_e32 v37, v37, v183
	v_add_f32_e32 v37, v182, v37
	;; [unrolled: 1-line block ×4, first 2 shown]
	v_sub_f32_e32 v182, v183, v210
	v_mul_f32_e32 v37, v208, v37
	v_sub_f32_e32 v182, v209, v182
	v_add_f32_e32 v192, v182, v37
	v_add_f32_e32 v194, v183, v192
	v_cvt_f32_i32_e32 v182, v198
	v_mul_f32_e32 v195, v194, v194
	v_sub_f32_e32 v183, v194, v183
	v_fmamk_f32 v37, v195, 0x3e9b6dac, v177
	v_sub_f32_e32 v183, v192, v183
	v_fmaak_f32 v37, v195, v37, 0x3f2aaada
	v_ldexp_f32 v196, v183, 1
	v_mul_f32_e32 v183, v194, v195
	v_ldexp_f32 v193, v194, 1
	v_pk_mul_f32 v[194:195], v[182:183], v[36:37]
	s_nop 0
	v_fma_f32 v192, v182, s69, -v194
	v_fmac_f32_e32 v192, 0xb102e308, v182
	v_pk_add_f32 v[182:183], v[194:195], v[192:193]
	s_nop 0
	v_sub_f32_e32 v37, v183, v193
	v_sub_f32_e32 v37, v195, v37
	v_add_f32_e32 v197, v196, v37
	v_mov_b32_e32 v196, v194
	v_pk_add_f32 v[194:195], v[182:183], v[194:195] neg_lo:[0,1] neg_hi:[0,1]
	v_pk_add_f32 v[198:199], v[182:183], v[196:197]
	v_mov_b32_e32 v193, v182
	v_mov_b32_e32 v195, v199
	v_pk_add_f32 v[208:209], v[192:193], v[194:195] neg_lo:[0,1] neg_hi:[0,1]
	v_pk_add_f32 v[192:193], v[192:193], v[194:195]
	v_mov_b32_e32 v196, v197
	v_mov_b32_e32 v194, v193
	v_pk_add_f32 v[210:211], v[194:195], v[182:183] neg_lo:[0,1] neg_hi:[0,1]
	v_mov_b32_e32 v192, v199
	v_mov_b32_e32 v37, v210
	v_pk_add_f32 v[212:213], v[198:199], v[36:37] neg_lo:[0,1] neg_hi:[0,1]
	v_mov_b32_e32 v198, v183
	v_mov_b32_e32 v199, v210
	;; [unrolled: 1-line block ×3, first 2 shown]
	v_pk_add_f32 v[192:193], v[192:193], v[198:199] neg_lo:[0,1] neg_hi:[0,1]
	v_mov_b32_e32 v197, v182
	v_pk_add_f32 v[182:183], v[196:197], v[192:193] neg_lo:[0,1] neg_hi:[0,1]
	v_mov_b32_e32 v212, v208
	v_pk_add_f32 v[192:193], v[212:213], v[182:183]
	s_nop 0
	v_mov_b32_e32 v196, v193
	v_pk_add_f32 v[196:197], v[192:193], v[196:197]
	s_nop 0
	v_pk_add_f32 v[194:195], v[194:195], v[196:197]
	v_mov_b32_e32 v183, v196
	v_mov_b32_e32 v193, v194
	v_pk_add_f32 v[198:199], v[192:193], v[208:209] neg_lo:[0,1] neg_hi:[0,1]
	s_nop 0
	v_sub_f32_e32 v37, v192, v198
	v_pk_add_f32 v[182:183], v[182:183], v[198:199] neg_lo:[0,1] neg_hi:[0,1]
	v_sub_f32_e32 v37, v208, v37
	v_add_f32_e32 v37, v182, v37
	v_add_f32_e32 v37, v37, v183
	v_add_f32_e32 v37, v194, v37
	v_cndmask_b32_e32 v37, v37, v181, vcc
	v_add_f32_e32 v37, v39, v37
.LBB499_196:                            ;   in Loop: Header=BB499_174 Depth=1
	s_or_b64 exec, exec, s[56:57]
	v_bfe_u32 v39, v37, 16, 1
	v_add3_u32 v39, v37, v39, s71
	v_lshrrev_b32_e32 v39, 16, v39
	v_cmp_o_f32_e32 vcc, v37, v37
	s_nop 1
	v_cndmask_b32_e32 v37, v180, v39, vcc
	v_and_b32_e32 v39, 0xffff, v37
.LBB499_197:                            ;   in Loop: Header=BB499_174 Depth=1
	s_or_b64 exec, exec, s[62:63]
	s_waitcnt lgkmcnt(0)
	ds_bpermute_b32 v181, v164, v39
	v_cmp_le_u32_e32 vcc, v165, v38
	s_and_saveexec_b64 s[62:63], vcc
	s_cbranch_execz .LBB499_201
; %bb.198:                              ;   in Loop: Header=BB499_174 Depth=1
	s_waitcnt lgkmcnt(0)
	v_lshlrev_b32_e32 v37, 16, v181
	v_lshlrev_b32_e32 v39, 16, v39
	v_max_f32_e32 v182, v39, v39
	v_max_f32_e32 v183, v37, v37
	v_min_f32_e32 v181, v183, v182
	v_cmp_u_f32_e32 vcc, v37, v37
	v_max_f32_e32 v182, v183, v182
	v_cmp_u_f32_e64 s[56:57], v39, v39
	v_cndmask_b32_e32 v181, v181, v37, vcc
	v_cndmask_b32_e32 v182, v182, v37, vcc
	v_cndmask_b32_e64 v181, v181, v39, s[56:57]
	v_cndmask_b32_e64 v39, v182, v39, s[56:57]
	v_cmp_neq_f32_e32 vcc, v181, v39
	v_cmp_class_f32_e64 s[56:57], v181, s13
	s_or_b64 vcc, vcc, s[56:57]
	s_and_saveexec_b64 s[56:57], vcc
	s_cbranch_execz .LBB499_200
; %bb.199:                              ;   in Loop: Header=BB499_174 Depth=1
	v_sub_f32_e32 v37, v181, v39
	v_mul_f32_e32 v181, 0x3fb8aa3b, v37
	v_fma_f32 v182, v37, s64, -v181
	v_rndne_f32_e32 v183, v181
	v_fmac_f32_e32 v182, 0x32a5705f, v37
	v_sub_f32_e32 v181, v181, v183
	v_add_f32_e32 v181, v181, v182
	v_cvt_i32_f32_e32 v182, v183
	v_exp_f32_e32 v181, v181
	v_cmp_ngt_f32_e32 vcc, s65, v37
	v_ldexp_f32 v181, v181, v182
	s_nop 0
	v_cndmask_b32_e32 v181, 0, v181, vcc
	v_cmp_nlt_f32_e32 vcc, s66, v37
	s_nop 1
	v_cndmask_b32_e32 v181, v179, v181, vcc
	v_add_f32_e32 v37, 1.0, v181
	v_add_f32_e32 v182, -1.0, v37
	v_sub_f32_e32 v183, v182, v37
	v_add_f32_e32 v183, 1.0, v183
	v_sub_f32_e32 v182, v181, v182
	v_add_f32_e32 v192, v182, v183
	v_frexp_mant_f32_e32 v193, v37
	v_cvt_f64_f32_e32 v[182:183], v37
	v_frexp_exp_i32_f64_e32 v182, v[182:183]
	v_cmp_gt_f32_e32 vcc, s68, v193
	v_cmp_lt_f32_e64 s[72:73], |v181|, s70
	s_nop 0
	v_subbrev_co_u32_e32 v198, vcc, 0, v182, vcc
	v_sub_u32_e32 v182, 0, v198
	v_ldexp_f32 v37, v37, v182
	v_ldexp_f32 v182, v192, v182
	v_add_f32_e32 v192, -1.0, v37
	v_add_f32_e32 v183, 1.0, v192
	v_sub_f32_e32 v183, v37, v183
	v_add_f32_e32 v193, v182, v183
	v_add_f32_e32 v183, 1.0, v37
	v_add_f32_e32 v194, -1.0, v183
	v_sub_f32_e32 v37, v37, v194
	v_add_f32_e32 v37, v182, v37
	v_add_f32_e32 v199, v183, v37
	v_rcp_f32_e32 v208, v199
	v_sub_f32_e32 v182, v183, v199
	v_add_f32_e32 v183, v192, v193
	v_add_f32_e32 v37, v37, v182
	v_mul_f32_e32 v210, v183, v208
	v_sub_f32_e32 v182, v192, v183
	v_mul_f32_e32 v192, v199, v210
	v_fma_f32 v194, v210, v199, -v192
	v_fmac_f32_e32 v194, v210, v37
	v_add_f32_e32 v209, v193, v182
	v_add_f32_e32 v182, v192, v194
	v_sub_f32_e32 v193, v183, v182
	v_pk_add_f32 v[196:197], v[182:183], v[192:193] neg_lo:[0,1] neg_hi:[0,1]
	v_mov_b32_e32 v195, v182
	v_pk_add_f32 v[182:183], v[196:197], v[194:195] neg_lo:[0,1] neg_hi:[0,1]
	v_cmp_eq_f32_e32 vcc, s67, v181
	v_add_f32_e32 v183, v209, v183
	v_add_f32_e32 v182, v182, v183
	;; [unrolled: 1-line block ×3, first 2 shown]
	v_mul_f32_e32 v209, v208, v183
	v_mul_f32_e32 v192, v199, v209
	v_fma_f32 v194, v209, v199, -v192
	v_fmac_f32_e32 v194, v209, v37
	v_sub_f32_e32 v37, v193, v183
	v_add_f32_e32 v37, v182, v37
	v_add_f32_e32 v182, v192, v194
	v_sub_f32_e32 v193, v183, v182
	v_pk_add_f32 v[196:197], v[182:183], v[192:193] neg_lo:[0,1] neg_hi:[0,1]
	v_mov_b32_e32 v195, v182
	v_pk_add_f32 v[182:183], v[196:197], v[194:195] neg_lo:[0,1] neg_hi:[0,1]
	s_or_b64 vcc, vcc, s[72:73]
	v_add_f32_e32 v37, v37, v183
	v_add_f32_e32 v37, v182, v37
	;; [unrolled: 1-line block ×4, first 2 shown]
	v_sub_f32_e32 v182, v183, v210
	v_mul_f32_e32 v37, v208, v37
	v_sub_f32_e32 v182, v209, v182
	v_add_f32_e32 v192, v182, v37
	v_add_f32_e32 v194, v183, v192
	v_cvt_f32_i32_e32 v182, v198
	v_mul_f32_e32 v195, v194, v194
	v_sub_f32_e32 v183, v194, v183
	v_fmamk_f32 v37, v195, 0x3e9b6dac, v177
	v_sub_f32_e32 v183, v192, v183
	v_fmaak_f32 v37, v195, v37, 0x3f2aaada
	v_ldexp_f32 v196, v183, 1
	v_mul_f32_e32 v183, v194, v195
	v_ldexp_f32 v193, v194, 1
	v_pk_mul_f32 v[194:195], v[182:183], v[36:37]
	s_nop 0
	v_fma_f32 v192, v182, s69, -v194
	v_fmac_f32_e32 v192, 0xb102e308, v182
	v_pk_add_f32 v[182:183], v[194:195], v[192:193]
	s_nop 0
	v_sub_f32_e32 v37, v183, v193
	v_sub_f32_e32 v37, v195, v37
	v_add_f32_e32 v197, v196, v37
	v_mov_b32_e32 v196, v194
	v_pk_add_f32 v[194:195], v[182:183], v[194:195] neg_lo:[0,1] neg_hi:[0,1]
	v_pk_add_f32 v[198:199], v[182:183], v[196:197]
	v_mov_b32_e32 v193, v182
	v_mov_b32_e32 v195, v199
	v_pk_add_f32 v[208:209], v[192:193], v[194:195] neg_lo:[0,1] neg_hi:[0,1]
	v_pk_add_f32 v[192:193], v[192:193], v[194:195]
	v_mov_b32_e32 v196, v197
	v_mov_b32_e32 v194, v193
	v_pk_add_f32 v[210:211], v[194:195], v[182:183] neg_lo:[0,1] neg_hi:[0,1]
	v_mov_b32_e32 v192, v199
	v_mov_b32_e32 v37, v210
	v_pk_add_f32 v[212:213], v[198:199], v[36:37] neg_lo:[0,1] neg_hi:[0,1]
	v_mov_b32_e32 v198, v183
	v_mov_b32_e32 v199, v210
	v_mov_b32_e32 v209, v193
	v_pk_add_f32 v[192:193], v[192:193], v[198:199] neg_lo:[0,1] neg_hi:[0,1]
	v_mov_b32_e32 v197, v182
	v_pk_add_f32 v[182:183], v[196:197], v[192:193] neg_lo:[0,1] neg_hi:[0,1]
	v_mov_b32_e32 v212, v208
	v_pk_add_f32 v[192:193], v[212:213], v[182:183]
	s_nop 0
	v_mov_b32_e32 v196, v193
	v_pk_add_f32 v[196:197], v[192:193], v[196:197]
	s_nop 0
	v_pk_add_f32 v[194:195], v[194:195], v[196:197]
	v_mov_b32_e32 v183, v196
	v_mov_b32_e32 v193, v194
	v_pk_add_f32 v[198:199], v[192:193], v[208:209] neg_lo:[0,1] neg_hi:[0,1]
	s_nop 0
	v_sub_f32_e32 v37, v192, v198
	v_pk_add_f32 v[182:183], v[182:183], v[198:199] neg_lo:[0,1] neg_hi:[0,1]
	v_sub_f32_e32 v37, v208, v37
	v_add_f32_e32 v37, v182, v37
	v_add_f32_e32 v37, v37, v183
	;; [unrolled: 1-line block ×3, first 2 shown]
	v_cndmask_b32_e32 v37, v37, v181, vcc
	v_add_f32_e32 v37, v39, v37
.LBB499_200:                            ;   in Loop: Header=BB499_174 Depth=1
	s_or_b64 exec, exec, s[56:57]
	v_bfe_u32 v39, v37, 16, 1
	v_add3_u32 v39, v37, v39, s71
	v_lshrrev_b32_e32 v39, 16, v39
	v_cmp_o_f32_e32 vcc, v37, v37
	s_nop 1
	v_cndmask_b32_e32 v37, v180, v39, vcc
	v_and_b32_e32 v39, 0xffff, v37
.LBB499_201:                            ;   in Loop: Header=BB499_174 Depth=1
	s_or_b64 exec, exec, s[62:63]
	s_waitcnt lgkmcnt(0)
	ds_bpermute_b32 v181, v166, v39
	v_cmp_le_u32_e32 vcc, v167, v38
	s_and_saveexec_b64 s[62:63], vcc
	s_cbranch_execz .LBB499_205
; %bb.202:                              ;   in Loop: Header=BB499_174 Depth=1
	s_waitcnt lgkmcnt(0)
	v_lshlrev_b32_e32 v37, 16, v181
	v_lshlrev_b32_e32 v38, 16, v39
	v_max_f32_e32 v181, v38, v38
	v_max_f32_e32 v182, v37, v37
	v_min_f32_e32 v39, v182, v181
	v_cmp_u_f32_e32 vcc, v37, v37
	v_max_f32_e32 v181, v182, v181
	v_cmp_u_f32_e64 s[56:57], v38, v38
	v_cndmask_b32_e32 v39, v39, v37, vcc
	v_cndmask_b32_e32 v181, v181, v37, vcc
	v_cndmask_b32_e64 v39, v39, v38, s[56:57]
	v_cndmask_b32_e64 v38, v181, v38, s[56:57]
	v_cmp_neq_f32_e32 vcc, v39, v38
	v_cmp_class_f32_e64 s[56:57], v39, s13
	s_or_b64 vcc, vcc, s[56:57]
	s_and_saveexec_b64 s[56:57], vcc
	s_cbranch_execz .LBB499_204
; %bb.203:                              ;   in Loop: Header=BB499_174 Depth=1
	v_sub_f32_e32 v37, v39, v38
	v_mul_f32_e32 v39, 0x3fb8aa3b, v37
	v_fma_f32 v181, v37, s64, -v39
	v_rndne_f32_e32 v182, v39
	v_fmac_f32_e32 v181, 0x32a5705f, v37
	v_sub_f32_e32 v39, v39, v182
	v_add_f32_e32 v39, v39, v181
	v_cvt_i32_f32_e32 v181, v182
	v_exp_f32_e32 v39, v39
	v_cmp_ngt_f32_e32 vcc, s65, v37
	v_ldexp_f32 v39, v39, v181
	s_nop 0
	v_cndmask_b32_e32 v39, 0, v39, vcc
	v_cmp_nlt_f32_e32 vcc, s66, v37
	s_nop 1
	v_cndmask_b32_e32 v39, v179, v39, vcc
	v_add_f32_e32 v37, 1.0, v39
	v_add_f32_e32 v181, -1.0, v37
	v_sub_f32_e32 v182, v181, v37
	v_add_f32_e32 v182, 1.0, v182
	v_sub_f32_e32 v181, v39, v181
	v_add_f32_e32 v181, v181, v182
	v_frexp_mant_f32_e32 v192, v37
	v_cvt_f64_f32_e32 v[182:183], v37
	v_frexp_exp_i32_f64_e32 v182, v[182:183]
	v_cmp_gt_f32_e32 vcc, s68, v192
	v_cmp_lt_f32_e64 s[72:73], |v39|, s70
	s_nop 0
	v_subbrev_co_u32_e32 v198, vcc, 0, v182, vcc
	v_sub_u32_e32 v182, 0, v198
	v_ldexp_f32 v37, v37, v182
	v_ldexp_f32 v181, v181, v182
	v_add_f32_e32 v182, -1.0, v37
	v_add_f32_e32 v183, 1.0, v182
	v_sub_f32_e32 v183, v37, v183
	v_add_f32_e32 v192, v181, v183
	v_add_f32_e32 v183, 1.0, v37
	v_add_f32_e32 v193, -1.0, v183
	v_sub_f32_e32 v37, v37, v193
	v_add_f32_e32 v37, v181, v37
	v_add_f32_e32 v181, v183, v37
	v_rcp_f32_e32 v199, v181
	v_sub_f32_e32 v183, v183, v181
	v_add_f32_e32 v37, v37, v183
	v_add_f32_e32 v183, v182, v192
	v_sub_f32_e32 v182, v182, v183
	v_mul_f32_e32 v209, v183, v199
	v_add_f32_e32 v208, v192, v182
	v_mul_f32_e32 v192, v181, v209
	v_fma_f32 v194, v209, v181, -v192
	v_fmac_f32_e32 v194, v209, v37
	v_add_f32_e32 v182, v192, v194
	v_sub_f32_e32 v193, v183, v182
	v_pk_add_f32 v[196:197], v[182:183], v[192:193] neg_lo:[0,1] neg_hi:[0,1]
	v_mov_b32_e32 v195, v182
	v_pk_add_f32 v[182:183], v[196:197], v[194:195] neg_lo:[0,1] neg_hi:[0,1]
	v_cmp_eq_f32_e32 vcc, s67, v39
	v_add_f32_e32 v183, v208, v183
	v_add_f32_e32 v182, v182, v183
	;; [unrolled: 1-line block ×3, first 2 shown]
	v_mul_f32_e32 v208, v199, v183
	v_mul_f32_e32 v192, v181, v208
	v_fma_f32 v194, v208, v181, -v192
	v_fmac_f32_e32 v194, v208, v37
	v_sub_f32_e32 v37, v193, v183
	v_add_f32_e32 v37, v182, v37
	v_add_f32_e32 v182, v192, v194
	v_sub_f32_e32 v193, v183, v182
	v_pk_add_f32 v[196:197], v[182:183], v[192:193] neg_lo:[0,1] neg_hi:[0,1]
	v_mov_b32_e32 v195, v182
	v_pk_add_f32 v[182:183], v[196:197], v[194:195] neg_lo:[0,1] neg_hi:[0,1]
	v_add_f32_e32 v181, v209, v208
	v_add_f32_e32 v37, v37, v183
	;; [unrolled: 1-line block ×4, first 2 shown]
	v_sub_f32_e32 v182, v181, v209
	v_mul_f32_e32 v37, v199, v37
	v_sub_f32_e32 v182, v208, v182
	v_add_f32_e32 v183, v182, v37
	v_add_f32_e32 v192, v181, v183
	v_cvt_f32_i32_e32 v182, v198
	v_mul_f32_e32 v194, v192, v192
	v_fmamk_f32 v37, v194, 0x3e9b6dac, v177
	v_sub_f32_e32 v181, v192, v181
	v_fmaak_f32 v37, v194, v37, 0x3f2aaada
	v_sub_f32_e32 v181, v183, v181
	v_mul_f32_e32 v183, v192, v194
	v_pk_mul_f32 v[194:195], v[182:183], v[36:37]
	v_ldexp_f32 v193, v192, 1
	v_fma_f32 v192, v182, s69, -v194
	v_fmac_f32_e32 v192, 0xb102e308, v182
	v_pk_add_f32 v[182:183], v[194:195], v[192:193]
	v_ldexp_f32 v181, v181, 1
	v_sub_f32_e32 v37, v183, v193
	v_sub_f32_e32 v37, v195, v37
	v_add_f32_e32 v197, v181, v37
	v_mov_b32_e32 v196, v194
	v_pk_add_f32 v[194:195], v[182:183], v[194:195] neg_lo:[0,1] neg_hi:[0,1]
	v_pk_add_f32 v[198:199], v[182:183], v[196:197]
	v_mov_b32_e32 v193, v182
	v_mov_b32_e32 v195, v199
	v_pk_add_f32 v[208:209], v[192:193], v[194:195] neg_lo:[0,1] neg_hi:[0,1]
	v_pk_add_f32 v[192:193], v[192:193], v[194:195]
	v_mov_b32_e32 v196, v197
	v_mov_b32_e32 v194, v193
	v_pk_add_f32 v[210:211], v[194:195], v[182:183] neg_lo:[0,1] neg_hi:[0,1]
	v_mov_b32_e32 v192, v199
	v_mov_b32_e32 v37, v210
	v_pk_add_f32 v[212:213], v[198:199], v[36:37] neg_lo:[0,1] neg_hi:[0,1]
	v_mov_b32_e32 v198, v183
	v_mov_b32_e32 v199, v210
	;; [unrolled: 1-line block ×3, first 2 shown]
	v_pk_add_f32 v[192:193], v[192:193], v[198:199] neg_lo:[0,1] neg_hi:[0,1]
	v_mov_b32_e32 v197, v182
	v_pk_add_f32 v[182:183], v[196:197], v[192:193] neg_lo:[0,1] neg_hi:[0,1]
	v_mov_b32_e32 v212, v208
	v_pk_add_f32 v[192:193], v[212:213], v[182:183]
	s_or_b64 vcc, vcc, s[72:73]
	v_mov_b32_e32 v196, v193
	v_pk_add_f32 v[196:197], v[192:193], v[196:197]
	s_nop 0
	v_pk_add_f32 v[194:195], v[194:195], v[196:197]
	v_mov_b32_e32 v183, v196
	v_mov_b32_e32 v193, v194
	v_pk_add_f32 v[198:199], v[192:193], v[208:209] neg_lo:[0,1] neg_hi:[0,1]
	s_nop 0
	v_sub_f32_e32 v37, v192, v198
	v_pk_add_f32 v[182:183], v[182:183], v[198:199] neg_lo:[0,1] neg_hi:[0,1]
	v_sub_f32_e32 v37, v208, v37
	v_add_f32_e32 v37, v182, v37
	v_add_f32_e32 v37, v37, v183
	;; [unrolled: 1-line block ×3, first 2 shown]
	v_cndmask_b32_e32 v37, v37, v39, vcc
	v_add_f32_e32 v37, v38, v37
.LBB499_204:                            ;   in Loop: Header=BB499_174 Depth=1
	s_or_b64 exec, exec, s[56:57]
	v_bfe_u32 v38, v37, 16, 1
	v_add3_u32 v38, v37, v38, s71
	v_lshrrev_b32_e32 v38, 16, v38
	v_cmp_o_f32_e32 vcc, v37, v37
	s_nop 1
	v_cndmask_b32_e32 v37, v180, v38, vcc
.LBB499_205:                            ;   in Loop: Header=BB499_174 Depth=1
	s_or_b64 exec, exec, s[62:63]
	v_lshlrev_b32_e32 v37, 16, v37
	v_lshlrev_b32_e32 v38, 16, v176
	s_waitcnt lgkmcnt(0)
	v_max_f32_e32 v181, v38, v38
	v_max_f32_e32 v182, v37, v37
	v_min_f32_e32 v39, v182, v181
	v_cmp_u_f32_e32 vcc, v37, v37
	v_max_f32_e32 v181, v182, v181
	v_cmp_u_f32_e64 s[56:57], v38, v38
	v_cndmask_b32_e32 v39, v39, v37, vcc
	v_cndmask_b32_e32 v181, v181, v37, vcc
	v_cndmask_b32_e64 v39, v39, v38, s[56:57]
	v_cndmask_b32_e64 v38, v181, v38, s[56:57]
	v_cmp_neq_f32_e32 vcc, v39, v38
	v_cmp_class_f32_e64 s[56:57], v39, s13
	s_or_b64 vcc, vcc, s[56:57]
	s_and_saveexec_b64 s[56:57], vcc
	s_cbranch_execz .LBB499_207
; %bb.206:                              ;   in Loop: Header=BB499_174 Depth=1
	v_sub_f32_e32 v37, v39, v38
	v_mul_f32_e32 v39, 0x3fb8aa3b, v37
	v_fma_f32 v181, v37, s64, -v39
	v_rndne_f32_e32 v182, v39
	v_fmac_f32_e32 v181, 0x32a5705f, v37
	v_sub_f32_e32 v39, v39, v182
	v_add_f32_e32 v39, v39, v181
	v_cvt_i32_f32_e32 v181, v182
	v_exp_f32_e32 v39, v39
	v_cmp_ngt_f32_e32 vcc, s65, v37
	v_ldexp_f32 v39, v39, v181
	s_nop 0
	v_cndmask_b32_e32 v39, 0, v39, vcc
	v_cmp_nlt_f32_e32 vcc, s66, v37
	s_nop 1
	v_cndmask_b32_e32 v39, v179, v39, vcc
	v_add_f32_e32 v37, 1.0, v39
	v_add_f32_e32 v181, -1.0, v37
	v_sub_f32_e32 v182, v181, v37
	v_add_f32_e32 v182, 1.0, v182
	v_sub_f32_e32 v181, v39, v181
	v_add_f32_e32 v181, v181, v182
	v_frexp_mant_f32_e32 v192, v37
	v_cvt_f64_f32_e32 v[182:183], v37
	v_frexp_exp_i32_f64_e32 v182, v[182:183]
	v_cmp_gt_f32_e32 vcc, s68, v192
	v_cmp_lt_f32_e64 s[62:63], |v39|, s70
	s_nop 0
	v_subbrev_co_u32_e32 v198, vcc, 0, v182, vcc
	v_sub_u32_e32 v182, 0, v198
	v_ldexp_f32 v37, v37, v182
	v_ldexp_f32 v181, v181, v182
	v_add_f32_e32 v182, -1.0, v37
	v_add_f32_e32 v183, 1.0, v182
	v_sub_f32_e32 v183, v37, v183
	v_add_f32_e32 v192, v181, v183
	v_add_f32_e32 v183, 1.0, v37
	v_add_f32_e32 v193, -1.0, v183
	v_sub_f32_e32 v37, v37, v193
	v_add_f32_e32 v37, v181, v37
	v_add_f32_e32 v181, v183, v37
	v_rcp_f32_e32 v199, v181
	v_sub_f32_e32 v183, v183, v181
	v_add_f32_e32 v37, v37, v183
	v_add_f32_e32 v183, v182, v192
	v_sub_f32_e32 v182, v182, v183
	v_mul_f32_e32 v209, v183, v199
	v_add_f32_e32 v208, v192, v182
	v_mul_f32_e32 v192, v181, v209
	v_fma_f32 v194, v209, v181, -v192
	v_fmac_f32_e32 v194, v209, v37
	v_add_f32_e32 v182, v192, v194
	v_sub_f32_e32 v193, v183, v182
	v_pk_add_f32 v[196:197], v[182:183], v[192:193] neg_lo:[0,1] neg_hi:[0,1]
	v_mov_b32_e32 v195, v182
	v_pk_add_f32 v[182:183], v[196:197], v[194:195] neg_lo:[0,1] neg_hi:[0,1]
	v_cmp_eq_f32_e32 vcc, s67, v39
	v_add_f32_e32 v183, v208, v183
	v_add_f32_e32 v182, v182, v183
	;; [unrolled: 1-line block ×3, first 2 shown]
	v_mul_f32_e32 v208, v199, v183
	v_mul_f32_e32 v192, v181, v208
	v_fma_f32 v194, v208, v181, -v192
	v_fmac_f32_e32 v194, v208, v37
	v_sub_f32_e32 v37, v193, v183
	v_add_f32_e32 v37, v182, v37
	v_add_f32_e32 v182, v192, v194
	v_sub_f32_e32 v193, v183, v182
	v_pk_add_f32 v[196:197], v[182:183], v[192:193] neg_lo:[0,1] neg_hi:[0,1]
	v_mov_b32_e32 v195, v182
	v_pk_add_f32 v[182:183], v[196:197], v[194:195] neg_lo:[0,1] neg_hi:[0,1]
	v_add_f32_e32 v181, v209, v208
	v_add_f32_e32 v37, v37, v183
	v_add_f32_e32 v37, v182, v37
	v_add_f32_e32 v37, v193, v37
	v_sub_f32_e32 v182, v181, v209
	v_mul_f32_e32 v37, v199, v37
	v_sub_f32_e32 v182, v208, v182
	v_add_f32_e32 v183, v182, v37
	v_add_f32_e32 v192, v181, v183
	v_cvt_f32_i32_e32 v182, v198
	v_mul_f32_e32 v194, v192, v192
	v_fmamk_f32 v37, v194, 0x3e9b6dac, v177
	v_sub_f32_e32 v181, v192, v181
	v_fmaak_f32 v37, v194, v37, 0x3f2aaada
	v_sub_f32_e32 v181, v183, v181
	v_mul_f32_e32 v183, v192, v194
	v_pk_mul_f32 v[194:195], v[182:183], v[36:37]
	v_ldexp_f32 v193, v192, 1
	v_fma_f32 v192, v182, s69, -v194
	v_fmac_f32_e32 v192, 0xb102e308, v182
	v_pk_add_f32 v[182:183], v[194:195], v[192:193]
	v_ldexp_f32 v181, v181, 1
	v_sub_f32_e32 v37, v183, v193
	v_sub_f32_e32 v37, v195, v37
	v_add_f32_e32 v197, v181, v37
	v_mov_b32_e32 v196, v194
	v_pk_add_f32 v[194:195], v[182:183], v[194:195] neg_lo:[0,1] neg_hi:[0,1]
	v_pk_add_f32 v[198:199], v[182:183], v[196:197]
	v_mov_b32_e32 v193, v182
	v_mov_b32_e32 v195, v199
	v_pk_add_f32 v[208:209], v[192:193], v[194:195] neg_lo:[0,1] neg_hi:[0,1]
	v_pk_add_f32 v[192:193], v[192:193], v[194:195]
	v_mov_b32_e32 v196, v197
	v_mov_b32_e32 v194, v193
	v_pk_add_f32 v[210:211], v[194:195], v[182:183] neg_lo:[0,1] neg_hi:[0,1]
	v_mov_b32_e32 v192, v199
	v_mov_b32_e32 v37, v210
	v_pk_add_f32 v[212:213], v[198:199], v[36:37] neg_lo:[0,1] neg_hi:[0,1]
	v_mov_b32_e32 v198, v183
	v_mov_b32_e32 v199, v210
	;; [unrolled: 1-line block ×3, first 2 shown]
	v_pk_add_f32 v[192:193], v[192:193], v[198:199] neg_lo:[0,1] neg_hi:[0,1]
	v_mov_b32_e32 v197, v182
	v_pk_add_f32 v[182:183], v[196:197], v[192:193] neg_lo:[0,1] neg_hi:[0,1]
	v_mov_b32_e32 v212, v208
	v_pk_add_f32 v[192:193], v[212:213], v[182:183]
	s_or_b64 vcc, vcc, s[62:63]
	v_mov_b32_e32 v196, v193
	v_pk_add_f32 v[196:197], v[192:193], v[196:197]
	s_nop 0
	v_pk_add_f32 v[194:195], v[194:195], v[196:197]
	v_mov_b32_e32 v183, v196
	v_mov_b32_e32 v193, v194
	v_pk_add_f32 v[198:199], v[192:193], v[208:209] neg_lo:[0,1] neg_hi:[0,1]
	s_nop 0
	v_sub_f32_e32 v37, v192, v198
	v_pk_add_f32 v[182:183], v[182:183], v[198:199] neg_lo:[0,1] neg_hi:[0,1]
	v_sub_f32_e32 v37, v208, v37
	v_add_f32_e32 v37, v182, v37
	v_add_f32_e32 v37, v37, v183
	;; [unrolled: 1-line block ×3, first 2 shown]
	v_cndmask_b32_e32 v37, v37, v39, vcc
	v_add_f32_e32 v37, v38, v37
.LBB499_207:                            ;   in Loop: Header=BB499_174 Depth=1
	s_or_b64 exec, exec, s[56:57]
	v_bfe_u32 v38, v37, 16, 1
	v_add3_u32 v38, v37, v38, s71
	v_lshrrev_b32_e32 v38, 16, v38
	v_cmp_o_f32_e32 vcc, v37, v37
	v_subrev_u32_e32 v32, 64, v32
	s_nop 0
	v_cndmask_b32_e32 v38, v180, v38, vcc
	s_branch .LBB499_174
.LBB499_208:
	s_and_saveexec_b64 s[62:63], s[52:53]
	s_cbranch_execz .LBB499_212
; %bb.209:
	v_lshlrev_b32_e32 v33, 16, v176
	v_lshlrev_b32_e32 v32, 16, v146
	v_max_f32_e32 v35, v32, v32
	v_max_f32_e32 v36, v33, v33
	v_min_f32_e32 v34, v36, v35
	v_cmp_u_f32_e32 vcc, v33, v33
	v_max_f32_e32 v35, v36, v35
	v_cmp_u_f32_e64 s[56:57], v32, v32
	v_cndmask_b32_e32 v34, v34, v33, vcc
	v_cndmask_b32_e32 v35, v35, v33, vcc
	v_cndmask_b32_e64 v34, v34, v32, s[56:57]
	v_cndmask_b32_e64 v32, v35, v32, s[56:57]
	s_movk_i32 s13, 0x1f8
	v_cmp_neq_f32_e32 vcc, v34, v32
	v_cmp_class_f32_e64 s[56:57], v34, s13
	s_or_b64 vcc, vcc, s[56:57]
	s_and_saveexec_b64 s[56:57], vcc
	s_cbranch_execz .LBB499_211
; %bb.210:
	v_sub_f32_e32 v33, v34, v32
	s_mov_b32 s13, 0x3fb8aa3b
	v_mul_f32_e32 v34, 0x3fb8aa3b, v33
	v_fma_f32 v35, v33, s13, -v34
	v_rndne_f32_e32 v36, v34
	v_fmamk_f32 v35, v33, 0x32a5705f, v35
	v_sub_f32_e32 v34, v34, v36
	v_add_f32_e32 v34, v34, v35
	v_exp_f32_e32 v34, v34
	v_cvt_i32_f32_e32 v35, v36
	s_mov_b32 s13, 0xc2ce8ed0
	v_cmp_ngt_f32_e32 vcc, s13, v33
	s_mov_b32 s13, 0x42b17218
	v_ldexp_f32 v34, v34, v35
	v_cndmask_b32_e32 v34, 0, v34, vcc
	v_mov_b32_e32 v35, 0x7f800000
	v_cmp_nlt_f32_e32 vcc, s13, v33
	s_mov_b32 s13, 0x3f2aaaab
	s_mov_b32 s64, 0x7f800000
	v_cndmask_b32_e32 v164, v35, v34, vcc
	v_add_f32_e32 v33, 1.0, v164
	v_add_f32_e32 v34, -1.0, v33
	v_sub_f32_e32 v35, v34, v33
	v_add_f32_e32 v35, 1.0, v35
	v_sub_f32_e32 v34, v164, v34
	v_add_f32_e32 v36, v34, v35
	v_frexp_mant_f32_e32 v37, v33
	v_cvt_f64_f32_e32 v[34:35], v33
	v_frexp_exp_i32_f64_e32 v34, v[34:35]
	v_cmp_gt_f32_e32 vcc, s13, v37
	s_mov_b32 s13, 0x3f317218
	s_nop 0
	v_subbrev_co_u32_e32 v148, vcc, 0, v34, vcc
	v_sub_u32_e32 v34, 0, v148
	v_ldexp_f32 v33, v33, v34
	v_ldexp_f32 v34, v36, v34
	v_add_f32_e32 v36, -1.0, v33
	v_add_f32_e32 v35, 1.0, v36
	v_sub_f32_e32 v35, v33, v35
	v_add_f32_e32 v37, v34, v35
	v_add_f32_e32 v35, 1.0, v33
	v_add_f32_e32 v38, -1.0, v35
	v_sub_f32_e32 v33, v33, v38
	v_add_f32_e32 v33, v34, v33
	v_add_f32_e32 v149, v35, v33
	v_rcp_f32_e32 v150, v149
	v_sub_f32_e32 v34, v35, v149
	v_add_f32_e32 v35, v36, v37
	v_add_f32_e32 v33, v33, v34
	v_mul_f32_e32 v160, v35, v150
	v_sub_f32_e32 v34, v36, v35
	v_mul_f32_e32 v36, v149, v160
	v_fma_f32 v38, v160, v149, -v36
	v_fmac_f32_e32 v38, v160, v33
	v_add_f32_e32 v151, v37, v34
	v_add_f32_e32 v34, v36, v38
	v_sub_f32_e32 v37, v35, v34
	v_pk_add_f32 v[146:147], v[34:35], v[36:37] neg_lo:[0,1] neg_hi:[0,1]
	v_mov_b32_e32 v39, v34
	v_pk_add_f32 v[34:35], v[146:147], v[38:39] neg_lo:[0,1] neg_hi:[0,1]
	v_cmp_eq_f32_e32 vcc, s64, v164
	v_add_f32_e32 v35, v151, v35
	v_add_f32_e32 v34, v34, v35
	;; [unrolled: 1-line block ×3, first 2 shown]
	v_mul_f32_e32 v151, v150, v35
	v_mul_f32_e32 v36, v149, v151
	v_fma_f32 v38, v151, v149, -v36
	v_fmac_f32_e32 v38, v151, v33
	v_sub_f32_e32 v33, v37, v35
	v_add_f32_e32 v33, v34, v33
	v_add_f32_e32 v34, v36, v38
	v_sub_f32_e32 v37, v35, v34
	v_pk_add_f32 v[146:147], v[34:35], v[36:37] neg_lo:[0,1] neg_hi:[0,1]
	v_mov_b32_e32 v39, v34
	v_pk_add_f32 v[34:35], v[146:147], v[38:39] neg_lo:[0,1] neg_hi:[0,1]
	v_cvt_f32_i32_e32 v36, v148
	v_add_f32_e32 v33, v33, v35
	v_add_f32_e32 v33, v34, v33
	v_add_f32_e32 v34, v160, v151
	v_add_f32_e32 v33, v37, v33
	v_sub_f32_e32 v35, v34, v160
	v_mul_f32_e32 v33, v150, v33
	v_sub_f32_e32 v35, v151, v35
	v_add_f32_e32 v33, v35, v33
	v_add_f32_e32 v37, v34, v33
	v_mul_f32_e32 v38, v37, v37
	v_mov_b32_e32 v35, 0x3ecc95a3
	v_fmac_f32_e32 v35, 0x3e9b6dac, v38
	v_sub_f32_e32 v34, v37, v34
	v_fmaak_f32 v35, v38, v35, 0x3f2aaada
	v_sub_f32_e32 v33, v33, v34
	v_ldexp_f32 v39, v37, 1
	v_mul_f32_e32 v37, v37, v38
	v_mov_b32_e32 v34, 0x3f317218
	v_pk_mul_f32 v[34:35], v[36:37], v[34:35]
	v_ldexp_f32 v33, v33, 1
	v_fma_f32 v37, v36, s13, -v34
	v_fmamk_f32 v38, v36, 0xb102e308, v37
	v_pk_add_f32 v[36:37], v[34:35], v[38:39]
	v_mov_b32_e32 v146, v34
	v_sub_f32_e32 v39, v37, v39
	v_sub_f32_e32 v39, v35, v39
	v_add_f32_e32 v147, v33, v39
	v_pk_add_f32 v[34:35], v[36:37], v[34:35] neg_lo:[0,1] neg_hi:[0,1]
	v_pk_add_f32 v[148:149], v[36:37], v[146:147]
	v_mov_b32_e32 v39, v36
	v_mov_b32_e32 v35, v149
	v_pk_add_f32 v[150:151], v[38:39], v[34:35] neg_lo:[0,1] neg_hi:[0,1]
	v_pk_add_f32 v[34:35], v[38:39], v[34:35]
	v_mov_b32_e32 v146, v147
	v_mov_b32_e32 v38, v35
	v_pk_add_f32 v[160:161], v[38:39], v[36:37] neg_lo:[0,1] neg_hi:[0,1]
	v_mov_b32_e32 v34, v149
	v_mov_b32_e32 v33, v160
	v_pk_add_f32 v[162:163], v[148:149], v[32:33] neg_lo:[0,1] neg_hi:[0,1]
	v_mov_b32_e32 v148, v37
	v_mov_b32_e32 v149, v160
	;; [unrolled: 1-line block ×3, first 2 shown]
	v_pk_add_f32 v[34:35], v[34:35], v[148:149] neg_lo:[0,1] neg_hi:[0,1]
	v_mov_b32_e32 v147, v36
	v_pk_add_f32 v[34:35], v[146:147], v[34:35] neg_lo:[0,1] neg_hi:[0,1]
	v_mov_b32_e32 v162, v150
	v_pk_add_f32 v[36:37], v[162:163], v[34:35]
	s_mov_b32 s13, 0x33800000
	v_mov_b32_e32 v146, v37
	v_pk_add_f32 v[146:147], v[36:37], v[146:147]
	v_cmp_lt_f32_e64 s[64:65], |v164|, s13
	v_pk_add_f32 v[38:39], v[38:39], v[146:147]
	v_mov_b32_e32 v35, v146
	v_mov_b32_e32 v37, v38
	v_pk_add_f32 v[148:149], v[36:37], v[150:151] neg_lo:[0,1] neg_hi:[0,1]
	s_or_b64 vcc, vcc, s[64:65]
	v_sub_f32_e32 v33, v36, v148
	v_pk_add_f32 v[34:35], v[34:35], v[148:149] neg_lo:[0,1] neg_hi:[0,1]
	v_sub_f32_e32 v33, v150, v33
	v_add_f32_e32 v33, v34, v33
	v_add_f32_e32 v33, v33, v35
	;; [unrolled: 1-line block ×3, first 2 shown]
	v_cndmask_b32_e32 v33, v33, v164, vcc
	v_add_f32_e32 v33, v32, v33
.LBB499_211:
	s_or_b64 exec, exec, s[56:57]
	v_bfe_u32 v32, v33, 16, 1
	s_movk_i32 s13, 0x7fff
	v_add3_u32 v32, v33, v32, s13
	s_add_i32 s12, s12, 64
	s_mov_b32 s13, 0
	v_lshl_add_u64 v[34:35], s[12:13], 2, v[28:29]
	s_mov_b32 s12, 0x20000
	v_or_b32_sdwa v32, v32, s12 dst_sel:DWORD dst_unused:UNUSED_PAD src0_sel:WORD_1 src1_sel:DWORD
	v_mov_b32_e32 v36, 0x27fc0
	v_cmp_o_f32_e32 vcc, v33, v33
	s_nop 1
	v_cndmask_b32_e32 v32, v36, v32, vcc
	flat_store_dword v[34:35], v32 sc1
.LBB499_212:
	s_or_b64 exec, exec, s[62:63]
	v_cmp_eq_u32_e32 vcc, 0, v0
	s_and_b64 exec, exec, vcc
	s_cbranch_execz .LBB499_214
; %bb.213:
	v_mov_b32_e32 v32, 0
	ds_write_b16 v32, v176 offset:6
.LBB499_214:
	s_or_b64 exec, exec, s[60:61]
	v_mov_b32_e32 v32, 0
	s_waitcnt lgkmcnt(0)
	s_barrier
	ds_read_u16 v32, v32 offset:6
	v_cmp_ne_u32_e32 vcc, 0, v0
	s_and_saveexec_b64 s[12:13], vcc
	s_cbranch_execz .LBB499_218
; %bb.215:
	v_cndmask_b32_e64 v33, v145, v144, s[52:53]
	v_lshlrev_b32_e32 v33, 16, v33
	v_max_f32_e32 v35, v33, v33
	v_min_f32_e32 v34, v35, v135
	v_cmp_u_f32_e32 vcc, v33, v33
	v_max_f32_e32 v35, v35, v135
	s_nop 0
	v_cndmask_b32_e32 v34, v34, v33, vcc
	v_cndmask_b32_e32 v35, v35, v33, vcc
	v_cndmask_b32_e64 v34, v34, v11, s[50:51]
	v_cndmask_b32_e64 v11, v35, v11, s[50:51]
	s_movk_i32 s50, 0x1f8
	v_cmp_neq_f32_e32 vcc, v34, v11
	v_cmp_class_f32_e64 s[50:51], v34, s50
	s_or_b64 vcc, vcc, s[50:51]
	s_and_saveexec_b64 s[50:51], vcc
	s_cbranch_execz .LBB499_217
; %bb.216:
	v_sub_f32_e32 v33, v34, v11
	s_mov_b32 s52, 0x3fb8aa3b
	v_mul_f32_e32 v34, 0x3fb8aa3b, v33
	v_fma_f32 v35, v33, s52, -v34
	v_rndne_f32_e32 v36, v34
	v_fmamk_f32 v35, v33, 0x32a5705f, v35
	v_sub_f32_e32 v34, v34, v36
	v_add_f32_e32 v34, v34, v35
	v_exp_f32_e32 v34, v34
	v_cvt_i32_f32_e32 v35, v36
	s_mov_b32 s52, 0xc2ce8ed0
	v_cmp_ngt_f32_e32 vcc, s52, v33
	s_mov_b32 s52, 0x42b17218
	v_ldexp_f32 v34, v34, v35
	v_cndmask_b32_e32 v34, 0, v34, vcc
	v_mov_b32_e32 v35, 0x7f800000
	v_cmp_nlt_f32_e32 vcc, s52, v33
	s_mov_b32 s52, 0x3f2aaaab
	s_mov_b32 s53, 0x7f800000
	v_cndmask_b32_e32 v135, v35, v34, vcc
	v_add_f32_e32 v33, 1.0, v135
	v_add_f32_e32 v34, -1.0, v33
	v_sub_f32_e32 v35, v34, v33
	v_add_f32_e32 v35, 1.0, v35
	v_sub_f32_e32 v34, v135, v34
	v_add_f32_e32 v36, v34, v35
	v_frexp_mant_f32_e32 v37, v33
	v_cvt_f64_f32_e32 v[34:35], v33
	v_frexp_exp_i32_f64_e32 v34, v[34:35]
	v_cmp_gt_f32_e32 vcc, s52, v37
	s_mov_b32 s52, 0x3f317218
	s_nop 0
	v_subbrev_co_u32_e32 v146, vcc, 0, v34, vcc
	v_sub_u32_e32 v34, 0, v146
	v_ldexp_f32 v33, v33, v34
	v_ldexp_f32 v34, v36, v34
	v_add_f32_e32 v36, -1.0, v33
	v_add_f32_e32 v35, 1.0, v36
	v_sub_f32_e32 v35, v33, v35
	v_add_f32_e32 v37, v34, v35
	v_add_f32_e32 v35, 1.0, v33
	v_add_f32_e32 v38, -1.0, v35
	v_sub_f32_e32 v33, v33, v38
	v_add_f32_e32 v33, v34, v33
	v_add_f32_e32 v147, v35, v33
	v_rcp_f32_e32 v148, v147
	v_sub_f32_e32 v34, v35, v147
	v_add_f32_e32 v35, v36, v37
	v_add_f32_e32 v33, v33, v34
	v_mul_f32_e32 v150, v35, v148
	v_sub_f32_e32 v34, v36, v35
	v_mul_f32_e32 v36, v147, v150
	v_fma_f32 v38, v150, v147, -v36
	v_fmac_f32_e32 v38, v150, v33
	v_add_f32_e32 v149, v37, v34
	v_add_f32_e32 v34, v36, v38
	v_sub_f32_e32 v37, v35, v34
	v_pk_add_f32 v[144:145], v[34:35], v[36:37] neg_lo:[0,1] neg_hi:[0,1]
	v_mov_b32_e32 v39, v34
	v_pk_add_f32 v[34:35], v[144:145], v[38:39] neg_lo:[0,1] neg_hi:[0,1]
	v_cmp_eq_f32_e32 vcc, s53, v135
	v_add_f32_e32 v35, v149, v35
	v_add_f32_e32 v34, v34, v35
	;; [unrolled: 1-line block ×3, first 2 shown]
	v_mul_f32_e32 v149, v148, v35
	v_mul_f32_e32 v36, v147, v149
	v_fma_f32 v38, v149, v147, -v36
	v_fmac_f32_e32 v38, v149, v33
	v_sub_f32_e32 v33, v37, v35
	v_add_f32_e32 v33, v34, v33
	v_add_f32_e32 v34, v36, v38
	v_sub_f32_e32 v37, v35, v34
	v_pk_add_f32 v[144:145], v[34:35], v[36:37] neg_lo:[0,1] neg_hi:[0,1]
	v_mov_b32_e32 v39, v34
	v_pk_add_f32 v[34:35], v[144:145], v[38:39] neg_lo:[0,1] neg_hi:[0,1]
	v_cvt_f32_i32_e32 v36, v146
	v_add_f32_e32 v33, v33, v35
	v_add_f32_e32 v33, v34, v33
	;; [unrolled: 1-line block ×4, first 2 shown]
	v_sub_f32_e32 v35, v34, v150
	v_mul_f32_e32 v33, v148, v33
	v_sub_f32_e32 v35, v149, v35
	v_add_f32_e32 v33, v35, v33
	v_add_f32_e32 v37, v34, v33
	v_mul_f32_e32 v38, v37, v37
	v_mov_b32_e32 v35, 0x3ecc95a3
	v_fmac_f32_e32 v35, 0x3e9b6dac, v38
	v_sub_f32_e32 v34, v37, v34
	v_fmaak_f32 v35, v38, v35, 0x3f2aaada
	v_sub_f32_e32 v33, v33, v34
	v_ldexp_f32 v39, v37, 1
	v_mul_f32_e32 v37, v37, v38
	v_mov_b32_e32 v34, 0x3f317218
	v_pk_mul_f32 v[34:35], v[36:37], v[34:35]
	v_ldexp_f32 v33, v33, 1
	v_fma_f32 v37, v36, s52, -v34
	v_fmamk_f32 v38, v36, 0xb102e308, v37
	v_pk_add_f32 v[36:37], v[34:35], v[38:39]
	v_mov_b32_e32 v144, v34
	v_sub_f32_e32 v39, v37, v39
	v_sub_f32_e32 v39, v35, v39
	v_add_f32_e32 v145, v33, v39
	v_pk_add_f32 v[34:35], v[36:37], v[34:35] neg_lo:[0,1] neg_hi:[0,1]
	v_pk_add_f32 v[146:147], v[36:37], v[144:145]
	v_mov_b32_e32 v39, v36
	v_mov_b32_e32 v35, v147
	v_pk_add_f32 v[148:149], v[38:39], v[34:35] neg_lo:[0,1] neg_hi:[0,1]
	v_pk_add_f32 v[34:35], v[38:39], v[34:35]
	v_mov_b32_e32 v144, v145
	v_mov_b32_e32 v38, v35
	v_pk_add_f32 v[150:151], v[38:39], v[36:37] neg_lo:[0,1] neg_hi:[0,1]
	v_mov_b32_e32 v34, v147
	v_mov_b32_e32 v33, v150
	s_waitcnt lgkmcnt(0)
	v_pk_add_f32 v[160:161], v[146:147], v[32:33] neg_lo:[0,1] neg_hi:[0,1]
	v_mov_b32_e32 v146, v37
	v_mov_b32_e32 v147, v150
	;; [unrolled: 1-line block ×3, first 2 shown]
	v_pk_add_f32 v[34:35], v[34:35], v[146:147] neg_lo:[0,1] neg_hi:[0,1]
	v_mov_b32_e32 v145, v36
	v_pk_add_f32 v[34:35], v[144:145], v[34:35] neg_lo:[0,1] neg_hi:[0,1]
	v_mov_b32_e32 v160, v148
	v_pk_add_f32 v[36:37], v[160:161], v[34:35]
	s_mov_b32 s52, 0x33800000
	v_mov_b32_e32 v144, v37
	v_pk_add_f32 v[144:145], v[36:37], v[144:145]
	v_cmp_lt_f32_e64 s[52:53], |v135|, s52
	v_pk_add_f32 v[38:39], v[38:39], v[144:145]
	v_mov_b32_e32 v35, v144
	v_mov_b32_e32 v37, v38
	v_pk_add_f32 v[146:147], v[36:37], v[148:149] neg_lo:[0,1] neg_hi:[0,1]
	s_or_b64 vcc, vcc, s[52:53]
	v_sub_f32_e32 v33, v36, v146
	v_pk_add_f32 v[34:35], v[34:35], v[146:147] neg_lo:[0,1] neg_hi:[0,1]
	v_sub_f32_e32 v33, v148, v33
	v_add_f32_e32 v33, v34, v33
	v_add_f32_e32 v33, v33, v35
	;; [unrolled: 1-line block ×3, first 2 shown]
	v_cndmask_b32_e32 v33, v33, v135, vcc
	v_add_f32_e32 v33, v11, v33
.LBB499_217:
	s_or_b64 exec, exec, s[50:51]
	v_bfe_u32 v11, v33, 16, 1
	s_movk_i32 vcc_lo, 0x7fff
	v_add3_u32 v11, v33, v11, vcc_lo
	v_and_b32_e32 v11, 0xffff0000, v11
	v_mov_b32_e32 v34, 0x7fc00000
	v_cmp_o_f32_e32 vcc, v33, v33
	s_nop 1
	v_cndmask_b32_e32 v11, v34, v11, vcc
.LBB499_218:
	s_or_b64 exec, exec, s[12:13]
	s_waitcnt lgkmcnt(0)
	v_lshlrev_b32_e32 v33, 16, v32
	v_max_f32_e32 v34, v11, v11
	v_max_f32_e32 v35, v33, v33
	v_min_f32_e32 v32, v35, v34
	v_cmp_u_f32_e32 vcc, v33, v33
	v_max_f32_e32 v34, v35, v34
	v_cmp_u_f32_e64 s[12:13], v11, v11
	v_cndmask_b32_e32 v32, v32, v33, vcc
	v_cndmask_b32_e32 v34, v34, v33, vcc
	v_cndmask_b32_e64 v32, v32, v11, s[12:13]
	v_cndmask_b32_e64 v11, v34, v11, s[12:13]
	s_movk_i32 s50, 0x1f8
	v_cmp_neq_f32_e32 vcc, v32, v11
	v_cmp_class_f32_e64 s[12:13], v32, s50
	s_or_b64 vcc, vcc, s[12:13]
	s_and_saveexec_b64 s[12:13], vcc
	s_cbranch_execz .LBB499_220
; %bb.219:
	v_sub_f32_e32 v32, v32, v11
	s_mov_b32 s51, 0x3fb8aa3b
	v_mul_f32_e32 v33, 0x3fb8aa3b, v32
	v_fma_f32 v34, v32, s51, -v33
	v_rndne_f32_e32 v35, v33
	v_fmamk_f32 v34, v32, 0x32a5705f, v34
	v_sub_f32_e32 v33, v33, v35
	v_add_f32_e32 v33, v33, v34
	v_exp_f32_e32 v33, v33
	v_cvt_i32_f32_e32 v34, v35
	s_mov_b32 s51, 0xc2ce8ed0
	v_cmp_ngt_f32_e32 vcc, s51, v32
	s_mov_b32 s51, 0x42b17218
	v_ldexp_f32 v33, v33, v34
	v_cndmask_b32_e32 v33, 0, v33, vcc
	v_mov_b32_e32 v34, 0x7f800000
	v_cmp_nlt_f32_e32 vcc, s51, v32
	s_mov_b32 s51, 0x3f2aaaab
	s_mov_b32 s52, 0x7f800000
	v_cndmask_b32_e32 v135, v34, v33, vcc
	v_add_f32_e32 v34, 1.0, v135
	v_add_f32_e32 v32, -1.0, v34
	v_sub_f32_e32 v33, v32, v34
	v_add_f32_e32 v33, 1.0, v33
	v_sub_f32_e32 v32, v135, v32
	v_add_f32_e32 v35, v32, v33
	v_frexp_mant_f32_e32 v36, v34
	v_cvt_f64_f32_e32 v[32:33], v34
	v_frexp_exp_i32_f64_e32 v32, v[32:33]
	v_cmp_gt_f32_e32 vcc, s51, v36
	s_mov_b32 s51, 0x3f317218
	s_nop 0
	v_subbrev_co_u32_e32 v144, vcc, 0, v32, vcc
	v_sub_u32_e32 v32, 0, v144
	v_ldexp_f32 v33, v34, v32
	v_add_f32_e32 v34, -1.0, v33
	v_add_f32_e32 v36, 1.0, v33
	v_ldexp_f32 v32, v35, v32
	v_add_f32_e32 v35, 1.0, v34
	v_add_f32_e32 v37, -1.0, v36
	v_sub_f32_e32 v35, v33, v35
	v_sub_f32_e32 v33, v33, v37
	v_add_f32_e32 v35, v32, v35
	v_add_f32_e32 v32, v32, v33
	;; [unrolled: 1-line block ×3, first 2 shown]
	v_rcp_f32_e32 v147, v145
	v_sub_f32_e32 v33, v36, v145
	v_add_f32_e32 v146, v32, v33
	v_add_f32_e32 v33, v34, v35
	v_mul_f32_e32 v149, v33, v147
	v_sub_f32_e32 v32, v34, v33
	v_mul_f32_e32 v34, v145, v149
	v_fma_f32 v36, v149, v145, -v34
	v_fmac_f32_e32 v36, v149, v146
	v_add_f32_e32 v148, v35, v32
	v_add_f32_e32 v32, v34, v36
	v_sub_f32_e32 v35, v33, v32
	v_pk_add_f32 v[38:39], v[32:33], v[34:35] neg_lo:[0,1] neg_hi:[0,1]
	v_mov_b32_e32 v37, v32
	v_pk_add_f32 v[32:33], v[38:39], v[36:37] neg_lo:[0,1] neg_hi:[0,1]
	v_cmp_eq_f32_e32 vcc, s52, v135
	v_add_f32_e32 v33, v148, v33
	v_add_f32_e32 v32, v32, v33
	v_add_f32_e32 v33, v35, v32
	v_mul_f32_e32 v148, v147, v33
	v_mul_f32_e32 v34, v145, v148
	v_fma_f32 v36, v148, v145, -v34
	v_fmac_f32_e32 v36, v148, v146
	v_sub_f32_e32 v35, v35, v33
	v_add_f32_e32 v145, v32, v35
	v_add_f32_e32 v32, v34, v36
	v_sub_f32_e32 v35, v33, v32
	v_pk_add_f32 v[38:39], v[32:33], v[34:35] neg_lo:[0,1] neg_hi:[0,1]
	v_mov_b32_e32 v37, v32
	v_pk_add_f32 v[32:33], v[38:39], v[36:37] neg_lo:[0,1] neg_hi:[0,1]
	v_cvt_f32_i32_e32 v34, v144
	v_add_f32_e32 v33, v145, v33
	v_add_f32_e32 v32, v32, v33
	;; [unrolled: 1-line block ×4, first 2 shown]
	v_sub_f32_e32 v33, v35, v149
	v_mul_f32_e32 v32, v147, v32
	v_sub_f32_e32 v33, v148, v33
	v_add_f32_e32 v32, v33, v32
	v_add_f32_e32 v36, v35, v32
	v_mul_f32_e32 v38, v36, v36
	v_mov_b32_e32 v33, 0x3ecc95a3
	v_sub_f32_e32 v35, v36, v35
	v_fmac_f32_e32 v33, 0x3e9b6dac, v38
	v_sub_f32_e32 v32, v32, v35
	v_fmaak_f32 v33, v38, v33, 0x3f2aaada
	v_ldexp_f32 v39, v32, 1
	v_mul_f32_e32 v35, v36, v38
	v_mov_b32_e32 v32, 0x3f317218
	v_pk_mul_f32 v[32:33], v[34:35], v[32:33]
	v_ldexp_f32 v37, v36, 1
	v_fma_f32 v35, v34, s51, -v32
	v_fmamk_f32 v36, v34, 0xb102e308, v35
	v_pk_add_f32 v[34:35], v[32:33], v[36:37]
	v_mov_b32_e32 v38, v32
	v_sub_f32_e32 v37, v35, v37
	v_sub_f32_e32 v37, v33, v37
	v_add_f32_e32 v39, v39, v37
	v_pk_add_f32 v[32:33], v[34:35], v[32:33] neg_lo:[0,1] neg_hi:[0,1]
	v_pk_add_f32 v[144:145], v[34:35], v[38:39]
	v_mov_b32_e32 v37, v34
	v_mov_b32_e32 v33, v145
	v_pk_add_f32 v[146:147], v[36:37], v[32:33] neg_lo:[0,1] neg_hi:[0,1]
	v_pk_add_f32 v[32:33], v[36:37], v[32:33]
	v_mov_b32_e32 v38, v39
	v_mov_b32_e32 v36, v33
	v_pk_add_f32 v[148:149], v[36:37], v[34:35] neg_lo:[0,1] neg_hi:[0,1]
	v_mov_b32_e32 v32, v145
	v_mov_b32_e32 v37, v148
	v_pk_add_f32 v[150:151], v[144:145], v[36:37] neg_lo:[0,1] neg_hi:[0,1]
	v_mov_b32_e32 v144, v35
	v_mov_b32_e32 v145, v148
	;; [unrolled: 1-line block ×3, first 2 shown]
	v_pk_add_f32 v[32:33], v[32:33], v[144:145] neg_lo:[0,1] neg_hi:[0,1]
	v_mov_b32_e32 v39, v34
	v_pk_add_f32 v[32:33], v[38:39], v[32:33] neg_lo:[0,1] neg_hi:[0,1]
	v_mov_b32_e32 v150, v146
	v_pk_add_f32 v[34:35], v[150:151], v[32:33]
	s_mov_b32 s51, 0x33800000
	v_mov_b32_e32 v38, v35
	v_pk_add_f32 v[38:39], v[34:35], v[38:39]
	v_cmp_lt_f32_e64 s[52:53], |v135|, s51
	v_pk_add_f32 v[36:37], v[36:37], v[38:39]
	v_mov_b32_e32 v33, v38
	v_mov_b32_e32 v35, v36
	v_pk_add_f32 v[144:145], v[34:35], v[146:147] neg_lo:[0,1] neg_hi:[0,1]
	s_or_b64 vcc, vcc, s[52:53]
	v_sub_f32_e32 v34, v34, v144
	v_pk_add_f32 v[32:33], v[32:33], v[144:145] neg_lo:[0,1] neg_hi:[0,1]
	v_sub_f32_e32 v34, v146, v34
	v_add_f32_e32 v32, v32, v34
	v_add_f32_e32 v32, v32, v33
	v_add_f32_e32 v32, v36, v32
	v_cndmask_b32_e32 v32, v32, v135, vcc
	v_add_f32_e32 v33, v11, v32
.LBB499_220:
	s_or_b64 exec, exec, s[12:13]
	v_bfe_u32 v11, v33, 16, 1
	s_movk_i32 s12, 0x7fff
	v_add3_u32 v11, v33, v11, s12
	v_lshrrev_b32_e32 v11, 16, v11
	v_mov_b32_e32 v32, 0x7fc0
	v_cmp_o_f32_e32 vcc, v33, v33
	s_nop 1
	v_cndmask_b32_e32 v11, v32, v11, vcc
	v_lshlrev_b32_e32 v34, 16, v11
	v_max_f32_e32 v33, v34, v34
	v_min_f32_e32 v35, v33, v50
	v_cmp_u_f32_e32 vcc, v34, v34
	v_max_f32_e32 v33, v33, v50
	s_nop 0
	v_cndmask_b32_e32 v35, v35, v34, vcc
	v_cndmask_b32_e32 v33, v33, v34, vcc
	v_cndmask_b32_e64 v35, v35, v49, s[2:3]
	v_cndmask_b32_e64 v33, v33, v49, s[2:3]
	v_cmp_neq_f32_e32 vcc, v35, v33
	v_cmp_class_f32_e64 s[2:3], v35, s50
	s_or_b64 vcc, vcc, s[2:3]
	s_and_saveexec_b64 s[2:3], vcc
	s_cbranch_execz .LBB499_222
; %bb.221:
	v_sub_f32_e32 v34, v35, v33
	s_mov_b32 s13, 0x3fb8aa3b
	v_mul_f32_e32 v35, 0x3fb8aa3b, v34
	v_fma_f32 v36, v34, s13, -v35
	v_rndne_f32_e32 v37, v35
	v_fmamk_f32 v36, v34, 0x32a5705f, v36
	v_sub_f32_e32 v35, v35, v37
	v_add_f32_e32 v35, v35, v36
	v_exp_f32_e32 v35, v35
	v_cvt_i32_f32_e32 v36, v37
	s_mov_b32 s13, 0xc2ce8ed0
	v_cmp_ngt_f32_e32 vcc, s13, v34
	s_mov_b32 s13, 0x42b17218
	v_ldexp_f32 v35, v35, v36
	v_cndmask_b32_e32 v35, 0, v35, vcc
	v_mov_b32_e32 v36, 0x7f800000
	v_cmp_nlt_f32_e32 vcc, s13, v34
	s_mov_b32 s13, 0x3f2aaaab
	s_mov_b32 s50, 0x7f800000
	v_cndmask_b32_e32 v49, v36, v35, vcc
	v_add_f32_e32 v36, 1.0, v49
	v_add_f32_e32 v34, -1.0, v36
	v_sub_f32_e32 v35, v34, v36
	v_add_f32_e32 v35, 1.0, v35
	v_sub_f32_e32 v34, v49, v34
	v_add_f32_e32 v37, v34, v35
	v_frexp_mant_f32_e32 v38, v36
	v_cvt_f64_f32_e32 v[34:35], v36
	v_frexp_exp_i32_f64_e32 v34, v[34:35]
	v_cmp_gt_f32_e32 vcc, s13, v38
	s_mov_b32 s13, 0x3f317218
	s_nop 0
	v_subbrev_co_u32_e32 v50, vcc, 0, v34, vcc
	v_sub_u32_e32 v34, 0, v50
	v_ldexp_f32 v35, v36, v34
	v_add_f32_e32 v36, -1.0, v35
	v_add_f32_e32 v38, 1.0, v35
	v_ldexp_f32 v34, v37, v34
	v_add_f32_e32 v37, 1.0, v36
	v_add_f32_e32 v39, -1.0, v38
	v_sub_f32_e32 v37, v35, v37
	v_sub_f32_e32 v35, v35, v39
	v_add_f32_e32 v37, v34, v37
	v_add_f32_e32 v34, v34, v35
	;; [unrolled: 1-line block ×3, first 2 shown]
	v_rcp_f32_e32 v147, v135
	v_sub_f32_e32 v35, v38, v135
	v_add_f32_e32 v146, v34, v35
	v_add_f32_e32 v35, v36, v37
	v_mul_f32_e32 v149, v35, v147
	v_sub_f32_e32 v34, v36, v35
	v_mul_f32_e32 v36, v135, v149
	v_fma_f32 v38, v149, v135, -v36
	v_fmac_f32_e32 v38, v149, v146
	v_add_f32_e32 v148, v37, v34
	v_add_f32_e32 v34, v36, v38
	v_sub_f32_e32 v37, v35, v34
	v_pk_add_f32 v[144:145], v[34:35], v[36:37] neg_lo:[0,1] neg_hi:[0,1]
	v_mov_b32_e32 v39, v34
	v_pk_add_f32 v[34:35], v[144:145], v[38:39] neg_lo:[0,1] neg_hi:[0,1]
	v_cmp_eq_f32_e32 vcc, s50, v49
	v_add_f32_e32 v35, v148, v35
	v_add_f32_e32 v34, v34, v35
	;; [unrolled: 1-line block ×3, first 2 shown]
	v_mul_f32_e32 v148, v147, v35
	v_mul_f32_e32 v36, v135, v148
	v_fma_f32 v38, v148, v135, -v36
	v_fmac_f32_e32 v38, v148, v146
	v_sub_f32_e32 v37, v37, v35
	v_add_f32_e32 v135, v34, v37
	v_add_f32_e32 v34, v36, v38
	v_sub_f32_e32 v37, v35, v34
	v_pk_add_f32 v[144:145], v[34:35], v[36:37] neg_lo:[0,1] neg_hi:[0,1]
	v_mov_b32_e32 v39, v34
	v_pk_add_f32 v[34:35], v[144:145], v[38:39] neg_lo:[0,1] neg_hi:[0,1]
	v_cvt_f32_i32_e32 v36, v50
	v_add_f32_e32 v35, v135, v35
	v_add_f32_e32 v34, v34, v35
	;; [unrolled: 1-line block ×4, first 2 shown]
	v_sub_f32_e32 v35, v37, v149
	v_mul_f32_e32 v34, v147, v34
	v_sub_f32_e32 v35, v148, v35
	v_add_f32_e32 v34, v35, v34
	v_add_f32_e32 v38, v37, v34
	v_mul_f32_e32 v135, v38, v38
	v_mov_b32_e32 v35, 0x3ecc95a3
	v_sub_f32_e32 v37, v38, v37
	v_fmac_f32_e32 v35, 0x3e9b6dac, v135
	v_sub_f32_e32 v34, v34, v37
	v_fmaak_f32 v35, v135, v35, 0x3f2aaada
	v_ldexp_f32 v50, v34, 1
	v_mul_f32_e32 v37, v38, v135
	v_mov_b32_e32 v34, 0x3f317218
	v_pk_mul_f32 v[34:35], v[36:37], v[34:35]
	v_ldexp_f32 v39, v38, 1
	v_fma_f32 v37, v36, s13, -v34
	v_fmamk_f32 v38, v36, 0xb102e308, v37
	v_pk_add_f32 v[36:37], v[34:35], v[38:39]
	v_mov_b32_e32 v144, v34
	v_sub_f32_e32 v39, v37, v39
	v_sub_f32_e32 v39, v35, v39
	v_add_f32_e32 v145, v50, v39
	v_pk_add_f32 v[34:35], v[36:37], v[34:35] neg_lo:[0,1] neg_hi:[0,1]
	v_pk_add_f32 v[146:147], v[36:37], v[144:145]
	v_mov_b32_e32 v39, v36
	v_mov_b32_e32 v35, v147
	v_pk_add_f32 v[148:149], v[38:39], v[34:35] neg_lo:[0,1] neg_hi:[0,1]
	v_pk_add_f32 v[34:35], v[38:39], v[34:35]
	v_mov_b32_e32 v144, v145
	v_mov_b32_e32 v38, v35
	v_pk_add_f32 v[150:151], v[38:39], v[36:37] neg_lo:[0,1] neg_hi:[0,1]
	v_mov_b32_e32 v34, v147
	v_mov_b32_e32 v39, v150
	v_pk_add_f32 v[160:161], v[146:147], v[38:39] neg_lo:[0,1] neg_hi:[0,1]
	v_mov_b32_e32 v146, v37
	v_mov_b32_e32 v147, v150
	;; [unrolled: 1-line block ×3, first 2 shown]
	v_pk_add_f32 v[34:35], v[34:35], v[146:147] neg_lo:[0,1] neg_hi:[0,1]
	v_mov_b32_e32 v145, v36
	v_pk_add_f32 v[34:35], v[144:145], v[34:35] neg_lo:[0,1] neg_hi:[0,1]
	v_mov_b32_e32 v160, v148
	v_pk_add_f32 v[36:37], v[160:161], v[34:35]
	s_mov_b32 s13, 0x33800000
	v_mov_b32_e32 v50, v37
	v_pk_add_f32 v[144:145], v[36:37], v[50:51]
	v_cmp_lt_f32_e64 s[50:51], |v49|, s13
	v_pk_add_f32 v[38:39], v[38:39], v[144:145]
	v_mov_b32_e32 v35, v144
	v_mov_b32_e32 v37, v38
	v_pk_add_f32 v[146:147], v[36:37], v[148:149] neg_lo:[0,1] neg_hi:[0,1]
	s_or_b64 vcc, vcc, s[50:51]
	v_sub_f32_e32 v36, v36, v146
	v_pk_add_f32 v[34:35], v[34:35], v[146:147] neg_lo:[0,1] neg_hi:[0,1]
	v_sub_f32_e32 v36, v148, v36
	v_add_f32_e32 v34, v34, v36
	v_add_f32_e32 v34, v34, v35
	;; [unrolled: 1-line block ×3, first 2 shown]
	v_cndmask_b32_e32 v34, v34, v49, vcc
	v_add_f32_e32 v34, v33, v34
.LBB499_222:
	s_or_b64 exec, exec, s[2:3]
	v_bfe_u32 v33, v34, 16, 1
	v_add3_u32 v33, v34, v33, s12
	v_lshrrev_b32_e32 v33, 16, v33
	v_cmp_o_f32_e32 vcc, v34, v34
	s_nop 1
	v_cndmask_b32_e32 v32, v32, v33, vcc
	v_lshlrev_b32_e32 v35, 16, v32
	v_max_f32_e32 v33, v35, v35
	v_min_f32_e32 v34, v33, v55
	v_cmp_u_f32_e32 vcc, v35, v35
	v_max_f32_e32 v33, v33, v55
	s_nop 0
	v_cndmask_b32_e32 v34, v34, v35, vcc
	v_cndmask_b32_e32 v33, v33, v35, vcc
	v_cndmask_b32_e64 v34, v34, v51, s[4:5]
	v_cndmask_b32_e64 v33, v33, v51, s[4:5]
	s_movk_i32 s4, 0x1f8
	v_cmp_neq_f32_e32 vcc, v34, v33
	v_cmp_class_f32_e64 s[2:3], v34, s4
	s_or_b64 s[12:13], vcc, s[2:3]
	s_and_saveexec_b64 s[2:3], s[12:13]
	s_cbranch_execz .LBB499_224
; %bb.223:
	v_sub_f32_e32 v34, v34, v33
	s_mov_b32 s5, 0x3fb8aa3b
	v_mul_f32_e32 v35, 0x3fb8aa3b, v34
	v_fma_f32 v36, v34, s5, -v35
	v_rndne_f32_e32 v37, v35
	v_fmamk_f32 v36, v34, 0x32a5705f, v36
	v_sub_f32_e32 v35, v35, v37
	v_add_f32_e32 v35, v35, v36
	v_exp_f32_e32 v35, v35
	v_cvt_i32_f32_e32 v36, v37
	s_mov_b32 s5, 0xc2ce8ed0
	v_cmp_ngt_f32_e32 vcc, s5, v34
	s_mov_b32 s5, 0x42b17218
	v_ldexp_f32 v35, v35, v36
	v_cndmask_b32_e32 v35, 0, v35, vcc
	v_mov_b32_e32 v36, 0x7f800000
	v_cmp_nlt_f32_e32 vcc, s5, v34
	s_mov_b32 s5, 0x3f2aaaab
	s_mov_b32 s12, 0x7f800000
	v_cndmask_b32_e32 v49, v36, v35, vcc
	v_add_f32_e32 v36, 1.0, v49
	v_add_f32_e32 v34, -1.0, v36
	v_sub_f32_e32 v35, v34, v36
	v_add_f32_e32 v35, 1.0, v35
	v_sub_f32_e32 v34, v49, v34
	v_add_f32_e32 v37, v34, v35
	v_frexp_mant_f32_e32 v38, v36
	v_cvt_f64_f32_e32 v[34:35], v36
	v_frexp_exp_i32_f64_e32 v34, v[34:35]
	v_cmp_gt_f32_e32 vcc, s5, v38
	s_mov_b32 s5, 0x3f317218
	s_nop 0
	v_subbrev_co_u32_e32 v55, vcc, 0, v34, vcc
	v_sub_u32_e32 v34, 0, v55
	v_ldexp_f32 v35, v36, v34
	v_add_f32_e32 v36, -1.0, v35
	v_add_f32_e32 v38, 1.0, v35
	v_ldexp_f32 v34, v37, v34
	v_add_f32_e32 v37, 1.0, v36
	v_add_f32_e32 v39, -1.0, v38
	v_sub_f32_e32 v37, v35, v37
	v_sub_f32_e32 v35, v35, v39
	v_add_f32_e32 v37, v34, v37
	v_add_f32_e32 v34, v34, v35
	;; [unrolled: 1-line block ×3, first 2 shown]
	v_rcp_f32_e32 v145, v135
	v_sub_f32_e32 v35, v38, v135
	v_add_f32_e32 v144, v34, v35
	v_add_f32_e32 v35, v36, v37
	v_mul_f32_e32 v147, v35, v145
	v_sub_f32_e32 v34, v36, v35
	v_mul_f32_e32 v36, v135, v147
	v_fma_f32 v38, v147, v135, -v36
	v_fmac_f32_e32 v38, v147, v144
	v_add_f32_e32 v146, v37, v34
	v_add_f32_e32 v34, v36, v38
	v_sub_f32_e32 v37, v35, v34
	v_pk_add_f32 v[50:51], v[34:35], v[36:37] neg_lo:[0,1] neg_hi:[0,1]
	v_mov_b32_e32 v39, v34
	v_pk_add_f32 v[34:35], v[50:51], v[38:39] neg_lo:[0,1] neg_hi:[0,1]
	v_cmp_eq_f32_e32 vcc, s12, v49
	v_add_f32_e32 v35, v146, v35
	v_add_f32_e32 v34, v34, v35
	;; [unrolled: 1-line block ×3, first 2 shown]
	v_mul_f32_e32 v146, v145, v35
	v_mul_f32_e32 v36, v135, v146
	v_fma_f32 v38, v146, v135, -v36
	v_fmac_f32_e32 v38, v146, v144
	v_sub_f32_e32 v37, v37, v35
	v_add_f32_e32 v135, v34, v37
	v_add_f32_e32 v34, v36, v38
	v_sub_f32_e32 v37, v35, v34
	v_pk_add_f32 v[50:51], v[34:35], v[36:37] neg_lo:[0,1] neg_hi:[0,1]
	v_mov_b32_e32 v39, v34
	v_pk_add_f32 v[34:35], v[50:51], v[38:39] neg_lo:[0,1] neg_hi:[0,1]
	v_cvt_f32_i32_e32 v36, v55
	v_add_f32_e32 v35, v135, v35
	v_add_f32_e32 v34, v34, v35
	;; [unrolled: 1-line block ×4, first 2 shown]
	v_sub_f32_e32 v35, v37, v147
	v_mul_f32_e32 v34, v145, v34
	v_sub_f32_e32 v35, v146, v35
	v_add_f32_e32 v34, v35, v34
	v_add_f32_e32 v38, v37, v34
	v_mul_f32_e32 v50, v38, v38
	v_mov_b32_e32 v35, 0x3ecc95a3
	v_sub_f32_e32 v37, v38, v37
	v_fmac_f32_e32 v35, 0x3e9b6dac, v50
	v_sub_f32_e32 v34, v34, v37
	v_fmaak_f32 v35, v50, v35, 0x3f2aaada
	v_ldexp_f32 v51, v34, 1
	v_mul_f32_e32 v37, v38, v50
	v_mov_b32_e32 v34, 0x3f317218
	v_pk_mul_f32 v[34:35], v[36:37], v[34:35]
	v_ldexp_f32 v39, v38, 1
	v_fma_f32 v37, v36, s5, -v34
	v_fmamk_f32 v38, v36, 0xb102e308, v37
	v_pk_add_f32 v[36:37], v[34:35], v[38:39]
	v_mov_b32_e32 v50, v34
	v_sub_f32_e32 v39, v37, v39
	v_sub_f32_e32 v39, v35, v39
	v_add_f32_e32 v51, v51, v39
	v_pk_add_f32 v[34:35], v[36:37], v[34:35] neg_lo:[0,1] neg_hi:[0,1]
	v_pk_add_f32 v[144:145], v[36:37], v[50:51]
	v_mov_b32_e32 v39, v36
	v_mov_b32_e32 v35, v145
	v_pk_add_f32 v[146:147], v[38:39], v[34:35] neg_lo:[0,1] neg_hi:[0,1]
	v_pk_add_f32 v[34:35], v[38:39], v[34:35]
	v_mov_b32_e32 v50, v51
	v_mov_b32_e32 v38, v35
	v_pk_add_f32 v[148:149], v[38:39], v[36:37] neg_lo:[0,1] neg_hi:[0,1]
	v_mov_b32_e32 v34, v145
	v_mov_b32_e32 v39, v148
	v_pk_add_f32 v[150:151], v[144:145], v[38:39] neg_lo:[0,1] neg_hi:[0,1]
	v_mov_b32_e32 v144, v37
	v_mov_b32_e32 v145, v148
	;; [unrolled: 1-line block ×3, first 2 shown]
	v_pk_add_f32 v[34:35], v[34:35], v[144:145] neg_lo:[0,1] neg_hi:[0,1]
	v_mov_b32_e32 v51, v36
	v_pk_add_f32 v[34:35], v[50:51], v[34:35] neg_lo:[0,1] neg_hi:[0,1]
	v_mov_b32_e32 v150, v146
	v_pk_add_f32 v[36:37], v[150:151], v[34:35]
	s_mov_b32 s5, 0x33800000
	v_mov_b32_e32 v50, v37
	v_pk_add_f32 v[50:51], v[36:37], v[50:51]
	v_cmp_lt_f32_e64 s[12:13], |v49|, s5
	v_pk_add_f32 v[38:39], v[38:39], v[50:51]
	v_mov_b32_e32 v35, v50
	v_mov_b32_e32 v37, v38
	v_pk_add_f32 v[144:145], v[36:37], v[146:147] neg_lo:[0,1] neg_hi:[0,1]
	s_or_b64 vcc, vcc, s[12:13]
	v_sub_f32_e32 v36, v36, v144
	v_pk_add_f32 v[34:35], v[34:35], v[144:145] neg_lo:[0,1] neg_hi:[0,1]
	v_sub_f32_e32 v36, v146, v36
	v_add_f32_e32 v34, v34, v36
	v_add_f32_e32 v34, v34, v35
	;; [unrolled: 1-line block ×3, first 2 shown]
	v_cndmask_b32_e32 v34, v34, v49, vcc
	v_add_f32_e32 v35, v33, v34
.LBB499_224:
	s_or_b64 exec, exec, s[2:3]
	v_bfe_u32 v33, v35, 16, 1
	s_movk_i32 s5, 0x7fff
	v_add3_u32 v33, v35, v33, s5
	v_lshrrev_b32_e32 v33, 16, v33
	v_mov_b32_e32 v34, 0x7fc0
	v_cmp_o_f32_e32 vcc, v35, v35
	s_nop 1
	v_cndmask_b32_e32 v33, v34, v33, vcc
	v_lshlrev_b32_e32 v36, 16, v33
	v_max_f32_e32 v35, v36, v36
	v_min_f32_e32 v37, v35, v64
	v_cmp_u_f32_e32 vcc, v36, v36
	v_max_f32_e32 v35, v35, v64
	s_nop 0
	v_cndmask_b32_e32 v37, v37, v36, vcc
	v_cndmask_b32_e32 v35, v35, v36, vcc
	v_cndmask_b32_e64 v37, v37, v52, s[6:7]
	v_cndmask_b32_e64 v35, v35, v52, s[6:7]
	v_cmp_neq_f32_e32 vcc, v37, v35
	v_cmp_class_f32_e64 s[2:3], v37, s4
	s_or_b64 s[6:7], vcc, s[2:3]
	s_and_saveexec_b64 s[2:3], s[6:7]
	s_cbranch_execz .LBB499_226
; %bb.225:
	v_sub_f32_e32 v36, v37, v35
	s_mov_b32 s4, 0x3fb8aa3b
	v_mul_f32_e32 v37, 0x3fb8aa3b, v36
	v_fma_f32 v38, v36, s4, -v37
	v_rndne_f32_e32 v39, v37
	v_fmamk_f32 v38, v36, 0x32a5705f, v38
	v_sub_f32_e32 v37, v37, v39
	v_add_f32_e32 v37, v37, v38
	v_exp_f32_e32 v37, v37
	v_cvt_i32_f32_e32 v38, v39
	s_mov_b32 s4, 0xc2ce8ed0
	v_cmp_ngt_f32_e32 vcc, s4, v36
	s_mov_b32 s4, 0x42b17218
	v_ldexp_f32 v37, v37, v38
	v_cndmask_b32_e32 v37, 0, v37, vcc
	v_mov_b32_e32 v38, 0x7f800000
	v_cmp_nlt_f32_e32 vcc, s4, v36
	s_mov_b32 s4, 0x3f2aaaab
	s_mov_b32 s6, 0x7f800000
	v_cndmask_b32_e32 v55, v38, v37, vcc
	v_add_f32_e32 v38, 1.0, v55
	v_add_f32_e32 v36, -1.0, v38
	v_sub_f32_e32 v37, v36, v38
	v_add_f32_e32 v37, 1.0, v37
	v_sub_f32_e32 v36, v55, v36
	v_add_f32_e32 v39, v36, v37
	v_frexp_mant_f32_e32 v49, v38
	v_cvt_f64_f32_e32 v[36:37], v38
	v_frexp_exp_i32_f64_e32 v36, v[36:37]
	v_cmp_gt_f32_e32 vcc, s4, v49
	s_mov_b32 s4, 0x3f317218
	s_nop 0
	v_subbrev_co_u32_e32 v49, vcc, 0, v36, vcc
	v_sub_u32_e32 v36, 0, v49
	v_ldexp_f32 v37, v38, v36
	v_add_f32_e32 v38, -1.0, v37
	v_add_f32_e32 v50, 1.0, v37
	v_ldexp_f32 v36, v39, v36
	v_add_f32_e32 v39, 1.0, v38
	v_add_f32_e32 v51, -1.0, v50
	v_sub_f32_e32 v39, v37, v39
	v_sub_f32_e32 v37, v37, v51
	v_add_f32_e32 v39, v36, v39
	v_add_f32_e32 v36, v36, v37
	;; [unrolled: 1-line block ×3, first 2 shown]
	v_rcp_f32_e32 v135, v52
	v_sub_f32_e32 v37, v50, v52
	v_add_f32_e32 v64, v36, v37
	v_add_f32_e32 v37, v38, v39
	v_mul_f32_e32 v147, v37, v135
	v_sub_f32_e32 v36, v38, v37
	v_mul_f32_e32 v38, v52, v147
	v_fma_f32 v50, v147, v52, -v38
	v_fmac_f32_e32 v50, v147, v64
	v_add_f32_e32 v146, v39, v36
	v_add_f32_e32 v36, v38, v50
	v_sub_f32_e32 v39, v37, v36
	v_pk_add_f32 v[144:145], v[36:37], v[38:39] neg_lo:[0,1] neg_hi:[0,1]
	v_mov_b32_e32 v51, v36
	v_pk_add_f32 v[36:37], v[144:145], v[50:51] neg_lo:[0,1] neg_hi:[0,1]
	v_cmp_eq_f32_e32 vcc, s6, v55
	v_add_f32_e32 v37, v146, v37
	v_add_f32_e32 v36, v36, v37
	;; [unrolled: 1-line block ×3, first 2 shown]
	v_mul_f32_e32 v146, v135, v37
	v_mul_f32_e32 v38, v52, v146
	v_fma_f32 v50, v146, v52, -v38
	v_fmac_f32_e32 v50, v146, v64
	v_sub_f32_e32 v39, v39, v37
	v_add_f32_e32 v52, v36, v39
	v_add_f32_e32 v36, v38, v50
	v_sub_f32_e32 v39, v37, v36
	v_pk_add_f32 v[144:145], v[36:37], v[38:39] neg_lo:[0,1] neg_hi:[0,1]
	v_mov_b32_e32 v51, v36
	v_pk_add_f32 v[36:37], v[144:145], v[50:51] neg_lo:[0,1] neg_hi:[0,1]
	v_cvt_f32_i32_e32 v38, v49
	v_add_f32_e32 v37, v52, v37
	v_add_f32_e32 v36, v36, v37
	v_add_f32_e32 v36, v39, v36
	v_add_f32_e32 v39, v147, v146
	v_sub_f32_e32 v37, v39, v147
	v_mul_f32_e32 v36, v135, v36
	v_sub_f32_e32 v37, v146, v37
	v_add_f32_e32 v36, v37, v36
	v_add_f32_e32 v50, v39, v36
	v_mul_f32_e32 v52, v50, v50
	v_mov_b32_e32 v37, 0x3ecc95a3
	v_sub_f32_e32 v39, v50, v39
	v_fmac_f32_e32 v37, 0x3e9b6dac, v52
	v_sub_f32_e32 v36, v36, v39
	v_fmaak_f32 v37, v52, v37, 0x3f2aaada
	v_ldexp_f32 v49, v36, 1
	v_mul_f32_e32 v39, v50, v52
	v_mov_b32_e32 v36, 0x3f317218
	v_pk_mul_f32 v[36:37], v[38:39], v[36:37]
	v_ldexp_f32 v51, v50, 1
	v_fma_f32 v39, v38, s4, -v36
	v_fmamk_f32 v50, v38, 0xb102e308, v39
	v_pk_add_f32 v[38:39], v[36:37], v[50:51]
	v_mov_b32_e32 v144, v36
	v_sub_f32_e32 v51, v39, v51
	v_sub_f32_e32 v51, v37, v51
	v_add_f32_e32 v145, v49, v51
	v_pk_add_f32 v[36:37], v[38:39], v[36:37] neg_lo:[0,1] neg_hi:[0,1]
	v_pk_add_f32 v[146:147], v[38:39], v[144:145]
	v_mov_b32_e32 v51, v38
	v_mov_b32_e32 v37, v147
	v_pk_add_f32 v[148:149], v[50:51], v[36:37] neg_lo:[0,1] neg_hi:[0,1]
	v_pk_add_f32 v[36:37], v[50:51], v[36:37]
	v_mov_b32_e32 v144, v145
	v_mov_b32_e32 v50, v37
	v_pk_add_f32 v[150:151], v[50:51], v[38:39] neg_lo:[0,1] neg_hi:[0,1]
	v_mov_b32_e32 v36, v147
	v_mov_b32_e32 v49, v150
	v_pk_add_f32 v[160:161], v[146:147], v[48:49] neg_lo:[0,1] neg_hi:[0,1]
	v_mov_b32_e32 v146, v39
	v_mov_b32_e32 v147, v150
	;; [unrolled: 1-line block ×3, first 2 shown]
	v_pk_add_f32 v[36:37], v[36:37], v[146:147] neg_lo:[0,1] neg_hi:[0,1]
	v_mov_b32_e32 v145, v38
	v_pk_add_f32 v[36:37], v[144:145], v[36:37] neg_lo:[0,1] neg_hi:[0,1]
	v_mov_b32_e32 v160, v148
	v_pk_add_f32 v[38:39], v[160:161], v[36:37]
	s_mov_b32 s4, 0x33800000
	v_mov_b32_e32 v52, v39
	v_pk_add_f32 v[144:145], v[38:39], v[52:53]
	v_cmp_lt_f32_e64 s[6:7], |v55|, s4
	v_pk_add_f32 v[50:51], v[50:51], v[144:145]
	v_mov_b32_e32 v37, v144
	v_mov_b32_e32 v39, v50
	v_pk_add_f32 v[146:147], v[38:39], v[148:149] neg_lo:[0,1] neg_hi:[0,1]
	s_or_b64 vcc, vcc, s[6:7]
	v_sub_f32_e32 v38, v38, v146
	v_pk_add_f32 v[36:37], v[36:37], v[146:147] neg_lo:[0,1] neg_hi:[0,1]
	v_sub_f32_e32 v38, v148, v38
	v_add_f32_e32 v36, v36, v38
	v_add_f32_e32 v36, v36, v37
	;; [unrolled: 1-line block ×3, first 2 shown]
	v_cndmask_b32_e32 v36, v36, v55, vcc
	v_add_f32_e32 v36, v35, v36
.LBB499_226:
	s_or_b64 exec, exec, s[2:3]
	v_bfe_u32 v35, v36, 16, 1
	v_add3_u32 v35, v36, v35, s5
	v_lshrrev_b32_e32 v35, 16, v35
	v_cmp_o_f32_e32 vcc, v36, v36
	s_movk_i32 s4, 0x1f8
	s_nop 0
	v_cndmask_b32_e32 v34, v34, v35, vcc
	v_lshlrev_b32_e32 v37, 16, v34
	v_max_f32_e32 v35, v37, v37
	v_min_f32_e32 v36, v35, v67
	v_cmp_u_f32_e32 vcc, v37, v37
	v_max_f32_e32 v35, v35, v67
	s_nop 0
	v_cndmask_b32_e32 v36, v36, v37, vcc
	v_cndmask_b32_e32 v35, v35, v37, vcc
	v_cndmask_b32_e64 v36, v36, v53, s[8:9]
	v_cndmask_b32_e64 v35, v35, v53, s[8:9]
	v_cmp_neq_f32_e32 vcc, v36, v35
	v_cmp_class_f32_e64 s[2:3], v36, s4
	s_or_b64 s[6:7], vcc, s[2:3]
	s_and_saveexec_b64 s[2:3], s[6:7]
	s_cbranch_execz .LBB499_228
; %bb.227:
	v_sub_f32_e32 v36, v36, v35
	s_mov_b32 s5, 0x3fb8aa3b
	v_mul_f32_e32 v37, 0x3fb8aa3b, v36
	v_fma_f32 v38, v36, s5, -v37
	v_rndne_f32_e32 v39, v37
	v_fmamk_f32 v38, v36, 0x32a5705f, v38
	v_sub_f32_e32 v37, v37, v39
	v_add_f32_e32 v37, v37, v38
	v_exp_f32_e32 v37, v37
	v_cvt_i32_f32_e32 v38, v39
	s_mov_b32 s5, 0xc2ce8ed0
	v_cmp_ngt_f32_e32 vcc, s5, v36
	s_mov_b32 s5, 0x42b17218
	v_ldexp_f32 v37, v37, v38
	v_cndmask_b32_e32 v37, 0, v37, vcc
	v_mov_b32_e32 v38, 0x7f800000
	v_cmp_nlt_f32_e32 vcc, s5, v36
	s_mov_b32 s5, 0x3f2aaaab
	s_mov_b32 s6, 0x7f800000
	v_cndmask_b32_e32 v55, v38, v37, vcc
	v_add_f32_e32 v38, 1.0, v55
	v_add_f32_e32 v36, -1.0, v38
	v_sub_f32_e32 v37, v36, v38
	v_add_f32_e32 v37, 1.0, v37
	v_sub_f32_e32 v36, v55, v36
	v_add_f32_e32 v39, v36, v37
	v_frexp_mant_f32_e32 v49, v38
	v_cvt_f64_f32_e32 v[36:37], v38
	v_frexp_exp_i32_f64_e32 v36, v[36:37]
	v_cmp_gt_f32_e32 vcc, s5, v49
	s_mov_b32 s5, 0x3f317218
	s_nop 0
	v_subbrev_co_u32_e32 v49, vcc, 0, v36, vcc
	v_sub_u32_e32 v36, 0, v49
	v_ldexp_f32 v37, v38, v36
	v_add_f32_e32 v38, -1.0, v37
	v_add_f32_e32 v50, 1.0, v37
	v_ldexp_f32 v36, v39, v36
	v_add_f32_e32 v39, 1.0, v38
	v_add_f32_e32 v51, -1.0, v50
	v_sub_f32_e32 v39, v37, v39
	v_sub_f32_e32 v37, v37, v51
	v_add_f32_e32 v39, v36, v39
	v_add_f32_e32 v36, v36, v37
	v_add_f32_e32 v64, v50, v36
	v_rcp_f32_e32 v135, v64
	v_sub_f32_e32 v37, v50, v64
	v_add_f32_e32 v67, v36, v37
	v_add_f32_e32 v37, v38, v39
	v_mul_f32_e32 v145, v37, v135
	v_sub_f32_e32 v36, v38, v37
	v_mul_f32_e32 v38, v64, v145
	v_fma_f32 v50, v145, v64, -v38
	v_fmac_f32_e32 v50, v145, v67
	v_add_f32_e32 v144, v39, v36
	v_add_f32_e32 v36, v38, v50
	v_sub_f32_e32 v39, v37, v36
	v_pk_add_f32 v[52:53], v[36:37], v[38:39] neg_lo:[0,1] neg_hi:[0,1]
	v_mov_b32_e32 v51, v36
	v_pk_add_f32 v[36:37], v[52:53], v[50:51] neg_lo:[0,1] neg_hi:[0,1]
	v_cmp_eq_f32_e32 vcc, s6, v55
	v_add_f32_e32 v37, v144, v37
	v_add_f32_e32 v36, v36, v37
	;; [unrolled: 1-line block ×3, first 2 shown]
	v_mul_f32_e32 v144, v135, v37
	v_mul_f32_e32 v38, v64, v144
	v_fma_f32 v50, v144, v64, -v38
	v_fmac_f32_e32 v50, v144, v67
	v_sub_f32_e32 v39, v39, v37
	v_add_f32_e32 v64, v36, v39
	v_add_f32_e32 v36, v38, v50
	v_sub_f32_e32 v39, v37, v36
	v_pk_add_f32 v[52:53], v[36:37], v[38:39] neg_lo:[0,1] neg_hi:[0,1]
	v_mov_b32_e32 v51, v36
	v_pk_add_f32 v[36:37], v[52:53], v[50:51] neg_lo:[0,1] neg_hi:[0,1]
	v_cvt_f32_i32_e32 v38, v49
	v_add_f32_e32 v37, v64, v37
	v_add_f32_e32 v36, v36, v37
	;; [unrolled: 1-line block ×4, first 2 shown]
	v_sub_f32_e32 v37, v39, v145
	v_mul_f32_e32 v36, v135, v36
	v_sub_f32_e32 v37, v144, v37
	v_add_f32_e32 v36, v37, v36
	v_add_f32_e32 v50, v39, v36
	v_mul_f32_e32 v52, v50, v50
	v_mov_b32_e32 v37, 0x3ecc95a3
	v_sub_f32_e32 v39, v50, v39
	v_fmac_f32_e32 v37, 0x3e9b6dac, v52
	v_sub_f32_e32 v36, v36, v39
	v_fmaak_f32 v37, v52, v37, 0x3f2aaada
	v_ldexp_f32 v49, v36, 1
	v_mul_f32_e32 v39, v50, v52
	v_mov_b32_e32 v36, 0x3f317218
	v_pk_mul_f32 v[36:37], v[38:39], v[36:37]
	v_ldexp_f32 v51, v50, 1
	v_fma_f32 v39, v38, s5, -v36
	v_fmamk_f32 v50, v38, 0xb102e308, v39
	v_pk_add_f32 v[38:39], v[36:37], v[50:51]
	v_mov_b32_e32 v52, v36
	v_sub_f32_e32 v51, v39, v51
	v_sub_f32_e32 v51, v37, v51
	v_add_f32_e32 v53, v49, v51
	v_pk_add_f32 v[36:37], v[38:39], v[36:37] neg_lo:[0,1] neg_hi:[0,1]
	v_pk_add_f32 v[144:145], v[38:39], v[52:53]
	v_mov_b32_e32 v51, v38
	v_mov_b32_e32 v37, v145
	v_pk_add_f32 v[146:147], v[50:51], v[36:37] neg_lo:[0,1] neg_hi:[0,1]
	v_pk_add_f32 v[36:37], v[50:51], v[36:37]
	v_mov_b32_e32 v52, v53
	v_mov_b32_e32 v50, v37
	v_pk_add_f32 v[148:149], v[50:51], v[38:39] neg_lo:[0,1] neg_hi:[0,1]
	v_mov_b32_e32 v36, v145
	v_mov_b32_e32 v49, v148
	v_pk_add_f32 v[150:151], v[144:145], v[48:49] neg_lo:[0,1] neg_hi:[0,1]
	v_mov_b32_e32 v144, v39
	v_mov_b32_e32 v145, v148
	;; [unrolled: 1-line block ×3, first 2 shown]
	v_pk_add_f32 v[36:37], v[36:37], v[144:145] neg_lo:[0,1] neg_hi:[0,1]
	v_mov_b32_e32 v53, v38
	v_pk_add_f32 v[36:37], v[52:53], v[36:37] neg_lo:[0,1] neg_hi:[0,1]
	v_mov_b32_e32 v150, v146
	v_pk_add_f32 v[38:39], v[150:151], v[36:37]
	s_mov_b32 s5, 0x33800000
	v_mov_b32_e32 v52, v39
	v_pk_add_f32 v[52:53], v[38:39], v[52:53]
	v_cmp_lt_f32_e64 s[6:7], |v55|, s5
	v_pk_add_f32 v[50:51], v[50:51], v[52:53]
	v_mov_b32_e32 v37, v52
	v_mov_b32_e32 v39, v50
	v_pk_add_f32 v[144:145], v[38:39], v[146:147] neg_lo:[0,1] neg_hi:[0,1]
	s_or_b64 vcc, vcc, s[6:7]
	v_sub_f32_e32 v38, v38, v144
	v_pk_add_f32 v[36:37], v[36:37], v[144:145] neg_lo:[0,1] neg_hi:[0,1]
	v_sub_f32_e32 v38, v146, v38
	v_add_f32_e32 v36, v36, v38
	v_add_f32_e32 v36, v36, v37
	;; [unrolled: 1-line block ×3, first 2 shown]
	v_cndmask_b32_e32 v36, v36, v55, vcc
	v_add_f32_e32 v37, v35, v36
.LBB499_228:
	s_or_b64 exec, exec, s[2:3]
	v_bfe_u32 v35, v37, 16, 1
	s_movk_i32 s5, 0x7fff
	v_add3_u32 v35, v37, v35, s5
	v_lshrrev_b32_e32 v35, 16, v35
	v_mov_b32_e32 v36, 0x7fc0
	v_cmp_o_f32_e32 vcc, v37, v37
	s_nop 1
	v_cndmask_b32_e32 v35, v36, v35, vcc
	v_lshlrev_b32_e32 v38, 16, v35
	v_max_f32_e32 v37, v38, v38
	v_min_f32_e32 v39, v37, v68
	v_cmp_u_f32_e32 vcc, v38, v38
	v_max_f32_e32 v37, v37, v68
	s_nop 0
	v_cndmask_b32_e32 v39, v39, v38, vcc
	v_cndmask_b32_e32 v37, v37, v38, vcc
	v_cndmask_b32_e64 v39, v39, v54, s[10:11]
	v_cndmask_b32_e64 v37, v37, v54, s[10:11]
	v_cmp_neq_f32_e32 vcc, v39, v37
	v_cmp_class_f32_e64 s[2:3], v39, s4
	s_or_b64 s[6:7], vcc, s[2:3]
	s_and_saveexec_b64 s[2:3], s[6:7]
	s_cbranch_execz .LBB499_230
; %bb.229:
	v_sub_f32_e32 v38, v39, v37
	s_mov_b32 s4, 0x3fb8aa3b
	v_mul_f32_e32 v39, 0x3fb8aa3b, v38
	v_fma_f32 v49, v38, s4, -v39
	v_rndne_f32_e32 v50, v39
	v_fmamk_f32 v49, v38, 0x32a5705f, v49
	v_sub_f32_e32 v39, v39, v50
	v_add_f32_e32 v39, v39, v49
	v_exp_f32_e32 v39, v39
	v_cvt_i32_f32_e32 v49, v50
	s_mov_b32 s4, 0xc2ce8ed0
	v_cmp_ngt_f32_e32 vcc, s4, v38
	s_mov_b32 s4, 0x42b17218
	v_ldexp_f32 v39, v39, v49
	v_cndmask_b32_e32 v39, 0, v39, vcc
	v_mov_b32_e32 v49, 0x7f800000
	v_cmp_nlt_f32_e32 vcc, s4, v38
	s_mov_b32 s4, 0x3f2aaaab
	s_mov_b32 s6, 0x7f800000
	v_cndmask_b32_e32 v64, v49, v39, vcc
	v_add_f32_e32 v49, 1.0, v64
	v_add_f32_e32 v38, -1.0, v49
	v_sub_f32_e32 v39, v38, v49
	v_add_f32_e32 v39, 1.0, v39
	v_sub_f32_e32 v38, v64, v38
	v_add_f32_e32 v50, v38, v39
	v_frexp_mant_f32_e32 v51, v49
	v_cvt_f64_f32_e32 v[38:39], v49
	v_frexp_exp_i32_f64_e32 v38, v[38:39]
	v_cmp_gt_f32_e32 vcc, s4, v51
	s_mov_b32 s4, 0x3f317218
	s_nop 0
	v_subbrev_co_u32_e32 v67, vcc, 0, v38, vcc
	v_sub_u32_e32 v38, 0, v67
	v_ldexp_f32 v39, v49, v38
	v_add_f32_e32 v49, -1.0, v39
	v_add_f32_e32 v51, 1.0, v39
	v_ldexp_f32 v38, v50, v38
	v_add_f32_e32 v50, 1.0, v49
	v_add_f32_e32 v52, -1.0, v51
	v_sub_f32_e32 v50, v39, v50
	v_sub_f32_e32 v39, v39, v52
	v_add_f32_e32 v50, v38, v50
	v_add_f32_e32 v38, v38, v39
	;; [unrolled: 1-line block ×3, first 2 shown]
	v_rcp_f32_e32 v144, v68
	v_sub_f32_e32 v39, v51, v68
	v_add_f32_e32 v135, v38, v39
	v_add_f32_e32 v39, v49, v50
	v_sub_f32_e32 v38, v49, v39
	v_mul_f32_e32 v145, v39, v144
	v_add_f32_e32 v49, v50, v38
	v_mul_f32_e32 v50, v68, v145
	v_fma_f32 v52, v145, v68, -v50
	v_fmac_f32_e32 v52, v145, v135
	v_add_f32_e32 v38, v50, v52
	v_sub_f32_e32 v51, v39, v38
	v_pk_add_f32 v[54:55], v[38:39], v[50:51] neg_lo:[0,1] neg_hi:[0,1]
	v_mov_b32_e32 v53, v38
	v_pk_add_f32 v[38:39], v[54:55], v[52:53] neg_lo:[0,1] neg_hi:[0,1]
	v_cmp_eq_f32_e32 vcc, s6, v64
	v_add_f32_e32 v39, v49, v39
	v_add_f32_e32 v38, v38, v39
	;; [unrolled: 1-line block ×3, first 2 shown]
	v_mul_f32_e32 v49, v144, v39
	v_mul_f32_e32 v50, v68, v49
	v_fma_f32 v52, v49, v68, -v50
	v_fmac_f32_e32 v52, v49, v135
	v_sub_f32_e32 v51, v51, v39
	v_add_f32_e32 v68, v38, v51
	v_add_f32_e32 v38, v50, v52
	v_sub_f32_e32 v51, v39, v38
	v_pk_add_f32 v[54:55], v[38:39], v[50:51] neg_lo:[0,1] neg_hi:[0,1]
	v_mov_b32_e32 v53, v38
	v_pk_add_f32 v[38:39], v[54:55], v[52:53] neg_lo:[0,1] neg_hi:[0,1]
	v_cvt_f32_i32_e32 v50, v67
	v_add_f32_e32 v39, v68, v39
	v_add_f32_e32 v38, v38, v39
	;; [unrolled: 1-line block ×4, first 2 shown]
	v_sub_f32_e32 v39, v51, v145
	v_mul_f32_e32 v38, v144, v38
	v_sub_f32_e32 v39, v49, v39
	v_add_f32_e32 v38, v39, v38
	v_add_f32_e32 v49, v51, v38
	v_mul_f32_e32 v52, v49, v49
	v_mov_b32_e32 v39, 0x3ecc95a3
	v_sub_f32_e32 v51, v49, v51
	v_fmac_f32_e32 v39, 0x3e9b6dac, v52
	v_sub_f32_e32 v38, v38, v51
	v_fmaak_f32 v39, v52, v39, 0x3f2aaada
	v_ldexp_f32 v54, v38, 1
	v_mul_f32_e32 v51, v49, v52
	v_mov_b32_e32 v38, 0x3f317218
	v_pk_mul_f32 v[38:39], v[50:51], v[38:39]
	v_ldexp_f32 v53, v49, 1
	v_fma_f32 v49, v50, s4, -v38
	v_fmamk_f32 v52, v50, 0xb102e308, v49
	v_pk_add_f32 v[50:51], v[38:39], v[52:53]
	s_mov_b32 s4, 0x33800000
	v_sub_f32_e32 v49, v51, v53
	v_sub_f32_e32 v49, v39, v49
	v_add_f32_e32 v55, v54, v49
	v_mov_b32_e32 v54, v38
	v_pk_add_f32 v[38:39], v[50:51], v[38:39] neg_lo:[0,1] neg_hi:[0,1]
	v_pk_add_f32 v[144:145], v[50:51], v[54:55]
	v_mov_b32_e32 v53, v50
	v_mov_b32_e32 v39, v145
	v_pk_add_f32 v[146:147], v[52:53], v[38:39] neg_lo:[0,1] neg_hi:[0,1]
	v_pk_add_f32 v[38:39], v[52:53], v[38:39]
	v_mov_b32_e32 v54, v55
	v_mov_b32_e32 v52, v39
	v_pk_add_f32 v[148:149], v[52:53], v[50:51] neg_lo:[0,1] neg_hi:[0,1]
	v_mov_b32_e32 v38, v145
	v_mov_b32_e32 v49, v148
	v_pk_add_f32 v[150:151], v[144:145], v[48:49] neg_lo:[0,1] neg_hi:[0,1]
	v_mov_b32_e32 v144, v51
	v_mov_b32_e32 v145, v148
	;; [unrolled: 1-line block ×3, first 2 shown]
	v_pk_add_f32 v[38:39], v[38:39], v[144:145] neg_lo:[0,1] neg_hi:[0,1]
	v_mov_b32_e32 v55, v50
	v_pk_add_f32 v[38:39], v[54:55], v[38:39] neg_lo:[0,1] neg_hi:[0,1]
	v_mov_b32_e32 v150, v146
	v_pk_add_f32 v[50:51], v[150:151], v[38:39]
	v_cmp_lt_f32_e64 s[6:7], |v64|, s4
	v_mov_b32_e32 v54, v51
	v_pk_add_f32 v[54:55], v[50:51], v[54:55]
	s_or_b64 vcc, vcc, s[6:7]
	v_pk_add_f32 v[52:53], v[52:53], v[54:55]
	v_mov_b32_e32 v39, v54
	v_mov_b32_e32 v51, v52
	v_pk_add_f32 v[144:145], v[50:51], v[146:147] neg_lo:[0,1] neg_hi:[0,1]
	s_nop 0
	v_sub_f32_e32 v49, v50, v144
	v_pk_add_f32 v[38:39], v[38:39], v[144:145] neg_lo:[0,1] neg_hi:[0,1]
	v_sub_f32_e32 v49, v146, v49
	v_add_f32_e32 v38, v38, v49
	v_add_f32_e32 v38, v38, v39
	;; [unrolled: 1-line block ×3, first 2 shown]
	v_cndmask_b32_e32 v38, v38, v64, vcc
	v_add_f32_e32 v38, v37, v38
.LBB499_230:
	s_or_b64 exec, exec, s[2:3]
	v_bfe_u32 v37, v38, 16, 1
	v_add3_u32 v37, v38, v37, s5
	v_lshrrev_b32_e32 v37, 16, v37
	v_cmp_o_f32_e32 vcc, v38, v38
	s_movk_i32 s4, 0x1f8
	s_nop 0
	v_cndmask_b32_e32 v36, v36, v37, vcc
	v_lshlrev_b32_e32 v39, 16, v36
	v_max_f32_e32 v37, v39, v39
	v_min_f32_e32 v38, v37, v71
	v_cmp_u_f32_e32 vcc, v39, v39
	v_max_f32_e32 v37, v37, v71
	s_nop 0
	v_cndmask_b32_e32 v38, v38, v39, vcc
	v_cndmask_b32_e32 v37, v37, v39, vcc
	v_cndmask_b32_e64 v38, v38, v65, s[54:55]
	v_cndmask_b32_e64 v37, v37, v65, s[54:55]
	v_cmp_neq_f32_e32 vcc, v38, v37
	v_cmp_class_f32_e64 s[2:3], v38, s4
	s_or_b64 s[6:7], vcc, s[2:3]
	s_and_saveexec_b64 s[2:3], s[6:7]
	s_cbranch_execz .LBB499_232
; %bb.231:
	v_sub_f32_e32 v38, v38, v37
	s_mov_b32 s5, 0x3fb8aa3b
	v_mul_f32_e32 v39, 0x3fb8aa3b, v38
	v_fma_f32 v49, v38, s5, -v39
	v_rndne_f32_e32 v50, v39
	v_fmamk_f32 v49, v38, 0x32a5705f, v49
	v_sub_f32_e32 v39, v39, v50
	v_add_f32_e32 v39, v39, v49
	v_exp_f32_e32 v39, v39
	v_cvt_i32_f32_e32 v49, v50
	s_mov_b32 s5, 0xc2ce8ed0
	v_cmp_ngt_f32_e32 vcc, s5, v38
	s_mov_b32 s5, 0x42b17218
	v_ldexp_f32 v39, v39, v49
	v_cndmask_b32_e32 v39, 0, v39, vcc
	v_mov_b32_e32 v49, 0x7f800000
	v_cmp_nlt_f32_e32 vcc, s5, v38
	s_mov_b32 s5, 0x3f2aaaab
	s_mov_b32 s6, 0x7f800000
	v_cndmask_b32_e32 v67, v49, v39, vcc
	v_add_f32_e32 v49, 1.0, v67
	v_add_f32_e32 v38, -1.0, v49
	v_sub_f32_e32 v39, v38, v49
	v_add_f32_e32 v39, 1.0, v39
	v_sub_f32_e32 v38, v67, v38
	v_add_f32_e32 v50, v38, v39
	v_frexp_mant_f32_e32 v51, v49
	v_cvt_f64_f32_e32 v[38:39], v49
	v_frexp_exp_i32_f64_e32 v38, v[38:39]
	v_cmp_gt_f32_e32 vcc, s5, v51
	s_mov_b32 s5, 0x3f317218
	s_nop 0
	v_subbrev_co_u32_e32 v64, vcc, 0, v38, vcc
	v_sub_u32_e32 v38, 0, v64
	v_ldexp_f32 v39, v49, v38
	v_add_f32_e32 v49, -1.0, v39
	v_add_f32_e32 v51, 1.0, v39
	v_ldexp_f32 v38, v50, v38
	v_add_f32_e32 v50, 1.0, v49
	v_add_f32_e32 v52, -1.0, v51
	v_sub_f32_e32 v50, v39, v50
	v_sub_f32_e32 v39, v39, v52
	v_add_f32_e32 v50, v38, v50
	v_add_f32_e32 v38, v38, v39
	;; [unrolled: 1-line block ×3, first 2 shown]
	v_rcp_f32_e32 v71, v65
	v_sub_f32_e32 v39, v51, v65
	v_add_f32_e32 v68, v38, v39
	v_add_f32_e32 v39, v49, v50
	v_sub_f32_e32 v38, v49, v39
	v_mul_f32_e32 v135, v39, v71
	v_add_f32_e32 v49, v50, v38
	v_mul_f32_e32 v50, v65, v135
	v_fma_f32 v52, v135, v65, -v50
	v_fmac_f32_e32 v52, v135, v68
	v_add_f32_e32 v38, v50, v52
	v_sub_f32_e32 v51, v39, v38
	v_pk_add_f32 v[54:55], v[38:39], v[50:51] neg_lo:[0,1] neg_hi:[0,1]
	v_mov_b32_e32 v53, v38
	v_pk_add_f32 v[38:39], v[54:55], v[52:53] neg_lo:[0,1] neg_hi:[0,1]
	v_cmp_eq_f32_e32 vcc, s6, v67
	v_add_f32_e32 v39, v49, v39
	v_add_f32_e32 v38, v38, v39
	;; [unrolled: 1-line block ×3, first 2 shown]
	v_mul_f32_e32 v49, v71, v39
	v_mul_f32_e32 v50, v65, v49
	v_fma_f32 v52, v49, v65, -v50
	v_fmac_f32_e32 v52, v49, v68
	v_sub_f32_e32 v51, v51, v39
	v_add_f32_e32 v65, v38, v51
	v_add_f32_e32 v38, v50, v52
	v_sub_f32_e32 v51, v39, v38
	v_pk_add_f32 v[54:55], v[38:39], v[50:51] neg_lo:[0,1] neg_hi:[0,1]
	v_mov_b32_e32 v53, v38
	v_pk_add_f32 v[38:39], v[54:55], v[52:53] neg_lo:[0,1] neg_hi:[0,1]
	v_cvt_f32_i32_e32 v50, v64
	v_add_f32_e32 v39, v65, v39
	v_add_f32_e32 v38, v38, v39
	;; [unrolled: 1-line block ×4, first 2 shown]
	v_sub_f32_e32 v39, v51, v135
	v_mul_f32_e32 v38, v71, v38
	v_sub_f32_e32 v39, v49, v39
	v_add_f32_e32 v38, v39, v38
	v_add_f32_e32 v49, v51, v38
	v_mul_f32_e32 v52, v49, v49
	v_mov_b32_e32 v39, 0x3ecc95a3
	v_sub_f32_e32 v51, v49, v51
	v_fmac_f32_e32 v39, 0x3e9b6dac, v52
	v_sub_f32_e32 v38, v38, v51
	v_fmaak_f32 v39, v52, v39, 0x3f2aaada
	v_ldexp_f32 v54, v38, 1
	v_mul_f32_e32 v51, v49, v52
	v_mov_b32_e32 v38, 0x3f317218
	v_pk_mul_f32 v[38:39], v[50:51], v[38:39]
	v_ldexp_f32 v53, v49, 1
	v_fma_f32 v49, v50, s5, -v38
	v_fmamk_f32 v52, v50, 0xb102e308, v49
	v_pk_add_f32 v[50:51], v[38:39], v[52:53]
	s_mov_b32 s5, 0x33800000
	v_sub_f32_e32 v49, v51, v53
	v_sub_f32_e32 v49, v39, v49
	v_add_f32_e32 v55, v54, v49
	v_mov_b32_e32 v54, v38
	v_pk_add_f32 v[38:39], v[50:51], v[38:39] neg_lo:[0,1] neg_hi:[0,1]
	v_pk_add_f32 v[64:65], v[50:51], v[54:55]
	v_mov_b32_e32 v53, v50
	v_mov_b32_e32 v39, v65
	v_pk_add_f32 v[144:145], v[52:53], v[38:39] neg_lo:[0,1] neg_hi:[0,1]
	v_pk_add_f32 v[38:39], v[52:53], v[38:39]
	v_mov_b32_e32 v54, v55
	v_mov_b32_e32 v52, v39
	v_pk_add_f32 v[146:147], v[52:53], v[50:51] neg_lo:[0,1] neg_hi:[0,1]
	v_mov_b32_e32 v38, v65
	v_mov_b32_e32 v49, v146
	v_pk_add_f32 v[148:149], v[64:65], v[48:49] neg_lo:[0,1] neg_hi:[0,1]
	v_mov_b32_e32 v64, v51
	v_mov_b32_e32 v65, v146
	;; [unrolled: 1-line block ×3, first 2 shown]
	v_pk_add_f32 v[38:39], v[38:39], v[64:65] neg_lo:[0,1] neg_hi:[0,1]
	v_mov_b32_e32 v55, v50
	v_pk_add_f32 v[38:39], v[54:55], v[38:39] neg_lo:[0,1] neg_hi:[0,1]
	v_mov_b32_e32 v148, v144
	v_pk_add_f32 v[50:51], v[148:149], v[38:39]
	v_cmp_lt_f32_e64 s[6:7], |v67|, s5
	v_mov_b32_e32 v54, v51
	v_pk_add_f32 v[54:55], v[50:51], v[54:55]
	s_or_b64 vcc, vcc, s[6:7]
	v_pk_add_f32 v[52:53], v[52:53], v[54:55]
	v_mov_b32_e32 v39, v54
	v_mov_b32_e32 v51, v52
	v_pk_add_f32 v[64:65], v[50:51], v[144:145] neg_lo:[0,1] neg_hi:[0,1]
	s_nop 0
	v_sub_f32_e32 v49, v50, v64
	v_pk_add_f32 v[38:39], v[38:39], v[64:65] neg_lo:[0,1] neg_hi:[0,1]
	v_sub_f32_e32 v49, v144, v49
	v_add_f32_e32 v38, v38, v49
	v_add_f32_e32 v38, v38, v39
	;; [unrolled: 1-line block ×3, first 2 shown]
	v_cndmask_b32_e32 v38, v38, v67, vcc
	v_add_f32_e32 v39, v37, v38
.LBB499_232:
	s_or_b64 exec, exec, s[2:3]
	v_bfe_u32 v37, v39, 16, 1
	s_movk_i32 s5, 0x7fff
	v_add3_u32 v37, v39, v37, s5
	v_lshrrev_b32_e32 v37, 16, v37
	v_mov_b32_e32 v38, 0x7fc0
	v_cmp_o_f32_e32 vcc, v39, v39
	s_nop 1
	v_cndmask_b32_e32 v37, v38, v37, vcc
	v_lshlrev_b32_e32 v49, 16, v37
	v_max_f32_e32 v39, v49, v49
	v_min_f32_e32 v50, v39, v80
	v_cmp_u_f32_e32 vcc, v49, v49
	v_max_f32_e32 v39, v39, v80
	s_nop 0
	v_cndmask_b32_e32 v50, v50, v49, vcc
	v_cndmask_b32_e32 v39, v39, v49, vcc
	v_cndmask_b32_e64 v50, v50, v66, s[14:15]
	v_cndmask_b32_e64 v39, v39, v66, s[14:15]
	v_cmp_neq_f32_e32 vcc, v50, v39
	v_cmp_class_f32_e64 s[2:3], v50, s4
	s_or_b64 s[6:7], vcc, s[2:3]
	s_and_saveexec_b64 s[2:3], s[6:7]
	s_cbranch_execz .LBB499_234
; %bb.233:
	v_sub_f32_e32 v49, v50, v39
	s_mov_b32 s4, 0x3fb8aa3b
	v_mul_f32_e32 v50, 0x3fb8aa3b, v49
	v_fma_f32 v51, v49, s4, -v50
	v_rndne_f32_e32 v52, v50
	v_fmamk_f32 v51, v49, 0x32a5705f, v51
	v_sub_f32_e32 v50, v50, v52
	v_add_f32_e32 v50, v50, v51
	v_exp_f32_e32 v50, v50
	v_cvt_i32_f32_e32 v51, v52
	s_mov_b32 s4, 0xc2ce8ed0
	v_cmp_ngt_f32_e32 vcc, s4, v49
	s_mov_b32 s4, 0x42b17218
	v_ldexp_f32 v50, v50, v51
	v_cndmask_b32_e32 v50, 0, v50, vcc
	v_mov_b32_e32 v51, 0x7f800000
	v_cmp_nlt_f32_e32 vcc, s4, v49
	s_mov_b32 s4, 0x3f2aaaab
	s_mov_b32 s6, 0x7f800000
	v_cndmask_b32_e32 v68, v51, v50, vcc
	v_add_f32_e32 v49, 1.0, v68
	v_add_f32_e32 v50, -1.0, v49
	v_sub_f32_e32 v51, v50, v49
	v_add_f32_e32 v51, 1.0, v51
	v_sub_f32_e32 v50, v68, v50
	v_add_f32_e32 v52, v50, v51
	v_frexp_mant_f32_e32 v53, v49
	v_cvt_f64_f32_e32 v[50:51], v49
	v_frexp_exp_i32_f64_e32 v50, v[50:51]
	v_cmp_gt_f32_e32 vcc, s4, v53
	s_mov_b32 s4, 0x3f317218
	s_nop 0
	v_subbrev_co_u32_e32 v66, vcc, 0, v50, vcc
	v_sub_u32_e32 v50, 0, v66
	v_ldexp_f32 v49, v49, v50
	v_ldexp_f32 v50, v52, v50
	v_add_f32_e32 v52, -1.0, v49
	v_add_f32_e32 v51, 1.0, v52
	v_sub_f32_e32 v51, v49, v51
	v_add_f32_e32 v53, v50, v51
	v_add_f32_e32 v51, 1.0, v49
	v_add_f32_e32 v54, -1.0, v51
	v_sub_f32_e32 v49, v49, v54
	v_add_f32_e32 v49, v50, v49
	v_add_f32_e32 v67, v51, v49
	v_rcp_f32_e32 v71, v67
	v_sub_f32_e32 v50, v51, v67
	v_add_f32_e32 v51, v52, v53
	v_add_f32_e32 v49, v49, v50
	v_mul_f32_e32 v135, v51, v71
	v_sub_f32_e32 v50, v52, v51
	v_mul_f32_e32 v52, v67, v135
	v_fma_f32 v54, v135, v67, -v52
	v_fmac_f32_e32 v54, v135, v49
	v_add_f32_e32 v80, v53, v50
	v_add_f32_e32 v50, v52, v54
	v_sub_f32_e32 v53, v51, v50
	v_pk_add_f32 v[64:65], v[50:51], v[52:53] neg_lo:[0,1] neg_hi:[0,1]
	v_mov_b32_e32 v55, v50
	v_pk_add_f32 v[50:51], v[64:65], v[54:55] neg_lo:[0,1] neg_hi:[0,1]
	v_cmp_eq_f32_e32 vcc, s6, v68
	v_add_f32_e32 v51, v80, v51
	v_add_f32_e32 v50, v50, v51
	v_add_f32_e32 v51, v53, v50
	v_mul_f32_e32 v80, v71, v51
	v_mul_f32_e32 v52, v67, v80
	v_fma_f32 v54, v80, v67, -v52
	v_fmac_f32_e32 v54, v80, v49
	v_sub_f32_e32 v49, v53, v51
	v_add_f32_e32 v49, v50, v49
	v_add_f32_e32 v50, v52, v54
	v_sub_f32_e32 v53, v51, v50
	v_pk_add_f32 v[64:65], v[50:51], v[52:53] neg_lo:[0,1] neg_hi:[0,1]
	v_mov_b32_e32 v55, v50
	v_pk_add_f32 v[50:51], v[64:65], v[54:55] neg_lo:[0,1] neg_hi:[0,1]
	v_cvt_f32_i32_e32 v52, v66
	v_add_f32_e32 v49, v49, v51
	v_add_f32_e32 v49, v50, v49
	;; [unrolled: 1-line block ×4, first 2 shown]
	v_sub_f32_e32 v51, v50, v135
	v_mul_f32_e32 v49, v71, v49
	v_sub_f32_e32 v51, v80, v51
	v_add_f32_e32 v49, v51, v49
	v_add_f32_e32 v53, v50, v49
	v_mul_f32_e32 v54, v53, v53
	v_mov_b32_e32 v51, 0x3ecc95a3
	v_fmac_f32_e32 v51, 0x3e9b6dac, v54
	v_sub_f32_e32 v50, v53, v50
	v_fmaak_f32 v51, v54, v51, 0x3f2aaada
	v_sub_f32_e32 v49, v49, v50
	v_ldexp_f32 v55, v53, 1
	v_mul_f32_e32 v53, v53, v54
	v_mov_b32_e32 v50, 0x3f317218
	v_pk_mul_f32 v[50:51], v[52:53], v[50:51]
	v_ldexp_f32 v49, v49, 1
	v_fma_f32 v53, v52, s4, -v50
	v_fmamk_f32 v54, v52, 0xb102e308, v53
	v_pk_add_f32 v[52:53], v[50:51], v[54:55]
	v_mov_b32_e32 v64, v50
	v_sub_f32_e32 v55, v53, v55
	v_sub_f32_e32 v55, v51, v55
	v_add_f32_e32 v65, v49, v55
	v_pk_add_f32 v[50:51], v[52:53], v[50:51] neg_lo:[0,1] neg_hi:[0,1]
	v_pk_add_f32 v[66:67], v[52:53], v[64:65]
	v_mov_b32_e32 v55, v52
	v_mov_b32_e32 v51, v67
	v_pk_add_f32 v[144:145], v[54:55], v[50:51] neg_lo:[0,1] neg_hi:[0,1]
	v_pk_add_f32 v[50:51], v[54:55], v[50:51]
	v_mov_b32_e32 v64, v65
	v_mov_b32_e32 v54, v51
	v_pk_add_f32 v[146:147], v[54:55], v[52:53] neg_lo:[0,1] neg_hi:[0,1]
	v_mov_b32_e32 v50, v67
	v_mov_b32_e32 v49, v146
	v_pk_add_f32 v[148:149], v[66:67], v[48:49] neg_lo:[0,1] neg_hi:[0,1]
	v_mov_b32_e32 v66, v53
	v_mov_b32_e32 v67, v146
	;; [unrolled: 1-line block ×3, first 2 shown]
	v_pk_add_f32 v[50:51], v[50:51], v[66:67] neg_lo:[0,1] neg_hi:[0,1]
	v_mov_b32_e32 v65, v52
	v_pk_add_f32 v[50:51], v[64:65], v[50:51] neg_lo:[0,1] neg_hi:[0,1]
	v_mov_b32_e32 v148, v144
	v_pk_add_f32 v[52:53], v[148:149], v[50:51]
	s_mov_b32 s4, 0x33800000
	v_mov_b32_e32 v64, v53
	v_pk_add_f32 v[64:65], v[52:53], v[64:65]
	v_cmp_lt_f32_e64 s[6:7], |v68|, s4
	v_pk_add_f32 v[54:55], v[54:55], v[64:65]
	v_mov_b32_e32 v51, v64
	v_mov_b32_e32 v53, v54
	v_pk_add_f32 v[66:67], v[52:53], v[144:145] neg_lo:[0,1] neg_hi:[0,1]
	s_or_b64 vcc, vcc, s[6:7]
	v_sub_f32_e32 v49, v52, v66
	v_pk_add_f32 v[50:51], v[50:51], v[66:67] neg_lo:[0,1] neg_hi:[0,1]
	v_sub_f32_e32 v49, v144, v49
	v_add_f32_e32 v49, v50, v49
	v_add_f32_e32 v49, v49, v51
	;; [unrolled: 1-line block ×3, first 2 shown]
	v_cndmask_b32_e32 v49, v49, v68, vcc
	v_add_f32_e32 v49, v39, v49
.LBB499_234:
	s_or_b64 exec, exec, s[2:3]
	v_bfe_u32 v39, v49, 16, 1
	v_add3_u32 v39, v49, v39, s5
	v_lshrrev_b32_e32 v39, 16, v39
	v_cmp_o_f32_e32 vcc, v49, v49
	s_movk_i32 s4, 0x1f8
	s_nop 0
	v_cndmask_b32_e32 v39, v38, v39, vcc
	v_lshlrev_b32_e32 v50, 16, v39
	v_max_f32_e32 v38, v50, v50
	v_min_f32_e32 v49, v38, v83
	v_cmp_u_f32_e32 vcc, v50, v50
	v_max_f32_e32 v38, v38, v83
	s_nop 0
	v_cndmask_b32_e32 v49, v49, v50, vcc
	v_cndmask_b32_e32 v38, v38, v50, vcc
	v_cndmask_b32_e64 v49, v49, v69, s[16:17]
	v_cndmask_b32_e64 v38, v38, v69, s[16:17]
	v_cmp_neq_f32_e32 vcc, v49, v38
	v_cmp_class_f32_e64 s[2:3], v49, s4
	s_or_b64 s[6:7], vcc, s[2:3]
	s_and_saveexec_b64 s[2:3], s[6:7]
	s_cbranch_execz .LBB499_236
; %bb.235:
	v_sub_f32_e32 v49, v49, v38
	s_mov_b32 s5, 0x3fb8aa3b
	v_mul_f32_e32 v50, 0x3fb8aa3b, v49
	v_fma_f32 v51, v49, s5, -v50
	v_rndne_f32_e32 v52, v50
	v_fmamk_f32 v51, v49, 0x32a5705f, v51
	v_sub_f32_e32 v50, v50, v52
	v_add_f32_e32 v50, v50, v51
	v_exp_f32_e32 v50, v50
	v_cvt_i32_f32_e32 v51, v52
	s_mov_b32 s5, 0xc2ce8ed0
	v_cmp_ngt_f32_e32 vcc, s5, v49
	s_mov_b32 s5, 0x42b17218
	v_ldexp_f32 v50, v50, v51
	v_cndmask_b32_e32 v50, 0, v50, vcc
	v_mov_b32_e32 v51, 0x7f800000
	v_cmp_nlt_f32_e32 vcc, s5, v49
	s_mov_b32 s5, 0x3f2aaaab
	s_mov_b32 s6, 0x7f800000
	v_cndmask_b32_e32 v71, v51, v50, vcc
	v_add_f32_e32 v49, 1.0, v71
	v_add_f32_e32 v50, -1.0, v49
	v_sub_f32_e32 v51, v50, v49
	v_add_f32_e32 v51, 1.0, v51
	v_sub_f32_e32 v50, v71, v50
	v_add_f32_e32 v52, v50, v51
	v_frexp_mant_f32_e32 v53, v49
	v_cvt_f64_f32_e32 v[50:51], v49
	v_frexp_exp_i32_f64_e32 v50, v[50:51]
	v_cmp_gt_f32_e32 vcc, s5, v53
	s_mov_b32 s5, 0x3f317218
	s_nop 0
	v_subbrev_co_u32_e32 v66, vcc, 0, v50, vcc
	v_sub_u32_e32 v50, 0, v66
	v_ldexp_f32 v49, v49, v50
	v_ldexp_f32 v50, v52, v50
	v_add_f32_e32 v52, -1.0, v49
	v_add_f32_e32 v51, 1.0, v52
	v_sub_f32_e32 v51, v49, v51
	v_add_f32_e32 v53, v50, v51
	v_add_f32_e32 v51, 1.0, v49
	v_add_f32_e32 v54, -1.0, v51
	v_sub_f32_e32 v49, v49, v54
	v_add_f32_e32 v49, v50, v49
	v_add_f32_e32 v67, v51, v49
	v_rcp_f32_e32 v68, v67
	v_sub_f32_e32 v50, v51, v67
	v_add_f32_e32 v51, v52, v53
	v_add_f32_e32 v49, v49, v50
	v_mul_f32_e32 v80, v51, v68
	v_sub_f32_e32 v50, v52, v51
	v_mul_f32_e32 v52, v67, v80
	v_fma_f32 v54, v80, v67, -v52
	v_fmac_f32_e32 v54, v80, v49
	v_add_f32_e32 v69, v53, v50
	v_add_f32_e32 v50, v52, v54
	v_sub_f32_e32 v53, v51, v50
	v_pk_add_f32 v[64:65], v[50:51], v[52:53] neg_lo:[0,1] neg_hi:[0,1]
	v_mov_b32_e32 v55, v50
	v_pk_add_f32 v[50:51], v[64:65], v[54:55] neg_lo:[0,1] neg_hi:[0,1]
	v_cmp_eq_f32_e32 vcc, s6, v71
	v_add_f32_e32 v51, v69, v51
	v_add_f32_e32 v50, v50, v51
	;; [unrolled: 1-line block ×3, first 2 shown]
	v_mul_f32_e32 v69, v68, v51
	v_mul_f32_e32 v52, v67, v69
	v_fma_f32 v54, v69, v67, -v52
	v_fmac_f32_e32 v54, v69, v49
	v_sub_f32_e32 v49, v53, v51
	v_add_f32_e32 v49, v50, v49
	v_add_f32_e32 v50, v52, v54
	v_sub_f32_e32 v53, v51, v50
	v_pk_add_f32 v[64:65], v[50:51], v[52:53] neg_lo:[0,1] neg_hi:[0,1]
	v_mov_b32_e32 v55, v50
	v_pk_add_f32 v[50:51], v[64:65], v[54:55] neg_lo:[0,1] neg_hi:[0,1]
	v_cvt_f32_i32_e32 v52, v66
	v_add_f32_e32 v49, v49, v51
	v_add_f32_e32 v49, v50, v49
	;; [unrolled: 1-line block ×4, first 2 shown]
	v_sub_f32_e32 v51, v50, v80
	v_mul_f32_e32 v49, v68, v49
	v_sub_f32_e32 v51, v69, v51
	v_add_f32_e32 v49, v51, v49
	v_add_f32_e32 v53, v50, v49
	v_mul_f32_e32 v54, v53, v53
	v_mov_b32_e32 v51, 0x3ecc95a3
	v_fmac_f32_e32 v51, 0x3e9b6dac, v54
	v_sub_f32_e32 v50, v53, v50
	v_fmaak_f32 v51, v54, v51, 0x3f2aaada
	v_sub_f32_e32 v49, v49, v50
	v_ldexp_f32 v55, v53, 1
	v_mul_f32_e32 v53, v53, v54
	v_mov_b32_e32 v50, 0x3f317218
	v_pk_mul_f32 v[50:51], v[52:53], v[50:51]
	v_ldexp_f32 v49, v49, 1
	v_fma_f32 v53, v52, s5, -v50
	v_fmamk_f32 v54, v52, 0xb102e308, v53
	v_pk_add_f32 v[52:53], v[50:51], v[54:55]
	v_mov_b32_e32 v64, v50
	v_sub_f32_e32 v55, v53, v55
	v_sub_f32_e32 v55, v51, v55
	v_add_f32_e32 v65, v49, v55
	v_pk_add_f32 v[50:51], v[52:53], v[50:51] neg_lo:[0,1] neg_hi:[0,1]
	v_pk_add_f32 v[66:67], v[52:53], v[64:65]
	v_mov_b32_e32 v55, v52
	v_mov_b32_e32 v51, v67
	v_pk_add_f32 v[68:69], v[54:55], v[50:51] neg_lo:[0,1] neg_hi:[0,1]
	v_pk_add_f32 v[50:51], v[54:55], v[50:51]
	v_mov_b32_e32 v64, v65
	v_mov_b32_e32 v54, v51
	v_pk_add_f32 v[144:145], v[54:55], v[52:53] neg_lo:[0,1] neg_hi:[0,1]
	v_mov_b32_e32 v50, v67
	v_mov_b32_e32 v49, v144
	v_pk_add_f32 v[146:147], v[66:67], v[48:49] neg_lo:[0,1] neg_hi:[0,1]
	v_mov_b32_e32 v66, v53
	v_mov_b32_e32 v67, v144
	;; [unrolled: 1-line block ×3, first 2 shown]
	v_pk_add_f32 v[50:51], v[50:51], v[66:67] neg_lo:[0,1] neg_hi:[0,1]
	v_mov_b32_e32 v65, v52
	v_pk_add_f32 v[50:51], v[64:65], v[50:51] neg_lo:[0,1] neg_hi:[0,1]
	v_mov_b32_e32 v146, v68
	v_pk_add_f32 v[52:53], v[146:147], v[50:51]
	s_mov_b32 s5, 0x33800000
	v_mov_b32_e32 v64, v53
	v_pk_add_f32 v[64:65], v[52:53], v[64:65]
	v_cmp_lt_f32_e64 s[6:7], |v71|, s5
	v_pk_add_f32 v[54:55], v[54:55], v[64:65]
	v_mov_b32_e32 v51, v64
	v_mov_b32_e32 v53, v54
	v_pk_add_f32 v[66:67], v[52:53], v[68:69] neg_lo:[0,1] neg_hi:[0,1]
	s_or_b64 vcc, vcc, s[6:7]
	v_sub_f32_e32 v49, v52, v66
	v_pk_add_f32 v[50:51], v[50:51], v[66:67] neg_lo:[0,1] neg_hi:[0,1]
	v_sub_f32_e32 v49, v68, v49
	v_add_f32_e32 v49, v50, v49
	v_add_f32_e32 v49, v49, v51
	;; [unrolled: 1-line block ×3, first 2 shown]
	v_cndmask_b32_e32 v49, v49, v71, vcc
	v_add_f32_e32 v50, v38, v49
.LBB499_236:
	s_or_b64 exec, exec, s[2:3]
	v_bfe_u32 v38, v50, 16, 1
	s_movk_i32 s5, 0x7fff
	v_add3_u32 v38, v50, v38, s5
	v_lshrrev_b32_e32 v38, 16, v38
	v_mov_b32_e32 v49, 0x7fc0
	v_cmp_o_f32_e32 vcc, v50, v50
	s_nop 1
	v_cndmask_b32_e32 v38, v49, v38, vcc
	v_lshlrev_b32_e32 v51, 16, v38
	v_max_f32_e32 v50, v51, v51
	v_min_f32_e32 v52, v50, v84
	v_cmp_u_f32_e32 vcc, v51, v51
	v_max_f32_e32 v50, v50, v84
	s_nop 0
	v_cndmask_b32_e32 v52, v52, v51, vcc
	v_cndmask_b32_e32 v50, v50, v51, vcc
	v_cndmask_b32_e64 v52, v52, v70, s[18:19]
	v_cndmask_b32_e64 v50, v50, v70, s[18:19]
	v_cmp_neq_f32_e32 vcc, v52, v50
	v_cmp_class_f32_e64 s[2:3], v52, s4
	s_or_b64 s[6:7], vcc, s[2:3]
	s_and_saveexec_b64 s[2:3], s[6:7]
	s_cbranch_execz .LBB499_238
; %bb.237:
	v_sub_f32_e32 v51, v52, v50
	s_mov_b32 s4, 0x3fb8aa3b
	v_mul_f32_e32 v52, 0x3fb8aa3b, v51
	v_fma_f32 v53, v51, s4, -v52
	v_rndne_f32_e32 v54, v52
	v_fmamk_f32 v53, v51, 0x32a5705f, v53
	v_sub_f32_e32 v52, v52, v54
	v_add_f32_e32 v52, v52, v53
	v_exp_f32_e32 v52, v52
	v_cvt_i32_f32_e32 v53, v54
	s_mov_b32 s4, 0xc2ce8ed0
	v_cmp_ngt_f32_e32 vcc, s4, v51
	s_mov_b32 s4, 0x42b17218
	v_ldexp_f32 v52, v52, v53
	v_cndmask_b32_e32 v52, 0, v52, vcc
	v_mov_b32_e32 v53, 0x7f800000
	v_cmp_nlt_f32_e32 vcc, s4, v51
	s_mov_b32 s4, 0x3f2aaaab
	s_mov_b32 s6, 0x7f800000
	v_cndmask_b32_e32 v80, v53, v52, vcc
	v_add_f32_e32 v51, 1.0, v80
	v_add_f32_e32 v52, -1.0, v51
	v_sub_f32_e32 v53, v52, v51
	v_add_f32_e32 v53, 1.0, v53
	v_sub_f32_e32 v52, v80, v52
	v_add_f32_e32 v54, v52, v53
	v_frexp_mant_f32_e32 v55, v51
	v_cvt_f64_f32_e32 v[52:53], v51
	v_frexp_exp_i32_f64_e32 v52, v[52:53]
	v_cmp_gt_f32_e32 vcc, s4, v55
	s_mov_b32 s4, 0x3f317218
	s_nop 0
	v_subbrev_co_u32_e32 v68, vcc, 0, v52, vcc
	v_sub_u32_e32 v52, 0, v68
	v_ldexp_f32 v51, v51, v52
	v_ldexp_f32 v52, v54, v52
	v_add_f32_e32 v54, -1.0, v51
	v_add_f32_e32 v53, 1.0, v54
	v_sub_f32_e32 v53, v51, v53
	v_add_f32_e32 v55, v52, v53
	v_add_f32_e32 v53, 1.0, v51
	v_add_f32_e32 v64, -1.0, v53
	v_sub_f32_e32 v51, v51, v64
	v_add_f32_e32 v51, v52, v51
	v_add_f32_e32 v69, v53, v51
	v_rcp_f32_e32 v70, v69
	v_sub_f32_e32 v52, v53, v69
	v_add_f32_e32 v53, v54, v55
	v_add_f32_e32 v51, v51, v52
	v_mul_f32_e32 v83, v53, v70
	v_sub_f32_e32 v52, v54, v53
	v_mul_f32_e32 v54, v69, v83
	v_fma_f32 v64, v83, v69, -v54
	v_fmac_f32_e32 v64, v83, v51
	v_add_f32_e32 v71, v55, v52
	v_add_f32_e32 v52, v54, v64
	v_sub_f32_e32 v55, v53, v52
	v_pk_add_f32 v[66:67], v[52:53], v[54:55] neg_lo:[0,1] neg_hi:[0,1]
	v_mov_b32_e32 v65, v52
	v_pk_add_f32 v[52:53], v[66:67], v[64:65] neg_lo:[0,1] neg_hi:[0,1]
	v_cmp_eq_f32_e32 vcc, s6, v80
	v_add_f32_e32 v53, v71, v53
	v_add_f32_e32 v52, v52, v53
	;; [unrolled: 1-line block ×3, first 2 shown]
	v_mul_f32_e32 v71, v70, v53
	v_mul_f32_e32 v54, v69, v71
	v_fma_f32 v64, v71, v69, -v54
	v_fmac_f32_e32 v64, v71, v51
	v_sub_f32_e32 v51, v55, v53
	v_add_f32_e32 v51, v52, v51
	v_add_f32_e32 v52, v54, v64
	v_sub_f32_e32 v55, v53, v52
	v_pk_add_f32 v[66:67], v[52:53], v[54:55] neg_lo:[0,1] neg_hi:[0,1]
	v_mov_b32_e32 v65, v52
	v_pk_add_f32 v[52:53], v[66:67], v[64:65] neg_lo:[0,1] neg_hi:[0,1]
	v_cvt_f32_i32_e32 v54, v68
	v_add_f32_e32 v51, v51, v53
	v_add_f32_e32 v51, v52, v51
	;; [unrolled: 1-line block ×4, first 2 shown]
	v_sub_f32_e32 v53, v52, v83
	v_mul_f32_e32 v51, v70, v51
	v_sub_f32_e32 v53, v71, v53
	v_add_f32_e32 v51, v53, v51
	v_add_f32_e32 v55, v52, v51
	v_mul_f32_e32 v64, v55, v55
	v_mov_b32_e32 v53, 0x3ecc95a3
	v_fmac_f32_e32 v53, 0x3e9b6dac, v64
	v_sub_f32_e32 v52, v55, v52
	v_fmaak_f32 v53, v64, v53, 0x3f2aaada
	v_sub_f32_e32 v51, v51, v52
	v_ldexp_f32 v65, v55, 1
	v_mul_f32_e32 v55, v55, v64
	v_mov_b32_e32 v52, 0x3f317218
	v_pk_mul_f32 v[52:53], v[54:55], v[52:53]
	v_ldexp_f32 v51, v51, 1
	v_fma_f32 v55, v54, s4, -v52
	v_fmamk_f32 v64, v54, 0xb102e308, v55
	v_pk_add_f32 v[54:55], v[52:53], v[64:65]
	v_mov_b32_e32 v66, v52
	v_sub_f32_e32 v65, v55, v65
	v_sub_f32_e32 v65, v53, v65
	v_add_f32_e32 v67, v51, v65
	v_pk_add_f32 v[52:53], v[54:55], v[52:53] neg_lo:[0,1] neg_hi:[0,1]
	v_pk_add_f32 v[68:69], v[54:55], v[66:67]
	v_mov_b32_e32 v65, v54
	v_mov_b32_e32 v53, v69
	v_pk_add_f32 v[70:71], v[64:65], v[52:53] neg_lo:[0,1] neg_hi:[0,1]
	v_pk_add_f32 v[52:53], v[64:65], v[52:53]
	v_mov_b32_e32 v66, v67
	v_mov_b32_e32 v64, v53
	v_pk_add_f32 v[144:145], v[64:65], v[54:55] neg_lo:[0,1] neg_hi:[0,1]
	v_mov_b32_e32 v52, v69
	v_mov_b32_e32 v51, v144
	v_pk_add_f32 v[146:147], v[68:69], v[50:51] neg_lo:[0,1] neg_hi:[0,1]
	v_mov_b32_e32 v68, v55
	v_mov_b32_e32 v69, v144
	;; [unrolled: 1-line block ×3, first 2 shown]
	v_pk_add_f32 v[52:53], v[52:53], v[68:69] neg_lo:[0,1] neg_hi:[0,1]
	v_mov_b32_e32 v67, v54
	v_pk_add_f32 v[52:53], v[66:67], v[52:53] neg_lo:[0,1] neg_hi:[0,1]
	v_mov_b32_e32 v146, v70
	v_pk_add_f32 v[54:55], v[146:147], v[52:53]
	s_mov_b32 s4, 0x33800000
	v_mov_b32_e32 v66, v55
	v_pk_add_f32 v[66:67], v[54:55], v[66:67]
	v_cmp_lt_f32_e64 s[6:7], |v80|, s4
	v_pk_add_f32 v[64:65], v[64:65], v[66:67]
	v_mov_b32_e32 v53, v66
	v_mov_b32_e32 v55, v64
	v_pk_add_f32 v[68:69], v[54:55], v[70:71] neg_lo:[0,1] neg_hi:[0,1]
	s_or_b64 vcc, vcc, s[6:7]
	v_sub_f32_e32 v51, v54, v68
	v_pk_add_f32 v[52:53], v[52:53], v[68:69] neg_lo:[0,1] neg_hi:[0,1]
	v_sub_f32_e32 v51, v70, v51
	v_add_f32_e32 v51, v52, v51
	v_add_f32_e32 v51, v51, v53
	;; [unrolled: 1-line block ×3, first 2 shown]
	v_cndmask_b32_e32 v51, v51, v80, vcc
	v_add_f32_e32 v51, v50, v51
.LBB499_238:
	s_or_b64 exec, exec, s[2:3]
	v_bfe_u32 v50, v51, 16, 1
	v_add3_u32 v50, v51, v50, s5
	v_lshrrev_b32_e32 v50, 16, v50
	v_cmp_o_f32_e32 vcc, v51, v51
	s_movk_i32 s4, 0x1f8
	s_nop 0
	v_cndmask_b32_e32 v50, v49, v50, vcc
	v_lshlrev_b32_e32 v52, 16, v50
	v_max_f32_e32 v49, v52, v52
	v_min_f32_e32 v51, v49, v87
	v_cmp_u_f32_e32 vcc, v52, v52
	v_max_f32_e32 v49, v49, v87
	s_nop 0
	v_cndmask_b32_e32 v51, v51, v52, vcc
	v_cndmask_b32_e32 v49, v49, v52, vcc
	v_cndmask_b32_e64 v51, v51, v81, s[20:21]
	v_cndmask_b32_e64 v49, v49, v81, s[20:21]
	v_cmp_neq_f32_e32 vcc, v51, v49
	v_cmp_class_f32_e64 s[2:3], v51, s4
	s_or_b64 s[6:7], vcc, s[2:3]
	s_and_saveexec_b64 s[2:3], s[6:7]
	s_cbranch_execz .LBB499_240
; %bb.239:
	v_sub_f32_e32 v51, v51, v49
	s_mov_b32 s5, 0x3fb8aa3b
	v_mul_f32_e32 v52, 0x3fb8aa3b, v51
	v_fma_f32 v53, v51, s5, -v52
	v_rndne_f32_e32 v54, v52
	v_fmamk_f32 v53, v51, 0x32a5705f, v53
	v_sub_f32_e32 v52, v52, v54
	v_add_f32_e32 v52, v52, v53
	v_exp_f32_e32 v52, v52
	v_cvt_i32_f32_e32 v53, v54
	s_mov_b32 s5, 0xc2ce8ed0
	v_cmp_ngt_f32_e32 vcc, s5, v51
	s_mov_b32 s5, 0x42b17218
	v_ldexp_f32 v52, v52, v53
	v_cndmask_b32_e32 v52, 0, v52, vcc
	v_mov_b32_e32 v53, 0x7f800000
	v_cmp_nlt_f32_e32 vcc, s5, v51
	s_mov_b32 s5, 0x3f2aaaab
	s_mov_b32 s6, 0x7f800000
	v_cndmask_b32_e32 v83, v53, v52, vcc
	v_add_f32_e32 v51, 1.0, v83
	v_add_f32_e32 v52, -1.0, v51
	v_sub_f32_e32 v53, v52, v51
	v_add_f32_e32 v53, 1.0, v53
	v_sub_f32_e32 v52, v83, v52
	v_add_f32_e32 v54, v52, v53
	v_frexp_mant_f32_e32 v55, v51
	v_cvt_f64_f32_e32 v[52:53], v51
	v_frexp_exp_i32_f64_e32 v52, v[52:53]
	v_cmp_gt_f32_e32 vcc, s5, v55
	s_mov_b32 s5, 0x3f317218
	s_nop 0
	v_subbrev_co_u32_e32 v68, vcc, 0, v52, vcc
	v_sub_u32_e32 v52, 0, v68
	v_ldexp_f32 v51, v51, v52
	v_ldexp_f32 v52, v54, v52
	v_add_f32_e32 v54, -1.0, v51
	v_add_f32_e32 v53, 1.0, v54
	v_sub_f32_e32 v53, v51, v53
	v_add_f32_e32 v55, v52, v53
	v_add_f32_e32 v53, 1.0, v51
	v_add_f32_e32 v64, -1.0, v53
	v_sub_f32_e32 v51, v51, v64
	v_add_f32_e32 v51, v52, v51
	v_add_f32_e32 v69, v53, v51
	v_rcp_f32_e32 v70, v69
	v_sub_f32_e32 v52, v53, v69
	v_add_f32_e32 v53, v54, v55
	v_add_f32_e32 v51, v51, v52
	v_mul_f32_e32 v80, v53, v70
	v_sub_f32_e32 v52, v54, v53
	v_mul_f32_e32 v54, v69, v80
	v_fma_f32 v64, v80, v69, -v54
	v_fmac_f32_e32 v64, v80, v51
	v_add_f32_e32 v71, v55, v52
	v_add_f32_e32 v52, v54, v64
	v_sub_f32_e32 v55, v53, v52
	v_pk_add_f32 v[66:67], v[52:53], v[54:55] neg_lo:[0,1] neg_hi:[0,1]
	v_mov_b32_e32 v65, v52
	v_pk_add_f32 v[52:53], v[66:67], v[64:65] neg_lo:[0,1] neg_hi:[0,1]
	v_cmp_eq_f32_e32 vcc, s6, v83
	v_add_f32_e32 v53, v71, v53
	v_add_f32_e32 v52, v52, v53
	;; [unrolled: 1-line block ×3, first 2 shown]
	v_mul_f32_e32 v71, v70, v53
	v_mul_f32_e32 v54, v69, v71
	v_fma_f32 v64, v71, v69, -v54
	v_fmac_f32_e32 v64, v71, v51
	v_sub_f32_e32 v51, v55, v53
	v_add_f32_e32 v51, v52, v51
	v_add_f32_e32 v52, v54, v64
	v_sub_f32_e32 v55, v53, v52
	v_pk_add_f32 v[66:67], v[52:53], v[54:55] neg_lo:[0,1] neg_hi:[0,1]
	v_mov_b32_e32 v65, v52
	v_pk_add_f32 v[52:53], v[66:67], v[64:65] neg_lo:[0,1] neg_hi:[0,1]
	v_cvt_f32_i32_e32 v54, v68
	v_add_f32_e32 v51, v51, v53
	v_add_f32_e32 v51, v52, v51
	;; [unrolled: 1-line block ×4, first 2 shown]
	v_sub_f32_e32 v53, v52, v80
	v_mul_f32_e32 v51, v70, v51
	v_sub_f32_e32 v53, v71, v53
	v_add_f32_e32 v51, v53, v51
	v_add_f32_e32 v55, v52, v51
	v_mul_f32_e32 v64, v55, v55
	v_mov_b32_e32 v53, 0x3ecc95a3
	v_fmac_f32_e32 v53, 0x3e9b6dac, v64
	v_sub_f32_e32 v52, v55, v52
	v_fmaak_f32 v53, v64, v53, 0x3f2aaada
	v_sub_f32_e32 v51, v51, v52
	v_ldexp_f32 v65, v55, 1
	v_mul_f32_e32 v55, v55, v64
	v_mov_b32_e32 v52, 0x3f317218
	v_pk_mul_f32 v[52:53], v[54:55], v[52:53]
	v_ldexp_f32 v51, v51, 1
	v_fma_f32 v55, v54, s5, -v52
	v_fmamk_f32 v64, v54, 0xb102e308, v55
	v_pk_add_f32 v[54:55], v[52:53], v[64:65]
	v_mov_b32_e32 v66, v52
	v_sub_f32_e32 v65, v55, v65
	v_sub_f32_e32 v65, v53, v65
	v_add_f32_e32 v67, v51, v65
	v_pk_add_f32 v[52:53], v[54:55], v[52:53] neg_lo:[0,1] neg_hi:[0,1]
	v_pk_add_f32 v[68:69], v[54:55], v[66:67]
	v_mov_b32_e32 v65, v54
	v_mov_b32_e32 v53, v69
	v_pk_add_f32 v[70:71], v[64:65], v[52:53] neg_lo:[0,1] neg_hi:[0,1]
	v_pk_add_f32 v[52:53], v[64:65], v[52:53]
	v_mov_b32_e32 v66, v67
	v_mov_b32_e32 v64, v53
	v_pk_add_f32 v[80:81], v[64:65], v[54:55] neg_lo:[0,1] neg_hi:[0,1]
	v_mov_b32_e32 v52, v69
	v_mov_b32_e32 v51, v80
	v_pk_add_f32 v[144:145], v[68:69], v[50:51] neg_lo:[0,1] neg_hi:[0,1]
	v_mov_b32_e32 v68, v55
	v_mov_b32_e32 v69, v80
	;; [unrolled: 1-line block ×3, first 2 shown]
	v_pk_add_f32 v[52:53], v[52:53], v[68:69] neg_lo:[0,1] neg_hi:[0,1]
	v_mov_b32_e32 v67, v54
	v_pk_add_f32 v[52:53], v[66:67], v[52:53] neg_lo:[0,1] neg_hi:[0,1]
	v_mov_b32_e32 v144, v70
	v_pk_add_f32 v[54:55], v[144:145], v[52:53]
	s_mov_b32 s5, 0x33800000
	v_mov_b32_e32 v66, v55
	v_pk_add_f32 v[66:67], v[54:55], v[66:67]
	v_cmp_lt_f32_e64 s[6:7], |v83|, s5
	v_pk_add_f32 v[64:65], v[64:65], v[66:67]
	v_mov_b32_e32 v53, v66
	v_mov_b32_e32 v55, v64
	v_pk_add_f32 v[68:69], v[54:55], v[70:71] neg_lo:[0,1] neg_hi:[0,1]
	s_or_b64 vcc, vcc, s[6:7]
	v_sub_f32_e32 v51, v54, v68
	v_pk_add_f32 v[52:53], v[52:53], v[68:69] neg_lo:[0,1] neg_hi:[0,1]
	v_sub_f32_e32 v51, v70, v51
	v_add_f32_e32 v51, v52, v51
	v_add_f32_e32 v51, v51, v53
	;; [unrolled: 1-line block ×3, first 2 shown]
	v_cndmask_b32_e32 v51, v51, v83, vcc
	v_add_f32_e32 v52, v49, v51
.LBB499_240:
	s_or_b64 exec, exec, s[2:3]
	v_bfe_u32 v49, v52, 16, 1
	s_movk_i32 s5, 0x7fff
	v_add3_u32 v49, v52, v49, s5
	v_lshrrev_b32_e32 v49, 16, v49
	v_mov_b32_e32 v51, 0x7fc0
	v_cmp_o_f32_e32 vcc, v52, v52
	s_nop 1
	v_cndmask_b32_e32 v49, v51, v49, vcc
	v_lshlrev_b32_e32 v53, 16, v49
	v_max_f32_e32 v52, v53, v53
	v_min_f32_e32 v54, v52, v96
	v_cmp_u_f32_e32 vcc, v53, v53
	v_max_f32_e32 v52, v52, v96
	s_nop 0
	v_cndmask_b32_e32 v54, v54, v53, vcc
	v_cndmask_b32_e32 v52, v52, v53, vcc
	v_cndmask_b32_e64 v54, v54, v82, s[22:23]
	v_cndmask_b32_e64 v52, v52, v82, s[22:23]
	v_cmp_neq_f32_e32 vcc, v54, v52
	v_cmp_class_f32_e64 s[2:3], v54, s4
	s_or_b64 s[6:7], vcc, s[2:3]
	s_and_saveexec_b64 s[2:3], s[6:7]
	s_cbranch_execz .LBB499_242
; %bb.241:
	v_sub_f32_e32 v53, v54, v52
	s_mov_b32 s4, 0x3fb8aa3b
	v_mul_f32_e32 v54, 0x3fb8aa3b, v53
	v_fma_f32 v55, v53, s4, -v54
	v_rndne_f32_e32 v64, v54
	v_fmamk_f32 v55, v53, 0x32a5705f, v55
	v_sub_f32_e32 v54, v54, v64
	v_add_f32_e32 v54, v54, v55
	v_exp_f32_e32 v54, v54
	v_cvt_i32_f32_e32 v55, v64
	s_mov_b32 s4, 0xc2ce8ed0
	v_cmp_ngt_f32_e32 vcc, s4, v53
	s_mov_b32 s4, 0x42b17218
	v_ldexp_f32 v54, v54, v55
	v_cndmask_b32_e32 v54, 0, v54, vcc
	v_mov_b32_e32 v55, 0x7f800000
	v_cmp_nlt_f32_e32 vcc, s4, v53
	s_mov_b32 s4, 0x3f2aaaab
	s_mov_b32 s6, 0x7f800000
	v_cndmask_b32_e32 v84, v55, v54, vcc
	v_add_f32_e32 v53, 1.0, v84
	v_add_f32_e32 v54, -1.0, v53
	v_sub_f32_e32 v55, v54, v53
	v_add_f32_e32 v55, 1.0, v55
	v_sub_f32_e32 v54, v84, v54
	v_add_f32_e32 v64, v54, v55
	v_frexp_mant_f32_e32 v65, v53
	v_cvt_f64_f32_e32 v[54:55], v53
	v_frexp_exp_i32_f64_e32 v54, v[54:55]
	v_cmp_gt_f32_e32 vcc, s4, v65
	s_mov_b32 s4, 0x3f317218
	s_nop 0
	v_subbrev_co_u32_e32 v70, vcc, 0, v54, vcc
	v_sub_u32_e32 v54, 0, v70
	v_ldexp_f32 v53, v53, v54
	v_ldexp_f32 v54, v64, v54
	v_add_f32_e32 v64, -1.0, v53
	v_add_f32_e32 v55, 1.0, v64
	v_sub_f32_e32 v55, v53, v55
	v_add_f32_e32 v65, v54, v55
	v_add_f32_e32 v55, 1.0, v53
	v_add_f32_e32 v66, -1.0, v55
	v_sub_f32_e32 v53, v53, v66
	v_add_f32_e32 v53, v54, v53
	v_add_f32_e32 v71, v55, v53
	v_rcp_f32_e32 v80, v71
	v_sub_f32_e32 v54, v55, v71
	v_add_f32_e32 v55, v64, v65
	v_add_f32_e32 v53, v53, v54
	v_mul_f32_e32 v82, v55, v80
	v_sub_f32_e32 v54, v64, v55
	v_mul_f32_e32 v64, v71, v82
	v_fma_f32 v66, v82, v71, -v64
	v_fmac_f32_e32 v66, v82, v53
	v_add_f32_e32 v81, v65, v54
	v_add_f32_e32 v54, v64, v66
	v_sub_f32_e32 v65, v55, v54
	v_pk_add_f32 v[68:69], v[54:55], v[64:65] neg_lo:[0,1] neg_hi:[0,1]
	v_mov_b32_e32 v67, v54
	v_pk_add_f32 v[54:55], v[68:69], v[66:67] neg_lo:[0,1] neg_hi:[0,1]
	v_cmp_eq_f32_e32 vcc, s6, v84
	v_add_f32_e32 v55, v81, v55
	v_add_f32_e32 v54, v54, v55
	;; [unrolled: 1-line block ×3, first 2 shown]
	v_mul_f32_e32 v81, v80, v55
	v_mul_f32_e32 v64, v71, v81
	v_fma_f32 v66, v81, v71, -v64
	v_fmac_f32_e32 v66, v81, v53
	v_sub_f32_e32 v53, v65, v55
	v_add_f32_e32 v53, v54, v53
	v_add_f32_e32 v54, v64, v66
	v_sub_f32_e32 v65, v55, v54
	v_pk_add_f32 v[68:69], v[54:55], v[64:65] neg_lo:[0,1] neg_hi:[0,1]
	v_mov_b32_e32 v67, v54
	v_pk_add_f32 v[54:55], v[68:69], v[66:67] neg_lo:[0,1] neg_hi:[0,1]
	v_cvt_f32_i32_e32 v64, v70
	v_add_f32_e32 v53, v53, v55
	v_add_f32_e32 v53, v54, v53
	;; [unrolled: 1-line block ×4, first 2 shown]
	v_sub_f32_e32 v55, v54, v82
	v_mul_f32_e32 v53, v80, v53
	v_sub_f32_e32 v55, v81, v55
	v_add_f32_e32 v53, v55, v53
	v_add_f32_e32 v65, v54, v53
	v_mul_f32_e32 v66, v65, v65
	v_mov_b32_e32 v55, 0x3ecc95a3
	v_fmac_f32_e32 v55, 0x3e9b6dac, v66
	v_sub_f32_e32 v54, v65, v54
	v_fmaak_f32 v55, v66, v55, 0x3f2aaada
	v_sub_f32_e32 v53, v53, v54
	v_ldexp_f32 v67, v65, 1
	v_mul_f32_e32 v65, v65, v66
	v_mov_b32_e32 v54, 0x3f317218
	v_pk_mul_f32 v[54:55], v[64:65], v[54:55]
	v_ldexp_f32 v53, v53, 1
	v_fma_f32 v65, v64, s4, -v54
	v_fmamk_f32 v66, v64, 0xb102e308, v65
	v_pk_add_f32 v[64:65], v[54:55], v[66:67]
	v_mov_b32_e32 v68, v54
	v_sub_f32_e32 v67, v65, v67
	v_sub_f32_e32 v67, v55, v67
	v_add_f32_e32 v69, v53, v67
	v_pk_add_f32 v[54:55], v[64:65], v[54:55] neg_lo:[0,1] neg_hi:[0,1]
	v_pk_add_f32 v[70:71], v[64:65], v[68:69]
	v_mov_b32_e32 v67, v64
	v_mov_b32_e32 v55, v71
	v_pk_add_f32 v[80:81], v[66:67], v[54:55] neg_lo:[0,1] neg_hi:[0,1]
	v_pk_add_f32 v[54:55], v[66:67], v[54:55]
	v_mov_b32_e32 v68, v69
	v_mov_b32_e32 v66, v55
	v_pk_add_f32 v[82:83], v[66:67], v[64:65] neg_lo:[0,1] neg_hi:[0,1]
	v_mov_b32_e32 v54, v71
	v_mov_b32_e32 v53, v82
	v_pk_add_f32 v[144:145], v[70:71], v[52:53] neg_lo:[0,1] neg_hi:[0,1]
	v_mov_b32_e32 v70, v65
	v_mov_b32_e32 v71, v82
	;; [unrolled: 1-line block ×3, first 2 shown]
	v_pk_add_f32 v[54:55], v[54:55], v[70:71] neg_lo:[0,1] neg_hi:[0,1]
	v_mov_b32_e32 v69, v64
	v_pk_add_f32 v[54:55], v[68:69], v[54:55] neg_lo:[0,1] neg_hi:[0,1]
	v_mov_b32_e32 v144, v80
	v_pk_add_f32 v[64:65], v[144:145], v[54:55]
	s_mov_b32 s4, 0x33800000
	v_mov_b32_e32 v68, v65
	v_pk_add_f32 v[68:69], v[64:65], v[68:69]
	v_cmp_lt_f32_e64 s[6:7], |v84|, s4
	v_pk_add_f32 v[66:67], v[66:67], v[68:69]
	v_mov_b32_e32 v55, v68
	v_mov_b32_e32 v65, v66
	v_pk_add_f32 v[70:71], v[64:65], v[80:81] neg_lo:[0,1] neg_hi:[0,1]
	s_or_b64 vcc, vcc, s[6:7]
	v_sub_f32_e32 v53, v64, v70
	v_pk_add_f32 v[54:55], v[54:55], v[70:71] neg_lo:[0,1] neg_hi:[0,1]
	v_sub_f32_e32 v53, v80, v53
	v_add_f32_e32 v53, v54, v53
	v_add_f32_e32 v53, v53, v55
	;; [unrolled: 1-line block ×3, first 2 shown]
	v_cndmask_b32_e32 v53, v53, v84, vcc
	v_add_f32_e32 v53, v52, v53
.LBB499_242:
	s_or_b64 exec, exec, s[2:3]
	v_bfe_u32 v52, v53, 16, 1
	v_add3_u32 v52, v53, v52, s5
	v_lshrrev_b32_e32 v52, 16, v52
	v_cmp_o_f32_e32 vcc, v53, v53
	s_movk_i32 s4, 0x1f8
	s_nop 0
	v_cndmask_b32_e32 v51, v51, v52, vcc
	v_lshlrev_b32_e32 v54, 16, v51
	v_max_f32_e32 v52, v54, v54
	v_min_f32_e32 v53, v52, v99
	v_cmp_u_f32_e32 vcc, v54, v54
	v_max_f32_e32 v52, v52, v99
	s_nop 0
	v_cndmask_b32_e32 v53, v53, v54, vcc
	v_cndmask_b32_e32 v52, v52, v54, vcc
	v_cndmask_b32_e64 v53, v53, v85, s[24:25]
	v_cndmask_b32_e64 v52, v52, v85, s[24:25]
	v_cmp_neq_f32_e32 vcc, v53, v52
	v_cmp_class_f32_e64 s[2:3], v53, s4
	s_or_b64 s[6:7], vcc, s[2:3]
	s_and_saveexec_b64 s[2:3], s[6:7]
	s_cbranch_execz .LBB499_244
; %bb.243:
	v_sub_f32_e32 v53, v53, v52
	s_mov_b32 s5, 0x3fb8aa3b
	v_mul_f32_e32 v54, 0x3fb8aa3b, v53
	v_fma_f32 v55, v53, s5, -v54
	v_rndne_f32_e32 v64, v54
	v_fmamk_f32 v55, v53, 0x32a5705f, v55
	v_sub_f32_e32 v54, v54, v64
	v_add_f32_e32 v54, v54, v55
	v_exp_f32_e32 v54, v54
	v_cvt_i32_f32_e32 v55, v64
	s_mov_b32 s5, 0xc2ce8ed0
	v_cmp_ngt_f32_e32 vcc, s5, v53
	s_mov_b32 s5, 0x42b17218
	v_ldexp_f32 v54, v54, v55
	v_cndmask_b32_e32 v54, 0, v54, vcc
	v_mov_b32_e32 v55, 0x7f800000
	v_cmp_nlt_f32_e32 vcc, s5, v53
	s_mov_b32 s5, 0x3f2aaaab
	s_mov_b32 s6, 0x7f800000
	v_cndmask_b32_e32 v87, v55, v54, vcc
	v_add_f32_e32 v53, 1.0, v87
	v_add_f32_e32 v54, -1.0, v53
	v_sub_f32_e32 v55, v54, v53
	v_add_f32_e32 v55, 1.0, v55
	v_sub_f32_e32 v54, v87, v54
	v_add_f32_e32 v64, v54, v55
	v_frexp_mant_f32_e32 v65, v53
	v_cvt_f64_f32_e32 v[54:55], v53
	v_frexp_exp_i32_f64_e32 v54, v[54:55]
	v_cmp_gt_f32_e32 vcc, s5, v65
	s_mov_b32 s5, 0x3f317218
	s_nop 0
	v_subbrev_co_u32_e32 v70, vcc, 0, v54, vcc
	v_sub_u32_e32 v54, 0, v70
	v_ldexp_f32 v53, v53, v54
	v_ldexp_f32 v54, v64, v54
	v_add_f32_e32 v64, -1.0, v53
	v_add_f32_e32 v55, 1.0, v64
	v_sub_f32_e32 v55, v53, v55
	v_add_f32_e32 v65, v54, v55
	v_add_f32_e32 v55, 1.0, v53
	v_add_f32_e32 v66, -1.0, v55
	v_sub_f32_e32 v53, v53, v66
	v_add_f32_e32 v53, v54, v53
	v_add_f32_e32 v71, v55, v53
	v_rcp_f32_e32 v80, v71
	v_sub_f32_e32 v54, v55, v71
	v_add_f32_e32 v55, v64, v65
	v_add_f32_e32 v53, v53, v54
	v_mul_f32_e32 v82, v55, v80
	v_sub_f32_e32 v54, v64, v55
	v_mul_f32_e32 v64, v71, v82
	v_fma_f32 v66, v82, v71, -v64
	v_fmac_f32_e32 v66, v82, v53
	v_add_f32_e32 v81, v65, v54
	v_add_f32_e32 v54, v64, v66
	v_sub_f32_e32 v65, v55, v54
	v_pk_add_f32 v[68:69], v[54:55], v[64:65] neg_lo:[0,1] neg_hi:[0,1]
	v_mov_b32_e32 v67, v54
	v_pk_add_f32 v[54:55], v[68:69], v[66:67] neg_lo:[0,1] neg_hi:[0,1]
	v_cmp_eq_f32_e32 vcc, s6, v87
	v_add_f32_e32 v55, v81, v55
	v_add_f32_e32 v54, v54, v55
	;; [unrolled: 1-line block ×3, first 2 shown]
	v_mul_f32_e32 v81, v80, v55
	v_mul_f32_e32 v64, v71, v81
	v_fma_f32 v66, v81, v71, -v64
	v_fmac_f32_e32 v66, v81, v53
	v_sub_f32_e32 v53, v65, v55
	v_add_f32_e32 v53, v54, v53
	v_add_f32_e32 v54, v64, v66
	v_sub_f32_e32 v65, v55, v54
	v_pk_add_f32 v[68:69], v[54:55], v[64:65] neg_lo:[0,1] neg_hi:[0,1]
	v_mov_b32_e32 v67, v54
	v_pk_add_f32 v[54:55], v[68:69], v[66:67] neg_lo:[0,1] neg_hi:[0,1]
	v_cvt_f32_i32_e32 v64, v70
	v_add_f32_e32 v53, v53, v55
	v_add_f32_e32 v53, v54, v53
	;; [unrolled: 1-line block ×4, first 2 shown]
	v_sub_f32_e32 v55, v54, v82
	v_mul_f32_e32 v53, v80, v53
	v_sub_f32_e32 v55, v81, v55
	v_add_f32_e32 v53, v55, v53
	v_add_f32_e32 v65, v54, v53
	v_mul_f32_e32 v66, v65, v65
	v_mov_b32_e32 v55, 0x3ecc95a3
	v_fmac_f32_e32 v55, 0x3e9b6dac, v66
	v_sub_f32_e32 v54, v65, v54
	v_fmaak_f32 v55, v66, v55, 0x3f2aaada
	v_sub_f32_e32 v53, v53, v54
	v_ldexp_f32 v67, v65, 1
	v_mul_f32_e32 v65, v65, v66
	v_mov_b32_e32 v54, 0x3f317218
	v_pk_mul_f32 v[54:55], v[64:65], v[54:55]
	v_ldexp_f32 v53, v53, 1
	v_fma_f32 v65, v64, s5, -v54
	v_fmamk_f32 v66, v64, 0xb102e308, v65
	v_pk_add_f32 v[64:65], v[54:55], v[66:67]
	v_mov_b32_e32 v68, v54
	v_sub_f32_e32 v67, v65, v67
	v_sub_f32_e32 v67, v55, v67
	v_add_f32_e32 v69, v53, v67
	v_pk_add_f32 v[54:55], v[64:65], v[54:55] neg_lo:[0,1] neg_hi:[0,1]
	v_pk_add_f32 v[70:71], v[64:65], v[68:69]
	v_mov_b32_e32 v67, v64
	v_mov_b32_e32 v55, v71
	v_pk_add_f32 v[80:81], v[66:67], v[54:55] neg_lo:[0,1] neg_hi:[0,1]
	v_pk_add_f32 v[54:55], v[66:67], v[54:55]
	v_mov_b32_e32 v68, v69
	v_mov_b32_e32 v66, v55
	v_pk_add_f32 v[82:83], v[66:67], v[64:65] neg_lo:[0,1] neg_hi:[0,1]
	v_mov_b32_e32 v54, v71
	v_mov_b32_e32 v53, v82
	v_pk_add_f32 v[84:85], v[70:71], v[52:53] neg_lo:[0,1] neg_hi:[0,1]
	v_mov_b32_e32 v70, v65
	v_mov_b32_e32 v71, v82
	;; [unrolled: 1-line block ×3, first 2 shown]
	v_pk_add_f32 v[54:55], v[54:55], v[70:71] neg_lo:[0,1] neg_hi:[0,1]
	v_mov_b32_e32 v69, v64
	v_pk_add_f32 v[54:55], v[68:69], v[54:55] neg_lo:[0,1] neg_hi:[0,1]
	v_mov_b32_e32 v84, v80
	v_pk_add_f32 v[64:65], v[84:85], v[54:55]
	s_mov_b32 s5, 0x33800000
	v_mov_b32_e32 v68, v65
	v_pk_add_f32 v[68:69], v[64:65], v[68:69]
	v_cmp_lt_f32_e64 s[6:7], |v87|, s5
	v_pk_add_f32 v[66:67], v[66:67], v[68:69]
	v_mov_b32_e32 v55, v68
	v_mov_b32_e32 v65, v66
	v_pk_add_f32 v[70:71], v[64:65], v[80:81] neg_lo:[0,1] neg_hi:[0,1]
	s_or_b64 vcc, vcc, s[6:7]
	v_sub_f32_e32 v53, v64, v70
	v_pk_add_f32 v[54:55], v[54:55], v[70:71] neg_lo:[0,1] neg_hi:[0,1]
	v_sub_f32_e32 v53, v80, v53
	v_add_f32_e32 v53, v54, v53
	v_add_f32_e32 v53, v53, v55
	;; [unrolled: 1-line block ×3, first 2 shown]
	v_cndmask_b32_e32 v53, v53, v87, vcc
	v_add_f32_e32 v54, v52, v53
.LBB499_244:
	s_or_b64 exec, exec, s[2:3]
	v_bfe_u32 v52, v54, 16, 1
	s_movk_i32 s5, 0x7fff
	v_add3_u32 v52, v54, v52, s5
	v_lshrrev_b32_e32 v52, 16, v52
	v_mov_b32_e32 v53, 0x7fc0
	v_cmp_o_f32_e32 vcc, v54, v54
	s_nop 1
	v_cndmask_b32_e32 v52, v53, v52, vcc
	v_lshlrev_b32_e32 v55, 16, v52
	v_max_f32_e32 v54, v55, v55
	v_min_f32_e32 v64, v54, v100
	v_cmp_u_f32_e32 vcc, v55, v55
	v_max_f32_e32 v54, v54, v100
	s_nop 0
	v_cndmask_b32_e32 v64, v64, v55, vcc
	v_cndmask_b32_e32 v54, v54, v55, vcc
	v_cndmask_b32_e64 v64, v64, v86, s[26:27]
	v_cndmask_b32_e64 v54, v54, v86, s[26:27]
	v_cmp_neq_f32_e32 vcc, v64, v54
	v_cmp_class_f32_e64 s[2:3], v64, s4
	s_or_b64 s[6:7], vcc, s[2:3]
	s_and_saveexec_b64 s[2:3], s[6:7]
	s_cbranch_execz .LBB499_246
; %bb.245:
	v_sub_f32_e32 v55, v64, v54
	s_mov_b32 s4, 0x3fb8aa3b
	v_mul_f32_e32 v64, 0x3fb8aa3b, v55
	v_fma_f32 v65, v55, s4, -v64
	v_rndne_f32_e32 v66, v64
	v_fmamk_f32 v65, v55, 0x32a5705f, v65
	v_sub_f32_e32 v64, v64, v66
	v_add_f32_e32 v64, v64, v65
	v_exp_f32_e32 v64, v64
	v_cvt_i32_f32_e32 v65, v66
	s_mov_b32 s4, 0xc2ce8ed0
	v_cmp_ngt_f32_e32 vcc, s4, v55
	s_mov_b32 s4, 0x42b17218
	v_ldexp_f32 v64, v64, v65
	v_cndmask_b32_e32 v64, 0, v64, vcc
	v_mov_b32_e32 v65, 0x7f800000
	v_cmp_nlt_f32_e32 vcc, s4, v55
	s_mov_b32 s4, 0x3f2aaaab
	s_mov_b32 s6, 0x7f800000
	v_cndmask_b32_e32 v96, v65, v64, vcc
	v_add_f32_e32 v55, 1.0, v96
	v_add_f32_e32 v64, -1.0, v55
	v_sub_f32_e32 v65, v64, v55
	v_add_f32_e32 v65, 1.0, v65
	v_sub_f32_e32 v64, v96, v64
	v_add_f32_e32 v66, v64, v65
	v_frexp_mant_f32_e32 v67, v55
	v_cvt_f64_f32_e32 v[64:65], v55
	v_frexp_exp_i32_f64_e32 v64, v[64:65]
	v_cmp_gt_f32_e32 vcc, s4, v67
	s_mov_b32 s4, 0x3f317218
	s_nop 0
	v_subbrev_co_u32_e32 v80, vcc, 0, v64, vcc
	v_sub_u32_e32 v64, 0, v80
	v_ldexp_f32 v55, v55, v64
	v_ldexp_f32 v64, v66, v64
	v_add_f32_e32 v66, -1.0, v55
	v_add_f32_e32 v65, 1.0, v66
	v_sub_f32_e32 v65, v55, v65
	v_add_f32_e32 v67, v64, v65
	v_add_f32_e32 v65, 1.0, v55
	v_add_f32_e32 v68, -1.0, v65
	v_sub_f32_e32 v55, v55, v68
	v_add_f32_e32 v55, v64, v55
	v_add_f32_e32 v81, v65, v55
	v_rcp_f32_e32 v82, v81
	v_sub_f32_e32 v64, v65, v81
	v_add_f32_e32 v65, v66, v67
	v_add_f32_e32 v55, v55, v64
	v_mul_f32_e32 v84, v65, v82
	v_sub_f32_e32 v64, v66, v65
	v_mul_f32_e32 v66, v81, v84
	v_fma_f32 v68, v84, v81, -v66
	v_fmac_f32_e32 v68, v84, v55
	v_add_f32_e32 v83, v67, v64
	v_add_f32_e32 v64, v66, v68
	v_sub_f32_e32 v67, v65, v64
	v_pk_add_f32 v[70:71], v[64:65], v[66:67] neg_lo:[0,1] neg_hi:[0,1]
	v_mov_b32_e32 v69, v64
	v_pk_add_f32 v[64:65], v[70:71], v[68:69] neg_lo:[0,1] neg_hi:[0,1]
	v_cmp_eq_f32_e32 vcc, s6, v96
	v_add_f32_e32 v65, v83, v65
	v_add_f32_e32 v64, v64, v65
	;; [unrolled: 1-line block ×3, first 2 shown]
	v_mul_f32_e32 v83, v82, v65
	v_mul_f32_e32 v66, v81, v83
	v_fma_f32 v68, v83, v81, -v66
	v_fmac_f32_e32 v68, v83, v55
	v_sub_f32_e32 v55, v67, v65
	v_add_f32_e32 v55, v64, v55
	v_add_f32_e32 v64, v66, v68
	v_sub_f32_e32 v67, v65, v64
	v_pk_add_f32 v[70:71], v[64:65], v[66:67] neg_lo:[0,1] neg_hi:[0,1]
	v_mov_b32_e32 v69, v64
	v_pk_add_f32 v[64:65], v[70:71], v[68:69] neg_lo:[0,1] neg_hi:[0,1]
	v_cvt_f32_i32_e32 v66, v80
	v_add_f32_e32 v55, v55, v65
	v_add_f32_e32 v55, v64, v55
	;; [unrolled: 1-line block ×4, first 2 shown]
	v_sub_f32_e32 v65, v64, v84
	v_mul_f32_e32 v55, v82, v55
	v_sub_f32_e32 v65, v83, v65
	v_add_f32_e32 v55, v65, v55
	v_add_f32_e32 v67, v64, v55
	v_mul_f32_e32 v68, v67, v67
	v_mov_b32_e32 v65, 0x3ecc95a3
	v_fmac_f32_e32 v65, 0x3e9b6dac, v68
	v_sub_f32_e32 v64, v67, v64
	v_fmaak_f32 v65, v68, v65, 0x3f2aaada
	v_sub_f32_e32 v55, v55, v64
	v_ldexp_f32 v69, v67, 1
	v_mul_f32_e32 v67, v67, v68
	v_mov_b32_e32 v64, 0x3f317218
	v_pk_mul_f32 v[64:65], v[66:67], v[64:65]
	v_ldexp_f32 v55, v55, 1
	v_fma_f32 v67, v66, s4, -v64
	v_fmamk_f32 v68, v66, 0xb102e308, v67
	v_pk_add_f32 v[66:67], v[64:65], v[68:69]
	v_mov_b32_e32 v70, v64
	v_sub_f32_e32 v69, v67, v69
	v_sub_f32_e32 v69, v65, v69
	v_add_f32_e32 v71, v55, v69
	v_pk_add_f32 v[64:65], v[66:67], v[64:65] neg_lo:[0,1] neg_hi:[0,1]
	v_pk_add_f32 v[80:81], v[66:67], v[70:71]
	v_mov_b32_e32 v69, v66
	v_mov_b32_e32 v65, v81
	v_pk_add_f32 v[82:83], v[68:69], v[64:65] neg_lo:[0,1] neg_hi:[0,1]
	v_pk_add_f32 v[64:65], v[68:69], v[64:65]
	v_mov_b32_e32 v70, v71
	v_mov_b32_e32 v68, v65
	v_pk_add_f32 v[84:85], v[68:69], v[66:67] neg_lo:[0,1] neg_hi:[0,1]
	v_mov_b32_e32 v64, v81
	v_mov_b32_e32 v55, v84
	v_pk_add_f32 v[86:87], v[80:81], v[54:55] neg_lo:[0,1] neg_hi:[0,1]
	v_mov_b32_e32 v80, v67
	v_mov_b32_e32 v81, v84
	;; [unrolled: 1-line block ×3, first 2 shown]
	v_pk_add_f32 v[64:65], v[64:65], v[80:81] neg_lo:[0,1] neg_hi:[0,1]
	v_mov_b32_e32 v71, v66
	v_pk_add_f32 v[64:65], v[70:71], v[64:65] neg_lo:[0,1] neg_hi:[0,1]
	v_mov_b32_e32 v86, v82
	v_pk_add_f32 v[66:67], v[86:87], v[64:65]
	s_mov_b32 s4, 0x33800000
	v_mov_b32_e32 v70, v67
	v_pk_add_f32 v[70:71], v[66:67], v[70:71]
	v_cmp_lt_f32_e64 s[6:7], |v96|, s4
	v_pk_add_f32 v[68:69], v[68:69], v[70:71]
	v_mov_b32_e32 v65, v70
	v_mov_b32_e32 v67, v68
	v_pk_add_f32 v[80:81], v[66:67], v[82:83] neg_lo:[0,1] neg_hi:[0,1]
	s_or_b64 vcc, vcc, s[6:7]
	v_sub_f32_e32 v55, v66, v80
	v_pk_add_f32 v[64:65], v[64:65], v[80:81] neg_lo:[0,1] neg_hi:[0,1]
	v_sub_f32_e32 v55, v82, v55
	v_add_f32_e32 v55, v64, v55
	v_add_f32_e32 v55, v55, v65
	;; [unrolled: 1-line block ×3, first 2 shown]
	v_cndmask_b32_e32 v55, v55, v96, vcc
	v_add_f32_e32 v55, v54, v55
.LBB499_246:
	s_or_b64 exec, exec, s[2:3]
	v_bfe_u32 v54, v55, 16, 1
	v_add3_u32 v54, v55, v54, s5
	v_lshrrev_b32_e32 v54, 16, v54
	v_cmp_o_f32_e32 vcc, v55, v55
	s_movk_i32 s4, 0x1f8
	s_nop 0
	v_cndmask_b32_e32 v53, v53, v54, vcc
	v_lshlrev_b32_e32 v64, 16, v53
	v_max_f32_e32 v54, v64, v64
	v_min_f32_e32 v55, v54, v103
	v_cmp_u_f32_e32 vcc, v64, v64
	v_max_f32_e32 v54, v54, v103
	s_nop 0
	v_cndmask_b32_e32 v55, v55, v64, vcc
	v_cndmask_b32_e32 v54, v54, v64, vcc
	v_cndmask_b32_e64 v55, v55, v97, s[28:29]
	v_cndmask_b32_e64 v54, v54, v97, s[28:29]
	v_cmp_neq_f32_e32 vcc, v55, v54
	v_cmp_class_f32_e64 s[2:3], v55, s4
	s_or_b64 s[6:7], vcc, s[2:3]
	s_and_saveexec_b64 s[2:3], s[6:7]
	s_cbranch_execz .LBB499_248
; %bb.247:
	v_sub_f32_e32 v55, v55, v54
	s_mov_b32 s5, 0x3fb8aa3b
	v_mul_f32_e32 v64, 0x3fb8aa3b, v55
	v_fma_f32 v65, v55, s5, -v64
	v_rndne_f32_e32 v66, v64
	v_fmamk_f32 v65, v55, 0x32a5705f, v65
	v_sub_f32_e32 v64, v64, v66
	v_add_f32_e32 v64, v64, v65
	v_exp_f32_e32 v64, v64
	v_cvt_i32_f32_e32 v65, v66
	s_mov_b32 s5, 0xc2ce8ed0
	v_cmp_ngt_f32_e32 vcc, s5, v55
	s_mov_b32 s5, 0x42b17218
	v_ldexp_f32 v64, v64, v65
	v_cndmask_b32_e32 v64, 0, v64, vcc
	v_mov_b32_e32 v65, 0x7f800000
	v_cmp_nlt_f32_e32 vcc, s5, v55
	s_mov_b32 s5, 0x3f2aaaab
	s_mov_b32 s6, 0x7f800000
	v_cndmask_b32_e32 v96, v65, v64, vcc
	v_add_f32_e32 v55, 1.0, v96
	v_add_f32_e32 v64, -1.0, v55
	v_sub_f32_e32 v65, v64, v55
	v_add_f32_e32 v65, 1.0, v65
	v_sub_f32_e32 v64, v96, v64
	v_add_f32_e32 v66, v64, v65
	v_frexp_mant_f32_e32 v67, v55
	v_cvt_f64_f32_e32 v[64:65], v55
	v_frexp_exp_i32_f64_e32 v64, v[64:65]
	v_cmp_gt_f32_e32 vcc, s5, v67
	s_mov_b32 s5, 0x3f317218
	s_nop 0
	v_subbrev_co_u32_e32 v80, vcc, 0, v64, vcc
	v_sub_u32_e32 v64, 0, v80
	v_ldexp_f32 v55, v55, v64
	v_ldexp_f32 v64, v66, v64
	v_add_f32_e32 v66, -1.0, v55
	v_add_f32_e32 v65, 1.0, v66
	v_sub_f32_e32 v65, v55, v65
	v_add_f32_e32 v67, v64, v65
	v_add_f32_e32 v65, 1.0, v55
	v_add_f32_e32 v68, -1.0, v65
	v_sub_f32_e32 v55, v55, v68
	v_add_f32_e32 v55, v64, v55
	v_add_f32_e32 v81, v65, v55
	v_rcp_f32_e32 v82, v81
	v_sub_f32_e32 v64, v65, v81
	v_add_f32_e32 v65, v66, v67
	v_add_f32_e32 v55, v55, v64
	v_mul_f32_e32 v84, v65, v82
	v_sub_f32_e32 v64, v66, v65
	v_mul_f32_e32 v66, v81, v84
	v_fma_f32 v68, v84, v81, -v66
	v_fmac_f32_e32 v68, v84, v55
	v_add_f32_e32 v83, v67, v64
	v_add_f32_e32 v64, v66, v68
	v_sub_f32_e32 v67, v65, v64
	v_pk_add_f32 v[70:71], v[64:65], v[66:67] neg_lo:[0,1] neg_hi:[0,1]
	v_mov_b32_e32 v69, v64
	v_pk_add_f32 v[64:65], v[70:71], v[68:69] neg_lo:[0,1] neg_hi:[0,1]
	v_cmp_eq_f32_e32 vcc, s6, v96
	v_add_f32_e32 v65, v83, v65
	v_add_f32_e32 v64, v64, v65
	;; [unrolled: 1-line block ×3, first 2 shown]
	v_mul_f32_e32 v83, v82, v65
	v_mul_f32_e32 v66, v81, v83
	v_fma_f32 v68, v83, v81, -v66
	v_fmac_f32_e32 v68, v83, v55
	v_sub_f32_e32 v55, v67, v65
	v_add_f32_e32 v55, v64, v55
	v_add_f32_e32 v64, v66, v68
	v_sub_f32_e32 v67, v65, v64
	v_pk_add_f32 v[70:71], v[64:65], v[66:67] neg_lo:[0,1] neg_hi:[0,1]
	v_mov_b32_e32 v69, v64
	v_pk_add_f32 v[64:65], v[70:71], v[68:69] neg_lo:[0,1] neg_hi:[0,1]
	v_cvt_f32_i32_e32 v66, v80
	v_add_f32_e32 v55, v55, v65
	v_add_f32_e32 v55, v64, v55
	;; [unrolled: 1-line block ×4, first 2 shown]
	v_sub_f32_e32 v65, v64, v84
	v_mul_f32_e32 v55, v82, v55
	v_sub_f32_e32 v65, v83, v65
	v_add_f32_e32 v55, v65, v55
	v_add_f32_e32 v67, v64, v55
	v_mul_f32_e32 v68, v67, v67
	v_mov_b32_e32 v65, 0x3ecc95a3
	v_fmac_f32_e32 v65, 0x3e9b6dac, v68
	v_sub_f32_e32 v64, v67, v64
	v_fmaak_f32 v65, v68, v65, 0x3f2aaada
	v_sub_f32_e32 v55, v55, v64
	v_ldexp_f32 v69, v67, 1
	v_mul_f32_e32 v67, v67, v68
	v_mov_b32_e32 v64, 0x3f317218
	v_pk_mul_f32 v[64:65], v[66:67], v[64:65]
	v_ldexp_f32 v55, v55, 1
	v_fma_f32 v67, v66, s5, -v64
	v_fmamk_f32 v68, v66, 0xb102e308, v67
	v_pk_add_f32 v[66:67], v[64:65], v[68:69]
	v_mov_b32_e32 v70, v64
	v_sub_f32_e32 v69, v67, v69
	v_sub_f32_e32 v69, v65, v69
	v_add_f32_e32 v71, v55, v69
	v_pk_add_f32 v[64:65], v[66:67], v[64:65] neg_lo:[0,1] neg_hi:[0,1]
	v_pk_add_f32 v[80:81], v[66:67], v[70:71]
	v_mov_b32_e32 v69, v66
	v_mov_b32_e32 v65, v81
	v_pk_add_f32 v[82:83], v[68:69], v[64:65] neg_lo:[0,1] neg_hi:[0,1]
	v_pk_add_f32 v[64:65], v[68:69], v[64:65]
	v_mov_b32_e32 v70, v71
	v_mov_b32_e32 v68, v65
	v_pk_add_f32 v[84:85], v[68:69], v[66:67] neg_lo:[0,1] neg_hi:[0,1]
	v_mov_b32_e32 v64, v81
	v_mov_b32_e32 v55, v84
	v_pk_add_f32 v[86:87], v[80:81], v[54:55] neg_lo:[0,1] neg_hi:[0,1]
	v_mov_b32_e32 v80, v67
	v_mov_b32_e32 v81, v84
	;; [unrolled: 1-line block ×3, first 2 shown]
	v_pk_add_f32 v[64:65], v[64:65], v[80:81] neg_lo:[0,1] neg_hi:[0,1]
	v_mov_b32_e32 v71, v66
	v_pk_add_f32 v[64:65], v[70:71], v[64:65] neg_lo:[0,1] neg_hi:[0,1]
	v_mov_b32_e32 v86, v82
	v_pk_add_f32 v[66:67], v[86:87], v[64:65]
	s_mov_b32 s5, 0x33800000
	v_mov_b32_e32 v70, v67
	v_pk_add_f32 v[70:71], v[66:67], v[70:71]
	v_cmp_lt_f32_e64 s[6:7], |v96|, s5
	v_pk_add_f32 v[68:69], v[68:69], v[70:71]
	v_mov_b32_e32 v65, v70
	v_mov_b32_e32 v67, v68
	v_pk_add_f32 v[80:81], v[66:67], v[82:83] neg_lo:[0,1] neg_hi:[0,1]
	s_or_b64 vcc, vcc, s[6:7]
	v_sub_f32_e32 v55, v66, v80
	v_pk_add_f32 v[64:65], v[64:65], v[80:81] neg_lo:[0,1] neg_hi:[0,1]
	v_sub_f32_e32 v55, v82, v55
	v_add_f32_e32 v55, v64, v55
	v_add_f32_e32 v55, v55, v65
	;; [unrolled: 1-line block ×3, first 2 shown]
	v_cndmask_b32_e32 v55, v55, v96, vcc
	v_add_f32_e32 v64, v54, v55
.LBB499_248:
	s_or_b64 exec, exec, s[2:3]
	v_bfe_u32 v54, v64, 16, 1
	s_movk_i32 s5, 0x7fff
	v_add3_u32 v54, v64, v54, s5
	v_lshrrev_b32_e32 v54, 16, v54
	v_mov_b32_e32 v55, 0x7fc0
	v_cmp_o_f32_e32 vcc, v64, v64
	s_nop 1
	v_cndmask_b32_e32 v54, v55, v54, vcc
	v_lshlrev_b32_e32 v65, 16, v54
	v_max_f32_e32 v64, v65, v65
	v_min_f32_e32 v66, v64, v112
	v_cmp_u_f32_e32 vcc, v65, v65
	v_max_f32_e32 v64, v64, v112
	s_nop 0
	v_cndmask_b32_e32 v66, v66, v65, vcc
	v_cndmask_b32_e32 v64, v64, v65, vcc
	v_cndmask_b32_e64 v66, v66, v98, s[30:31]
	v_cndmask_b32_e64 v64, v64, v98, s[30:31]
	v_cmp_neq_f32_e32 vcc, v66, v64
	v_cmp_class_f32_e64 s[2:3], v66, s4
	s_or_b64 s[6:7], vcc, s[2:3]
	s_and_saveexec_b64 s[2:3], s[6:7]
	s_cbranch_execz .LBB499_250
; %bb.249:
	v_sub_f32_e32 v65, v66, v64
	s_mov_b32 s4, 0x3fb8aa3b
	v_mul_f32_e32 v66, 0x3fb8aa3b, v65
	v_fma_f32 v67, v65, s4, -v66
	v_rndne_f32_e32 v68, v66
	v_fmamk_f32 v67, v65, 0x32a5705f, v67
	v_sub_f32_e32 v66, v66, v68
	v_add_f32_e32 v66, v66, v67
	v_exp_f32_e32 v66, v66
	v_cvt_i32_f32_e32 v67, v68
	s_mov_b32 s4, 0xc2ce8ed0
	v_cmp_ngt_f32_e32 vcc, s4, v65
	s_mov_b32 s4, 0x42b17218
	v_ldexp_f32 v66, v66, v67
	v_cndmask_b32_e32 v66, 0, v66, vcc
	v_mov_b32_e32 v67, 0x7f800000
	v_cmp_nlt_f32_e32 vcc, s4, v65
	s_mov_b32 s4, 0x3f2aaaab
	s_mov_b32 s6, 0x7f800000
	v_cndmask_b32_e32 v98, v67, v66, vcc
	v_add_f32_e32 v65, 1.0, v98
	v_add_f32_e32 v66, -1.0, v65
	v_sub_f32_e32 v67, v66, v65
	v_add_f32_e32 v67, 1.0, v67
	v_sub_f32_e32 v66, v98, v66
	v_add_f32_e32 v68, v66, v67
	v_frexp_mant_f32_e32 v69, v65
	v_cvt_f64_f32_e32 v[66:67], v65
	v_frexp_exp_i32_f64_e32 v66, v[66:67]
	v_cmp_gt_f32_e32 vcc, s4, v69
	s_mov_b32 s4, 0x3f317218
	s_nop 0
	v_subbrev_co_u32_e32 v82, vcc, 0, v66, vcc
	v_sub_u32_e32 v66, 0, v82
	v_ldexp_f32 v65, v65, v66
	v_ldexp_f32 v66, v68, v66
	v_add_f32_e32 v68, -1.0, v65
	v_add_f32_e32 v67, 1.0, v68
	v_sub_f32_e32 v67, v65, v67
	v_add_f32_e32 v69, v66, v67
	v_add_f32_e32 v67, 1.0, v65
	v_add_f32_e32 v70, -1.0, v67
	v_sub_f32_e32 v65, v65, v70
	v_add_f32_e32 v65, v66, v65
	v_add_f32_e32 v83, v67, v65
	v_rcp_f32_e32 v84, v83
	v_sub_f32_e32 v66, v67, v83
	v_add_f32_e32 v67, v68, v69
	v_add_f32_e32 v65, v65, v66
	v_mul_f32_e32 v86, v67, v84
	v_sub_f32_e32 v66, v68, v67
	v_mul_f32_e32 v68, v83, v86
	v_fma_f32 v70, v86, v83, -v68
	v_fmac_f32_e32 v70, v86, v65
	v_add_f32_e32 v85, v69, v66
	v_add_f32_e32 v66, v68, v70
	v_sub_f32_e32 v69, v67, v66
	v_pk_add_f32 v[80:81], v[66:67], v[68:69] neg_lo:[0,1] neg_hi:[0,1]
	v_mov_b32_e32 v71, v66
	v_pk_add_f32 v[66:67], v[80:81], v[70:71] neg_lo:[0,1] neg_hi:[0,1]
	v_cmp_eq_f32_e32 vcc, s6, v98
	v_add_f32_e32 v67, v85, v67
	v_add_f32_e32 v66, v66, v67
	;; [unrolled: 1-line block ×3, first 2 shown]
	v_mul_f32_e32 v85, v84, v67
	v_mul_f32_e32 v68, v83, v85
	v_fma_f32 v70, v85, v83, -v68
	v_fmac_f32_e32 v70, v85, v65
	v_sub_f32_e32 v65, v69, v67
	v_add_f32_e32 v65, v66, v65
	v_add_f32_e32 v66, v68, v70
	v_sub_f32_e32 v69, v67, v66
	v_pk_add_f32 v[80:81], v[66:67], v[68:69] neg_lo:[0,1] neg_hi:[0,1]
	v_mov_b32_e32 v71, v66
	v_pk_add_f32 v[66:67], v[80:81], v[70:71] neg_lo:[0,1] neg_hi:[0,1]
	v_cvt_f32_i32_e32 v68, v82
	v_add_f32_e32 v65, v65, v67
	v_add_f32_e32 v65, v66, v65
	;; [unrolled: 1-line block ×4, first 2 shown]
	v_sub_f32_e32 v67, v66, v86
	v_mul_f32_e32 v65, v84, v65
	v_sub_f32_e32 v67, v85, v67
	v_add_f32_e32 v65, v67, v65
	v_add_f32_e32 v69, v66, v65
	v_mul_f32_e32 v70, v69, v69
	v_mov_b32_e32 v67, 0x3ecc95a3
	v_fmac_f32_e32 v67, 0x3e9b6dac, v70
	v_sub_f32_e32 v66, v69, v66
	v_fmaak_f32 v67, v70, v67, 0x3f2aaada
	v_sub_f32_e32 v65, v65, v66
	v_ldexp_f32 v71, v69, 1
	v_mul_f32_e32 v69, v69, v70
	v_mov_b32_e32 v66, 0x3f317218
	v_pk_mul_f32 v[66:67], v[68:69], v[66:67]
	v_ldexp_f32 v65, v65, 1
	v_fma_f32 v69, v68, s4, -v66
	v_fmamk_f32 v70, v68, 0xb102e308, v69
	v_pk_add_f32 v[68:69], v[66:67], v[70:71]
	v_mov_b32_e32 v80, v66
	v_sub_f32_e32 v71, v69, v71
	v_sub_f32_e32 v71, v67, v71
	v_add_f32_e32 v81, v65, v71
	v_pk_add_f32 v[66:67], v[68:69], v[66:67] neg_lo:[0,1] neg_hi:[0,1]
	v_pk_add_f32 v[82:83], v[68:69], v[80:81]
	v_mov_b32_e32 v71, v68
	v_mov_b32_e32 v67, v83
	v_pk_add_f32 v[84:85], v[70:71], v[66:67] neg_lo:[0,1] neg_hi:[0,1]
	v_pk_add_f32 v[66:67], v[70:71], v[66:67]
	v_mov_b32_e32 v80, v81
	v_mov_b32_e32 v70, v67
	v_pk_add_f32 v[86:87], v[70:71], v[68:69] neg_lo:[0,1] neg_hi:[0,1]
	v_mov_b32_e32 v66, v83
	v_mov_b32_e32 v65, v86
	v_pk_add_f32 v[96:97], v[82:83], v[64:65] neg_lo:[0,1] neg_hi:[0,1]
	v_mov_b32_e32 v82, v69
	v_mov_b32_e32 v83, v86
	;; [unrolled: 1-line block ×3, first 2 shown]
	v_pk_add_f32 v[66:67], v[66:67], v[82:83] neg_lo:[0,1] neg_hi:[0,1]
	v_mov_b32_e32 v81, v68
	v_pk_add_f32 v[66:67], v[80:81], v[66:67] neg_lo:[0,1] neg_hi:[0,1]
	v_mov_b32_e32 v96, v84
	v_pk_add_f32 v[68:69], v[96:97], v[66:67]
	s_mov_b32 s4, 0x33800000
	v_mov_b32_e32 v80, v69
	v_pk_add_f32 v[80:81], v[68:69], v[80:81]
	v_cmp_lt_f32_e64 s[6:7], |v98|, s4
	v_pk_add_f32 v[70:71], v[70:71], v[80:81]
	v_mov_b32_e32 v67, v80
	v_mov_b32_e32 v69, v70
	v_pk_add_f32 v[82:83], v[68:69], v[84:85] neg_lo:[0,1] neg_hi:[0,1]
	s_or_b64 vcc, vcc, s[6:7]
	v_sub_f32_e32 v65, v68, v82
	v_pk_add_f32 v[66:67], v[66:67], v[82:83] neg_lo:[0,1] neg_hi:[0,1]
	v_sub_f32_e32 v65, v84, v65
	v_add_f32_e32 v65, v66, v65
	v_add_f32_e32 v65, v65, v67
	;; [unrolled: 1-line block ×3, first 2 shown]
	v_cndmask_b32_e32 v65, v65, v98, vcc
	v_add_f32_e32 v65, v64, v65
.LBB499_250:
	s_or_b64 exec, exec, s[2:3]
	v_bfe_u32 v64, v65, 16, 1
	v_add3_u32 v64, v65, v64, s5
	v_lshrrev_b32_e32 v64, 16, v64
	v_cmp_o_f32_e32 vcc, v65, v65
	s_movk_i32 s4, 0x1f8
	s_nop 0
	v_cndmask_b32_e32 v55, v55, v64, vcc
	v_lshlrev_b32_e32 v66, 16, v55
	v_max_f32_e32 v64, v66, v66
	v_min_f32_e32 v65, v64, v115
	v_cmp_u_f32_e32 vcc, v66, v66
	v_max_f32_e32 v64, v64, v115
	s_nop 0
	v_cndmask_b32_e32 v65, v65, v66, vcc
	v_cndmask_b32_e32 v64, v64, v66, vcc
	v_cndmask_b32_e64 v65, v65, v101, s[34:35]
	v_cndmask_b32_e64 v64, v64, v101, s[34:35]
	v_cmp_neq_f32_e32 vcc, v65, v64
	v_cmp_class_f32_e64 s[2:3], v65, s4
	s_or_b64 s[6:7], vcc, s[2:3]
	s_and_saveexec_b64 s[2:3], s[6:7]
	s_cbranch_execz .LBB499_252
; %bb.251:
	v_sub_f32_e32 v65, v65, v64
	s_mov_b32 s5, 0x3fb8aa3b
	v_mul_f32_e32 v66, 0x3fb8aa3b, v65
	v_fma_f32 v67, v65, s5, -v66
	v_rndne_f32_e32 v68, v66
	v_fmamk_f32 v67, v65, 0x32a5705f, v67
	v_sub_f32_e32 v66, v66, v68
	v_add_f32_e32 v66, v66, v67
	v_exp_f32_e32 v66, v66
	v_cvt_i32_f32_e32 v67, v68
	s_mov_b32 s5, 0xc2ce8ed0
	v_cmp_ngt_f32_e32 vcc, s5, v65
	s_mov_b32 s5, 0x42b17218
	v_ldexp_f32 v66, v66, v67
	v_cndmask_b32_e32 v66, 0, v66, vcc
	v_mov_b32_e32 v67, 0x7f800000
	v_cmp_nlt_f32_e32 vcc, s5, v65
	s_mov_b32 s5, 0x3f2aaaab
	s_mov_b32 s6, 0x7f800000
	v_cndmask_b32_e32 v98, v67, v66, vcc
	v_add_f32_e32 v65, 1.0, v98
	v_add_f32_e32 v66, -1.0, v65
	v_sub_f32_e32 v67, v66, v65
	v_add_f32_e32 v67, 1.0, v67
	v_sub_f32_e32 v66, v98, v66
	v_add_f32_e32 v68, v66, v67
	v_frexp_mant_f32_e32 v69, v65
	v_cvt_f64_f32_e32 v[66:67], v65
	v_frexp_exp_i32_f64_e32 v66, v[66:67]
	v_cmp_gt_f32_e32 vcc, s5, v69
	s_mov_b32 s5, 0x3f317218
	s_nop 0
	v_subbrev_co_u32_e32 v82, vcc, 0, v66, vcc
	v_sub_u32_e32 v66, 0, v82
	v_ldexp_f32 v65, v65, v66
	v_ldexp_f32 v66, v68, v66
	v_add_f32_e32 v68, -1.0, v65
	v_add_f32_e32 v67, 1.0, v68
	v_sub_f32_e32 v67, v65, v67
	v_add_f32_e32 v69, v66, v67
	v_add_f32_e32 v67, 1.0, v65
	v_add_f32_e32 v70, -1.0, v67
	v_sub_f32_e32 v65, v65, v70
	v_add_f32_e32 v65, v66, v65
	v_add_f32_e32 v83, v67, v65
	v_rcp_f32_e32 v84, v83
	v_sub_f32_e32 v66, v67, v83
	v_add_f32_e32 v67, v68, v69
	v_add_f32_e32 v65, v65, v66
	v_mul_f32_e32 v86, v67, v84
	v_sub_f32_e32 v66, v68, v67
	v_mul_f32_e32 v68, v83, v86
	v_fma_f32 v70, v86, v83, -v68
	v_fmac_f32_e32 v70, v86, v65
	v_add_f32_e32 v85, v69, v66
	v_add_f32_e32 v66, v68, v70
	v_sub_f32_e32 v69, v67, v66
	v_pk_add_f32 v[80:81], v[66:67], v[68:69] neg_lo:[0,1] neg_hi:[0,1]
	v_mov_b32_e32 v71, v66
	v_pk_add_f32 v[66:67], v[80:81], v[70:71] neg_lo:[0,1] neg_hi:[0,1]
	v_cmp_eq_f32_e32 vcc, s6, v98
	v_add_f32_e32 v67, v85, v67
	v_add_f32_e32 v66, v66, v67
	;; [unrolled: 1-line block ×3, first 2 shown]
	v_mul_f32_e32 v85, v84, v67
	v_mul_f32_e32 v68, v83, v85
	v_fma_f32 v70, v85, v83, -v68
	v_fmac_f32_e32 v70, v85, v65
	v_sub_f32_e32 v65, v69, v67
	v_add_f32_e32 v65, v66, v65
	v_add_f32_e32 v66, v68, v70
	v_sub_f32_e32 v69, v67, v66
	v_pk_add_f32 v[80:81], v[66:67], v[68:69] neg_lo:[0,1] neg_hi:[0,1]
	v_mov_b32_e32 v71, v66
	v_pk_add_f32 v[66:67], v[80:81], v[70:71] neg_lo:[0,1] neg_hi:[0,1]
	v_cvt_f32_i32_e32 v68, v82
	v_add_f32_e32 v65, v65, v67
	v_add_f32_e32 v65, v66, v65
	;; [unrolled: 1-line block ×4, first 2 shown]
	v_sub_f32_e32 v67, v66, v86
	v_mul_f32_e32 v65, v84, v65
	v_sub_f32_e32 v67, v85, v67
	v_add_f32_e32 v65, v67, v65
	v_add_f32_e32 v69, v66, v65
	v_mul_f32_e32 v70, v69, v69
	v_mov_b32_e32 v67, 0x3ecc95a3
	v_fmac_f32_e32 v67, 0x3e9b6dac, v70
	v_sub_f32_e32 v66, v69, v66
	v_fmaak_f32 v67, v70, v67, 0x3f2aaada
	v_sub_f32_e32 v65, v65, v66
	v_ldexp_f32 v71, v69, 1
	v_mul_f32_e32 v69, v69, v70
	v_mov_b32_e32 v66, 0x3f317218
	v_pk_mul_f32 v[66:67], v[68:69], v[66:67]
	v_ldexp_f32 v65, v65, 1
	v_fma_f32 v69, v68, s5, -v66
	v_fmamk_f32 v70, v68, 0xb102e308, v69
	v_pk_add_f32 v[68:69], v[66:67], v[70:71]
	v_mov_b32_e32 v80, v66
	v_sub_f32_e32 v71, v69, v71
	v_sub_f32_e32 v71, v67, v71
	v_add_f32_e32 v81, v65, v71
	v_pk_add_f32 v[66:67], v[68:69], v[66:67] neg_lo:[0,1] neg_hi:[0,1]
	v_pk_add_f32 v[82:83], v[68:69], v[80:81]
	v_mov_b32_e32 v71, v68
	v_mov_b32_e32 v67, v83
	v_pk_add_f32 v[84:85], v[70:71], v[66:67] neg_lo:[0,1] neg_hi:[0,1]
	v_pk_add_f32 v[66:67], v[70:71], v[66:67]
	v_mov_b32_e32 v80, v81
	v_mov_b32_e32 v70, v67
	v_pk_add_f32 v[86:87], v[70:71], v[68:69] neg_lo:[0,1] neg_hi:[0,1]
	v_mov_b32_e32 v66, v83
	v_mov_b32_e32 v65, v86
	v_pk_add_f32 v[96:97], v[82:83], v[64:65] neg_lo:[0,1] neg_hi:[0,1]
	v_mov_b32_e32 v82, v69
	v_mov_b32_e32 v83, v86
	;; [unrolled: 1-line block ×3, first 2 shown]
	v_pk_add_f32 v[66:67], v[66:67], v[82:83] neg_lo:[0,1] neg_hi:[0,1]
	v_mov_b32_e32 v81, v68
	v_pk_add_f32 v[66:67], v[80:81], v[66:67] neg_lo:[0,1] neg_hi:[0,1]
	v_mov_b32_e32 v96, v84
	v_pk_add_f32 v[68:69], v[96:97], v[66:67]
	s_mov_b32 s5, 0x33800000
	v_mov_b32_e32 v80, v69
	v_pk_add_f32 v[80:81], v[68:69], v[80:81]
	v_cmp_lt_f32_e64 s[6:7], |v98|, s5
	v_pk_add_f32 v[70:71], v[70:71], v[80:81]
	v_mov_b32_e32 v67, v80
	v_mov_b32_e32 v69, v70
	v_pk_add_f32 v[82:83], v[68:69], v[84:85] neg_lo:[0,1] neg_hi:[0,1]
	s_or_b64 vcc, vcc, s[6:7]
	v_sub_f32_e32 v65, v68, v82
	v_pk_add_f32 v[66:67], v[66:67], v[82:83] neg_lo:[0,1] neg_hi:[0,1]
	v_sub_f32_e32 v65, v84, v65
	v_add_f32_e32 v65, v66, v65
	v_add_f32_e32 v65, v65, v67
	;; [unrolled: 1-line block ×3, first 2 shown]
	v_cndmask_b32_e32 v65, v65, v98, vcc
	v_add_f32_e32 v66, v64, v65
.LBB499_252:
	s_or_b64 exec, exec, s[2:3]
	v_bfe_u32 v64, v66, 16, 1
	s_movk_i32 s5, 0x7fff
	v_add3_u32 v64, v66, v64, s5
	v_lshrrev_b32_e32 v64, 16, v64
	v_mov_b32_e32 v65, 0x7fc0
	v_cmp_o_f32_e32 vcc, v66, v66
	s_nop 1
	v_cndmask_b32_e32 v64, v65, v64, vcc
	v_lshlrev_b32_e32 v67, 16, v64
	v_max_f32_e32 v66, v67, v67
	v_min_f32_e32 v68, v66, v116
	v_cmp_u_f32_e32 vcc, v67, v67
	v_max_f32_e32 v66, v66, v116
	s_nop 0
	v_cndmask_b32_e32 v68, v68, v67, vcc
	v_cndmask_b32_e32 v66, v66, v67, vcc
	v_cndmask_b32_e64 v68, v68, v102, s[36:37]
	v_cndmask_b32_e64 v66, v66, v102, s[36:37]
	v_cmp_neq_f32_e32 vcc, v68, v66
	v_cmp_class_f32_e64 s[2:3], v68, s4
	s_or_b64 s[6:7], vcc, s[2:3]
	s_and_saveexec_b64 s[2:3], s[6:7]
	s_cbranch_execz .LBB499_254
; %bb.253:
	v_sub_f32_e32 v67, v68, v66
	s_mov_b32 s4, 0x3fb8aa3b
	v_mul_f32_e32 v68, 0x3fb8aa3b, v67
	v_fma_f32 v69, v67, s4, -v68
	v_rndne_f32_e32 v70, v68
	v_fmamk_f32 v69, v67, 0x32a5705f, v69
	v_sub_f32_e32 v68, v68, v70
	v_add_f32_e32 v68, v68, v69
	v_exp_f32_e32 v68, v68
	v_cvt_i32_f32_e32 v69, v70
	s_mov_b32 s4, 0xc2ce8ed0
	v_cmp_ngt_f32_e32 vcc, s4, v67
	s_mov_b32 s4, 0x42b17218
	v_ldexp_f32 v68, v68, v69
	v_cndmask_b32_e32 v68, 0, v68, vcc
	v_mov_b32_e32 v69, 0x7f800000
	v_cmp_nlt_f32_e32 vcc, s4, v67
	s_mov_b32 s4, 0x3f2aaaab
	s_mov_b32 s6, 0x7f800000
	v_cndmask_b32_e32 v100, v69, v68, vcc
	v_add_f32_e32 v67, 1.0, v100
	v_add_f32_e32 v68, -1.0, v67
	v_sub_f32_e32 v69, v68, v67
	v_add_f32_e32 v69, 1.0, v69
	v_sub_f32_e32 v68, v100, v68
	v_add_f32_e32 v70, v68, v69
	v_frexp_mant_f32_e32 v71, v67
	v_cvt_f64_f32_e32 v[68:69], v67
	v_frexp_exp_i32_f64_e32 v68, v[68:69]
	v_cmp_gt_f32_e32 vcc, s4, v71
	s_mov_b32 s4, 0x3f317218
	s_nop 0
	v_subbrev_co_u32_e32 v84, vcc, 0, v68, vcc
	v_sub_u32_e32 v68, 0, v84
	v_ldexp_f32 v67, v67, v68
	v_ldexp_f32 v68, v70, v68
	v_add_f32_e32 v70, -1.0, v67
	v_add_f32_e32 v69, 1.0, v70
	v_sub_f32_e32 v69, v67, v69
	v_add_f32_e32 v71, v68, v69
	v_add_f32_e32 v69, 1.0, v67
	v_add_f32_e32 v80, -1.0, v69
	v_sub_f32_e32 v67, v67, v80
	v_add_f32_e32 v67, v68, v67
	v_add_f32_e32 v85, v69, v67
	v_rcp_f32_e32 v86, v85
	v_sub_f32_e32 v68, v69, v85
	v_add_f32_e32 v69, v70, v71
	v_add_f32_e32 v67, v67, v68
	v_mul_f32_e32 v96, v69, v86
	v_sub_f32_e32 v68, v70, v69
	v_mul_f32_e32 v70, v85, v96
	v_fma_f32 v80, v96, v85, -v70
	v_fmac_f32_e32 v80, v96, v67
	v_add_f32_e32 v87, v71, v68
	v_add_f32_e32 v68, v70, v80
	v_sub_f32_e32 v71, v69, v68
	v_pk_add_f32 v[82:83], v[68:69], v[70:71] neg_lo:[0,1] neg_hi:[0,1]
	v_mov_b32_e32 v81, v68
	v_pk_add_f32 v[68:69], v[82:83], v[80:81] neg_lo:[0,1] neg_hi:[0,1]
	v_cmp_eq_f32_e32 vcc, s6, v100
	v_add_f32_e32 v69, v87, v69
	v_add_f32_e32 v68, v68, v69
	v_add_f32_e32 v69, v71, v68
	v_mul_f32_e32 v87, v86, v69
	v_mul_f32_e32 v70, v85, v87
	v_fma_f32 v80, v87, v85, -v70
	v_fmac_f32_e32 v80, v87, v67
	v_sub_f32_e32 v67, v71, v69
	v_add_f32_e32 v67, v68, v67
	v_add_f32_e32 v68, v70, v80
	v_sub_f32_e32 v71, v69, v68
	v_pk_add_f32 v[82:83], v[68:69], v[70:71] neg_lo:[0,1] neg_hi:[0,1]
	v_mov_b32_e32 v81, v68
	v_pk_add_f32 v[68:69], v[82:83], v[80:81] neg_lo:[0,1] neg_hi:[0,1]
	v_cvt_f32_i32_e32 v70, v84
	v_add_f32_e32 v67, v67, v69
	v_add_f32_e32 v67, v68, v67
	;; [unrolled: 1-line block ×4, first 2 shown]
	v_sub_f32_e32 v69, v68, v96
	v_mul_f32_e32 v67, v86, v67
	v_sub_f32_e32 v69, v87, v69
	v_add_f32_e32 v67, v69, v67
	v_add_f32_e32 v71, v68, v67
	v_mul_f32_e32 v80, v71, v71
	v_mov_b32_e32 v69, 0x3ecc95a3
	v_fmac_f32_e32 v69, 0x3e9b6dac, v80
	v_sub_f32_e32 v68, v71, v68
	v_fmaak_f32 v69, v80, v69, 0x3f2aaada
	v_sub_f32_e32 v67, v67, v68
	v_ldexp_f32 v81, v71, 1
	v_mul_f32_e32 v71, v71, v80
	v_mov_b32_e32 v68, 0x3f317218
	v_pk_mul_f32 v[68:69], v[70:71], v[68:69]
	v_ldexp_f32 v67, v67, 1
	v_fma_f32 v71, v70, s4, -v68
	v_fmamk_f32 v80, v70, 0xb102e308, v71
	v_pk_add_f32 v[70:71], v[68:69], v[80:81]
	v_mov_b32_e32 v82, v68
	v_sub_f32_e32 v81, v71, v81
	v_sub_f32_e32 v81, v69, v81
	v_add_f32_e32 v83, v67, v81
	v_pk_add_f32 v[68:69], v[70:71], v[68:69] neg_lo:[0,1] neg_hi:[0,1]
	v_pk_add_f32 v[84:85], v[70:71], v[82:83]
	v_mov_b32_e32 v81, v70
	v_mov_b32_e32 v69, v85
	v_pk_add_f32 v[86:87], v[80:81], v[68:69] neg_lo:[0,1] neg_hi:[0,1]
	v_pk_add_f32 v[68:69], v[80:81], v[68:69]
	v_mov_b32_e32 v82, v83
	v_mov_b32_e32 v80, v69
	v_pk_add_f32 v[96:97], v[80:81], v[70:71] neg_lo:[0,1] neg_hi:[0,1]
	v_mov_b32_e32 v68, v85
	v_mov_b32_e32 v67, v96
	v_pk_add_f32 v[98:99], v[84:85], v[66:67] neg_lo:[0,1] neg_hi:[0,1]
	v_mov_b32_e32 v84, v71
	v_mov_b32_e32 v85, v96
	;; [unrolled: 1-line block ×3, first 2 shown]
	v_pk_add_f32 v[68:69], v[68:69], v[84:85] neg_lo:[0,1] neg_hi:[0,1]
	v_mov_b32_e32 v83, v70
	v_pk_add_f32 v[68:69], v[82:83], v[68:69] neg_lo:[0,1] neg_hi:[0,1]
	v_mov_b32_e32 v98, v86
	v_pk_add_f32 v[70:71], v[98:99], v[68:69]
	s_mov_b32 s4, 0x33800000
	v_mov_b32_e32 v82, v71
	v_pk_add_f32 v[82:83], v[70:71], v[82:83]
	v_cmp_lt_f32_e64 s[6:7], |v100|, s4
	v_pk_add_f32 v[80:81], v[80:81], v[82:83]
	v_mov_b32_e32 v69, v82
	v_mov_b32_e32 v71, v80
	v_pk_add_f32 v[84:85], v[70:71], v[86:87] neg_lo:[0,1] neg_hi:[0,1]
	s_or_b64 vcc, vcc, s[6:7]
	v_sub_f32_e32 v67, v70, v84
	v_pk_add_f32 v[68:69], v[68:69], v[84:85] neg_lo:[0,1] neg_hi:[0,1]
	v_sub_f32_e32 v67, v86, v67
	v_add_f32_e32 v67, v68, v67
	v_add_f32_e32 v67, v67, v69
	;; [unrolled: 1-line block ×3, first 2 shown]
	v_cndmask_b32_e32 v67, v67, v100, vcc
	v_add_f32_e32 v67, v66, v67
.LBB499_254:
	s_or_b64 exec, exec, s[2:3]
	v_bfe_u32 v66, v67, 16, 1
	v_add3_u32 v66, v67, v66, s5
	v_lshrrev_b32_e32 v66, 16, v66
	v_cmp_o_f32_e32 vcc, v67, v67
	s_movk_i32 s4, 0x1f8
	s_nop 0
	v_cndmask_b32_e32 v65, v65, v66, vcc
	v_lshlrev_b32_e32 v68, 16, v65
	v_max_f32_e32 v66, v68, v68
	v_min_f32_e32 v67, v66, v119
	v_cmp_u_f32_e32 vcc, v68, v68
	v_max_f32_e32 v66, v66, v119
	s_nop 0
	v_cndmask_b32_e32 v67, v67, v68, vcc
	v_cndmask_b32_e32 v66, v66, v68, vcc
	v_cndmask_b32_e64 v67, v67, v113, s[38:39]
	v_cndmask_b32_e64 v66, v66, v113, s[38:39]
	v_cmp_neq_f32_e32 vcc, v67, v66
	v_cmp_class_f32_e64 s[2:3], v67, s4
	s_or_b64 s[6:7], vcc, s[2:3]
	s_and_saveexec_b64 s[2:3], s[6:7]
	s_cbranch_execz .LBB499_256
; %bb.255:
	v_sub_f32_e32 v67, v67, v66
	s_mov_b32 s5, 0x3fb8aa3b
	v_mul_f32_e32 v68, 0x3fb8aa3b, v67
	v_fma_f32 v69, v67, s5, -v68
	v_rndne_f32_e32 v70, v68
	v_fmamk_f32 v69, v67, 0x32a5705f, v69
	v_sub_f32_e32 v68, v68, v70
	v_add_f32_e32 v68, v68, v69
	v_exp_f32_e32 v68, v68
	v_cvt_i32_f32_e32 v69, v70
	s_mov_b32 s5, 0xc2ce8ed0
	v_cmp_ngt_f32_e32 vcc, s5, v67
	s_mov_b32 s5, 0x42b17218
	v_ldexp_f32 v68, v68, v69
	v_cndmask_b32_e32 v68, 0, v68, vcc
	v_mov_b32_e32 v69, 0x7f800000
	v_cmp_nlt_f32_e32 vcc, s5, v67
	s_mov_b32 s5, 0x3f2aaaab
	s_mov_b32 s6, 0x7f800000
	v_cndmask_b32_e32 v100, v69, v68, vcc
	v_add_f32_e32 v67, 1.0, v100
	v_add_f32_e32 v68, -1.0, v67
	v_sub_f32_e32 v69, v68, v67
	v_add_f32_e32 v69, 1.0, v69
	v_sub_f32_e32 v68, v100, v68
	v_add_f32_e32 v70, v68, v69
	v_frexp_mant_f32_e32 v71, v67
	v_cvt_f64_f32_e32 v[68:69], v67
	v_frexp_exp_i32_f64_e32 v68, v[68:69]
	v_cmp_gt_f32_e32 vcc, s5, v71
	s_mov_b32 s5, 0x3f317218
	s_nop 0
	v_subbrev_co_u32_e32 v84, vcc, 0, v68, vcc
	v_sub_u32_e32 v68, 0, v84
	v_ldexp_f32 v67, v67, v68
	v_ldexp_f32 v68, v70, v68
	v_add_f32_e32 v70, -1.0, v67
	v_add_f32_e32 v69, 1.0, v70
	v_sub_f32_e32 v69, v67, v69
	v_add_f32_e32 v71, v68, v69
	v_add_f32_e32 v69, 1.0, v67
	v_add_f32_e32 v80, -1.0, v69
	v_sub_f32_e32 v67, v67, v80
	v_add_f32_e32 v67, v68, v67
	v_add_f32_e32 v85, v69, v67
	v_rcp_f32_e32 v86, v85
	v_sub_f32_e32 v68, v69, v85
	v_add_f32_e32 v69, v70, v71
	v_add_f32_e32 v67, v67, v68
	v_mul_f32_e32 v96, v69, v86
	v_sub_f32_e32 v68, v70, v69
	v_mul_f32_e32 v70, v85, v96
	v_fma_f32 v80, v96, v85, -v70
	v_fmac_f32_e32 v80, v96, v67
	v_add_f32_e32 v87, v71, v68
	v_add_f32_e32 v68, v70, v80
	v_sub_f32_e32 v71, v69, v68
	v_pk_add_f32 v[82:83], v[68:69], v[70:71] neg_lo:[0,1] neg_hi:[0,1]
	v_mov_b32_e32 v81, v68
	v_pk_add_f32 v[68:69], v[82:83], v[80:81] neg_lo:[0,1] neg_hi:[0,1]
	v_cmp_eq_f32_e32 vcc, s6, v100
	v_add_f32_e32 v69, v87, v69
	v_add_f32_e32 v68, v68, v69
	;; [unrolled: 1-line block ×3, first 2 shown]
	v_mul_f32_e32 v87, v86, v69
	v_mul_f32_e32 v70, v85, v87
	v_fma_f32 v80, v87, v85, -v70
	v_fmac_f32_e32 v80, v87, v67
	v_sub_f32_e32 v67, v71, v69
	v_add_f32_e32 v67, v68, v67
	v_add_f32_e32 v68, v70, v80
	v_sub_f32_e32 v71, v69, v68
	v_pk_add_f32 v[82:83], v[68:69], v[70:71] neg_lo:[0,1] neg_hi:[0,1]
	v_mov_b32_e32 v81, v68
	v_pk_add_f32 v[68:69], v[82:83], v[80:81] neg_lo:[0,1] neg_hi:[0,1]
	v_cvt_f32_i32_e32 v70, v84
	v_add_f32_e32 v67, v67, v69
	v_add_f32_e32 v67, v68, v67
	;; [unrolled: 1-line block ×4, first 2 shown]
	v_sub_f32_e32 v69, v68, v96
	v_mul_f32_e32 v67, v86, v67
	v_sub_f32_e32 v69, v87, v69
	v_add_f32_e32 v67, v69, v67
	v_add_f32_e32 v71, v68, v67
	v_mul_f32_e32 v80, v71, v71
	v_mov_b32_e32 v69, 0x3ecc95a3
	v_fmac_f32_e32 v69, 0x3e9b6dac, v80
	v_sub_f32_e32 v68, v71, v68
	v_fmaak_f32 v69, v80, v69, 0x3f2aaada
	v_sub_f32_e32 v67, v67, v68
	v_ldexp_f32 v81, v71, 1
	v_mul_f32_e32 v71, v71, v80
	v_mov_b32_e32 v68, 0x3f317218
	v_pk_mul_f32 v[68:69], v[70:71], v[68:69]
	v_ldexp_f32 v67, v67, 1
	v_fma_f32 v71, v70, s5, -v68
	v_fmamk_f32 v80, v70, 0xb102e308, v71
	v_pk_add_f32 v[70:71], v[68:69], v[80:81]
	v_mov_b32_e32 v82, v68
	v_sub_f32_e32 v81, v71, v81
	v_sub_f32_e32 v81, v69, v81
	v_add_f32_e32 v83, v67, v81
	v_pk_add_f32 v[68:69], v[70:71], v[68:69] neg_lo:[0,1] neg_hi:[0,1]
	v_pk_add_f32 v[84:85], v[70:71], v[82:83]
	v_mov_b32_e32 v81, v70
	v_mov_b32_e32 v69, v85
	v_pk_add_f32 v[86:87], v[80:81], v[68:69] neg_lo:[0,1] neg_hi:[0,1]
	v_pk_add_f32 v[68:69], v[80:81], v[68:69]
	v_mov_b32_e32 v82, v83
	v_mov_b32_e32 v80, v69
	v_pk_add_f32 v[96:97], v[80:81], v[70:71] neg_lo:[0,1] neg_hi:[0,1]
	v_mov_b32_e32 v68, v85
	v_mov_b32_e32 v67, v96
	v_pk_add_f32 v[98:99], v[84:85], v[66:67] neg_lo:[0,1] neg_hi:[0,1]
	v_mov_b32_e32 v84, v71
	v_mov_b32_e32 v85, v96
	;; [unrolled: 1-line block ×3, first 2 shown]
	v_pk_add_f32 v[68:69], v[68:69], v[84:85] neg_lo:[0,1] neg_hi:[0,1]
	v_mov_b32_e32 v83, v70
	v_pk_add_f32 v[68:69], v[82:83], v[68:69] neg_lo:[0,1] neg_hi:[0,1]
	v_mov_b32_e32 v98, v86
	v_pk_add_f32 v[70:71], v[98:99], v[68:69]
	s_mov_b32 s5, 0x33800000
	v_mov_b32_e32 v82, v71
	v_pk_add_f32 v[82:83], v[70:71], v[82:83]
	v_cmp_lt_f32_e64 s[6:7], |v100|, s5
	v_pk_add_f32 v[80:81], v[80:81], v[82:83]
	v_mov_b32_e32 v69, v82
	v_mov_b32_e32 v71, v80
	v_pk_add_f32 v[84:85], v[70:71], v[86:87] neg_lo:[0,1] neg_hi:[0,1]
	s_or_b64 vcc, vcc, s[6:7]
	v_sub_f32_e32 v67, v70, v84
	v_pk_add_f32 v[68:69], v[68:69], v[84:85] neg_lo:[0,1] neg_hi:[0,1]
	v_sub_f32_e32 v67, v86, v67
	v_add_f32_e32 v67, v68, v67
	v_add_f32_e32 v67, v67, v69
	;; [unrolled: 1-line block ×3, first 2 shown]
	v_cndmask_b32_e32 v67, v67, v100, vcc
	v_add_f32_e32 v68, v66, v67
.LBB499_256:
	s_or_b64 exec, exec, s[2:3]
	v_bfe_u32 v66, v68, 16, 1
	s_movk_i32 s5, 0x7fff
	v_add3_u32 v66, v68, v66, s5
	v_lshrrev_b32_e32 v66, 16, v66
	v_mov_b32_e32 v67, 0x7fc0
	v_cmp_o_f32_e32 vcc, v68, v68
	s_nop 1
	v_cndmask_b32_e32 v66, v67, v66, vcc
	v_lshlrev_b32_e32 v69, 16, v66
	v_max_f32_e32 v68, v69, v69
	v_min_f32_e32 v70, v68, v128
	v_cmp_u_f32_e32 vcc, v69, v69
	v_max_f32_e32 v68, v68, v128
	s_nop 0
	v_cndmask_b32_e32 v70, v70, v69, vcc
	v_cndmask_b32_e32 v68, v68, v69, vcc
	v_cndmask_b32_e64 v70, v70, v114, s[40:41]
	v_cndmask_b32_e64 v68, v68, v114, s[40:41]
	v_cmp_neq_f32_e32 vcc, v70, v68
	v_cmp_class_f32_e64 s[2:3], v70, s4
	s_or_b64 s[6:7], vcc, s[2:3]
	s_and_saveexec_b64 s[2:3], s[6:7]
	s_cbranch_execz .LBB499_258
; %bb.257:
	v_sub_f32_e32 v69, v70, v68
	s_mov_b32 s4, 0x3fb8aa3b
	v_mul_f32_e32 v70, 0x3fb8aa3b, v69
	v_fma_f32 v71, v69, s4, -v70
	v_rndne_f32_e32 v80, v70
	v_fmamk_f32 v71, v69, 0x32a5705f, v71
	v_sub_f32_e32 v70, v70, v80
	v_add_f32_e32 v70, v70, v71
	v_exp_f32_e32 v70, v70
	v_cvt_i32_f32_e32 v71, v80
	s_mov_b32 s4, 0xc2ce8ed0
	v_cmp_ngt_f32_e32 vcc, s4, v69
	s_mov_b32 s4, 0x42b17218
	v_ldexp_f32 v70, v70, v71
	v_cndmask_b32_e32 v70, 0, v70, vcc
	v_mov_b32_e32 v71, 0x7f800000
	v_cmp_nlt_f32_e32 vcc, s4, v69
	s_mov_b32 s4, 0x3f2aaaab
	s_mov_b32 s6, 0x7f800000
	v_cndmask_b32_e32 v102, v71, v70, vcc
	v_add_f32_e32 v69, 1.0, v102
	v_add_f32_e32 v70, -1.0, v69
	v_sub_f32_e32 v71, v70, v69
	v_add_f32_e32 v71, 1.0, v71
	v_sub_f32_e32 v70, v102, v70
	v_add_f32_e32 v80, v70, v71
	v_frexp_mant_f32_e32 v81, v69
	v_cvt_f64_f32_e32 v[70:71], v69
	v_frexp_exp_i32_f64_e32 v70, v[70:71]
	v_cmp_gt_f32_e32 vcc, s4, v81
	s_mov_b32 s4, 0x3f317218
	s_nop 0
	v_subbrev_co_u32_e32 v86, vcc, 0, v70, vcc
	v_sub_u32_e32 v70, 0, v86
	v_ldexp_f32 v69, v69, v70
	v_ldexp_f32 v70, v80, v70
	v_add_f32_e32 v80, -1.0, v69
	v_add_f32_e32 v71, 1.0, v80
	v_sub_f32_e32 v71, v69, v71
	v_add_f32_e32 v81, v70, v71
	v_add_f32_e32 v71, 1.0, v69
	v_add_f32_e32 v82, -1.0, v71
	v_sub_f32_e32 v69, v69, v82
	v_add_f32_e32 v69, v70, v69
	v_add_f32_e32 v87, v71, v69
	v_rcp_f32_e32 v96, v87
	v_sub_f32_e32 v70, v71, v87
	v_add_f32_e32 v71, v80, v81
	v_add_f32_e32 v69, v69, v70
	v_mul_f32_e32 v98, v71, v96
	v_sub_f32_e32 v70, v80, v71
	v_mul_f32_e32 v80, v87, v98
	v_fma_f32 v82, v98, v87, -v80
	v_fmac_f32_e32 v82, v98, v69
	v_add_f32_e32 v97, v81, v70
	v_add_f32_e32 v70, v80, v82
	v_sub_f32_e32 v81, v71, v70
	v_pk_add_f32 v[84:85], v[70:71], v[80:81] neg_lo:[0,1] neg_hi:[0,1]
	v_mov_b32_e32 v83, v70
	v_pk_add_f32 v[70:71], v[84:85], v[82:83] neg_lo:[0,1] neg_hi:[0,1]
	v_cmp_eq_f32_e32 vcc, s6, v102
	v_add_f32_e32 v71, v97, v71
	v_add_f32_e32 v70, v70, v71
	v_add_f32_e32 v71, v81, v70
	v_mul_f32_e32 v97, v96, v71
	v_mul_f32_e32 v80, v87, v97
	v_fma_f32 v82, v97, v87, -v80
	v_fmac_f32_e32 v82, v97, v69
	v_sub_f32_e32 v69, v81, v71
	v_add_f32_e32 v69, v70, v69
	v_add_f32_e32 v70, v80, v82
	v_sub_f32_e32 v81, v71, v70
	v_pk_add_f32 v[84:85], v[70:71], v[80:81] neg_lo:[0,1] neg_hi:[0,1]
	v_mov_b32_e32 v83, v70
	v_pk_add_f32 v[70:71], v[84:85], v[82:83] neg_lo:[0,1] neg_hi:[0,1]
	v_cvt_f32_i32_e32 v80, v86
	v_add_f32_e32 v69, v69, v71
	v_add_f32_e32 v69, v70, v69
	;; [unrolled: 1-line block ×4, first 2 shown]
	v_sub_f32_e32 v71, v70, v98
	v_mul_f32_e32 v69, v96, v69
	v_sub_f32_e32 v71, v97, v71
	v_add_f32_e32 v69, v71, v69
	v_add_f32_e32 v81, v70, v69
	v_mul_f32_e32 v82, v81, v81
	v_mov_b32_e32 v71, 0x3ecc95a3
	v_fmac_f32_e32 v71, 0x3e9b6dac, v82
	v_sub_f32_e32 v70, v81, v70
	v_fmaak_f32 v71, v82, v71, 0x3f2aaada
	v_sub_f32_e32 v69, v69, v70
	v_ldexp_f32 v83, v81, 1
	v_mul_f32_e32 v81, v81, v82
	v_mov_b32_e32 v70, 0x3f317218
	v_pk_mul_f32 v[70:71], v[80:81], v[70:71]
	v_ldexp_f32 v69, v69, 1
	v_fma_f32 v81, v80, s4, -v70
	v_fmamk_f32 v82, v80, 0xb102e308, v81
	v_pk_add_f32 v[80:81], v[70:71], v[82:83]
	v_mov_b32_e32 v84, v70
	v_sub_f32_e32 v83, v81, v83
	v_sub_f32_e32 v83, v71, v83
	v_add_f32_e32 v85, v69, v83
	v_pk_add_f32 v[70:71], v[80:81], v[70:71] neg_lo:[0,1] neg_hi:[0,1]
	v_pk_add_f32 v[86:87], v[80:81], v[84:85]
	v_mov_b32_e32 v83, v80
	v_mov_b32_e32 v71, v87
	v_pk_add_f32 v[96:97], v[82:83], v[70:71] neg_lo:[0,1] neg_hi:[0,1]
	v_pk_add_f32 v[70:71], v[82:83], v[70:71]
	v_mov_b32_e32 v84, v85
	v_mov_b32_e32 v82, v71
	v_pk_add_f32 v[98:99], v[82:83], v[80:81] neg_lo:[0,1] neg_hi:[0,1]
	v_mov_b32_e32 v70, v87
	v_mov_b32_e32 v69, v98
	v_pk_add_f32 v[100:101], v[86:87], v[68:69] neg_lo:[0,1] neg_hi:[0,1]
	v_mov_b32_e32 v86, v81
	v_mov_b32_e32 v87, v98
	;; [unrolled: 1-line block ×3, first 2 shown]
	v_pk_add_f32 v[70:71], v[70:71], v[86:87] neg_lo:[0,1] neg_hi:[0,1]
	v_mov_b32_e32 v85, v80
	v_pk_add_f32 v[70:71], v[84:85], v[70:71] neg_lo:[0,1] neg_hi:[0,1]
	v_mov_b32_e32 v100, v96
	v_pk_add_f32 v[80:81], v[100:101], v[70:71]
	s_mov_b32 s4, 0x33800000
	v_mov_b32_e32 v84, v81
	v_pk_add_f32 v[84:85], v[80:81], v[84:85]
	v_cmp_lt_f32_e64 s[6:7], |v102|, s4
	v_pk_add_f32 v[82:83], v[82:83], v[84:85]
	v_mov_b32_e32 v71, v84
	v_mov_b32_e32 v81, v82
	v_pk_add_f32 v[86:87], v[80:81], v[96:97] neg_lo:[0,1] neg_hi:[0,1]
	s_or_b64 vcc, vcc, s[6:7]
	v_sub_f32_e32 v69, v80, v86
	v_pk_add_f32 v[70:71], v[70:71], v[86:87] neg_lo:[0,1] neg_hi:[0,1]
	v_sub_f32_e32 v69, v96, v69
	v_add_f32_e32 v69, v70, v69
	v_add_f32_e32 v69, v69, v71
	;; [unrolled: 1-line block ×3, first 2 shown]
	v_cndmask_b32_e32 v69, v69, v102, vcc
	v_add_f32_e32 v69, v68, v69
.LBB499_258:
	s_or_b64 exec, exec, s[2:3]
	v_bfe_u32 v68, v69, 16, 1
	v_add3_u32 v68, v69, v68, s5
	v_lshrrev_b32_e32 v68, 16, v68
	v_cmp_o_f32_e32 vcc, v69, v69
	s_movk_i32 s4, 0x1f8
	s_nop 0
	v_cndmask_b32_e32 v67, v67, v68, vcc
	v_lshlrev_b32_e32 v70, 16, v67
	v_max_f32_e32 v68, v70, v70
	v_min_f32_e32 v69, v68, v131
	v_cmp_u_f32_e32 vcc, v70, v70
	v_max_f32_e32 v68, v68, v131
	s_nop 0
	v_cndmask_b32_e32 v69, v69, v70, vcc
	v_cndmask_b32_e32 v68, v68, v70, vcc
	v_cndmask_b32_e64 v69, v69, v117, s[42:43]
	v_cndmask_b32_e64 v68, v68, v117, s[42:43]
	v_cmp_neq_f32_e32 vcc, v69, v68
	v_cmp_class_f32_e64 s[2:3], v69, s4
	s_or_b64 s[6:7], vcc, s[2:3]
	s_and_saveexec_b64 s[2:3], s[6:7]
	s_cbranch_execz .LBB499_260
; %bb.259:
	v_sub_f32_e32 v69, v69, v68
	s_mov_b32 s5, 0x3fb8aa3b
	v_mul_f32_e32 v70, 0x3fb8aa3b, v69
	v_fma_f32 v71, v69, s5, -v70
	v_rndne_f32_e32 v80, v70
	v_fmamk_f32 v71, v69, 0x32a5705f, v71
	v_sub_f32_e32 v70, v70, v80
	v_add_f32_e32 v70, v70, v71
	v_exp_f32_e32 v70, v70
	v_cvt_i32_f32_e32 v71, v80
	s_mov_b32 s5, 0xc2ce8ed0
	v_cmp_ngt_f32_e32 vcc, s5, v69
	s_mov_b32 s5, 0x42b17218
	v_ldexp_f32 v70, v70, v71
	v_cndmask_b32_e32 v70, 0, v70, vcc
	v_mov_b32_e32 v71, 0x7f800000
	v_cmp_nlt_f32_e32 vcc, s5, v69
	s_mov_b32 s5, 0x3f2aaaab
	s_mov_b32 s6, 0x7f800000
	v_cndmask_b32_e32 v102, v71, v70, vcc
	v_add_f32_e32 v69, 1.0, v102
	v_add_f32_e32 v70, -1.0, v69
	v_sub_f32_e32 v71, v70, v69
	v_add_f32_e32 v71, 1.0, v71
	v_sub_f32_e32 v70, v102, v70
	v_add_f32_e32 v80, v70, v71
	v_frexp_mant_f32_e32 v81, v69
	v_cvt_f64_f32_e32 v[70:71], v69
	v_frexp_exp_i32_f64_e32 v70, v[70:71]
	v_cmp_gt_f32_e32 vcc, s5, v81
	s_mov_b32 s5, 0x3f317218
	s_nop 0
	v_subbrev_co_u32_e32 v86, vcc, 0, v70, vcc
	v_sub_u32_e32 v70, 0, v86
	v_ldexp_f32 v69, v69, v70
	v_ldexp_f32 v70, v80, v70
	v_add_f32_e32 v80, -1.0, v69
	v_add_f32_e32 v71, 1.0, v80
	v_sub_f32_e32 v71, v69, v71
	v_add_f32_e32 v81, v70, v71
	v_add_f32_e32 v71, 1.0, v69
	v_add_f32_e32 v82, -1.0, v71
	v_sub_f32_e32 v69, v69, v82
	v_add_f32_e32 v69, v70, v69
	v_add_f32_e32 v87, v71, v69
	v_rcp_f32_e32 v96, v87
	v_sub_f32_e32 v70, v71, v87
	v_add_f32_e32 v71, v80, v81
	v_add_f32_e32 v69, v69, v70
	v_mul_f32_e32 v98, v71, v96
	v_sub_f32_e32 v70, v80, v71
	v_mul_f32_e32 v80, v87, v98
	v_fma_f32 v82, v98, v87, -v80
	v_fmac_f32_e32 v82, v98, v69
	v_add_f32_e32 v97, v81, v70
	v_add_f32_e32 v70, v80, v82
	v_sub_f32_e32 v81, v71, v70
	v_pk_add_f32 v[84:85], v[70:71], v[80:81] neg_lo:[0,1] neg_hi:[0,1]
	v_mov_b32_e32 v83, v70
	v_pk_add_f32 v[70:71], v[84:85], v[82:83] neg_lo:[0,1] neg_hi:[0,1]
	v_cmp_eq_f32_e32 vcc, s6, v102
	v_add_f32_e32 v71, v97, v71
	v_add_f32_e32 v70, v70, v71
	;; [unrolled: 1-line block ×3, first 2 shown]
	v_mul_f32_e32 v97, v96, v71
	v_mul_f32_e32 v80, v87, v97
	v_fma_f32 v82, v97, v87, -v80
	v_fmac_f32_e32 v82, v97, v69
	v_sub_f32_e32 v69, v81, v71
	v_add_f32_e32 v69, v70, v69
	v_add_f32_e32 v70, v80, v82
	v_sub_f32_e32 v81, v71, v70
	v_pk_add_f32 v[84:85], v[70:71], v[80:81] neg_lo:[0,1] neg_hi:[0,1]
	v_mov_b32_e32 v83, v70
	v_pk_add_f32 v[70:71], v[84:85], v[82:83] neg_lo:[0,1] neg_hi:[0,1]
	v_cvt_f32_i32_e32 v80, v86
	v_add_f32_e32 v69, v69, v71
	v_add_f32_e32 v69, v70, v69
	;; [unrolled: 1-line block ×4, first 2 shown]
	v_sub_f32_e32 v71, v70, v98
	v_mul_f32_e32 v69, v96, v69
	v_sub_f32_e32 v71, v97, v71
	v_add_f32_e32 v69, v71, v69
	v_add_f32_e32 v81, v70, v69
	v_mul_f32_e32 v82, v81, v81
	v_mov_b32_e32 v71, 0x3ecc95a3
	v_fmac_f32_e32 v71, 0x3e9b6dac, v82
	v_sub_f32_e32 v70, v81, v70
	v_fmaak_f32 v71, v82, v71, 0x3f2aaada
	v_sub_f32_e32 v69, v69, v70
	v_ldexp_f32 v83, v81, 1
	v_mul_f32_e32 v81, v81, v82
	v_mov_b32_e32 v70, 0x3f317218
	v_pk_mul_f32 v[70:71], v[80:81], v[70:71]
	v_ldexp_f32 v69, v69, 1
	v_fma_f32 v81, v80, s5, -v70
	v_fmamk_f32 v82, v80, 0xb102e308, v81
	v_pk_add_f32 v[80:81], v[70:71], v[82:83]
	v_mov_b32_e32 v84, v70
	v_sub_f32_e32 v83, v81, v83
	v_sub_f32_e32 v83, v71, v83
	v_add_f32_e32 v85, v69, v83
	v_pk_add_f32 v[70:71], v[80:81], v[70:71] neg_lo:[0,1] neg_hi:[0,1]
	v_pk_add_f32 v[86:87], v[80:81], v[84:85]
	v_mov_b32_e32 v83, v80
	v_mov_b32_e32 v71, v87
	v_pk_add_f32 v[96:97], v[82:83], v[70:71] neg_lo:[0,1] neg_hi:[0,1]
	v_pk_add_f32 v[70:71], v[82:83], v[70:71]
	v_mov_b32_e32 v84, v85
	v_mov_b32_e32 v82, v71
	v_pk_add_f32 v[98:99], v[82:83], v[80:81] neg_lo:[0,1] neg_hi:[0,1]
	v_mov_b32_e32 v70, v87
	v_mov_b32_e32 v69, v98
	v_pk_add_f32 v[100:101], v[86:87], v[68:69] neg_lo:[0,1] neg_hi:[0,1]
	v_mov_b32_e32 v86, v81
	v_mov_b32_e32 v87, v98
	;; [unrolled: 1-line block ×3, first 2 shown]
	v_pk_add_f32 v[70:71], v[70:71], v[86:87] neg_lo:[0,1] neg_hi:[0,1]
	v_mov_b32_e32 v85, v80
	v_pk_add_f32 v[70:71], v[84:85], v[70:71] neg_lo:[0,1] neg_hi:[0,1]
	v_mov_b32_e32 v100, v96
	v_pk_add_f32 v[80:81], v[100:101], v[70:71]
	s_mov_b32 s5, 0x33800000
	v_mov_b32_e32 v84, v81
	v_pk_add_f32 v[84:85], v[80:81], v[84:85]
	v_cmp_lt_f32_e64 s[6:7], |v102|, s5
	v_pk_add_f32 v[82:83], v[82:83], v[84:85]
	v_mov_b32_e32 v71, v84
	v_mov_b32_e32 v81, v82
	v_pk_add_f32 v[86:87], v[80:81], v[96:97] neg_lo:[0,1] neg_hi:[0,1]
	s_or_b64 vcc, vcc, s[6:7]
	v_sub_f32_e32 v69, v80, v86
	v_pk_add_f32 v[70:71], v[70:71], v[86:87] neg_lo:[0,1] neg_hi:[0,1]
	v_sub_f32_e32 v69, v96, v69
	v_add_f32_e32 v69, v70, v69
	v_add_f32_e32 v69, v69, v71
	;; [unrolled: 1-line block ×3, first 2 shown]
	v_cndmask_b32_e32 v69, v69, v102, vcc
	v_add_f32_e32 v70, v68, v69
.LBB499_260:
	s_or_b64 exec, exec, s[2:3]
	v_bfe_u32 v68, v70, 16, 1
	s_movk_i32 s5, 0x7fff
	v_add3_u32 v68, v70, v68, s5
	v_lshrrev_b32_e32 v68, 16, v68
	v_mov_b32_e32 v69, 0x7fc0
	v_cmp_o_f32_e32 vcc, v70, v70
	s_nop 1
	v_cndmask_b32_e32 v68, v69, v68, vcc
	v_lshlrev_b32_e32 v71, 16, v68
	v_max_f32_e32 v70, v71, v71
	v_min_f32_e32 v80, v70, v132
	v_cmp_u_f32_e32 vcc, v71, v71
	v_max_f32_e32 v70, v70, v132
	s_nop 0
	v_cndmask_b32_e32 v80, v80, v71, vcc
	v_cndmask_b32_e32 v70, v70, v71, vcc
	v_cndmask_b32_e64 v80, v80, v118, s[44:45]
	v_cndmask_b32_e64 v70, v70, v118, s[44:45]
	v_cmp_neq_f32_e32 vcc, v80, v70
	v_cmp_class_f32_e64 s[2:3], v80, s4
	s_or_b64 s[6:7], vcc, s[2:3]
	s_and_saveexec_b64 s[2:3], s[6:7]
	s_cbranch_execz .LBB499_262
; %bb.261:
	v_sub_f32_e32 v71, v80, v70
	s_mov_b32 s4, 0x3fb8aa3b
	v_mul_f32_e32 v80, 0x3fb8aa3b, v71
	v_fma_f32 v81, v71, s4, -v80
	v_rndne_f32_e32 v82, v80
	v_fmamk_f32 v81, v71, 0x32a5705f, v81
	v_sub_f32_e32 v80, v80, v82
	v_add_f32_e32 v80, v80, v81
	v_exp_f32_e32 v80, v80
	v_cvt_i32_f32_e32 v81, v82
	s_mov_b32 s4, 0xc2ce8ed0
	v_cmp_ngt_f32_e32 vcc, s4, v71
	s_mov_b32 s4, 0x42b17218
	v_ldexp_f32 v80, v80, v81
	v_cndmask_b32_e32 v80, 0, v80, vcc
	v_mov_b32_e32 v81, 0x7f800000
	v_cmp_nlt_f32_e32 vcc, s4, v71
	s_mov_b32 s4, 0x3f2aaaab
	s_mov_b32 s6, 0x7f800000
	v_cndmask_b32_e32 v112, v81, v80, vcc
	v_add_f32_e32 v71, 1.0, v112
	v_add_f32_e32 v80, -1.0, v71
	v_sub_f32_e32 v81, v80, v71
	v_add_f32_e32 v81, 1.0, v81
	v_sub_f32_e32 v80, v112, v80
	v_add_f32_e32 v82, v80, v81
	v_frexp_mant_f32_e32 v83, v71
	v_cvt_f64_f32_e32 v[80:81], v71
	v_frexp_exp_i32_f64_e32 v80, v[80:81]
	v_cmp_gt_f32_e32 vcc, s4, v83
	s_mov_b32 s4, 0x3f317218
	s_nop 0
	v_subbrev_co_u32_e32 v96, vcc, 0, v80, vcc
	v_sub_u32_e32 v80, 0, v96
	v_ldexp_f32 v71, v71, v80
	v_ldexp_f32 v80, v82, v80
	v_add_f32_e32 v82, -1.0, v71
	v_add_f32_e32 v81, 1.0, v82
	v_sub_f32_e32 v81, v71, v81
	v_add_f32_e32 v83, v80, v81
	v_add_f32_e32 v81, 1.0, v71
	v_add_f32_e32 v84, -1.0, v81
	v_sub_f32_e32 v71, v71, v84
	v_add_f32_e32 v71, v80, v71
	v_add_f32_e32 v97, v81, v71
	v_rcp_f32_e32 v98, v97
	v_sub_f32_e32 v80, v81, v97
	v_add_f32_e32 v81, v82, v83
	v_add_f32_e32 v71, v71, v80
	v_mul_f32_e32 v100, v81, v98
	v_sub_f32_e32 v80, v82, v81
	v_mul_f32_e32 v82, v97, v100
	v_fma_f32 v84, v100, v97, -v82
	v_fmac_f32_e32 v84, v100, v71
	v_add_f32_e32 v99, v83, v80
	v_add_f32_e32 v80, v82, v84
	v_sub_f32_e32 v83, v81, v80
	v_pk_add_f32 v[86:87], v[80:81], v[82:83] neg_lo:[0,1] neg_hi:[0,1]
	v_mov_b32_e32 v85, v80
	v_pk_add_f32 v[80:81], v[86:87], v[84:85] neg_lo:[0,1] neg_hi:[0,1]
	v_cmp_eq_f32_e32 vcc, s6, v112
	v_add_f32_e32 v81, v99, v81
	v_add_f32_e32 v80, v80, v81
	;; [unrolled: 1-line block ×3, first 2 shown]
	v_mul_f32_e32 v99, v98, v81
	v_mul_f32_e32 v82, v97, v99
	v_fma_f32 v84, v99, v97, -v82
	v_fmac_f32_e32 v84, v99, v71
	v_sub_f32_e32 v71, v83, v81
	v_add_f32_e32 v71, v80, v71
	v_add_f32_e32 v80, v82, v84
	v_sub_f32_e32 v83, v81, v80
	v_pk_add_f32 v[86:87], v[80:81], v[82:83] neg_lo:[0,1] neg_hi:[0,1]
	v_mov_b32_e32 v85, v80
	v_pk_add_f32 v[80:81], v[86:87], v[84:85] neg_lo:[0,1] neg_hi:[0,1]
	v_cvt_f32_i32_e32 v82, v96
	v_add_f32_e32 v71, v71, v81
	v_add_f32_e32 v71, v80, v71
	;; [unrolled: 1-line block ×4, first 2 shown]
	v_sub_f32_e32 v81, v80, v100
	v_mul_f32_e32 v71, v98, v71
	v_sub_f32_e32 v81, v99, v81
	v_add_f32_e32 v71, v81, v71
	v_add_f32_e32 v83, v80, v71
	v_mul_f32_e32 v84, v83, v83
	v_mov_b32_e32 v81, 0x3ecc95a3
	v_fmac_f32_e32 v81, 0x3e9b6dac, v84
	v_sub_f32_e32 v80, v83, v80
	v_fmaak_f32 v81, v84, v81, 0x3f2aaada
	v_sub_f32_e32 v71, v71, v80
	v_ldexp_f32 v85, v83, 1
	v_mul_f32_e32 v83, v83, v84
	v_mov_b32_e32 v80, 0x3f317218
	v_pk_mul_f32 v[80:81], v[82:83], v[80:81]
	v_ldexp_f32 v71, v71, 1
	v_fma_f32 v83, v82, s4, -v80
	v_fmamk_f32 v84, v82, 0xb102e308, v83
	v_pk_add_f32 v[82:83], v[80:81], v[84:85]
	v_mov_b32_e32 v86, v80
	v_sub_f32_e32 v85, v83, v85
	v_sub_f32_e32 v85, v81, v85
	v_add_f32_e32 v87, v71, v85
	v_pk_add_f32 v[80:81], v[82:83], v[80:81] neg_lo:[0,1] neg_hi:[0,1]
	v_pk_add_f32 v[96:97], v[82:83], v[86:87]
	v_mov_b32_e32 v85, v82
	v_mov_b32_e32 v81, v97
	v_pk_add_f32 v[98:99], v[84:85], v[80:81] neg_lo:[0,1] neg_hi:[0,1]
	v_pk_add_f32 v[80:81], v[84:85], v[80:81]
	v_mov_b32_e32 v86, v87
	v_mov_b32_e32 v84, v81
	v_pk_add_f32 v[100:101], v[84:85], v[82:83] neg_lo:[0,1] neg_hi:[0,1]
	v_mov_b32_e32 v80, v97
	v_mov_b32_e32 v71, v100
	v_pk_add_f32 v[102:103], v[96:97], v[70:71] neg_lo:[0,1] neg_hi:[0,1]
	v_mov_b32_e32 v96, v83
	v_mov_b32_e32 v97, v100
	;; [unrolled: 1-line block ×3, first 2 shown]
	v_pk_add_f32 v[80:81], v[80:81], v[96:97] neg_lo:[0,1] neg_hi:[0,1]
	v_mov_b32_e32 v87, v82
	v_pk_add_f32 v[80:81], v[86:87], v[80:81] neg_lo:[0,1] neg_hi:[0,1]
	v_mov_b32_e32 v102, v98
	v_pk_add_f32 v[82:83], v[102:103], v[80:81]
	s_mov_b32 s4, 0x33800000
	v_mov_b32_e32 v86, v83
	v_pk_add_f32 v[86:87], v[82:83], v[86:87]
	v_cmp_lt_f32_e64 s[6:7], |v112|, s4
	v_pk_add_f32 v[84:85], v[84:85], v[86:87]
	v_mov_b32_e32 v81, v86
	v_mov_b32_e32 v83, v84
	v_pk_add_f32 v[96:97], v[82:83], v[98:99] neg_lo:[0,1] neg_hi:[0,1]
	s_or_b64 vcc, vcc, s[6:7]
	v_sub_f32_e32 v71, v82, v96
	v_pk_add_f32 v[80:81], v[80:81], v[96:97] neg_lo:[0,1] neg_hi:[0,1]
	v_sub_f32_e32 v71, v98, v71
	v_add_f32_e32 v71, v80, v71
	v_add_f32_e32 v71, v71, v81
	;; [unrolled: 1-line block ×3, first 2 shown]
	v_cndmask_b32_e32 v71, v71, v112, vcc
	v_add_f32_e32 v71, v70, v71
.LBB499_262:
	s_or_b64 exec, exec, s[2:3]
	v_bfe_u32 v70, v71, 16, 1
	v_add3_u32 v70, v71, v70, s5
	v_lshrrev_b32_e32 v70, 16, v70
	v_cmp_o_f32_e32 vcc, v71, v71
	s_movk_i32 s4, 0x1f8
	s_nop 0
	v_cndmask_b32_e32 v69, v69, v70, vcc
	v_lshlrev_b32_e32 v80, 16, v69
	v_max_f32_e32 v70, v80, v80
	v_min_f32_e32 v71, v70, v133
	v_cmp_u_f32_e32 vcc, v80, v80
	v_max_f32_e32 v70, v70, v133
	s_nop 0
	v_cndmask_b32_e32 v71, v71, v80, vcc
	v_cndmask_b32_e32 v70, v70, v80, vcc
	v_cndmask_b32_e64 v71, v71, v129, s[46:47]
	v_cndmask_b32_e64 v70, v70, v129, s[46:47]
	v_cmp_neq_f32_e32 vcc, v71, v70
	v_cmp_class_f32_e64 s[2:3], v71, s4
	s_or_b64 s[6:7], vcc, s[2:3]
	s_and_saveexec_b64 s[2:3], s[6:7]
	s_cbranch_execz .LBB499_264
; %bb.263:
	v_sub_f32_e32 v71, v71, v70
	s_mov_b32 s5, 0x3fb8aa3b
	v_mul_f32_e32 v80, 0x3fb8aa3b, v71
	v_fma_f32 v81, v71, s5, -v80
	v_rndne_f32_e32 v82, v80
	v_fmamk_f32 v81, v71, 0x32a5705f, v81
	v_sub_f32_e32 v80, v80, v82
	v_add_f32_e32 v80, v80, v81
	v_exp_f32_e32 v80, v80
	v_cvt_i32_f32_e32 v81, v82
	s_mov_b32 s5, 0xc2ce8ed0
	v_cmp_ngt_f32_e32 vcc, s5, v71
	s_mov_b32 s5, 0x42b17218
	v_ldexp_f32 v80, v80, v81
	v_cndmask_b32_e32 v80, 0, v80, vcc
	v_mov_b32_e32 v81, 0x7f800000
	v_cmp_nlt_f32_e32 vcc, s5, v71
	s_mov_b32 s5, 0x3f2aaaab
	s_mov_b32 s6, 0x7f800000
	v_cndmask_b32_e32 v112, v81, v80, vcc
	v_add_f32_e32 v71, 1.0, v112
	v_add_f32_e32 v80, -1.0, v71
	v_sub_f32_e32 v81, v80, v71
	v_add_f32_e32 v81, 1.0, v81
	v_sub_f32_e32 v80, v112, v80
	v_add_f32_e32 v82, v80, v81
	v_frexp_mant_f32_e32 v83, v71
	v_cvt_f64_f32_e32 v[80:81], v71
	v_frexp_exp_i32_f64_e32 v80, v[80:81]
	v_cmp_gt_f32_e32 vcc, s5, v83
	s_mov_b32 s5, 0x3f317218
	s_nop 0
	v_subbrev_co_u32_e32 v96, vcc, 0, v80, vcc
	v_sub_u32_e32 v80, 0, v96
	v_ldexp_f32 v71, v71, v80
	v_ldexp_f32 v80, v82, v80
	v_add_f32_e32 v82, -1.0, v71
	v_add_f32_e32 v81, 1.0, v82
	v_sub_f32_e32 v81, v71, v81
	v_add_f32_e32 v83, v80, v81
	v_add_f32_e32 v81, 1.0, v71
	v_add_f32_e32 v84, -1.0, v81
	v_sub_f32_e32 v71, v71, v84
	v_add_f32_e32 v71, v80, v71
	v_add_f32_e32 v97, v81, v71
	v_rcp_f32_e32 v98, v97
	v_sub_f32_e32 v80, v81, v97
	v_add_f32_e32 v81, v82, v83
	v_add_f32_e32 v71, v71, v80
	v_mul_f32_e32 v100, v81, v98
	v_sub_f32_e32 v80, v82, v81
	v_mul_f32_e32 v82, v97, v100
	v_fma_f32 v84, v100, v97, -v82
	v_fmac_f32_e32 v84, v100, v71
	v_add_f32_e32 v99, v83, v80
	v_add_f32_e32 v80, v82, v84
	v_sub_f32_e32 v83, v81, v80
	v_pk_add_f32 v[86:87], v[80:81], v[82:83] neg_lo:[0,1] neg_hi:[0,1]
	v_mov_b32_e32 v85, v80
	v_pk_add_f32 v[80:81], v[86:87], v[84:85] neg_lo:[0,1] neg_hi:[0,1]
	v_cmp_eq_f32_e32 vcc, s6, v112
	v_add_f32_e32 v81, v99, v81
	v_add_f32_e32 v80, v80, v81
	;; [unrolled: 1-line block ×3, first 2 shown]
	v_mul_f32_e32 v99, v98, v81
	v_mul_f32_e32 v82, v97, v99
	v_fma_f32 v84, v99, v97, -v82
	v_fmac_f32_e32 v84, v99, v71
	v_sub_f32_e32 v71, v83, v81
	v_add_f32_e32 v71, v80, v71
	v_add_f32_e32 v80, v82, v84
	v_sub_f32_e32 v83, v81, v80
	v_pk_add_f32 v[86:87], v[80:81], v[82:83] neg_lo:[0,1] neg_hi:[0,1]
	v_mov_b32_e32 v85, v80
	v_pk_add_f32 v[80:81], v[86:87], v[84:85] neg_lo:[0,1] neg_hi:[0,1]
	v_cvt_f32_i32_e32 v82, v96
	v_add_f32_e32 v71, v71, v81
	v_add_f32_e32 v71, v80, v71
	;; [unrolled: 1-line block ×4, first 2 shown]
	v_sub_f32_e32 v81, v80, v100
	v_mul_f32_e32 v71, v98, v71
	v_sub_f32_e32 v81, v99, v81
	v_add_f32_e32 v71, v81, v71
	v_add_f32_e32 v83, v80, v71
	v_mul_f32_e32 v84, v83, v83
	v_mov_b32_e32 v81, 0x3ecc95a3
	v_fmac_f32_e32 v81, 0x3e9b6dac, v84
	v_sub_f32_e32 v80, v83, v80
	v_fmaak_f32 v81, v84, v81, 0x3f2aaada
	v_sub_f32_e32 v71, v71, v80
	v_ldexp_f32 v85, v83, 1
	v_mul_f32_e32 v83, v83, v84
	v_mov_b32_e32 v80, 0x3f317218
	v_pk_mul_f32 v[80:81], v[82:83], v[80:81]
	v_ldexp_f32 v71, v71, 1
	v_fma_f32 v83, v82, s5, -v80
	v_fmamk_f32 v84, v82, 0xb102e308, v83
	v_pk_add_f32 v[82:83], v[80:81], v[84:85]
	v_mov_b32_e32 v86, v80
	v_sub_f32_e32 v85, v83, v85
	v_sub_f32_e32 v85, v81, v85
	v_add_f32_e32 v87, v71, v85
	v_pk_add_f32 v[80:81], v[82:83], v[80:81] neg_lo:[0,1] neg_hi:[0,1]
	v_pk_add_f32 v[96:97], v[82:83], v[86:87]
	v_mov_b32_e32 v85, v82
	v_mov_b32_e32 v81, v97
	v_pk_add_f32 v[98:99], v[84:85], v[80:81] neg_lo:[0,1] neg_hi:[0,1]
	v_pk_add_f32 v[80:81], v[84:85], v[80:81]
	v_mov_b32_e32 v86, v87
	v_mov_b32_e32 v84, v81
	v_pk_add_f32 v[100:101], v[84:85], v[82:83] neg_lo:[0,1] neg_hi:[0,1]
	v_mov_b32_e32 v80, v97
	v_mov_b32_e32 v71, v100
	v_pk_add_f32 v[102:103], v[96:97], v[70:71] neg_lo:[0,1] neg_hi:[0,1]
	v_mov_b32_e32 v96, v83
	v_mov_b32_e32 v97, v100
	;; [unrolled: 1-line block ×3, first 2 shown]
	v_pk_add_f32 v[80:81], v[80:81], v[96:97] neg_lo:[0,1] neg_hi:[0,1]
	v_mov_b32_e32 v87, v82
	v_pk_add_f32 v[80:81], v[86:87], v[80:81] neg_lo:[0,1] neg_hi:[0,1]
	v_mov_b32_e32 v102, v98
	v_pk_add_f32 v[82:83], v[102:103], v[80:81]
	s_mov_b32 s5, 0x33800000
	v_mov_b32_e32 v86, v83
	v_pk_add_f32 v[86:87], v[82:83], v[86:87]
	v_cmp_lt_f32_e64 s[6:7], |v112|, s5
	v_pk_add_f32 v[84:85], v[84:85], v[86:87]
	v_mov_b32_e32 v81, v86
	v_mov_b32_e32 v83, v84
	v_pk_add_f32 v[96:97], v[82:83], v[98:99] neg_lo:[0,1] neg_hi:[0,1]
	s_or_b64 vcc, vcc, s[6:7]
	v_sub_f32_e32 v71, v82, v96
	v_pk_add_f32 v[80:81], v[80:81], v[96:97] neg_lo:[0,1] neg_hi:[0,1]
	v_sub_f32_e32 v71, v98, v71
	v_add_f32_e32 v71, v80, v71
	v_add_f32_e32 v71, v71, v81
	;; [unrolled: 1-line block ×3, first 2 shown]
	v_cndmask_b32_e32 v71, v71, v112, vcc
	v_add_f32_e32 v80, v70, v71
.LBB499_264:
	s_or_b64 exec, exec, s[2:3]
	v_bfe_u32 v70, v80, 16, 1
	s_movk_i32 s5, 0x7fff
	v_add3_u32 v70, v80, v70, s5
	v_lshrrev_b32_e32 v70, 16, v70
	v_mov_b32_e32 v71, 0x7fc0
	v_cmp_o_f32_e32 vcc, v80, v80
	s_nop 1
	v_cndmask_b32_e32 v70, v71, v70, vcc
	v_lshlrev_b32_e32 v81, 16, v70
	v_max_f32_e32 v80, v81, v81
	v_min_f32_e32 v82, v80, v134
	v_cmp_u_f32_e32 vcc, v81, v81
	v_max_f32_e32 v80, v80, v134
	s_nop 0
	v_cndmask_b32_e32 v82, v82, v81, vcc
	v_cndmask_b32_e32 v80, v80, v81, vcc
	v_cndmask_b32_e64 v82, v82, v130, s[48:49]
	v_cndmask_b32_e64 v80, v80, v130, s[48:49]
	v_cmp_neq_f32_e32 vcc, v82, v80
	v_cmp_class_f32_e64 s[2:3], v82, s4
	s_or_b64 s[6:7], vcc, s[2:3]
	s_and_saveexec_b64 s[2:3], s[6:7]
	s_cbranch_execz .LBB499_266
; %bb.265:
	v_sub_f32_e32 v81, v82, v80
	s_mov_b32 s4, 0x3fb8aa3b
	v_mul_f32_e32 v82, 0x3fb8aa3b, v81
	v_fma_f32 v83, v81, s4, -v82
	v_rndne_f32_e32 v84, v82
	v_fmamk_f32 v83, v81, 0x32a5705f, v83
	v_sub_f32_e32 v82, v82, v84
	v_add_f32_e32 v82, v82, v83
	v_exp_f32_e32 v82, v82
	v_cvt_i32_f32_e32 v83, v84
	s_mov_b32 s4, 0xc2ce8ed0
	v_cmp_ngt_f32_e32 vcc, s4, v81
	s_mov_b32 s4, 0x42b17218
	v_ldexp_f32 v82, v82, v83
	v_cndmask_b32_e32 v82, 0, v82, vcc
	v_mov_b32_e32 v83, 0x7f800000
	v_cmp_nlt_f32_e32 vcc, s4, v81
	s_mov_b32 s4, 0x3f2aaaab
	s_mov_b32 s6, 0x7f800000
	v_cndmask_b32_e32 v114, v83, v82, vcc
	v_add_f32_e32 v81, 1.0, v114
	v_add_f32_e32 v82, -1.0, v81
	v_sub_f32_e32 v83, v82, v81
	v_add_f32_e32 v83, 1.0, v83
	v_sub_f32_e32 v82, v114, v82
	v_add_f32_e32 v84, v82, v83
	v_frexp_mant_f32_e32 v85, v81
	v_cvt_f64_f32_e32 v[82:83], v81
	v_frexp_exp_i32_f64_e32 v82, v[82:83]
	v_cmp_gt_f32_e32 vcc, s4, v85
	s_mov_b32 s4, 0x3f317218
	s_nop 0
	v_subbrev_co_u32_e32 v98, vcc, 0, v82, vcc
	v_sub_u32_e32 v82, 0, v98
	v_ldexp_f32 v81, v81, v82
	v_ldexp_f32 v82, v84, v82
	v_add_f32_e32 v84, -1.0, v81
	v_add_f32_e32 v83, 1.0, v84
	v_sub_f32_e32 v83, v81, v83
	v_add_f32_e32 v85, v82, v83
	v_add_f32_e32 v83, 1.0, v81
	v_add_f32_e32 v86, -1.0, v83
	v_sub_f32_e32 v81, v81, v86
	v_add_f32_e32 v81, v82, v81
	v_add_f32_e32 v99, v83, v81
	v_rcp_f32_e32 v100, v99
	v_sub_f32_e32 v82, v83, v99
	v_add_f32_e32 v83, v84, v85
	v_add_f32_e32 v81, v81, v82
	v_mul_f32_e32 v102, v83, v100
	v_sub_f32_e32 v82, v84, v83
	v_mul_f32_e32 v84, v99, v102
	v_fma_f32 v86, v102, v99, -v84
	v_fmac_f32_e32 v86, v102, v81
	v_add_f32_e32 v101, v85, v82
	v_add_f32_e32 v82, v84, v86
	v_sub_f32_e32 v85, v83, v82
	v_pk_add_f32 v[96:97], v[82:83], v[84:85] neg_lo:[0,1] neg_hi:[0,1]
	v_mov_b32_e32 v87, v82
	v_pk_add_f32 v[82:83], v[96:97], v[86:87] neg_lo:[0,1] neg_hi:[0,1]
	v_cmp_eq_f32_e32 vcc, s6, v114
	v_add_f32_e32 v83, v101, v83
	v_add_f32_e32 v82, v82, v83
	;; [unrolled: 1-line block ×3, first 2 shown]
	v_mul_f32_e32 v101, v100, v83
	v_mul_f32_e32 v84, v99, v101
	v_fma_f32 v86, v101, v99, -v84
	v_fmac_f32_e32 v86, v101, v81
	v_sub_f32_e32 v81, v85, v83
	v_add_f32_e32 v81, v82, v81
	v_add_f32_e32 v82, v84, v86
	v_sub_f32_e32 v85, v83, v82
	v_pk_add_f32 v[96:97], v[82:83], v[84:85] neg_lo:[0,1] neg_hi:[0,1]
	v_mov_b32_e32 v87, v82
	v_pk_add_f32 v[82:83], v[96:97], v[86:87] neg_lo:[0,1] neg_hi:[0,1]
	v_cvt_f32_i32_e32 v84, v98
	v_add_f32_e32 v81, v81, v83
	v_add_f32_e32 v81, v82, v81
	;; [unrolled: 1-line block ×4, first 2 shown]
	v_sub_f32_e32 v83, v82, v102
	v_mul_f32_e32 v81, v100, v81
	v_sub_f32_e32 v83, v101, v83
	v_add_f32_e32 v81, v83, v81
	v_add_f32_e32 v85, v82, v81
	v_mul_f32_e32 v86, v85, v85
	v_mov_b32_e32 v83, 0x3ecc95a3
	v_fmac_f32_e32 v83, 0x3e9b6dac, v86
	v_sub_f32_e32 v82, v85, v82
	v_fmaak_f32 v83, v86, v83, 0x3f2aaada
	v_sub_f32_e32 v81, v81, v82
	v_ldexp_f32 v87, v85, 1
	v_mul_f32_e32 v85, v85, v86
	v_mov_b32_e32 v82, 0x3f317218
	v_pk_mul_f32 v[82:83], v[84:85], v[82:83]
	v_ldexp_f32 v81, v81, 1
	v_fma_f32 v85, v84, s4, -v82
	v_fmamk_f32 v86, v84, 0xb102e308, v85
	v_pk_add_f32 v[84:85], v[82:83], v[86:87]
	v_mov_b32_e32 v96, v82
	v_sub_f32_e32 v87, v85, v87
	v_sub_f32_e32 v87, v83, v87
	v_add_f32_e32 v97, v81, v87
	v_pk_add_f32 v[82:83], v[84:85], v[82:83] neg_lo:[0,1] neg_hi:[0,1]
	v_pk_add_f32 v[98:99], v[84:85], v[96:97]
	v_mov_b32_e32 v87, v84
	v_mov_b32_e32 v83, v99
	v_pk_add_f32 v[100:101], v[86:87], v[82:83] neg_lo:[0,1] neg_hi:[0,1]
	v_pk_add_f32 v[82:83], v[86:87], v[82:83]
	v_mov_b32_e32 v96, v97
	v_mov_b32_e32 v86, v83
	v_pk_add_f32 v[102:103], v[86:87], v[84:85] neg_lo:[0,1] neg_hi:[0,1]
	v_mov_b32_e32 v82, v99
	v_mov_b32_e32 v81, v102
	v_pk_add_f32 v[112:113], v[98:99], v[80:81] neg_lo:[0,1] neg_hi:[0,1]
	v_mov_b32_e32 v98, v85
	v_mov_b32_e32 v99, v102
	;; [unrolled: 1-line block ×3, first 2 shown]
	v_pk_add_f32 v[82:83], v[82:83], v[98:99] neg_lo:[0,1] neg_hi:[0,1]
	v_mov_b32_e32 v97, v84
	v_pk_add_f32 v[82:83], v[96:97], v[82:83] neg_lo:[0,1] neg_hi:[0,1]
	v_mov_b32_e32 v112, v100
	v_pk_add_f32 v[84:85], v[112:113], v[82:83]
	s_mov_b32 s4, 0x33800000
	v_mov_b32_e32 v96, v85
	v_pk_add_f32 v[96:97], v[84:85], v[96:97]
	v_cmp_lt_f32_e64 s[6:7], |v114|, s4
	v_pk_add_f32 v[86:87], v[86:87], v[96:97]
	v_mov_b32_e32 v83, v96
	v_mov_b32_e32 v85, v86
	v_pk_add_f32 v[98:99], v[84:85], v[100:101] neg_lo:[0,1] neg_hi:[0,1]
	s_or_b64 vcc, vcc, s[6:7]
	v_sub_f32_e32 v81, v84, v98
	v_pk_add_f32 v[82:83], v[82:83], v[98:99] neg_lo:[0,1] neg_hi:[0,1]
	v_sub_f32_e32 v81, v100, v81
	v_add_f32_e32 v81, v82, v81
	v_add_f32_e32 v81, v81, v83
	;; [unrolled: 1-line block ×3, first 2 shown]
	v_cndmask_b32_e32 v81, v81, v114, vcc
	v_add_f32_e32 v81, v80, v81
.LBB499_266:
	s_or_b64 exec, exec, s[2:3]
	v_bfe_u32 v80, v81, 16, 1
	v_add3_u32 v80, v81, v80, s5
	v_lshrrev_b32_e32 v80, 16, v80
	v_cmp_o_f32_e32 vcc, v81, v81
	s_nop 1
	v_cndmask_b32_e32 v71, v71, v80, vcc
	s_branch .LBB499_411
.LBB499_267:
                                        ; implicit-def: $vgpr11
                                        ; implicit-def: $vgpr32
                                        ; implicit-def: $vgpr33
                                        ; implicit-def: $vgpr34
                                        ; implicit-def: $vgpr35
                                        ; implicit-def: $vgpr36
                                        ; implicit-def: $vgpr37
                                        ; implicit-def: $vgpr39
                                        ; implicit-def: $vgpr38
                                        ; implicit-def: $vgpr50
                                        ; implicit-def: $vgpr49
                                        ; implicit-def: $vgpr51
                                        ; implicit-def: $vgpr52
                                        ; implicit-def: $vgpr53
                                        ; implicit-def: $vgpr54
                                        ; implicit-def: $vgpr55
                                        ; implicit-def: $vgpr64
                                        ; implicit-def: $vgpr65
                                        ; implicit-def: $vgpr66
                                        ; implicit-def: $vgpr67
                                        ; implicit-def: $vgpr68
                                        ; implicit-def: $vgpr69
                                        ; implicit-def: $vgpr70
                                        ; implicit-def: $vgpr71
	s_cbranch_execz .LBB499_411
; %bb.268:
	v_cmp_ne_u64_e64 s[2:3], 0, v[6:7]
	v_cmp_eq_u32_e64 s[4:5], 0, v0
	v_cmp_ne_u32_e32 vcc, 0, v0
	s_and_b64 s[2:3], s[4:5], s[2:3]
	v_mov_b32_e32 v11, v24
	s_and_saveexec_b64 s[4:5], s[2:3]
	s_cbranch_execz .LBB499_272
; %bb.269:
	flat_load_ushort v2, v[2:3]
	v_lshlrev_b32_e32 v7, 16, v24
	v_max_f32_e32 v6, v7, v7
	s_movk_i32 s6, 0x1f8
	s_waitcnt vmcnt(0) lgkmcnt(0)
	v_lshlrev_b32_e32 v3, 16, v2
	v_max_f32_e32 v2, v3, v3
	v_min_f32_e32 v11, v2, v6
	v_max_f32_e32 v2, v2, v6
	v_cmp_u_f32_e64 s[2:3], v3, v3
	s_nop 1
	v_cndmask_b32_e64 v6, v11, v3, s[2:3]
	v_cndmask_b32_e64 v2, v2, v3, s[2:3]
	v_cmp_u_f32_e64 s[2:3], v7, v7
	s_nop 1
	v_cndmask_b32_e64 v6, v6, v7, s[2:3]
	v_cndmask_b32_e64 v2, v2, v7, s[2:3]
	v_cmp_neq_f32_e64 s[2:3], v6, v2
	v_cmp_class_f32_e64 s[6:7], v6, s6
	s_or_b64 s[2:3], s[2:3], s[6:7]
	s_and_saveexec_b64 s[6:7], s[2:3]
	s_cbranch_execz .LBB499_271
; %bb.270:
	v_sub_f32_e32 v3, v6, v2
	s_mov_b32 s2, 0x3fb8aa3b
	v_mul_f32_e32 v6, 0x3fb8aa3b, v3
	v_fma_f32 v7, v3, s2, -v6
	v_rndne_f32_e32 v11, v6
	v_fmamk_f32 v7, v3, 0x32a5705f, v7
	v_sub_f32_e32 v6, v6, v11
	v_add_f32_e32 v6, v6, v7
	v_exp_f32_e32 v6, v6
	v_cvt_i32_f32_e32 v7, v11
	s_mov_b32 s2, 0xc2ce8ed0
	v_cmp_ngt_f32_e64 s[2:3], s2, v3
	s_mov_b32 s8, 0x7f800000
	v_ldexp_f32 v6, v6, v7
	v_cndmask_b32_e64 v6, 0, v6, s[2:3]
	s_mov_b32 s2, 0x42b17218
	v_mov_b32_e32 v7, 0x7f800000
	v_cmp_nlt_f32_e64 s[2:3], s2, v3
	s_nop 1
	v_cndmask_b32_e64 v11, v7, v6, s[2:3]
	v_add_f32_e32 v3, 1.0, v11
	v_add_f32_e32 v6, -1.0, v3
	v_sub_f32_e32 v7, v6, v3
	v_add_f32_e32 v7, 1.0, v7
	v_sub_f32_e32 v6, v11, v6
	v_add_f32_e32 v32, v6, v7
	v_frexp_mant_f32_e32 v33, v3
	s_mov_b32 s2, 0x3f2aaaab
	v_cvt_f64_f32_e32 v[6:7], v3
	v_frexp_exp_i32_f64_e32 v6, v[6:7]
	v_cmp_gt_f32_e64 s[2:3], s2, v33
	s_nop 1
	v_subbrev_co_u32_e64 v38, s[2:3], 0, v6, s[2:3]
	v_sub_u32_e32 v6, 0, v38
	v_ldexp_f32 v3, v3, v6
	v_ldexp_f32 v6, v32, v6
	v_add_f32_e32 v32, -1.0, v3
	v_add_f32_e32 v7, 1.0, v32
	v_sub_f32_e32 v7, v3, v7
	v_add_f32_e32 v33, v6, v7
	v_add_f32_e32 v7, 1.0, v3
	v_add_f32_e32 v34, -1.0, v7
	v_sub_f32_e32 v3, v3, v34
	v_add_f32_e32 v3, v6, v3
	v_add_f32_e32 v39, v7, v3
	v_rcp_f32_e32 v49, v39
	v_sub_f32_e32 v6, v7, v39
	v_add_f32_e32 v7, v32, v33
	v_add_f32_e32 v3, v3, v6
	v_mul_f32_e32 v51, v7, v49
	v_sub_f32_e32 v6, v32, v7
	v_mul_f32_e32 v32, v39, v51
	v_fma_f32 v34, v51, v39, -v32
	v_fmac_f32_e32 v34, v51, v3
	v_add_f32_e32 v50, v33, v6
	v_add_f32_e32 v6, v32, v34
	v_sub_f32_e32 v33, v7, v6
	v_pk_add_f32 v[36:37], v[6:7], v[32:33] neg_lo:[0,1] neg_hi:[0,1]
	v_mov_b32_e32 v35, v6
	v_pk_add_f32 v[6:7], v[36:37], v[34:35] neg_lo:[0,1] neg_hi:[0,1]
	s_mov_b32 s2, 0x3f317218
	v_add_f32_e32 v7, v50, v7
	v_add_f32_e32 v6, v6, v7
	;; [unrolled: 1-line block ×3, first 2 shown]
	v_mul_f32_e32 v50, v49, v7
	v_mul_f32_e32 v32, v39, v50
	v_fma_f32 v34, v50, v39, -v32
	v_fmac_f32_e32 v34, v50, v3
	v_sub_f32_e32 v3, v33, v7
	v_add_f32_e32 v3, v6, v3
	v_add_f32_e32 v6, v32, v34
	v_sub_f32_e32 v33, v7, v6
	v_pk_add_f32 v[36:37], v[6:7], v[32:33] neg_lo:[0,1] neg_hi:[0,1]
	v_mov_b32_e32 v35, v6
	v_pk_add_f32 v[6:7], v[36:37], v[34:35] neg_lo:[0,1] neg_hi:[0,1]
	v_cvt_f32_i32_e32 v32, v38
	v_add_f32_e32 v3, v3, v7
	v_add_f32_e32 v3, v6, v3
	v_add_f32_e32 v6, v51, v50
	v_add_f32_e32 v3, v33, v3
	v_sub_f32_e32 v7, v6, v51
	v_mul_f32_e32 v3, v49, v3
	v_sub_f32_e32 v7, v50, v7
	v_add_f32_e32 v3, v7, v3
	v_add_f32_e32 v33, v6, v3
	v_mul_f32_e32 v34, v33, v33
	v_mov_b32_e32 v7, 0x3ecc95a3
	v_fmac_f32_e32 v7, 0x3e9b6dac, v34
	v_sub_f32_e32 v6, v33, v6
	v_fmaak_f32 v7, v34, v7, 0x3f2aaada
	v_sub_f32_e32 v3, v3, v6
	v_ldexp_f32 v35, v33, 1
	v_mul_f32_e32 v33, v33, v34
	v_mov_b32_e32 v6, 0x3f317218
	v_pk_mul_f32 v[6:7], v[32:33], v[6:7]
	v_ldexp_f32 v3, v3, 1
	v_fma_f32 v33, v32, s2, -v6
	v_fmamk_f32 v34, v32, 0xb102e308, v33
	v_pk_add_f32 v[32:33], v[6:7], v[34:35]
	v_mov_b32_e32 v36, v6
	v_sub_f32_e32 v35, v33, v35
	v_sub_f32_e32 v35, v7, v35
	v_add_f32_e32 v37, v3, v35
	v_pk_add_f32 v[6:7], v[32:33], v[6:7] neg_lo:[0,1] neg_hi:[0,1]
	v_pk_add_f32 v[38:39], v[32:33], v[36:37]
	v_mov_b32_e32 v35, v32
	v_mov_b32_e32 v7, v39
	v_pk_add_f32 v[50:51], v[34:35], v[6:7] neg_lo:[0,1] neg_hi:[0,1]
	v_pk_add_f32 v[6:7], v[34:35], v[6:7]
	v_mov_b32_e32 v36, v37
	v_mov_b32_e32 v34, v7
	v_pk_add_f32 v[52:53], v[34:35], v[32:33] neg_lo:[0,1] neg_hi:[0,1]
	v_mov_b32_e32 v6, v39
	v_mov_b32_e32 v3, v52
	v_pk_add_f32 v[54:55], v[38:39], v[2:3] neg_lo:[0,1] neg_hi:[0,1]
	v_mov_b32_e32 v38, v33
	v_mov_b32_e32 v39, v52
	;; [unrolled: 1-line block ×3, first 2 shown]
	v_pk_add_f32 v[6:7], v[6:7], v[38:39] neg_lo:[0,1] neg_hi:[0,1]
	v_mov_b32_e32 v37, v32
	v_pk_add_f32 v[6:7], v[36:37], v[6:7] neg_lo:[0,1] neg_hi:[0,1]
	v_mov_b32_e32 v54, v50
	v_pk_add_f32 v[32:33], v[54:55], v[6:7]
	v_cmp_eq_f32_e64 s[2:3], s8, v11
	v_mov_b32_e32 v36, v33
	v_pk_add_f32 v[36:37], v[32:33], v[36:37]
	s_mov_b32 s8, 0x33800000
	v_pk_add_f32 v[34:35], v[34:35], v[36:37]
	v_mov_b32_e32 v7, v36
	v_mov_b32_e32 v33, v34
	v_pk_add_f32 v[38:39], v[32:33], v[50:51] neg_lo:[0,1] neg_hi:[0,1]
	v_cmp_lt_f32_e64 s[8:9], |v11|, s8
	v_sub_f32_e32 v3, v32, v38
	v_pk_add_f32 v[6:7], v[6:7], v[38:39] neg_lo:[0,1] neg_hi:[0,1]
	v_sub_f32_e32 v3, v50, v3
	v_add_f32_e32 v3, v6, v3
	v_add_f32_e32 v3, v3, v7
	;; [unrolled: 1-line block ×3, first 2 shown]
	s_or_b64 s[2:3], s[2:3], s[8:9]
	v_cndmask_b32_e64 v3, v3, v11, s[2:3]
	v_add_f32_e32 v3, v2, v3
.LBB499_271:
	s_or_b64 exec, exec, s[6:7]
	v_bfe_u32 v2, v3, 16, 1
	s_movk_i32 s2, 0x7fff
	v_add3_u32 v2, v3, v2, s2
	v_lshrrev_b32_e32 v2, 16, v2
	v_mov_b32_e32 v6, 0x7fc0
	v_cmp_o_f32_e64 s[2:3], v3, v3
	s_nop 1
	v_cndmask_b32_e64 v11, v6, v2, s[2:3]
.LBB499_272:
	s_or_b64 exec, exec, s[4:5]
	v_mov_b32_e32 v3, 16
	v_lshlrev_b32_e32 v33, 16, v11
	v_lshlrev_b32_sdwa v2, v3, v24 dst_sel:DWORD dst_unused:UNUSED_PAD src0_sel:DWORD src1_sel:WORD_1
	v_max_f32_e32 v32, v2, v2
	v_max_f32_e32 v97, v33, v33
	v_min_f32_e32 v96, v97, v32
	v_cmp_u_f32_e64 s[50:51], v33, v33
	v_cmp_u_f32_e64 s[2:3], v2, v2
	v_max_f32_e32 v98, v97, v32
	v_cndmask_b32_e64 v6, v96, v33, s[50:51]
	v_cndmask_b32_e64 v24, v6, v2, s[2:3]
	;; [unrolled: 1-line block ×4, first 2 shown]
	s_movk_i32 s8, 0x1f8
	v_cmp_neq_f32_e64 s[4:5], v24, v6
	v_cmp_class_f32_e64 s[6:7], v24, s8
	s_or_b64 s[4:5], s[4:5], s[6:7]
	v_mov_b32_e32 v7, v33
	s_and_saveexec_b64 s[6:7], s[4:5]
	s_cbranch_execz .LBB499_274
; %bb.273:
	v_sub_f32_e32 v7, v24, v6
	s_mov_b32 s4, 0x3fb8aa3b
	v_mul_f32_e32 v24, 0x3fb8aa3b, v7
	v_fma_f32 v34, v7, s4, -v24
	v_rndne_f32_e32 v35, v24
	v_fmamk_f32 v34, v7, 0x32a5705f, v34
	v_sub_f32_e32 v24, v24, v35
	v_add_f32_e32 v24, v24, v34
	v_exp_f32_e32 v24, v24
	v_cvt_i32_f32_e32 v34, v35
	s_mov_b32 s4, 0xc2ce8ed0
	v_cmp_ngt_f32_e64 s[4:5], s4, v7
	s_mov_b32 s9, 0x7f800000
	v_ldexp_f32 v24, v24, v34
	v_cndmask_b32_e64 v24, 0, v24, s[4:5]
	s_mov_b32 s4, 0x42b17218
	v_mov_b32_e32 v34, 0x7f800000
	v_cmp_nlt_f32_e64 s[4:5], s4, v7
	s_nop 1
	v_cndmask_b32_e64 v49, v34, v24, s[4:5]
	v_add_f32_e32 v7, 1.0, v49
	v_add_f32_e32 v24, -1.0, v7
	v_sub_f32_e32 v34, v24, v7
	v_add_f32_e32 v34, 1.0, v34
	v_sub_f32_e32 v24, v49, v24
	v_add_f32_e32 v24, v24, v34
	v_frexp_mant_f32_e32 v36, v7
	s_mov_b32 s4, 0x3f2aaaab
	v_cvt_f64_f32_e32 v[34:35], v7
	v_frexp_exp_i32_f64_e32 v34, v[34:35]
	v_cmp_gt_f32_e64 s[4:5], s4, v36
	s_nop 1
	v_subbrev_co_u32_e64 v52, s[4:5], 0, v34, s[4:5]
	v_sub_u32_e32 v34, 0, v52
	v_ldexp_f32 v7, v7, v34
	v_ldexp_f32 v24, v24, v34
	v_add_f32_e32 v34, -1.0, v7
	v_add_f32_e32 v35, 1.0, v34
	v_sub_f32_e32 v35, v7, v35
	v_add_f32_e32 v36, v24, v35
	v_add_f32_e32 v35, 1.0, v7
	v_add_f32_e32 v37, -1.0, v35
	v_sub_f32_e32 v7, v7, v37
	v_add_f32_e32 v7, v24, v7
	v_add_f32_e32 v24, v35, v7
	v_rcp_f32_e32 v53, v24
	v_sub_f32_e32 v35, v35, v24
	v_add_f32_e32 v7, v7, v35
	v_add_f32_e32 v35, v34, v36
	v_sub_f32_e32 v34, v34, v35
	v_mul_f32_e32 v55, v35, v53
	v_add_f32_e32 v54, v36, v34
	v_mul_f32_e32 v36, v24, v55
	v_fma_f32 v38, v55, v24, -v36
	v_fmac_f32_e32 v38, v55, v7
	v_add_f32_e32 v34, v36, v38
	v_sub_f32_e32 v37, v35, v34
	v_pk_add_f32 v[50:51], v[34:35], v[36:37] neg_lo:[0,1] neg_hi:[0,1]
	v_mov_b32_e32 v39, v34
	v_pk_add_f32 v[34:35], v[50:51], v[38:39] neg_lo:[0,1] neg_hi:[0,1]
	s_mov_b32 s4, 0x3f317218
	v_add_f32_e32 v35, v54, v35
	v_add_f32_e32 v34, v34, v35
	;; [unrolled: 1-line block ×3, first 2 shown]
	v_mul_f32_e32 v54, v53, v35
	v_mul_f32_e32 v36, v24, v54
	v_fma_f32 v38, v54, v24, -v36
	v_fmac_f32_e32 v38, v54, v7
	v_sub_f32_e32 v7, v37, v35
	v_add_f32_e32 v7, v34, v7
	v_add_f32_e32 v34, v36, v38
	v_sub_f32_e32 v37, v35, v34
	v_pk_add_f32 v[50:51], v[34:35], v[36:37] neg_lo:[0,1] neg_hi:[0,1]
	v_mov_b32_e32 v39, v34
	v_pk_add_f32 v[34:35], v[50:51], v[38:39] neg_lo:[0,1] neg_hi:[0,1]
	v_add_f32_e32 v24, v55, v54
	v_add_f32_e32 v7, v7, v35
	;; [unrolled: 1-line block ×4, first 2 shown]
	v_sub_f32_e32 v34, v24, v55
	v_mul_f32_e32 v7, v53, v7
	v_sub_f32_e32 v34, v54, v34
	v_add_f32_e32 v7, v34, v7
	v_add_f32_e32 v34, v24, v7
	v_cvt_f32_i32_e32 v36, v52
	v_mul_f32_e32 v37, v34, v34
	v_mov_b32_e32 v35, 0x3ecc95a3
	v_fmac_f32_e32 v35, 0x3e9b6dac, v37
	v_fmaak_f32 v35, v37, v35, 0x3f2aaada
	v_sub_f32_e32 v24, v34, v24
	v_ldexp_f32 v39, v34, 1
	v_mul_f32_e32 v37, v34, v37
	v_mov_b32_e32 v34, 0x3f317218
	v_pk_mul_f32 v[34:35], v[36:37], v[34:35]
	v_sub_f32_e32 v7, v7, v24
	v_fma_f32 v24, v36, s4, -v34
	v_fmamk_f32 v38, v36, 0xb102e308, v24
	v_pk_add_f32 v[36:37], v[34:35], v[38:39]
	v_ldexp_f32 v7, v7, 1
	v_sub_f32_e32 v24, v37, v39
	v_sub_f32_e32 v24, v35, v24
	v_add_f32_e32 v51, v7, v24
	v_mov_b32_e32 v50, v34
	v_pk_add_f32 v[34:35], v[36:37], v[34:35] neg_lo:[0,1] neg_hi:[0,1]
	v_pk_add_f32 v[52:53], v[36:37], v[50:51]
	v_mov_b32_e32 v39, v36
	v_mov_b32_e32 v35, v53
	v_pk_add_f32 v[54:55], v[38:39], v[34:35] neg_lo:[0,1] neg_hi:[0,1]
	v_pk_add_f32 v[34:35], v[38:39], v[34:35]
	v_cmp_eq_f32_e64 s[4:5], s9, v49
	v_mov_b32_e32 v24, v35
	v_pk_add_f32 v[38:39], v[24:25], v[36:37] neg_lo:[0,1] neg_hi:[0,1]
	v_mov_b32_e32 v34, v53
	v_mov_b32_e32 v7, v38
	v_pk_add_f32 v[64:65], v[52:53], v[6:7] neg_lo:[0,1] neg_hi:[0,1]
	v_mov_b32_e32 v52, v37
	v_mov_b32_e32 v53, v38
	;; [unrolled: 1-line block ×3, first 2 shown]
	v_pk_add_f32 v[34:35], v[34:35], v[52:53] neg_lo:[0,1] neg_hi:[0,1]
	v_mov_b32_e32 v38, v51
	v_mov_b32_e32 v39, v36
	v_pk_add_f32 v[34:35], v[38:39], v[34:35] neg_lo:[0,1] neg_hi:[0,1]
	v_mov_b32_e32 v64, v54
	v_pk_add_f32 v[36:37], v[64:65], v[34:35]
	s_mov_b32 s9, 0x33800000
	v_mov_b32_e32 v38, v37
	v_pk_add_f32 v[38:39], v[36:37], v[38:39]
	v_cmp_lt_f32_e64 s[10:11], |v49|, s9
	v_pk_add_f32 v[50:51], v[24:25], v[38:39]
	v_mov_b32_e32 v35, v38
	v_mov_b32_e32 v37, v50
	v_pk_add_f32 v[52:53], v[36:37], v[54:55] neg_lo:[0,1] neg_hi:[0,1]
	s_or_b64 s[4:5], s[4:5], s[10:11]
	v_sub_f32_e32 v7, v36, v52
	v_pk_add_f32 v[34:35], v[34:35], v[52:53] neg_lo:[0,1] neg_hi:[0,1]
	v_sub_f32_e32 v7, v54, v7
	v_add_f32_e32 v7, v34, v7
	v_add_f32_e32 v7, v7, v35
	;; [unrolled: 1-line block ×3, first 2 shown]
	v_cndmask_b32_e64 v7, v7, v49, s[4:5]
	v_add_f32_e32 v7, v6, v7
.LBB499_274:
	s_or_b64 exec, exec, s[6:7]
	v_bfe_u32 v6, v7, 16, 1
	s_movk_i32 s10, 0x7fff
	v_add3_u32 v6, v7, v6, s10
	v_and_b32_e32 v24, 0xffff0000, v6
	v_mov_b32_e32 v6, 0x7fc00000
	v_cmp_o_f32_e64 s[4:5], v7, v7
	v_lshlrev_b32_sdwa v3, v3, v25 dst_sel:DWORD dst_unused:UNUSED_PAD src0_sel:DWORD src1_sel:WORD_0
	s_nop 0
	v_cndmask_b32_e64 v34, v6, v24, s[4:5]
	v_max_f32_e32 v7, v34, v34
	v_max_f32_e32 v24, v3, v3
	v_min_f32_e32 v35, v7, v24
	v_cmp_u_f32_e64 s[6:7], v34, v34
	v_max_f32_e32 v7, v7, v24
	v_cmp_u_f32_e64 s[4:5], v3, v3
	v_cndmask_b32_e64 v35, v35, v34, s[6:7]
	v_cndmask_b32_e64 v7, v7, v34, s[6:7]
	v_cndmask_b32_e64 v35, v35, v3, s[4:5]
	v_cndmask_b32_e64 v7, v7, v3, s[4:5]
	v_cmp_neq_f32_e64 s[6:7], v35, v7
	v_cmp_class_f32_e64 s[8:9], v35, s8
	s_or_b64 s[6:7], s[6:7], s[8:9]
	s_and_saveexec_b64 s[8:9], s[6:7]
	s_cbranch_execz .LBB499_276
; %bb.275:
	v_sub_f32_e32 v34, v35, v7
	s_mov_b32 s6, 0x3fb8aa3b
	v_mul_f32_e32 v35, 0x3fb8aa3b, v34
	v_fma_f32 v36, v34, s6, -v35
	v_rndne_f32_e32 v37, v35
	v_fmamk_f32 v36, v34, 0x32a5705f, v36
	v_sub_f32_e32 v35, v35, v37
	v_add_f32_e32 v35, v35, v36
	v_exp_f32_e32 v35, v35
	v_cvt_i32_f32_e32 v36, v37
	s_mov_b32 s6, 0xc2ce8ed0
	v_cmp_ngt_f32_e64 s[6:7], s6, v34
	s_mov_b32 s11, 0x7f800000
	v_ldexp_f32 v35, v35, v36
	v_cndmask_b32_e64 v35, 0, v35, s[6:7]
	s_mov_b32 s6, 0x42b17218
	v_mov_b32_e32 v36, 0x7f800000
	v_cmp_nlt_f32_e64 s[6:7], s6, v34
	s_nop 1
	v_cndmask_b32_e64 v49, v36, v35, s[6:7]
	v_add_f32_e32 v36, 1.0, v49
	v_add_f32_e32 v34, -1.0, v36
	v_sub_f32_e32 v35, v34, v36
	v_add_f32_e32 v35, 1.0, v35
	v_sub_f32_e32 v34, v49, v34
	v_add_f32_e32 v37, v34, v35
	v_frexp_mant_f32_e32 v38, v36
	s_mov_b32 s6, 0x3f2aaaab
	v_cvt_f64_f32_e32 v[34:35], v36
	v_frexp_exp_i32_f64_e32 v34, v[34:35]
	v_cmp_gt_f32_e64 s[6:7], s6, v38
	s_nop 1
	v_subbrev_co_u32_e64 v52, s[6:7], 0, v34, s[6:7]
	v_sub_u32_e32 v34, 0, v52
	v_ldexp_f32 v35, v36, v34
	v_add_f32_e32 v36, -1.0, v35
	v_add_f32_e32 v38, 1.0, v35
	v_ldexp_f32 v34, v37, v34
	v_add_f32_e32 v37, 1.0, v36
	v_add_f32_e32 v39, -1.0, v38
	v_sub_f32_e32 v37, v35, v37
	v_sub_f32_e32 v35, v35, v39
	v_add_f32_e32 v37, v34, v37
	v_add_f32_e32 v34, v34, v35
	;; [unrolled: 1-line block ×3, first 2 shown]
	v_rcp_f32_e32 v55, v53
	v_sub_f32_e32 v35, v38, v53
	v_add_f32_e32 v54, v34, v35
	v_add_f32_e32 v35, v36, v37
	v_mul_f32_e32 v65, v35, v55
	v_sub_f32_e32 v34, v36, v35
	v_mul_f32_e32 v36, v53, v65
	v_fma_f32 v38, v65, v53, -v36
	v_fmac_f32_e32 v38, v65, v54
	v_add_f32_e32 v64, v37, v34
	v_add_f32_e32 v34, v36, v38
	v_sub_f32_e32 v37, v35, v34
	v_pk_add_f32 v[50:51], v[34:35], v[36:37] neg_lo:[0,1] neg_hi:[0,1]
	v_mov_b32_e32 v39, v34
	v_pk_add_f32 v[34:35], v[50:51], v[38:39] neg_lo:[0,1] neg_hi:[0,1]
	s_mov_b32 s6, 0x3f317218
	v_add_f32_e32 v35, v64, v35
	v_add_f32_e32 v34, v34, v35
	;; [unrolled: 1-line block ×3, first 2 shown]
	v_mul_f32_e32 v64, v55, v35
	v_mul_f32_e32 v36, v53, v64
	v_fma_f32 v38, v64, v53, -v36
	v_fmac_f32_e32 v38, v64, v54
	v_sub_f32_e32 v37, v37, v35
	v_add_f32_e32 v53, v34, v37
	v_add_f32_e32 v34, v36, v38
	v_sub_f32_e32 v37, v35, v34
	v_pk_add_f32 v[50:51], v[34:35], v[36:37] neg_lo:[0,1] neg_hi:[0,1]
	v_mov_b32_e32 v39, v34
	v_pk_add_f32 v[34:35], v[50:51], v[38:39] neg_lo:[0,1] neg_hi:[0,1]
	v_cvt_f32_i32_e32 v36, v52
	v_add_f32_e32 v35, v53, v35
	v_add_f32_e32 v34, v34, v35
	;; [unrolled: 1-line block ×4, first 2 shown]
	v_sub_f32_e32 v35, v37, v65
	v_mul_f32_e32 v34, v55, v34
	v_sub_f32_e32 v35, v64, v35
	v_add_f32_e32 v34, v35, v34
	v_add_f32_e32 v38, v37, v34
	v_mul_f32_e32 v50, v38, v38
	v_mov_b32_e32 v35, 0x3ecc95a3
	v_sub_f32_e32 v37, v38, v37
	v_fmac_f32_e32 v35, 0x3e9b6dac, v50
	v_sub_f32_e32 v34, v34, v37
	v_fmaak_f32 v35, v50, v35, 0x3f2aaada
	v_ldexp_f32 v51, v34, 1
	v_mul_f32_e32 v37, v38, v50
	v_mov_b32_e32 v34, 0x3f317218
	v_pk_mul_f32 v[34:35], v[36:37], v[34:35]
	v_ldexp_f32 v39, v38, 1
	v_fma_f32 v37, v36, s6, -v34
	v_fmamk_f32 v38, v36, 0xb102e308, v37
	v_pk_add_f32 v[36:37], v[34:35], v[38:39]
	v_mov_b32_e32 v50, v34
	v_sub_f32_e32 v39, v37, v39
	v_sub_f32_e32 v39, v35, v39
	v_add_f32_e32 v51, v51, v39
	v_pk_add_f32 v[34:35], v[36:37], v[34:35] neg_lo:[0,1] neg_hi:[0,1]
	v_pk_add_f32 v[52:53], v[36:37], v[50:51]
	v_mov_b32_e32 v39, v36
	v_mov_b32_e32 v35, v53
	v_pk_add_f32 v[54:55], v[38:39], v[34:35] neg_lo:[0,1] neg_hi:[0,1]
	v_pk_add_f32 v[34:35], v[38:39], v[34:35]
	v_mov_b32_e32 v50, v51
	v_mov_b32_e32 v38, v35
	v_pk_add_f32 v[64:65], v[38:39], v[36:37] neg_lo:[0,1] neg_hi:[0,1]
	v_mov_b32_e32 v34, v53
	v_mov_b32_e32 v39, v64
	v_pk_add_f32 v[66:67], v[52:53], v[38:39] neg_lo:[0,1] neg_hi:[0,1]
	v_mov_b32_e32 v52, v37
	v_mov_b32_e32 v53, v64
	;; [unrolled: 1-line block ×3, first 2 shown]
	v_pk_add_f32 v[34:35], v[34:35], v[52:53] neg_lo:[0,1] neg_hi:[0,1]
	v_mov_b32_e32 v51, v36
	v_pk_add_f32 v[34:35], v[50:51], v[34:35] neg_lo:[0,1] neg_hi:[0,1]
	v_mov_b32_e32 v66, v54
	v_pk_add_f32 v[36:37], v[66:67], v[34:35]
	v_cmp_eq_f32_e64 s[6:7], s11, v49
	v_mov_b32_e32 v50, v37
	v_pk_add_f32 v[50:51], v[36:37], v[50:51]
	s_mov_b32 s11, 0x33800000
	v_pk_add_f32 v[38:39], v[38:39], v[50:51]
	v_mov_b32_e32 v35, v50
	v_mov_b32_e32 v37, v38
	v_pk_add_f32 v[52:53], v[36:37], v[54:55] neg_lo:[0,1] neg_hi:[0,1]
	v_cmp_lt_f32_e64 s[12:13], |v49|, s11
	v_sub_f32_e32 v36, v36, v52
	v_pk_add_f32 v[34:35], v[34:35], v[52:53] neg_lo:[0,1] neg_hi:[0,1]
	v_sub_f32_e32 v36, v54, v36
	v_add_f32_e32 v34, v34, v36
	v_add_f32_e32 v34, v34, v35
	;; [unrolled: 1-line block ×3, first 2 shown]
	s_or_b64 s[6:7], s[6:7], s[12:13]
	v_cndmask_b32_e64 v34, v34, v49, s[6:7]
	v_add_f32_e32 v34, v7, v34
.LBB499_276:
	s_or_b64 exec, exec, s[8:9]
	v_bfe_u32 v7, v34, 16, 1
	v_add3_u32 v7, v34, v7, s10
	v_and_b32_e32 v7, 0xffff0000, v7
	v_cmp_o_f32_e64 s[6:7], v34, v34
	s_movk_i32 s12, 0x1f8
	s_nop 0
	v_cndmask_b32_e64 v35, v6, v7, s[6:7]
	v_mov_b32_e32 v7, 16
	v_lshlrev_b32_sdwa v6, v7, v25 dst_sel:DWORD dst_unused:UNUSED_PAD src0_sel:DWORD src1_sel:WORD_1
	v_max_f32_e32 v25, v35, v35
	v_max_f32_e32 v34, v6, v6
	v_min_f32_e32 v36, v25, v34
	v_cmp_u_f32_e64 s[8:9], v35, v35
	v_max_f32_e32 v25, v25, v34
	v_cmp_u_f32_e64 s[6:7], v6, v6
	v_cndmask_b32_e64 v36, v36, v35, s[8:9]
	v_cndmask_b32_e64 v25, v25, v35, s[8:9]
	;; [unrolled: 1-line block ×4, first 2 shown]
	v_cmp_neq_f32_e64 s[8:9], v36, v25
	v_cmp_class_f32_e64 s[10:11], v36, s12
	s_or_b64 s[8:9], s[8:9], s[10:11]
	s_and_saveexec_b64 s[10:11], s[8:9]
	s_cbranch_execz .LBB499_278
; %bb.277:
	v_sub_f32_e32 v35, v36, v25
	s_mov_b32 s8, 0x3fb8aa3b
	v_mul_f32_e32 v36, 0x3fb8aa3b, v35
	v_fma_f32 v37, v35, s8, -v36
	v_rndne_f32_e32 v38, v36
	v_fmamk_f32 v37, v35, 0x32a5705f, v37
	v_sub_f32_e32 v36, v36, v38
	v_add_f32_e32 v36, v36, v37
	v_exp_f32_e32 v36, v36
	v_cvt_i32_f32_e32 v37, v38
	s_mov_b32 s8, 0xc2ce8ed0
	v_cmp_ngt_f32_e64 s[8:9], s8, v35
	s_mov_b32 s13, 0x7f800000
	v_ldexp_f32 v36, v36, v37
	v_cndmask_b32_e64 v36, 0, v36, s[8:9]
	s_mov_b32 s8, 0x42b17218
	v_mov_b32_e32 v37, 0x7f800000
	v_cmp_nlt_f32_e64 s[8:9], s8, v35
	s_nop 1
	v_cndmask_b32_e64 v49, v37, v36, s[8:9]
	v_add_f32_e32 v35, 1.0, v49
	v_add_f32_e32 v36, -1.0, v35
	v_sub_f32_e32 v37, v36, v35
	v_add_f32_e32 v37, 1.0, v37
	v_sub_f32_e32 v36, v49, v36
	v_add_f32_e32 v38, v36, v37
	v_frexp_mant_f32_e32 v39, v35
	s_mov_b32 s8, 0x3f2aaaab
	v_cvt_f64_f32_e32 v[36:37], v35
	v_frexp_exp_i32_f64_e32 v36, v[36:37]
	v_cmp_gt_f32_e64 s[8:9], s8, v39
	s_nop 1
	v_subbrev_co_u32_e64 v54, s[8:9], 0, v36, s[8:9]
	v_sub_u32_e32 v36, 0, v54
	v_ldexp_f32 v35, v35, v36
	v_ldexp_f32 v36, v38, v36
	v_add_f32_e32 v38, -1.0, v35
	v_add_f32_e32 v37, 1.0, v38
	v_sub_f32_e32 v37, v35, v37
	v_add_f32_e32 v39, v36, v37
	v_add_f32_e32 v37, 1.0, v35
	v_add_f32_e32 v50, -1.0, v37
	v_sub_f32_e32 v35, v35, v50
	v_add_f32_e32 v35, v36, v35
	v_add_f32_e32 v55, v37, v35
	v_rcp_f32_e32 v64, v55
	v_sub_f32_e32 v36, v37, v55
	v_add_f32_e32 v37, v38, v39
	v_add_f32_e32 v35, v35, v36
	v_mul_f32_e32 v66, v37, v64
	v_sub_f32_e32 v36, v38, v37
	v_mul_f32_e32 v38, v55, v66
	v_fma_f32 v50, v66, v55, -v38
	v_fmac_f32_e32 v50, v66, v35
	v_add_f32_e32 v65, v39, v36
	v_add_f32_e32 v36, v38, v50
	v_sub_f32_e32 v39, v37, v36
	v_pk_add_f32 v[52:53], v[36:37], v[38:39] neg_lo:[0,1] neg_hi:[0,1]
	v_mov_b32_e32 v51, v36
	v_pk_add_f32 v[36:37], v[52:53], v[50:51] neg_lo:[0,1] neg_hi:[0,1]
	s_mov_b32 s8, 0x3f317218
	v_add_f32_e32 v37, v65, v37
	v_add_f32_e32 v36, v36, v37
	;; [unrolled: 1-line block ×3, first 2 shown]
	v_mul_f32_e32 v65, v64, v37
	v_mul_f32_e32 v38, v55, v65
	v_fma_f32 v50, v65, v55, -v38
	v_fmac_f32_e32 v50, v65, v35
	v_sub_f32_e32 v35, v39, v37
	v_add_f32_e32 v35, v36, v35
	v_add_f32_e32 v36, v38, v50
	v_sub_f32_e32 v39, v37, v36
	v_pk_add_f32 v[52:53], v[36:37], v[38:39] neg_lo:[0,1] neg_hi:[0,1]
	v_mov_b32_e32 v51, v36
	v_pk_add_f32 v[36:37], v[52:53], v[50:51] neg_lo:[0,1] neg_hi:[0,1]
	v_cvt_f32_i32_e32 v38, v54
	v_add_f32_e32 v35, v35, v37
	v_add_f32_e32 v35, v36, v35
	;; [unrolled: 1-line block ×4, first 2 shown]
	v_sub_f32_e32 v37, v36, v66
	v_mul_f32_e32 v35, v64, v35
	v_sub_f32_e32 v37, v65, v37
	v_add_f32_e32 v35, v37, v35
	v_add_f32_e32 v39, v36, v35
	v_mul_f32_e32 v50, v39, v39
	v_mov_b32_e32 v37, 0x3ecc95a3
	v_fmac_f32_e32 v37, 0x3e9b6dac, v50
	v_sub_f32_e32 v36, v39, v36
	v_fmaak_f32 v37, v50, v37, 0x3f2aaada
	v_sub_f32_e32 v35, v35, v36
	v_ldexp_f32 v51, v39, 1
	v_mul_f32_e32 v39, v39, v50
	v_mov_b32_e32 v36, 0x3f317218
	v_pk_mul_f32 v[36:37], v[38:39], v[36:37]
	v_ldexp_f32 v35, v35, 1
	v_fma_f32 v39, v38, s8, -v36
	v_fmamk_f32 v50, v38, 0xb102e308, v39
	v_pk_add_f32 v[38:39], v[36:37], v[50:51]
	v_mov_b32_e32 v52, v36
	v_sub_f32_e32 v51, v39, v51
	v_sub_f32_e32 v51, v37, v51
	v_add_f32_e32 v53, v35, v51
	v_pk_add_f32 v[36:37], v[38:39], v[36:37] neg_lo:[0,1] neg_hi:[0,1]
	v_pk_add_f32 v[54:55], v[38:39], v[52:53]
	v_mov_b32_e32 v51, v38
	v_mov_b32_e32 v37, v55
	v_pk_add_f32 v[64:65], v[50:51], v[36:37] neg_lo:[0,1] neg_hi:[0,1]
	v_pk_add_f32 v[36:37], v[50:51], v[36:37]
	v_mov_b32_e32 v52, v53
	v_mov_b32_e32 v50, v37
	v_pk_add_f32 v[66:67], v[50:51], v[38:39] neg_lo:[0,1] neg_hi:[0,1]
	v_mov_b32_e32 v36, v55
	v_mov_b32_e32 v35, v66
	v_pk_add_f32 v[68:69], v[54:55], v[34:35] neg_lo:[0,1] neg_hi:[0,1]
	v_mov_b32_e32 v54, v39
	v_mov_b32_e32 v55, v66
	;; [unrolled: 1-line block ×3, first 2 shown]
	v_pk_add_f32 v[36:37], v[36:37], v[54:55] neg_lo:[0,1] neg_hi:[0,1]
	v_mov_b32_e32 v53, v38
	v_pk_add_f32 v[36:37], v[52:53], v[36:37] neg_lo:[0,1] neg_hi:[0,1]
	v_mov_b32_e32 v68, v64
	v_pk_add_f32 v[38:39], v[68:69], v[36:37]
	v_cmp_eq_f32_e64 s[8:9], s13, v49
	v_mov_b32_e32 v52, v39
	v_pk_add_f32 v[52:53], v[38:39], v[52:53]
	s_mov_b32 s13, 0x33800000
	v_pk_add_f32 v[50:51], v[50:51], v[52:53]
	v_mov_b32_e32 v37, v52
	v_mov_b32_e32 v39, v50
	v_pk_add_f32 v[54:55], v[38:39], v[64:65] neg_lo:[0,1] neg_hi:[0,1]
	v_cmp_lt_f32_e64 s[14:15], |v49|, s13
	v_sub_f32_e32 v35, v38, v54
	v_pk_add_f32 v[36:37], v[36:37], v[54:55] neg_lo:[0,1] neg_hi:[0,1]
	v_sub_f32_e32 v35, v64, v35
	v_add_f32_e32 v35, v36, v35
	v_add_f32_e32 v35, v35, v37
	;; [unrolled: 1-line block ×3, first 2 shown]
	s_or_b64 s[8:9], s[8:9], s[14:15]
	v_cndmask_b32_e64 v35, v35, v49, s[8:9]
	v_add_f32_e32 v35, v25, v35
.LBB499_278:
	s_or_b64 exec, exec, s[10:11]
	v_bfe_u32 v25, v35, 16, 1
	s_movk_i32 s14, 0x7fff
	v_add3_u32 v25, v35, v25, s14
	v_and_b32_e32 v36, 0xffff0000, v25
	v_mov_b32_e32 v25, 0x7fc00000
	v_cmp_o_f32_e64 s[8:9], v35, v35
	v_lshlrev_b32_sdwa v7, v7, v26 dst_sel:DWORD dst_unused:UNUSED_PAD src0_sel:DWORD src1_sel:WORD_0
	v_max_f32_e32 v35, v7, v7
	v_cndmask_b32_e64 v37, v25, v36, s[8:9]
	v_max_f32_e32 v36, v37, v37
	v_min_f32_e32 v38, v36, v35
	v_cmp_u_f32_e64 s[10:11], v37, v37
	v_max_f32_e32 v36, v36, v35
	v_cmp_u_f32_e64 s[8:9], v7, v7
	v_cndmask_b32_e64 v38, v38, v37, s[10:11]
	v_cndmask_b32_e64 v36, v36, v37, s[10:11]
	;; [unrolled: 1-line block ×4, first 2 shown]
	v_cmp_neq_f32_e64 s[10:11], v38, v36
	v_cmp_class_f32_e64 s[12:13], v38, s12
	s_or_b64 s[10:11], s[10:11], s[12:13]
	s_and_saveexec_b64 s[12:13], s[10:11]
	s_cbranch_execz .LBB499_280
; %bb.279:
	v_sub_f32_e32 v37, v38, v36
	s_mov_b32 s10, 0x3fb8aa3b
	v_mul_f32_e32 v38, 0x3fb8aa3b, v37
	v_fma_f32 v39, v37, s10, -v38
	v_rndne_f32_e32 v49, v38
	v_fmamk_f32 v39, v37, 0x32a5705f, v39
	v_sub_f32_e32 v38, v38, v49
	v_add_f32_e32 v38, v38, v39
	v_exp_f32_e32 v38, v38
	v_cvt_i32_f32_e32 v39, v49
	s_mov_b32 s10, 0xc2ce8ed0
	v_cmp_ngt_f32_e64 s[10:11], s10, v37
	s_mov_b32 s15, 0x7f800000
	v_ldexp_f32 v38, v38, v39
	v_cndmask_b32_e64 v38, 0, v38, s[10:11]
	s_mov_b32 s10, 0x42b17218
	v_mov_b32_e32 v39, 0x7f800000
	v_cmp_nlt_f32_e64 s[10:11], s10, v37
	s_nop 1
	v_cndmask_b32_e64 v49, v39, v38, s[10:11]
	v_add_f32_e32 v37, 1.0, v49
	v_add_f32_e32 v38, -1.0, v37
	v_sub_f32_e32 v39, v38, v37
	v_add_f32_e32 v39, 1.0, v39
	v_sub_f32_e32 v38, v49, v38
	v_add_f32_e32 v50, v38, v39
	v_frexp_mant_f32_e32 v51, v37
	s_mov_b32 s10, 0x3f2aaaab
	v_cvt_f64_f32_e32 v[38:39], v37
	v_frexp_exp_i32_f64_e32 v38, v[38:39]
	v_cmp_gt_f32_e64 s[10:11], s10, v51
	s_nop 1
	v_subbrev_co_u32_e64 v64, s[10:11], 0, v38, s[10:11]
	v_sub_u32_e32 v38, 0, v64
	v_ldexp_f32 v37, v37, v38
	v_ldexp_f32 v38, v50, v38
	v_add_f32_e32 v50, -1.0, v37
	v_add_f32_e32 v39, 1.0, v50
	v_sub_f32_e32 v39, v37, v39
	v_add_f32_e32 v51, v38, v39
	v_add_f32_e32 v39, 1.0, v37
	v_add_f32_e32 v52, -1.0, v39
	v_sub_f32_e32 v37, v37, v52
	v_add_f32_e32 v37, v38, v37
	v_add_f32_e32 v65, v39, v37
	v_rcp_f32_e32 v66, v65
	v_sub_f32_e32 v38, v39, v65
	v_add_f32_e32 v39, v50, v51
	v_add_f32_e32 v37, v37, v38
	v_mul_f32_e32 v68, v39, v66
	v_sub_f32_e32 v38, v50, v39
	v_mul_f32_e32 v50, v65, v68
	v_fma_f32 v52, v68, v65, -v50
	v_fmac_f32_e32 v52, v68, v37
	v_add_f32_e32 v67, v51, v38
	v_add_f32_e32 v38, v50, v52
	v_sub_f32_e32 v51, v39, v38
	v_pk_add_f32 v[54:55], v[38:39], v[50:51] neg_lo:[0,1] neg_hi:[0,1]
	v_mov_b32_e32 v53, v38
	v_pk_add_f32 v[38:39], v[54:55], v[52:53] neg_lo:[0,1] neg_hi:[0,1]
	s_mov_b32 s10, 0x3f317218
	v_add_f32_e32 v39, v67, v39
	v_add_f32_e32 v38, v38, v39
	v_add_f32_e32 v39, v51, v38
	v_mul_f32_e32 v67, v66, v39
	v_mul_f32_e32 v50, v65, v67
	v_fma_f32 v52, v67, v65, -v50
	v_fmac_f32_e32 v52, v67, v37
	v_sub_f32_e32 v37, v51, v39
	v_add_f32_e32 v37, v38, v37
	v_add_f32_e32 v38, v50, v52
	v_sub_f32_e32 v51, v39, v38
	v_pk_add_f32 v[54:55], v[38:39], v[50:51] neg_lo:[0,1] neg_hi:[0,1]
	v_mov_b32_e32 v53, v38
	v_pk_add_f32 v[38:39], v[54:55], v[52:53] neg_lo:[0,1] neg_hi:[0,1]
	v_cvt_f32_i32_e32 v50, v64
	v_add_f32_e32 v37, v37, v39
	v_add_f32_e32 v37, v38, v37
	v_add_f32_e32 v38, v68, v67
	v_add_f32_e32 v37, v51, v37
	v_sub_f32_e32 v39, v38, v68
	v_mul_f32_e32 v37, v66, v37
	v_sub_f32_e32 v39, v67, v39
	v_add_f32_e32 v37, v39, v37
	v_add_f32_e32 v51, v38, v37
	v_mul_f32_e32 v52, v51, v51
	v_mov_b32_e32 v39, 0x3ecc95a3
	v_fmac_f32_e32 v39, 0x3e9b6dac, v52
	v_sub_f32_e32 v38, v51, v38
	v_fmaak_f32 v39, v52, v39, 0x3f2aaada
	v_sub_f32_e32 v37, v37, v38
	v_ldexp_f32 v53, v51, 1
	v_mul_f32_e32 v51, v51, v52
	v_mov_b32_e32 v38, 0x3f317218
	v_pk_mul_f32 v[38:39], v[50:51], v[38:39]
	v_ldexp_f32 v37, v37, 1
	v_fma_f32 v51, v50, s10, -v38
	v_fmamk_f32 v52, v50, 0xb102e308, v51
	v_pk_add_f32 v[50:51], v[38:39], v[52:53]
	v_mov_b32_e32 v54, v38
	v_sub_f32_e32 v53, v51, v53
	v_sub_f32_e32 v53, v39, v53
	v_add_f32_e32 v55, v37, v53
	v_pk_add_f32 v[38:39], v[50:51], v[38:39] neg_lo:[0,1] neg_hi:[0,1]
	v_pk_add_f32 v[64:65], v[50:51], v[54:55]
	v_mov_b32_e32 v53, v50
	v_mov_b32_e32 v39, v65
	v_pk_add_f32 v[66:67], v[52:53], v[38:39] neg_lo:[0,1] neg_hi:[0,1]
	v_pk_add_f32 v[38:39], v[52:53], v[38:39]
	v_mov_b32_e32 v54, v55
	v_mov_b32_e32 v52, v39
	v_pk_add_f32 v[68:69], v[52:53], v[50:51] neg_lo:[0,1] neg_hi:[0,1]
	v_mov_b32_e32 v38, v65
	v_mov_b32_e32 v37, v68
	v_pk_add_f32 v[70:71], v[64:65], v[36:37] neg_lo:[0,1] neg_hi:[0,1]
	v_mov_b32_e32 v64, v51
	v_mov_b32_e32 v65, v68
	;; [unrolled: 1-line block ×3, first 2 shown]
	v_pk_add_f32 v[38:39], v[38:39], v[64:65] neg_lo:[0,1] neg_hi:[0,1]
	v_mov_b32_e32 v55, v50
	v_pk_add_f32 v[38:39], v[54:55], v[38:39] neg_lo:[0,1] neg_hi:[0,1]
	v_mov_b32_e32 v70, v66
	v_pk_add_f32 v[50:51], v[70:71], v[38:39]
	v_cmp_eq_f32_e64 s[10:11], s15, v49
	v_mov_b32_e32 v54, v51
	v_pk_add_f32 v[54:55], v[50:51], v[54:55]
	s_mov_b32 s15, 0x33800000
	v_pk_add_f32 v[52:53], v[52:53], v[54:55]
	v_mov_b32_e32 v39, v54
	v_mov_b32_e32 v51, v52
	v_pk_add_f32 v[64:65], v[50:51], v[66:67] neg_lo:[0,1] neg_hi:[0,1]
	v_cmp_lt_f32_e64 s[16:17], |v49|, s15
	v_sub_f32_e32 v37, v50, v64
	v_pk_add_f32 v[38:39], v[38:39], v[64:65] neg_lo:[0,1] neg_hi:[0,1]
	v_sub_f32_e32 v37, v66, v37
	v_add_f32_e32 v37, v38, v37
	v_add_f32_e32 v37, v37, v39
	;; [unrolled: 1-line block ×3, first 2 shown]
	s_or_b64 s[10:11], s[10:11], s[16:17]
	v_cndmask_b32_e64 v37, v37, v49, s[10:11]
	v_add_f32_e32 v37, v36, v37
.LBB499_280:
	s_or_b64 exec, exec, s[12:13]
	v_bfe_u32 v36, v37, 16, 1
	v_add3_u32 v36, v37, v36, s14
	v_and_b32_e32 v36, 0xffff0000, v36
	v_cmp_o_f32_e64 s[10:11], v37, v37
	v_mov_b32_e32 v37, 16
	s_movk_i32 s16, 0x1f8
	v_cndmask_b32_e64 v39, v25, v36, s[10:11]
	v_lshlrev_b32_sdwa v25, v37, v26 dst_sel:DWORD dst_unused:UNUSED_PAD src0_sel:DWORD src1_sel:WORD_1
	v_max_f32_e32 v26, v39, v39
	v_max_f32_e32 v36, v25, v25
	v_min_f32_e32 v38, v26, v36
	v_cmp_u_f32_e64 s[12:13], v39, v39
	v_max_f32_e32 v26, v26, v36
	v_cmp_u_f32_e64 s[10:11], v25, v25
	v_cndmask_b32_e64 v38, v38, v39, s[12:13]
	v_cndmask_b32_e64 v26, v26, v39, s[12:13]
	;; [unrolled: 1-line block ×4, first 2 shown]
	v_cmp_neq_f32_e64 s[12:13], v38, v26
	v_cmp_class_f32_e64 s[14:15], v38, s16
	s_or_b64 s[12:13], s[12:13], s[14:15]
	s_and_saveexec_b64 s[14:15], s[12:13]
	s_cbranch_execz .LBB499_282
; %bb.281:
	v_sub_f32_e32 v38, v38, v26
	s_mov_b32 s12, 0x3fb8aa3b
	v_mul_f32_e32 v39, 0x3fb8aa3b, v38
	v_fma_f32 v49, v38, s12, -v39
	v_rndne_f32_e32 v50, v39
	v_fmamk_f32 v49, v38, 0x32a5705f, v49
	v_sub_f32_e32 v39, v39, v50
	v_add_f32_e32 v39, v39, v49
	v_exp_f32_e32 v39, v39
	v_cvt_i32_f32_e32 v49, v50
	s_mov_b32 s12, 0xc2ce8ed0
	v_cmp_ngt_f32_e64 s[12:13], s12, v38
	s_mov_b32 s17, 0x7f800000
	v_ldexp_f32 v39, v39, v49
	v_cndmask_b32_e64 v39, 0, v39, s[12:13]
	s_mov_b32 s12, 0x42b17218
	v_mov_b32_e32 v49, 0x7f800000
	v_cmp_nlt_f32_e64 s[12:13], s12, v38
	s_nop 1
	v_cndmask_b32_e64 v80, v49, v39, s[12:13]
	v_add_f32_e32 v49, 1.0, v80
	v_add_f32_e32 v38, -1.0, v49
	v_sub_f32_e32 v39, v38, v49
	v_add_f32_e32 v39, 1.0, v39
	v_sub_f32_e32 v38, v80, v38
	v_add_f32_e32 v50, v38, v39
	v_frexp_mant_f32_e32 v51, v49
	s_mov_b32 s12, 0x3f2aaaab
	v_cvt_f64_f32_e32 v[38:39], v49
	v_frexp_exp_i32_f64_e32 v38, v[38:39]
	v_cmp_gt_f32_e64 s[12:13], s12, v51
	s_nop 1
	v_subbrev_co_u32_e64 v64, s[12:13], 0, v38, s[12:13]
	v_sub_u32_e32 v38, 0, v64
	v_ldexp_f32 v39, v49, v38
	v_add_f32_e32 v49, -1.0, v39
	v_add_f32_e32 v51, 1.0, v39
	v_ldexp_f32 v38, v50, v38
	v_add_f32_e32 v50, 1.0, v49
	v_add_f32_e32 v52, -1.0, v51
	v_sub_f32_e32 v50, v39, v50
	v_sub_f32_e32 v39, v39, v52
	v_add_f32_e32 v50, v38, v50
	v_add_f32_e32 v38, v38, v39
	v_add_f32_e32 v65, v51, v38
	v_rcp_f32_e32 v67, v65
	v_sub_f32_e32 v39, v51, v65
	v_add_f32_e32 v66, v38, v39
	v_add_f32_e32 v39, v49, v50
	v_sub_f32_e32 v38, v49, v39
	v_mul_f32_e32 v68, v39, v67
	v_add_f32_e32 v49, v50, v38
	v_mul_f32_e32 v50, v65, v68
	v_fma_f32 v52, v68, v65, -v50
	v_fmac_f32_e32 v52, v68, v66
	v_add_f32_e32 v38, v50, v52
	v_sub_f32_e32 v51, v39, v38
	v_pk_add_f32 v[54:55], v[38:39], v[50:51] neg_lo:[0,1] neg_hi:[0,1]
	v_mov_b32_e32 v53, v38
	v_pk_add_f32 v[38:39], v[54:55], v[52:53] neg_lo:[0,1] neg_hi:[0,1]
	s_mov_b32 s12, 0x3f317218
	v_add_f32_e32 v39, v49, v39
	v_add_f32_e32 v38, v38, v39
	;; [unrolled: 1-line block ×3, first 2 shown]
	v_mul_f32_e32 v49, v67, v39
	v_mul_f32_e32 v50, v65, v49
	v_fma_f32 v52, v49, v65, -v50
	v_fmac_f32_e32 v52, v49, v66
	v_sub_f32_e32 v51, v51, v39
	v_add_f32_e32 v65, v38, v51
	v_add_f32_e32 v38, v50, v52
	v_sub_f32_e32 v51, v39, v38
	v_pk_add_f32 v[54:55], v[38:39], v[50:51] neg_lo:[0,1] neg_hi:[0,1]
	v_mov_b32_e32 v53, v38
	v_pk_add_f32 v[38:39], v[54:55], v[52:53] neg_lo:[0,1] neg_hi:[0,1]
	v_cvt_f32_i32_e32 v50, v64
	v_add_f32_e32 v39, v65, v39
	v_add_f32_e32 v38, v38, v39
	;; [unrolled: 1-line block ×4, first 2 shown]
	v_sub_f32_e32 v39, v51, v68
	v_mul_f32_e32 v38, v67, v38
	v_sub_f32_e32 v39, v49, v39
	v_add_f32_e32 v38, v39, v38
	v_add_f32_e32 v49, v51, v38
	v_mul_f32_e32 v52, v49, v49
	v_mov_b32_e32 v39, 0x3ecc95a3
	v_sub_f32_e32 v51, v49, v51
	v_fmac_f32_e32 v39, 0x3e9b6dac, v52
	v_sub_f32_e32 v38, v38, v51
	v_fmaak_f32 v39, v52, v39, 0x3f2aaada
	v_ldexp_f32 v54, v38, 1
	v_mul_f32_e32 v51, v49, v52
	v_mov_b32_e32 v38, 0x3f317218
	v_pk_mul_f32 v[38:39], v[50:51], v[38:39]
	v_ldexp_f32 v53, v49, 1
	v_fma_f32 v49, v50, s12, -v38
	v_fmamk_f32 v52, v50, 0xb102e308, v49
	v_pk_add_f32 v[50:51], v[38:39], v[52:53]
	v_cmp_eq_f32_e64 s[12:13], s17, v80
	v_sub_f32_e32 v49, v51, v53
	v_sub_f32_e32 v49, v39, v49
	v_add_f32_e32 v55, v54, v49
	v_mov_b32_e32 v54, v38
	v_pk_add_f32 v[38:39], v[50:51], v[38:39] neg_lo:[0,1] neg_hi:[0,1]
	v_pk_add_f32 v[64:65], v[50:51], v[54:55]
	v_mov_b32_e32 v53, v50
	v_mov_b32_e32 v39, v65
	v_pk_add_f32 v[66:67], v[52:53], v[38:39] neg_lo:[0,1] neg_hi:[0,1]
	v_pk_add_f32 v[38:39], v[52:53], v[38:39]
	v_mov_b32_e32 v54, v55
	v_mov_b32_e32 v52, v39
	v_pk_add_f32 v[68:69], v[52:53], v[50:51] neg_lo:[0,1] neg_hi:[0,1]
	v_mov_b32_e32 v38, v65
	v_mov_b32_e32 v49, v68
	v_pk_add_f32 v[70:71], v[64:65], v[48:49] neg_lo:[0,1] neg_hi:[0,1]
	v_mov_b32_e32 v64, v51
	v_mov_b32_e32 v65, v68
	v_mov_b32_e32 v67, v39
	v_pk_add_f32 v[38:39], v[38:39], v[64:65] neg_lo:[0,1] neg_hi:[0,1]
	v_mov_b32_e32 v55, v50
	v_pk_add_f32 v[38:39], v[54:55], v[38:39] neg_lo:[0,1] neg_hi:[0,1]
	v_mov_b32_e32 v70, v66
	v_pk_add_f32 v[50:51], v[70:71], v[38:39]
	s_mov_b32 s17, 0x33800000
	v_mov_b32_e32 v54, v51
	v_pk_add_f32 v[54:55], v[50:51], v[54:55]
	v_cmp_lt_f32_e64 s[18:19], |v80|, s17
	v_pk_add_f32 v[52:53], v[52:53], v[54:55]
	v_mov_b32_e32 v39, v54
	v_mov_b32_e32 v51, v52
	v_pk_add_f32 v[64:65], v[50:51], v[66:67] neg_lo:[0,1] neg_hi:[0,1]
	s_or_b64 s[12:13], s[12:13], s[18:19]
	v_sub_f32_e32 v49, v50, v64
	v_pk_add_f32 v[38:39], v[38:39], v[64:65] neg_lo:[0,1] neg_hi:[0,1]
	v_sub_f32_e32 v49, v66, v49
	v_add_f32_e32 v38, v38, v49
	v_add_f32_e32 v38, v38, v39
	;; [unrolled: 1-line block ×3, first 2 shown]
	v_cndmask_b32_e64 v38, v38, v80, s[12:13]
	v_add_f32_e32 v39, v26, v38
.LBB499_282:
	s_or_b64 exec, exec, s[14:15]
	v_bfe_u32 v26, v39, 16, 1
	s_movk_i32 s18, 0x7fff
	v_add3_u32 v26, v39, v26, s18
	v_and_b32_e32 v26, 0xffff0000, v26
	v_mov_b32_e32 v38, 0x7fc00000
	v_cmp_o_f32_e64 s[12:13], v39, v39
	s_nop 1
	v_cndmask_b32_e64 v49, v38, v26, s[12:13]
	v_lshlrev_b32_sdwa v26, v37, v27 dst_sel:DWORD dst_unused:UNUSED_PAD src0_sel:DWORD src1_sel:WORD_0
	v_max_f32_e32 v39, v49, v49
	v_max_f32_e32 v37, v26, v26
	v_min_f32_e32 v50, v39, v37
	v_cmp_u_f32_e64 s[14:15], v49, v49
	v_max_f32_e32 v39, v39, v37
	v_cmp_u_f32_e64 s[12:13], v26, v26
	v_cndmask_b32_e64 v50, v50, v49, s[14:15]
	v_cndmask_b32_e64 v39, v39, v49, s[14:15]
	;; [unrolled: 1-line block ×4, first 2 shown]
	v_cmp_neq_f32_e64 s[14:15], v50, v39
	v_cmp_class_f32_e64 s[16:17], v50, s16
	s_or_b64 s[14:15], s[14:15], s[16:17]
	s_and_saveexec_b64 s[16:17], s[14:15]
	s_cbranch_execz .LBB499_284
; %bb.283:
	v_sub_f32_e32 v49, v50, v39
	s_mov_b32 s14, 0x3fb8aa3b
	v_mul_f32_e32 v50, 0x3fb8aa3b, v49
	v_fma_f32 v51, v49, s14, -v50
	v_rndne_f32_e32 v52, v50
	v_fmamk_f32 v51, v49, 0x32a5705f, v51
	v_sub_f32_e32 v50, v50, v52
	v_add_f32_e32 v50, v50, v51
	v_exp_f32_e32 v50, v50
	v_cvt_i32_f32_e32 v51, v52
	s_mov_b32 s14, 0xc2ce8ed0
	v_cmp_ngt_f32_e64 s[14:15], s14, v49
	s_mov_b32 s19, 0x7f800000
	v_ldexp_f32 v50, v50, v51
	v_cndmask_b32_e64 v50, 0, v50, s[14:15]
	s_mov_b32 s14, 0x42b17218
	v_mov_b32_e32 v51, 0x7f800000
	v_cmp_nlt_f32_e64 s[14:15], s14, v49
	s_nop 1
	v_cndmask_b32_e64 v82, v51, v50, s[14:15]
	v_add_f32_e32 v49, 1.0, v82
	v_add_f32_e32 v50, -1.0, v49
	v_sub_f32_e32 v51, v50, v49
	v_add_f32_e32 v51, 1.0, v51
	v_sub_f32_e32 v50, v82, v50
	v_add_f32_e32 v52, v50, v51
	v_frexp_mant_f32_e32 v53, v49
	s_mov_b32 s14, 0x3f2aaaab
	v_cvt_f64_f32_e32 v[50:51], v49
	v_frexp_exp_i32_f64_e32 v50, v[50:51]
	v_cmp_gt_f32_e64 s[14:15], s14, v53
	s_nop 1
	v_subbrev_co_u32_e64 v66, s[14:15], 0, v50, s[14:15]
	v_sub_u32_e32 v50, 0, v66
	v_ldexp_f32 v49, v49, v50
	v_ldexp_f32 v50, v52, v50
	v_add_f32_e32 v52, -1.0, v49
	v_add_f32_e32 v51, 1.0, v52
	v_sub_f32_e32 v51, v49, v51
	v_add_f32_e32 v53, v50, v51
	v_add_f32_e32 v51, 1.0, v49
	v_add_f32_e32 v54, -1.0, v51
	v_sub_f32_e32 v49, v49, v54
	v_add_f32_e32 v49, v50, v49
	v_add_f32_e32 v67, v51, v49
	v_rcp_f32_e32 v68, v67
	v_sub_f32_e32 v50, v51, v67
	v_add_f32_e32 v51, v52, v53
	v_add_f32_e32 v49, v49, v50
	v_mul_f32_e32 v70, v51, v68
	v_sub_f32_e32 v50, v52, v51
	v_mul_f32_e32 v52, v67, v70
	v_fma_f32 v54, v70, v67, -v52
	v_fmac_f32_e32 v54, v70, v49
	v_add_f32_e32 v69, v53, v50
	v_add_f32_e32 v50, v52, v54
	v_sub_f32_e32 v53, v51, v50
	v_pk_add_f32 v[64:65], v[50:51], v[52:53] neg_lo:[0,1] neg_hi:[0,1]
	v_mov_b32_e32 v55, v50
	v_pk_add_f32 v[50:51], v[64:65], v[54:55] neg_lo:[0,1] neg_hi:[0,1]
	s_mov_b32 s14, 0x3f317218
	v_add_f32_e32 v51, v69, v51
	v_add_f32_e32 v50, v50, v51
	;; [unrolled: 1-line block ×3, first 2 shown]
	v_mul_f32_e32 v69, v68, v51
	v_mul_f32_e32 v52, v67, v69
	v_fma_f32 v54, v69, v67, -v52
	v_fmac_f32_e32 v54, v69, v49
	v_sub_f32_e32 v49, v53, v51
	v_add_f32_e32 v49, v50, v49
	v_add_f32_e32 v50, v52, v54
	v_sub_f32_e32 v53, v51, v50
	v_pk_add_f32 v[64:65], v[50:51], v[52:53] neg_lo:[0,1] neg_hi:[0,1]
	v_mov_b32_e32 v55, v50
	v_pk_add_f32 v[50:51], v[64:65], v[54:55] neg_lo:[0,1] neg_hi:[0,1]
	v_cvt_f32_i32_e32 v52, v66
	v_add_f32_e32 v49, v49, v51
	v_add_f32_e32 v49, v50, v49
	;; [unrolled: 1-line block ×4, first 2 shown]
	v_sub_f32_e32 v51, v50, v70
	v_mul_f32_e32 v49, v68, v49
	v_sub_f32_e32 v51, v69, v51
	v_add_f32_e32 v49, v51, v49
	v_add_f32_e32 v53, v50, v49
	v_mul_f32_e32 v54, v53, v53
	v_mov_b32_e32 v51, 0x3ecc95a3
	v_fmac_f32_e32 v51, 0x3e9b6dac, v54
	v_sub_f32_e32 v50, v53, v50
	v_fmaak_f32 v51, v54, v51, 0x3f2aaada
	v_sub_f32_e32 v49, v49, v50
	v_ldexp_f32 v55, v53, 1
	v_mul_f32_e32 v53, v53, v54
	v_mov_b32_e32 v50, 0x3f317218
	v_pk_mul_f32 v[50:51], v[52:53], v[50:51]
	v_ldexp_f32 v49, v49, 1
	v_fma_f32 v53, v52, s14, -v50
	v_fmamk_f32 v54, v52, 0xb102e308, v53
	v_pk_add_f32 v[52:53], v[50:51], v[54:55]
	v_mov_b32_e32 v64, v50
	v_sub_f32_e32 v55, v53, v55
	v_sub_f32_e32 v55, v51, v55
	v_add_f32_e32 v65, v49, v55
	v_pk_add_f32 v[50:51], v[52:53], v[50:51] neg_lo:[0,1] neg_hi:[0,1]
	v_pk_add_f32 v[66:67], v[52:53], v[64:65]
	v_mov_b32_e32 v55, v52
	v_mov_b32_e32 v51, v67
	v_pk_add_f32 v[68:69], v[54:55], v[50:51] neg_lo:[0,1] neg_hi:[0,1]
	v_pk_add_f32 v[50:51], v[54:55], v[50:51]
	v_mov_b32_e32 v64, v65
	v_mov_b32_e32 v54, v51
	v_pk_add_f32 v[70:71], v[54:55], v[52:53] neg_lo:[0,1] neg_hi:[0,1]
	v_mov_b32_e32 v50, v67
	v_mov_b32_e32 v49, v70
	v_pk_add_f32 v[80:81], v[66:67], v[48:49] neg_lo:[0,1] neg_hi:[0,1]
	v_mov_b32_e32 v66, v53
	v_mov_b32_e32 v67, v70
	v_mov_b32_e32 v69, v51
	v_pk_add_f32 v[50:51], v[50:51], v[66:67] neg_lo:[0,1] neg_hi:[0,1]
	v_mov_b32_e32 v65, v52
	v_pk_add_f32 v[50:51], v[64:65], v[50:51] neg_lo:[0,1] neg_hi:[0,1]
	v_mov_b32_e32 v80, v68
	v_pk_add_f32 v[52:53], v[80:81], v[50:51]
	v_cmp_eq_f32_e64 s[14:15], s19, v82
	v_mov_b32_e32 v64, v53
	v_pk_add_f32 v[64:65], v[52:53], v[64:65]
	s_mov_b32 s19, 0x33800000
	v_pk_add_f32 v[54:55], v[54:55], v[64:65]
	v_mov_b32_e32 v51, v64
	v_mov_b32_e32 v53, v54
	v_pk_add_f32 v[66:67], v[52:53], v[68:69] neg_lo:[0,1] neg_hi:[0,1]
	v_cmp_lt_f32_e64 s[20:21], |v82|, s19
	v_sub_f32_e32 v49, v52, v66
	v_pk_add_f32 v[50:51], v[50:51], v[66:67] neg_lo:[0,1] neg_hi:[0,1]
	v_sub_f32_e32 v49, v68, v49
	v_add_f32_e32 v49, v50, v49
	v_add_f32_e32 v49, v49, v51
	;; [unrolled: 1-line block ×3, first 2 shown]
	s_or_b64 s[14:15], s[14:15], s[20:21]
	v_cndmask_b32_e64 v49, v49, v82, s[14:15]
	v_add_f32_e32 v49, v39, v49
.LBB499_284:
	s_or_b64 exec, exec, s[16:17]
	v_bfe_u32 v39, v49, 16, 1
	v_add3_u32 v39, v49, v39, s18
	v_and_b32_e32 v39, 0xffff0000, v39
	v_cmp_o_f32_e64 s[14:15], v49, v49
	s_movk_i32 s20, 0x1f8
	s_nop 0
	v_cndmask_b32_e64 v50, v38, v39, s[14:15]
	v_mov_b32_e32 v38, 16
	v_lshlrev_b32_sdwa v27, v38, v27 dst_sel:DWORD dst_unused:UNUSED_PAD src0_sel:DWORD src1_sel:WORD_1
	v_max_f32_e32 v49, v50, v50
	v_max_f32_e32 v39, v27, v27
	v_min_f32_e32 v51, v49, v39
	v_cmp_u_f32_e64 s[16:17], v50, v50
	v_max_f32_e32 v49, v49, v39
	v_cmp_u_f32_e64 s[14:15], v27, v27
	v_cndmask_b32_e64 v51, v51, v50, s[16:17]
	v_cndmask_b32_e64 v49, v49, v50, s[16:17]
	;; [unrolled: 1-line block ×4, first 2 shown]
	v_cmp_neq_f32_e64 s[16:17], v51, v49
	v_cmp_class_f32_e64 s[18:19], v51, s20
	s_or_b64 s[16:17], s[16:17], s[18:19]
	s_and_saveexec_b64 s[18:19], s[16:17]
	s_cbranch_execz .LBB499_286
; %bb.285:
	v_sub_f32_e32 v50, v51, v49
	s_mov_b32 s16, 0x3fb8aa3b
	v_mul_f32_e32 v51, 0x3fb8aa3b, v50
	v_fma_f32 v52, v50, s16, -v51
	v_rndne_f32_e32 v53, v51
	v_fmamk_f32 v52, v50, 0x32a5705f, v52
	v_sub_f32_e32 v51, v51, v53
	v_add_f32_e32 v51, v51, v52
	v_exp_f32_e32 v51, v51
	v_cvt_i32_f32_e32 v52, v53
	s_mov_b32 s16, 0xc2ce8ed0
	v_cmp_ngt_f32_e64 s[16:17], s16, v50
	s_mov_b32 s21, 0x7f800000
	v_ldexp_f32 v51, v51, v52
	v_cndmask_b32_e64 v51, 0, v51, s[16:17]
	s_mov_b32 s16, 0x42b17218
	v_mov_b32_e32 v52, 0x7f800000
	v_cmp_nlt_f32_e64 s[16:17], s16, v50
	s_nop 1
	v_cndmask_b32_e64 v82, v52, v51, s[16:17]
	v_add_f32_e32 v52, 1.0, v82
	v_add_f32_e32 v50, -1.0, v52
	v_sub_f32_e32 v51, v50, v52
	v_add_f32_e32 v51, 1.0, v51
	v_sub_f32_e32 v50, v82, v50
	v_add_f32_e32 v53, v50, v51
	v_frexp_mant_f32_e32 v54, v52
	s_mov_b32 s16, 0x3f2aaaab
	v_cvt_f64_f32_e32 v[50:51], v52
	v_frexp_exp_i32_f64_e32 v50, v[50:51]
	v_cmp_gt_f32_e64 s[16:17], s16, v54
	s_nop 1
	v_subbrev_co_u32_e64 v66, s[16:17], 0, v50, s[16:17]
	v_sub_u32_e32 v50, 0, v66
	v_ldexp_f32 v51, v52, v50
	v_add_f32_e32 v52, -1.0, v51
	v_add_f32_e32 v54, 1.0, v51
	v_ldexp_f32 v50, v53, v50
	v_add_f32_e32 v53, 1.0, v52
	v_add_f32_e32 v55, -1.0, v54
	v_sub_f32_e32 v53, v51, v53
	v_sub_f32_e32 v51, v51, v55
	v_add_f32_e32 v53, v50, v53
	v_add_f32_e32 v50, v50, v51
	;; [unrolled: 1-line block ×3, first 2 shown]
	v_rcp_f32_e32 v69, v67
	v_sub_f32_e32 v51, v54, v67
	v_add_f32_e32 v68, v50, v51
	v_add_f32_e32 v51, v52, v53
	v_mul_f32_e32 v71, v51, v69
	v_sub_f32_e32 v50, v52, v51
	v_mul_f32_e32 v52, v67, v71
	v_fma_f32 v54, v71, v67, -v52
	v_fmac_f32_e32 v54, v71, v68
	v_add_f32_e32 v70, v53, v50
	v_add_f32_e32 v50, v52, v54
	v_sub_f32_e32 v53, v51, v50
	v_pk_add_f32 v[64:65], v[50:51], v[52:53] neg_lo:[0,1] neg_hi:[0,1]
	v_mov_b32_e32 v55, v50
	v_pk_add_f32 v[50:51], v[64:65], v[54:55] neg_lo:[0,1] neg_hi:[0,1]
	s_mov_b32 s16, 0x3f317218
	v_add_f32_e32 v51, v70, v51
	v_add_f32_e32 v50, v50, v51
	;; [unrolled: 1-line block ×3, first 2 shown]
	v_mul_f32_e32 v70, v69, v51
	v_mul_f32_e32 v52, v67, v70
	v_fma_f32 v54, v70, v67, -v52
	v_fmac_f32_e32 v54, v70, v68
	v_sub_f32_e32 v53, v53, v51
	v_add_f32_e32 v67, v50, v53
	v_add_f32_e32 v50, v52, v54
	v_sub_f32_e32 v53, v51, v50
	v_pk_add_f32 v[64:65], v[50:51], v[52:53] neg_lo:[0,1] neg_hi:[0,1]
	v_mov_b32_e32 v55, v50
	v_pk_add_f32 v[50:51], v[64:65], v[54:55] neg_lo:[0,1] neg_hi:[0,1]
	v_cvt_f32_i32_e32 v52, v66
	v_add_f32_e32 v51, v67, v51
	v_add_f32_e32 v50, v50, v51
	;; [unrolled: 1-line block ×4, first 2 shown]
	v_sub_f32_e32 v51, v53, v71
	v_mul_f32_e32 v50, v69, v50
	v_sub_f32_e32 v51, v70, v51
	v_add_f32_e32 v50, v51, v50
	v_add_f32_e32 v54, v53, v50
	v_mul_f32_e32 v64, v54, v54
	v_mov_b32_e32 v51, 0x3ecc95a3
	v_sub_f32_e32 v53, v54, v53
	v_fmac_f32_e32 v51, 0x3e9b6dac, v64
	v_sub_f32_e32 v50, v50, v53
	v_fmaak_f32 v51, v64, v51, 0x3f2aaada
	v_ldexp_f32 v65, v50, 1
	v_mul_f32_e32 v53, v54, v64
	v_mov_b32_e32 v50, 0x3f317218
	v_pk_mul_f32 v[50:51], v[52:53], v[50:51]
	v_ldexp_f32 v55, v54, 1
	v_fma_f32 v53, v52, s16, -v50
	v_fmamk_f32 v54, v52, 0xb102e308, v53
	v_pk_add_f32 v[52:53], v[50:51], v[54:55]
	v_mov_b32_e32 v64, v50
	v_sub_f32_e32 v55, v53, v55
	v_sub_f32_e32 v55, v51, v55
	v_add_f32_e32 v65, v65, v55
	v_pk_add_f32 v[50:51], v[52:53], v[50:51] neg_lo:[0,1] neg_hi:[0,1]
	v_pk_add_f32 v[66:67], v[52:53], v[64:65]
	v_mov_b32_e32 v55, v52
	v_mov_b32_e32 v51, v67
	v_pk_add_f32 v[68:69], v[54:55], v[50:51] neg_lo:[0,1] neg_hi:[0,1]
	v_pk_add_f32 v[50:51], v[54:55], v[50:51]
	v_mov_b32_e32 v64, v65
	v_mov_b32_e32 v54, v51
	v_pk_add_f32 v[70:71], v[54:55], v[52:53] neg_lo:[0,1] neg_hi:[0,1]
	v_mov_b32_e32 v50, v67
	v_mov_b32_e32 v55, v70
	v_pk_add_f32 v[80:81], v[66:67], v[54:55] neg_lo:[0,1] neg_hi:[0,1]
	v_mov_b32_e32 v66, v53
	v_mov_b32_e32 v67, v70
	v_mov_b32_e32 v69, v51
	v_pk_add_f32 v[50:51], v[50:51], v[66:67] neg_lo:[0,1] neg_hi:[0,1]
	v_mov_b32_e32 v65, v52
	v_pk_add_f32 v[50:51], v[64:65], v[50:51] neg_lo:[0,1] neg_hi:[0,1]
	v_mov_b32_e32 v80, v68
	v_pk_add_f32 v[52:53], v[80:81], v[50:51]
	v_cmp_eq_f32_e64 s[16:17], s21, v82
	v_mov_b32_e32 v64, v53
	v_pk_add_f32 v[64:65], v[52:53], v[64:65]
	s_mov_b32 s21, 0x33800000
	v_pk_add_f32 v[54:55], v[54:55], v[64:65]
	v_mov_b32_e32 v51, v64
	v_mov_b32_e32 v53, v54
	v_pk_add_f32 v[66:67], v[52:53], v[68:69] neg_lo:[0,1] neg_hi:[0,1]
	v_cmp_lt_f32_e64 s[22:23], |v82|, s21
	v_sub_f32_e32 v52, v52, v66
	v_pk_add_f32 v[50:51], v[50:51], v[66:67] neg_lo:[0,1] neg_hi:[0,1]
	v_sub_f32_e32 v52, v68, v52
	v_add_f32_e32 v50, v50, v52
	v_add_f32_e32 v50, v50, v51
	;; [unrolled: 1-line block ×3, first 2 shown]
	s_or_b64 s[16:17], s[16:17], s[22:23]
	v_cndmask_b32_e64 v50, v50, v82, s[16:17]
	v_add_f32_e32 v50, v49, v50
.LBB499_286:
	s_or_b64 exec, exec, s[18:19]
	v_bfe_u32 v49, v50, 16, 1
	s_movk_i32 s22, 0x7fff
	v_add3_u32 v49, v50, v49, s22
	v_and_b32_e32 v51, 0xffff0000, v49
	v_mov_b32_e32 v49, 0x7fc00000
	v_cmp_o_f32_e64 s[16:17], v50, v50
	v_lshlrev_b32_sdwa v38, v38, v20 dst_sel:DWORD dst_unused:UNUSED_PAD src0_sel:DWORD src1_sel:WORD_0
	v_max_f32_e32 v50, v38, v38
	v_cndmask_b32_e64 v52, v49, v51, s[16:17]
	v_max_f32_e32 v51, v52, v52
	v_min_f32_e32 v53, v51, v50
	v_cmp_u_f32_e64 s[18:19], v52, v52
	v_max_f32_e32 v51, v51, v50
	v_cmp_u_f32_e64 s[16:17], v38, v38
	v_cndmask_b32_e64 v53, v53, v52, s[18:19]
	v_cndmask_b32_e64 v51, v51, v52, s[18:19]
	;; [unrolled: 1-line block ×4, first 2 shown]
	v_cmp_neq_f32_e64 s[18:19], v53, v51
	v_cmp_class_f32_e64 s[20:21], v53, s20
	s_or_b64 s[18:19], s[18:19], s[20:21]
	s_and_saveexec_b64 s[20:21], s[18:19]
	s_cbranch_execz .LBB499_288
; %bb.287:
	v_sub_f32_e32 v52, v53, v51
	s_mov_b32 s18, 0x3fb8aa3b
	v_mul_f32_e32 v53, 0x3fb8aa3b, v52
	v_fma_f32 v54, v52, s18, -v53
	v_rndne_f32_e32 v55, v53
	v_fmamk_f32 v54, v52, 0x32a5705f, v54
	v_sub_f32_e32 v53, v53, v55
	v_add_f32_e32 v53, v53, v54
	v_exp_f32_e32 v53, v53
	v_cvt_i32_f32_e32 v54, v55
	s_mov_b32 s18, 0xc2ce8ed0
	v_cmp_ngt_f32_e64 s[18:19], s18, v52
	s_mov_b32 s23, 0x7f800000
	v_ldexp_f32 v53, v53, v54
	v_cndmask_b32_e64 v53, 0, v53, s[18:19]
	s_mov_b32 s18, 0x42b17218
	v_mov_b32_e32 v54, 0x7f800000
	v_cmp_nlt_f32_e64 s[18:19], s18, v52
	s_nop 1
	v_cndmask_b32_e64 v84, v54, v53, s[18:19]
	v_add_f32_e32 v54, 1.0, v84
	v_add_f32_e32 v52, -1.0, v54
	v_sub_f32_e32 v53, v52, v54
	v_add_f32_e32 v53, 1.0, v53
	v_sub_f32_e32 v52, v84, v52
	v_add_f32_e32 v55, v52, v53
	v_frexp_mant_f32_e32 v64, v54
	s_mov_b32 s18, 0x3f2aaaab
	v_cvt_f64_f32_e32 v[52:53], v54
	v_frexp_exp_i32_f64_e32 v52, v[52:53]
	v_cmp_gt_f32_e64 s[18:19], s18, v64
	s_nop 1
	v_subbrev_co_u32_e64 v68, s[18:19], 0, v52, s[18:19]
	v_sub_u32_e32 v52, 0, v68
	v_ldexp_f32 v53, v54, v52
	v_add_f32_e32 v54, -1.0, v53
	v_add_f32_e32 v64, 1.0, v53
	v_ldexp_f32 v52, v55, v52
	v_add_f32_e32 v55, 1.0, v54
	v_add_f32_e32 v65, -1.0, v64
	v_sub_f32_e32 v55, v53, v55
	v_sub_f32_e32 v53, v53, v65
	v_add_f32_e32 v55, v52, v55
	v_add_f32_e32 v52, v52, v53
	;; [unrolled: 1-line block ×3, first 2 shown]
	v_rcp_f32_e32 v71, v69
	v_sub_f32_e32 v53, v64, v69
	v_add_f32_e32 v70, v52, v53
	v_add_f32_e32 v53, v54, v55
	v_mul_f32_e32 v81, v53, v71
	v_sub_f32_e32 v52, v54, v53
	v_mul_f32_e32 v54, v69, v81
	v_fma_f32 v64, v81, v69, -v54
	v_fmac_f32_e32 v64, v81, v70
	v_add_f32_e32 v80, v55, v52
	v_add_f32_e32 v52, v54, v64
	v_sub_f32_e32 v55, v53, v52
	v_pk_add_f32 v[66:67], v[52:53], v[54:55] neg_lo:[0,1] neg_hi:[0,1]
	v_mov_b32_e32 v65, v52
	v_pk_add_f32 v[52:53], v[66:67], v[64:65] neg_lo:[0,1] neg_hi:[0,1]
	s_mov_b32 s18, 0x3f317218
	v_add_f32_e32 v53, v80, v53
	v_add_f32_e32 v52, v52, v53
	;; [unrolled: 1-line block ×3, first 2 shown]
	v_mul_f32_e32 v80, v71, v53
	v_mul_f32_e32 v54, v69, v80
	v_fma_f32 v64, v80, v69, -v54
	v_fmac_f32_e32 v64, v80, v70
	v_sub_f32_e32 v55, v55, v53
	v_add_f32_e32 v69, v52, v55
	v_add_f32_e32 v52, v54, v64
	v_sub_f32_e32 v55, v53, v52
	v_pk_add_f32 v[66:67], v[52:53], v[54:55] neg_lo:[0,1] neg_hi:[0,1]
	v_mov_b32_e32 v65, v52
	v_pk_add_f32 v[52:53], v[66:67], v[64:65] neg_lo:[0,1] neg_hi:[0,1]
	v_cvt_f32_i32_e32 v54, v68
	v_add_f32_e32 v53, v69, v53
	v_add_f32_e32 v52, v52, v53
	;; [unrolled: 1-line block ×4, first 2 shown]
	v_sub_f32_e32 v53, v55, v81
	v_mul_f32_e32 v52, v71, v52
	v_sub_f32_e32 v53, v80, v53
	v_add_f32_e32 v52, v53, v52
	v_add_f32_e32 v64, v55, v52
	v_mul_f32_e32 v66, v64, v64
	v_mov_b32_e32 v53, 0x3ecc95a3
	v_sub_f32_e32 v55, v64, v55
	v_fmac_f32_e32 v53, 0x3e9b6dac, v66
	v_sub_f32_e32 v52, v52, v55
	v_fmaak_f32 v53, v66, v53, 0x3f2aaada
	v_ldexp_f32 v67, v52, 1
	v_mul_f32_e32 v55, v64, v66
	v_mov_b32_e32 v52, 0x3f317218
	v_pk_mul_f32 v[52:53], v[54:55], v[52:53]
	v_ldexp_f32 v65, v64, 1
	v_fma_f32 v55, v54, s18, -v52
	v_fmamk_f32 v64, v54, 0xb102e308, v55
	v_pk_add_f32 v[54:55], v[52:53], v[64:65]
	v_mov_b32_e32 v66, v52
	v_sub_f32_e32 v65, v55, v65
	v_sub_f32_e32 v65, v53, v65
	v_add_f32_e32 v67, v67, v65
	v_pk_add_f32 v[52:53], v[54:55], v[52:53] neg_lo:[0,1] neg_hi:[0,1]
	v_pk_add_f32 v[68:69], v[54:55], v[66:67]
	v_mov_b32_e32 v65, v54
	v_mov_b32_e32 v53, v69
	v_pk_add_f32 v[70:71], v[64:65], v[52:53] neg_lo:[0,1] neg_hi:[0,1]
	v_pk_add_f32 v[52:53], v[64:65], v[52:53]
	v_mov_b32_e32 v66, v67
	v_mov_b32_e32 v64, v53
	v_pk_add_f32 v[80:81], v[64:65], v[54:55] neg_lo:[0,1] neg_hi:[0,1]
	v_mov_b32_e32 v52, v69
	v_mov_b32_e32 v65, v80
	v_pk_add_f32 v[82:83], v[68:69], v[64:65] neg_lo:[0,1] neg_hi:[0,1]
	v_mov_b32_e32 v68, v55
	v_mov_b32_e32 v69, v80
	v_mov_b32_e32 v71, v53
	v_pk_add_f32 v[52:53], v[52:53], v[68:69] neg_lo:[0,1] neg_hi:[0,1]
	v_mov_b32_e32 v67, v54
	v_pk_add_f32 v[52:53], v[66:67], v[52:53] neg_lo:[0,1] neg_hi:[0,1]
	v_mov_b32_e32 v82, v70
	v_pk_add_f32 v[54:55], v[82:83], v[52:53]
	v_cmp_eq_f32_e64 s[18:19], s23, v84
	v_mov_b32_e32 v66, v55
	v_pk_add_f32 v[66:67], v[54:55], v[66:67]
	s_mov_b32 s23, 0x33800000
	v_pk_add_f32 v[64:65], v[64:65], v[66:67]
	v_mov_b32_e32 v53, v66
	v_mov_b32_e32 v55, v64
	v_pk_add_f32 v[68:69], v[54:55], v[70:71] neg_lo:[0,1] neg_hi:[0,1]
	v_cmp_lt_f32_e64 s[24:25], |v84|, s23
	v_sub_f32_e32 v54, v54, v68
	v_pk_add_f32 v[52:53], v[52:53], v[68:69] neg_lo:[0,1] neg_hi:[0,1]
	v_sub_f32_e32 v54, v70, v54
	v_add_f32_e32 v52, v52, v54
	v_add_f32_e32 v52, v52, v53
	;; [unrolled: 1-line block ×3, first 2 shown]
	s_or_b64 s[18:19], s[18:19], s[24:25]
	v_cndmask_b32_e64 v52, v52, v84, s[18:19]
	v_add_f32_e32 v52, v51, v52
.LBB499_288:
	s_or_b64 exec, exec, s[20:21]
	v_bfe_u32 v51, v52, 16, 1
	v_add3_u32 v51, v52, v51, s22
	v_and_b32_e32 v51, 0xffff0000, v51
	v_cmp_o_f32_e64 s[18:19], v52, v52
	s_movk_i32 s24, 0x1f8
	s_nop 0
	v_cndmask_b32_e64 v53, v49, v51, s[18:19]
	v_mov_b32_e32 v49, 16
	v_lshlrev_b32_sdwa v20, v49, v20 dst_sel:DWORD dst_unused:UNUSED_PAD src0_sel:DWORD src1_sel:WORD_1
	v_max_f32_e32 v52, v53, v53
	v_max_f32_e32 v51, v20, v20
	v_min_f32_e32 v54, v52, v51
	v_cmp_u_f32_e64 s[20:21], v53, v53
	v_max_f32_e32 v52, v52, v51
	v_cmp_u_f32_e64 s[18:19], v20, v20
	v_cndmask_b32_e64 v54, v54, v53, s[20:21]
	v_cndmask_b32_e64 v52, v52, v53, s[20:21]
	v_cndmask_b32_e64 v54, v54, v20, s[18:19]
	v_cndmask_b32_e64 v52, v52, v20, s[18:19]
	v_cmp_neq_f32_e64 s[20:21], v54, v52
	v_cmp_class_f32_e64 s[22:23], v54, s24
	s_or_b64 s[20:21], s[20:21], s[22:23]
	s_and_saveexec_b64 s[22:23], s[20:21]
	s_cbranch_execz .LBB499_290
; %bb.289:
	v_sub_f32_e32 v53, v54, v52
	s_mov_b32 s20, 0x3fb8aa3b
	v_mul_f32_e32 v54, 0x3fb8aa3b, v53
	v_fma_f32 v55, v53, s20, -v54
	v_rndne_f32_e32 v64, v54
	v_fmamk_f32 v55, v53, 0x32a5705f, v55
	v_sub_f32_e32 v54, v54, v64
	v_add_f32_e32 v54, v54, v55
	v_exp_f32_e32 v54, v54
	v_cvt_i32_f32_e32 v55, v64
	s_mov_b32 s20, 0xc2ce8ed0
	v_cmp_ngt_f32_e64 s[20:21], s20, v53
	s_mov_b32 s25, 0x7f800000
	v_ldexp_f32 v54, v54, v55
	v_cndmask_b32_e64 v54, 0, v54, s[20:21]
	s_mov_b32 s20, 0x42b17218
	v_mov_b32_e32 v55, 0x7f800000
	v_cmp_nlt_f32_e64 s[20:21], s20, v53
	s_nop 1
	v_cndmask_b32_e64 v86, v55, v54, s[20:21]
	v_add_f32_e32 v53, 1.0, v86
	v_add_f32_e32 v54, -1.0, v53
	v_sub_f32_e32 v55, v54, v53
	v_add_f32_e32 v55, 1.0, v55
	v_sub_f32_e32 v54, v86, v54
	v_add_f32_e32 v64, v54, v55
	v_frexp_mant_f32_e32 v65, v53
	s_mov_b32 s20, 0x3f2aaaab
	v_cvt_f64_f32_e32 v[54:55], v53
	v_frexp_exp_i32_f64_e32 v54, v[54:55]
	v_cmp_gt_f32_e64 s[20:21], s20, v65
	s_nop 1
	v_subbrev_co_u32_e64 v70, s[20:21], 0, v54, s[20:21]
	v_sub_u32_e32 v54, 0, v70
	v_ldexp_f32 v53, v53, v54
	v_ldexp_f32 v54, v64, v54
	v_add_f32_e32 v64, -1.0, v53
	v_add_f32_e32 v55, 1.0, v64
	v_sub_f32_e32 v55, v53, v55
	v_add_f32_e32 v65, v54, v55
	v_add_f32_e32 v55, 1.0, v53
	v_add_f32_e32 v66, -1.0, v55
	v_sub_f32_e32 v53, v53, v66
	v_add_f32_e32 v53, v54, v53
	v_add_f32_e32 v71, v55, v53
	v_rcp_f32_e32 v80, v71
	v_sub_f32_e32 v54, v55, v71
	v_add_f32_e32 v55, v64, v65
	v_add_f32_e32 v53, v53, v54
	v_mul_f32_e32 v82, v55, v80
	v_sub_f32_e32 v54, v64, v55
	v_mul_f32_e32 v64, v71, v82
	v_fma_f32 v66, v82, v71, -v64
	v_fmac_f32_e32 v66, v82, v53
	v_add_f32_e32 v81, v65, v54
	v_add_f32_e32 v54, v64, v66
	v_sub_f32_e32 v65, v55, v54
	v_pk_add_f32 v[68:69], v[54:55], v[64:65] neg_lo:[0,1] neg_hi:[0,1]
	v_mov_b32_e32 v67, v54
	v_pk_add_f32 v[54:55], v[68:69], v[66:67] neg_lo:[0,1] neg_hi:[0,1]
	s_mov_b32 s20, 0x3f317218
	v_add_f32_e32 v55, v81, v55
	v_add_f32_e32 v54, v54, v55
	;; [unrolled: 1-line block ×3, first 2 shown]
	v_mul_f32_e32 v81, v80, v55
	v_mul_f32_e32 v64, v71, v81
	v_fma_f32 v66, v81, v71, -v64
	v_fmac_f32_e32 v66, v81, v53
	v_sub_f32_e32 v53, v65, v55
	v_add_f32_e32 v53, v54, v53
	v_add_f32_e32 v54, v64, v66
	v_sub_f32_e32 v65, v55, v54
	v_pk_add_f32 v[68:69], v[54:55], v[64:65] neg_lo:[0,1] neg_hi:[0,1]
	v_mov_b32_e32 v67, v54
	v_pk_add_f32 v[54:55], v[68:69], v[66:67] neg_lo:[0,1] neg_hi:[0,1]
	v_cvt_f32_i32_e32 v64, v70
	v_add_f32_e32 v53, v53, v55
	v_add_f32_e32 v53, v54, v53
	;; [unrolled: 1-line block ×4, first 2 shown]
	v_sub_f32_e32 v55, v54, v82
	v_mul_f32_e32 v53, v80, v53
	v_sub_f32_e32 v55, v81, v55
	v_add_f32_e32 v53, v55, v53
	v_add_f32_e32 v65, v54, v53
	v_mul_f32_e32 v66, v65, v65
	v_mov_b32_e32 v55, 0x3ecc95a3
	v_fmac_f32_e32 v55, 0x3e9b6dac, v66
	v_sub_f32_e32 v54, v65, v54
	v_fmaak_f32 v55, v66, v55, 0x3f2aaada
	v_sub_f32_e32 v53, v53, v54
	v_ldexp_f32 v67, v65, 1
	v_mul_f32_e32 v65, v65, v66
	v_mov_b32_e32 v54, 0x3f317218
	v_pk_mul_f32 v[54:55], v[64:65], v[54:55]
	v_ldexp_f32 v53, v53, 1
	v_fma_f32 v65, v64, s20, -v54
	v_fmamk_f32 v66, v64, 0xb102e308, v65
	v_pk_add_f32 v[64:65], v[54:55], v[66:67]
	v_mov_b32_e32 v68, v54
	v_sub_f32_e32 v67, v65, v67
	v_sub_f32_e32 v67, v55, v67
	v_add_f32_e32 v69, v53, v67
	v_pk_add_f32 v[54:55], v[64:65], v[54:55] neg_lo:[0,1] neg_hi:[0,1]
	v_pk_add_f32 v[70:71], v[64:65], v[68:69]
	v_mov_b32_e32 v67, v64
	v_mov_b32_e32 v55, v71
	v_pk_add_f32 v[80:81], v[66:67], v[54:55] neg_lo:[0,1] neg_hi:[0,1]
	v_pk_add_f32 v[54:55], v[66:67], v[54:55]
	v_mov_b32_e32 v68, v69
	v_mov_b32_e32 v66, v55
	v_pk_add_f32 v[82:83], v[66:67], v[64:65] neg_lo:[0,1] neg_hi:[0,1]
	v_mov_b32_e32 v54, v71
	v_mov_b32_e32 v53, v82
	v_pk_add_f32 v[84:85], v[70:71], v[52:53] neg_lo:[0,1] neg_hi:[0,1]
	v_mov_b32_e32 v70, v65
	v_mov_b32_e32 v71, v82
	;; [unrolled: 1-line block ×3, first 2 shown]
	v_pk_add_f32 v[54:55], v[54:55], v[70:71] neg_lo:[0,1] neg_hi:[0,1]
	v_mov_b32_e32 v69, v64
	v_pk_add_f32 v[54:55], v[68:69], v[54:55] neg_lo:[0,1] neg_hi:[0,1]
	v_mov_b32_e32 v84, v80
	v_pk_add_f32 v[64:65], v[84:85], v[54:55]
	v_cmp_eq_f32_e64 s[20:21], s25, v86
	v_mov_b32_e32 v68, v65
	v_pk_add_f32 v[68:69], v[64:65], v[68:69]
	s_mov_b32 s25, 0x33800000
	v_pk_add_f32 v[66:67], v[66:67], v[68:69]
	v_mov_b32_e32 v55, v68
	v_mov_b32_e32 v65, v66
	v_pk_add_f32 v[70:71], v[64:65], v[80:81] neg_lo:[0,1] neg_hi:[0,1]
	v_cmp_lt_f32_e64 s[26:27], |v86|, s25
	v_sub_f32_e32 v53, v64, v70
	v_pk_add_f32 v[54:55], v[54:55], v[70:71] neg_lo:[0,1] neg_hi:[0,1]
	v_sub_f32_e32 v53, v80, v53
	v_add_f32_e32 v53, v54, v53
	v_add_f32_e32 v53, v53, v55
	;; [unrolled: 1-line block ×3, first 2 shown]
	s_or_b64 s[20:21], s[20:21], s[26:27]
	v_cndmask_b32_e64 v53, v53, v86, s[20:21]
	v_add_f32_e32 v53, v52, v53
.LBB499_290:
	s_or_b64 exec, exec, s[22:23]
	v_bfe_u32 v52, v53, 16, 1
	s_movk_i32 s26, 0x7fff
	v_add3_u32 v52, v53, v52, s26
	v_and_b32_e32 v54, 0xffff0000, v52
	v_mov_b32_e32 v52, 0x7fc00000
	v_cmp_o_f32_e64 s[20:21], v53, v53
	v_lshlrev_b32_sdwa v49, v49, v21 dst_sel:DWORD dst_unused:UNUSED_PAD src0_sel:DWORD src1_sel:WORD_0
	v_max_f32_e32 v53, v49, v49
	v_cndmask_b32_e64 v55, v52, v54, s[20:21]
	v_max_f32_e32 v54, v55, v55
	v_min_f32_e32 v64, v54, v53
	v_cmp_u_f32_e64 s[22:23], v55, v55
	v_max_f32_e32 v54, v54, v53
	v_cmp_u_f32_e64 s[20:21], v49, v49
	v_cndmask_b32_e64 v64, v64, v55, s[22:23]
	v_cndmask_b32_e64 v54, v54, v55, s[22:23]
	;; [unrolled: 1-line block ×4, first 2 shown]
	v_cmp_neq_f32_e64 s[22:23], v64, v54
	v_cmp_class_f32_e64 s[24:25], v64, s24
	s_or_b64 s[22:23], s[22:23], s[24:25]
	s_and_saveexec_b64 s[24:25], s[22:23]
	s_cbranch_execz .LBB499_292
; %bb.291:
	v_sub_f32_e32 v55, v64, v54
	s_mov_b32 s22, 0x3fb8aa3b
	v_mul_f32_e32 v64, 0x3fb8aa3b, v55
	v_fma_f32 v65, v55, s22, -v64
	v_rndne_f32_e32 v66, v64
	v_fmamk_f32 v65, v55, 0x32a5705f, v65
	v_sub_f32_e32 v64, v64, v66
	v_add_f32_e32 v64, v64, v65
	v_exp_f32_e32 v64, v64
	v_cvt_i32_f32_e32 v65, v66
	s_mov_b32 s22, 0xc2ce8ed0
	v_cmp_ngt_f32_e64 s[22:23], s22, v55
	s_mov_b32 s27, 0x7f800000
	v_ldexp_f32 v64, v64, v65
	v_cndmask_b32_e64 v64, 0, v64, s[22:23]
	s_mov_b32 s22, 0x42b17218
	v_mov_b32_e32 v65, 0x7f800000
	v_cmp_nlt_f32_e64 s[22:23], s22, v55
	s_nop 1
	v_cndmask_b32_e64 v99, v65, v64, s[22:23]
	v_add_f32_e32 v55, 1.0, v99
	v_add_f32_e32 v64, -1.0, v55
	v_sub_f32_e32 v65, v64, v55
	v_add_f32_e32 v65, 1.0, v65
	v_sub_f32_e32 v64, v99, v64
	v_add_f32_e32 v66, v64, v65
	v_frexp_mant_f32_e32 v67, v55
	s_mov_b32 s22, 0x3f2aaaab
	v_cvt_f64_f32_e32 v[64:65], v55
	v_frexp_exp_i32_f64_e32 v64, v[64:65]
	v_cmp_gt_f32_e64 s[22:23], s22, v67
	s_nop 1
	v_subbrev_co_u32_e64 v80, s[22:23], 0, v64, s[22:23]
	v_sub_u32_e32 v64, 0, v80
	v_ldexp_f32 v55, v55, v64
	v_ldexp_f32 v64, v66, v64
	v_add_f32_e32 v66, -1.0, v55
	v_add_f32_e32 v65, 1.0, v66
	v_sub_f32_e32 v65, v55, v65
	v_add_f32_e32 v67, v64, v65
	v_add_f32_e32 v65, 1.0, v55
	v_add_f32_e32 v68, -1.0, v65
	v_sub_f32_e32 v55, v55, v68
	v_add_f32_e32 v55, v64, v55
	v_add_f32_e32 v81, v65, v55
	v_rcp_f32_e32 v82, v81
	v_sub_f32_e32 v64, v65, v81
	v_add_f32_e32 v65, v66, v67
	v_add_f32_e32 v55, v55, v64
	v_mul_f32_e32 v84, v65, v82
	v_sub_f32_e32 v64, v66, v65
	v_mul_f32_e32 v66, v81, v84
	v_fma_f32 v68, v84, v81, -v66
	v_fmac_f32_e32 v68, v84, v55
	v_add_f32_e32 v83, v67, v64
	v_add_f32_e32 v64, v66, v68
	v_sub_f32_e32 v67, v65, v64
	v_pk_add_f32 v[70:71], v[64:65], v[66:67] neg_lo:[0,1] neg_hi:[0,1]
	v_mov_b32_e32 v69, v64
	v_pk_add_f32 v[64:65], v[70:71], v[68:69] neg_lo:[0,1] neg_hi:[0,1]
	s_mov_b32 s22, 0x3f317218
	v_add_f32_e32 v65, v83, v65
	v_add_f32_e32 v64, v64, v65
	;; [unrolled: 1-line block ×3, first 2 shown]
	v_mul_f32_e32 v83, v82, v65
	v_mul_f32_e32 v66, v81, v83
	v_fma_f32 v68, v83, v81, -v66
	v_fmac_f32_e32 v68, v83, v55
	v_sub_f32_e32 v55, v67, v65
	v_add_f32_e32 v55, v64, v55
	v_add_f32_e32 v64, v66, v68
	v_sub_f32_e32 v67, v65, v64
	v_pk_add_f32 v[70:71], v[64:65], v[66:67] neg_lo:[0,1] neg_hi:[0,1]
	v_mov_b32_e32 v69, v64
	v_pk_add_f32 v[64:65], v[70:71], v[68:69] neg_lo:[0,1] neg_hi:[0,1]
	v_cvt_f32_i32_e32 v66, v80
	v_add_f32_e32 v55, v55, v65
	v_add_f32_e32 v55, v64, v55
	;; [unrolled: 1-line block ×4, first 2 shown]
	v_sub_f32_e32 v65, v64, v84
	v_mul_f32_e32 v55, v82, v55
	v_sub_f32_e32 v65, v83, v65
	v_add_f32_e32 v55, v65, v55
	v_add_f32_e32 v67, v64, v55
	v_mul_f32_e32 v68, v67, v67
	v_mov_b32_e32 v65, 0x3ecc95a3
	v_fmac_f32_e32 v65, 0x3e9b6dac, v68
	v_sub_f32_e32 v64, v67, v64
	v_fmaak_f32 v65, v68, v65, 0x3f2aaada
	v_sub_f32_e32 v55, v55, v64
	v_ldexp_f32 v69, v67, 1
	v_mul_f32_e32 v67, v67, v68
	v_mov_b32_e32 v64, 0x3f317218
	v_pk_mul_f32 v[64:65], v[66:67], v[64:65]
	v_ldexp_f32 v55, v55, 1
	v_fma_f32 v67, v66, s22, -v64
	v_fmamk_f32 v68, v66, 0xb102e308, v67
	v_pk_add_f32 v[66:67], v[64:65], v[68:69]
	v_mov_b32_e32 v70, v64
	v_sub_f32_e32 v69, v67, v69
	v_sub_f32_e32 v69, v65, v69
	v_add_f32_e32 v71, v55, v69
	v_pk_add_f32 v[64:65], v[66:67], v[64:65] neg_lo:[0,1] neg_hi:[0,1]
	v_pk_add_f32 v[80:81], v[66:67], v[70:71]
	v_mov_b32_e32 v69, v66
	v_mov_b32_e32 v65, v81
	v_pk_add_f32 v[82:83], v[68:69], v[64:65] neg_lo:[0,1] neg_hi:[0,1]
	v_pk_add_f32 v[64:65], v[68:69], v[64:65]
	v_mov_b32_e32 v70, v71
	v_mov_b32_e32 v68, v65
	v_pk_add_f32 v[84:85], v[68:69], v[66:67] neg_lo:[0,1] neg_hi:[0,1]
	v_mov_b32_e32 v64, v81
	v_mov_b32_e32 v55, v84
	v_pk_add_f32 v[86:87], v[80:81], v[54:55] neg_lo:[0,1] neg_hi:[0,1]
	v_mov_b32_e32 v80, v67
	v_mov_b32_e32 v81, v84
	;; [unrolled: 1-line block ×3, first 2 shown]
	v_pk_add_f32 v[64:65], v[64:65], v[80:81] neg_lo:[0,1] neg_hi:[0,1]
	v_mov_b32_e32 v71, v66
	v_pk_add_f32 v[64:65], v[70:71], v[64:65] neg_lo:[0,1] neg_hi:[0,1]
	v_mov_b32_e32 v86, v82
	v_pk_add_f32 v[66:67], v[86:87], v[64:65]
	v_cmp_eq_f32_e64 s[22:23], s27, v99
	v_mov_b32_e32 v70, v67
	v_pk_add_f32 v[70:71], v[66:67], v[70:71]
	s_mov_b32 s27, 0x33800000
	v_pk_add_f32 v[68:69], v[68:69], v[70:71]
	v_mov_b32_e32 v65, v70
	v_mov_b32_e32 v67, v68
	v_pk_add_f32 v[80:81], v[66:67], v[82:83] neg_lo:[0,1] neg_hi:[0,1]
	v_cmp_lt_f32_e64 s[28:29], |v99|, s27
	v_sub_f32_e32 v55, v66, v80
	v_pk_add_f32 v[64:65], v[64:65], v[80:81] neg_lo:[0,1] neg_hi:[0,1]
	v_sub_f32_e32 v55, v82, v55
	v_add_f32_e32 v55, v64, v55
	v_add_f32_e32 v55, v55, v65
	;; [unrolled: 1-line block ×3, first 2 shown]
	s_or_b64 s[22:23], s[22:23], s[28:29]
	v_cndmask_b32_e64 v55, v55, v99, s[22:23]
	v_add_f32_e32 v55, v54, v55
.LBB499_292:
	s_or_b64 exec, exec, s[24:25]
	v_bfe_u32 v54, v55, 16, 1
	v_add3_u32 v54, v55, v54, s26
	v_and_b32_e32 v54, 0xffff0000, v54
	v_cmp_o_f32_e64 s[22:23], v55, v55
	s_movk_i32 s28, 0x1f8
	s_nop 0
	v_cndmask_b32_e64 v64, v52, v54, s[22:23]
	v_mov_b32_e32 v52, 16
	v_lshlrev_b32_sdwa v21, v52, v21 dst_sel:DWORD dst_unused:UNUSED_PAD src0_sel:DWORD src1_sel:WORD_1
	v_max_f32_e32 v55, v64, v64
	v_max_f32_e32 v54, v21, v21
	v_min_f32_e32 v65, v55, v54
	v_cmp_u_f32_e64 s[24:25], v64, v64
	v_max_f32_e32 v55, v55, v54
	v_cmp_u_f32_e64 s[22:23], v21, v21
	v_cndmask_b32_e64 v65, v65, v64, s[24:25]
	v_cndmask_b32_e64 v55, v55, v64, s[24:25]
	;; [unrolled: 1-line block ×4, first 2 shown]
	v_cmp_neq_f32_e64 s[24:25], v65, v55
	v_cmp_class_f32_e64 s[26:27], v65, s28
	s_or_b64 s[24:25], s[24:25], s[26:27]
	s_and_saveexec_b64 s[26:27], s[24:25]
	s_cbranch_execz .LBB499_294
; %bb.293:
	v_sub_f32_e32 v64, v65, v55
	s_mov_b32 s24, 0x3fb8aa3b
	v_mul_f32_e32 v65, 0x3fb8aa3b, v64
	v_fma_f32 v66, v64, s24, -v65
	v_rndne_f32_e32 v67, v65
	v_fmamk_f32 v66, v64, 0x32a5705f, v66
	v_sub_f32_e32 v65, v65, v67
	v_add_f32_e32 v65, v65, v66
	v_exp_f32_e32 v65, v65
	v_cvt_i32_f32_e32 v66, v67
	s_mov_b32 s24, 0xc2ce8ed0
	v_cmp_ngt_f32_e64 s[24:25], s24, v64
	s_mov_b32 s29, 0x7f800000
	v_ldexp_f32 v65, v65, v66
	v_cndmask_b32_e64 v65, 0, v65, s[24:25]
	s_mov_b32 s24, 0x42b17218
	v_mov_b32_e32 v66, 0x7f800000
	v_cmp_nlt_f32_e64 s[24:25], s24, v64
	s_nop 1
	v_cndmask_b32_e64 v99, v66, v65, s[24:25]
	v_add_f32_e32 v66, 1.0, v99
	v_add_f32_e32 v64, -1.0, v66
	v_sub_f32_e32 v65, v64, v66
	v_add_f32_e32 v65, 1.0, v65
	v_sub_f32_e32 v64, v99, v64
	v_add_f32_e32 v67, v64, v65
	v_frexp_mant_f32_e32 v68, v66
	s_mov_b32 s24, 0x3f2aaaab
	v_cvt_f64_f32_e32 v[64:65], v66
	v_frexp_exp_i32_f64_e32 v64, v[64:65]
	v_cmp_gt_f32_e64 s[24:25], s24, v68
	s_nop 1
	v_subbrev_co_u32_e64 v80, s[24:25], 0, v64, s[24:25]
	v_sub_u32_e32 v64, 0, v80
	v_ldexp_f32 v65, v66, v64
	v_add_f32_e32 v66, -1.0, v65
	v_add_f32_e32 v68, 1.0, v65
	v_ldexp_f32 v64, v67, v64
	v_add_f32_e32 v67, 1.0, v66
	v_add_f32_e32 v69, -1.0, v68
	v_sub_f32_e32 v67, v65, v67
	v_sub_f32_e32 v65, v65, v69
	v_add_f32_e32 v67, v64, v67
	v_add_f32_e32 v64, v64, v65
	;; [unrolled: 1-line block ×3, first 2 shown]
	v_rcp_f32_e32 v83, v81
	v_sub_f32_e32 v65, v68, v81
	v_add_f32_e32 v82, v64, v65
	v_add_f32_e32 v65, v66, v67
	v_mul_f32_e32 v85, v65, v83
	v_sub_f32_e32 v64, v66, v65
	v_mul_f32_e32 v66, v81, v85
	v_fma_f32 v68, v85, v81, -v66
	v_fmac_f32_e32 v68, v85, v82
	v_add_f32_e32 v84, v67, v64
	v_add_f32_e32 v64, v66, v68
	v_sub_f32_e32 v67, v65, v64
	v_pk_add_f32 v[70:71], v[64:65], v[66:67] neg_lo:[0,1] neg_hi:[0,1]
	v_mov_b32_e32 v69, v64
	v_pk_add_f32 v[64:65], v[70:71], v[68:69] neg_lo:[0,1] neg_hi:[0,1]
	s_mov_b32 s24, 0x3f317218
	v_add_f32_e32 v65, v84, v65
	v_add_f32_e32 v64, v64, v65
	;; [unrolled: 1-line block ×3, first 2 shown]
	v_mul_f32_e32 v84, v83, v65
	v_mul_f32_e32 v66, v81, v84
	v_fma_f32 v68, v84, v81, -v66
	v_fmac_f32_e32 v68, v84, v82
	v_sub_f32_e32 v67, v67, v65
	v_add_f32_e32 v81, v64, v67
	v_add_f32_e32 v64, v66, v68
	v_sub_f32_e32 v67, v65, v64
	v_pk_add_f32 v[70:71], v[64:65], v[66:67] neg_lo:[0,1] neg_hi:[0,1]
	v_mov_b32_e32 v69, v64
	v_pk_add_f32 v[64:65], v[70:71], v[68:69] neg_lo:[0,1] neg_hi:[0,1]
	v_cvt_f32_i32_e32 v66, v80
	v_add_f32_e32 v65, v81, v65
	v_add_f32_e32 v64, v64, v65
	v_add_f32_e32 v64, v67, v64
	v_add_f32_e32 v67, v85, v84
	v_sub_f32_e32 v65, v67, v85
	v_mul_f32_e32 v64, v83, v64
	v_sub_f32_e32 v65, v84, v65
	v_add_f32_e32 v64, v65, v64
	v_add_f32_e32 v68, v67, v64
	v_mul_f32_e32 v70, v68, v68
	v_mov_b32_e32 v65, 0x3ecc95a3
	v_sub_f32_e32 v67, v68, v67
	v_fmac_f32_e32 v65, 0x3e9b6dac, v70
	v_sub_f32_e32 v64, v64, v67
	v_fmaak_f32 v65, v70, v65, 0x3f2aaada
	v_ldexp_f32 v71, v64, 1
	v_mul_f32_e32 v67, v68, v70
	v_mov_b32_e32 v64, 0x3f317218
	v_pk_mul_f32 v[64:65], v[66:67], v[64:65]
	v_ldexp_f32 v69, v68, 1
	v_fma_f32 v67, v66, s24, -v64
	v_fmamk_f32 v68, v66, 0xb102e308, v67
	v_pk_add_f32 v[66:67], v[64:65], v[68:69]
	v_mov_b32_e32 v70, v64
	v_sub_f32_e32 v69, v67, v69
	v_sub_f32_e32 v69, v65, v69
	v_add_f32_e32 v71, v71, v69
	v_pk_add_f32 v[64:65], v[66:67], v[64:65] neg_lo:[0,1] neg_hi:[0,1]
	v_pk_add_f32 v[80:81], v[66:67], v[70:71]
	v_mov_b32_e32 v69, v66
	v_mov_b32_e32 v65, v81
	v_pk_add_f32 v[82:83], v[68:69], v[64:65] neg_lo:[0,1] neg_hi:[0,1]
	v_pk_add_f32 v[64:65], v[68:69], v[64:65]
	v_mov_b32_e32 v70, v71
	v_mov_b32_e32 v68, v65
	v_pk_add_f32 v[84:85], v[68:69], v[66:67] neg_lo:[0,1] neg_hi:[0,1]
	v_mov_b32_e32 v64, v81
	v_mov_b32_e32 v69, v84
	v_pk_add_f32 v[86:87], v[80:81], v[68:69] neg_lo:[0,1] neg_hi:[0,1]
	v_mov_b32_e32 v80, v67
	v_mov_b32_e32 v81, v84
	;; [unrolled: 1-line block ×3, first 2 shown]
	v_pk_add_f32 v[64:65], v[64:65], v[80:81] neg_lo:[0,1] neg_hi:[0,1]
	v_mov_b32_e32 v71, v66
	v_pk_add_f32 v[64:65], v[70:71], v[64:65] neg_lo:[0,1] neg_hi:[0,1]
	v_mov_b32_e32 v86, v82
	v_pk_add_f32 v[66:67], v[86:87], v[64:65]
	v_cmp_eq_f32_e64 s[24:25], s29, v99
	v_mov_b32_e32 v70, v67
	v_pk_add_f32 v[70:71], v[66:67], v[70:71]
	s_mov_b32 s29, 0x33800000
	v_pk_add_f32 v[68:69], v[68:69], v[70:71]
	v_mov_b32_e32 v65, v70
	v_mov_b32_e32 v67, v68
	v_pk_add_f32 v[80:81], v[66:67], v[82:83] neg_lo:[0,1] neg_hi:[0,1]
	v_cmp_lt_f32_e64 s[30:31], |v99|, s29
	v_sub_f32_e32 v66, v66, v80
	v_pk_add_f32 v[64:65], v[64:65], v[80:81] neg_lo:[0,1] neg_hi:[0,1]
	v_sub_f32_e32 v66, v82, v66
	v_add_f32_e32 v64, v64, v66
	v_add_f32_e32 v64, v64, v65
	;; [unrolled: 1-line block ×3, first 2 shown]
	s_or_b64 s[24:25], s[24:25], s[30:31]
	v_cndmask_b32_e64 v64, v64, v99, s[24:25]
	v_add_f32_e32 v64, v55, v64
.LBB499_294:
	s_or_b64 exec, exec, s[26:27]
	v_bfe_u32 v55, v64, 16, 1
	s_movk_i32 s30, 0x7fff
	v_add3_u32 v55, v64, v55, s30
	v_and_b32_e32 v65, 0xffff0000, v55
	v_mov_b32_e32 v55, 0x7fc00000
	v_cmp_o_f32_e64 s[24:25], v64, v64
	v_lshlrev_b32_sdwa v52, v52, v22 dst_sel:DWORD dst_unused:UNUSED_PAD src0_sel:DWORD src1_sel:WORD_0
	v_max_f32_e32 v64, v52, v52
	v_cndmask_b32_e64 v66, v55, v65, s[24:25]
	v_max_f32_e32 v65, v66, v66
	v_min_f32_e32 v67, v65, v64
	v_cmp_u_f32_e64 s[26:27], v66, v66
	v_max_f32_e32 v65, v65, v64
	v_cmp_u_f32_e64 s[24:25], v52, v52
	v_cndmask_b32_e64 v67, v67, v66, s[26:27]
	v_cndmask_b32_e64 v65, v65, v66, s[26:27]
	;; [unrolled: 1-line block ×4, first 2 shown]
	v_cmp_neq_f32_e64 s[26:27], v67, v65
	v_cmp_class_f32_e64 s[28:29], v67, s28
	s_or_b64 s[26:27], s[26:27], s[28:29]
	s_and_saveexec_b64 s[28:29], s[26:27]
	s_cbranch_execz .LBB499_296
; %bb.295:
	v_sub_f32_e32 v66, v67, v65
	s_mov_b32 s26, 0x3fb8aa3b
	v_mul_f32_e32 v67, 0x3fb8aa3b, v66
	v_fma_f32 v68, v66, s26, -v67
	v_rndne_f32_e32 v69, v67
	v_fmamk_f32 v68, v66, 0x32a5705f, v68
	v_sub_f32_e32 v67, v67, v69
	v_add_f32_e32 v67, v67, v68
	v_exp_f32_e32 v67, v67
	v_cvt_i32_f32_e32 v68, v69
	s_mov_b32 s26, 0xc2ce8ed0
	v_cmp_ngt_f32_e64 s[26:27], s26, v66
	s_mov_b32 s31, 0x7f800000
	v_ldexp_f32 v67, v67, v68
	v_cndmask_b32_e64 v67, 0, v67, s[26:27]
	s_mov_b32 s26, 0x42b17218
	v_mov_b32_e32 v68, 0x7f800000
	v_cmp_nlt_f32_e64 s[26:27], s26, v66
	s_nop 1
	v_cndmask_b32_e64 v99, v68, v67, s[26:27]
	v_add_f32_e32 v68, 1.0, v99
	v_add_f32_e32 v66, -1.0, v68
	v_sub_f32_e32 v67, v66, v68
	v_add_f32_e32 v67, 1.0, v67
	v_sub_f32_e32 v66, v99, v66
	v_add_f32_e32 v69, v66, v67
	v_frexp_mant_f32_e32 v70, v68
	s_mov_b32 s26, 0x3f2aaaab
	v_cvt_f64_f32_e32 v[66:67], v68
	v_frexp_exp_i32_f64_e32 v66, v[66:67]
	v_cmp_gt_f32_e64 s[26:27], s26, v70
	s_nop 1
	v_subbrev_co_u32_e64 v82, s[26:27], 0, v66, s[26:27]
	v_sub_u32_e32 v66, 0, v82
	v_ldexp_f32 v67, v68, v66
	v_add_f32_e32 v68, -1.0, v67
	v_add_f32_e32 v70, 1.0, v67
	v_ldexp_f32 v66, v69, v66
	v_add_f32_e32 v69, 1.0, v68
	v_add_f32_e32 v71, -1.0, v70
	v_sub_f32_e32 v69, v67, v69
	v_sub_f32_e32 v67, v67, v71
	v_add_f32_e32 v69, v66, v69
	v_add_f32_e32 v66, v66, v67
	;; [unrolled: 1-line block ×3, first 2 shown]
	v_rcp_f32_e32 v85, v83
	v_sub_f32_e32 v67, v70, v83
	v_add_f32_e32 v84, v66, v67
	v_add_f32_e32 v67, v68, v69
	v_mul_f32_e32 v87, v67, v85
	v_sub_f32_e32 v66, v68, v67
	v_mul_f32_e32 v68, v83, v87
	v_fma_f32 v70, v87, v83, -v68
	v_fmac_f32_e32 v70, v87, v84
	v_add_f32_e32 v86, v69, v66
	v_add_f32_e32 v66, v68, v70
	v_sub_f32_e32 v69, v67, v66
	v_pk_add_f32 v[80:81], v[66:67], v[68:69] neg_lo:[0,1] neg_hi:[0,1]
	v_mov_b32_e32 v71, v66
	v_pk_add_f32 v[66:67], v[80:81], v[70:71] neg_lo:[0,1] neg_hi:[0,1]
	s_mov_b32 s26, 0x3f317218
	v_add_f32_e32 v67, v86, v67
	v_add_f32_e32 v66, v66, v67
	;; [unrolled: 1-line block ×3, first 2 shown]
	v_mul_f32_e32 v86, v85, v67
	v_mul_f32_e32 v68, v83, v86
	v_fma_f32 v70, v86, v83, -v68
	v_fmac_f32_e32 v70, v86, v84
	v_sub_f32_e32 v69, v69, v67
	v_add_f32_e32 v83, v66, v69
	v_add_f32_e32 v66, v68, v70
	v_sub_f32_e32 v69, v67, v66
	v_pk_add_f32 v[80:81], v[66:67], v[68:69] neg_lo:[0,1] neg_hi:[0,1]
	v_mov_b32_e32 v71, v66
	v_pk_add_f32 v[66:67], v[80:81], v[70:71] neg_lo:[0,1] neg_hi:[0,1]
	v_cvt_f32_i32_e32 v68, v82
	v_add_f32_e32 v67, v83, v67
	v_add_f32_e32 v66, v66, v67
	;; [unrolled: 1-line block ×4, first 2 shown]
	v_sub_f32_e32 v67, v69, v87
	v_mul_f32_e32 v66, v85, v66
	v_sub_f32_e32 v67, v86, v67
	v_add_f32_e32 v66, v67, v66
	v_add_f32_e32 v70, v69, v66
	v_mul_f32_e32 v80, v70, v70
	v_mov_b32_e32 v67, 0x3ecc95a3
	v_sub_f32_e32 v69, v70, v69
	v_fmac_f32_e32 v67, 0x3e9b6dac, v80
	v_sub_f32_e32 v66, v66, v69
	v_fmaak_f32 v67, v80, v67, 0x3f2aaada
	v_ldexp_f32 v81, v66, 1
	v_mul_f32_e32 v69, v70, v80
	v_mov_b32_e32 v66, 0x3f317218
	v_pk_mul_f32 v[66:67], v[68:69], v[66:67]
	v_ldexp_f32 v71, v70, 1
	v_fma_f32 v69, v68, s26, -v66
	v_fmamk_f32 v70, v68, 0xb102e308, v69
	v_pk_add_f32 v[68:69], v[66:67], v[70:71]
	v_mov_b32_e32 v80, v66
	v_sub_f32_e32 v71, v69, v71
	v_sub_f32_e32 v71, v67, v71
	v_add_f32_e32 v81, v81, v71
	v_pk_add_f32 v[66:67], v[68:69], v[66:67] neg_lo:[0,1] neg_hi:[0,1]
	v_pk_add_f32 v[82:83], v[68:69], v[80:81]
	v_mov_b32_e32 v71, v68
	v_mov_b32_e32 v67, v83
	v_pk_add_f32 v[84:85], v[70:71], v[66:67] neg_lo:[0,1] neg_hi:[0,1]
	v_pk_add_f32 v[66:67], v[70:71], v[66:67]
	v_mov_b32_e32 v80, v81
	v_mov_b32_e32 v70, v67
	v_pk_add_f32 v[86:87], v[70:71], v[68:69] neg_lo:[0,1] neg_hi:[0,1]
	v_mov_b32_e32 v66, v83
	v_mov_b32_e32 v71, v86
	v_pk_add_f32 v[100:101], v[82:83], v[70:71] neg_lo:[0,1] neg_hi:[0,1]
	v_mov_b32_e32 v82, v69
	v_mov_b32_e32 v83, v86
	;; [unrolled: 1-line block ×3, first 2 shown]
	v_pk_add_f32 v[66:67], v[66:67], v[82:83] neg_lo:[0,1] neg_hi:[0,1]
	v_mov_b32_e32 v81, v68
	v_pk_add_f32 v[66:67], v[80:81], v[66:67] neg_lo:[0,1] neg_hi:[0,1]
	v_mov_b32_e32 v100, v84
	v_pk_add_f32 v[68:69], v[100:101], v[66:67]
	v_cmp_eq_f32_e64 s[26:27], s31, v99
	v_mov_b32_e32 v80, v69
	v_pk_add_f32 v[80:81], v[68:69], v[80:81]
	s_mov_b32 s31, 0x33800000
	v_pk_add_f32 v[70:71], v[70:71], v[80:81]
	v_mov_b32_e32 v67, v80
	v_mov_b32_e32 v69, v70
	v_pk_add_f32 v[82:83], v[68:69], v[84:85] neg_lo:[0,1] neg_hi:[0,1]
	v_cmp_lt_f32_e64 s[34:35], |v99|, s31
	v_sub_f32_e32 v68, v68, v82
	v_pk_add_f32 v[66:67], v[66:67], v[82:83] neg_lo:[0,1] neg_hi:[0,1]
	v_sub_f32_e32 v68, v84, v68
	v_add_f32_e32 v66, v66, v68
	v_add_f32_e32 v66, v66, v67
	;; [unrolled: 1-line block ×3, first 2 shown]
	s_or_b64 s[26:27], s[26:27], s[34:35]
	v_cndmask_b32_e64 v66, v66, v99, s[26:27]
	v_add_f32_e32 v66, v65, v66
.LBB499_296:
	s_or_b64 exec, exec, s[28:29]
	v_bfe_u32 v65, v66, 16, 1
	v_add3_u32 v65, v66, v65, s30
	v_and_b32_e32 v65, 0xffff0000, v65
	v_cmp_o_f32_e64 s[26:27], v66, v66
	s_movk_i32 s34, 0x1f8
	s_nop 0
	v_cndmask_b32_e64 v67, v55, v65, s[26:27]
	v_mov_b32_e32 v55, 16
	v_lshlrev_b32_sdwa v22, v55, v22 dst_sel:DWORD dst_unused:UNUSED_PAD src0_sel:DWORD src1_sel:WORD_1
	v_max_f32_e32 v66, v67, v67
	v_max_f32_e32 v65, v22, v22
	v_min_f32_e32 v68, v66, v65
	v_cmp_u_f32_e64 s[28:29], v67, v67
	v_max_f32_e32 v66, v66, v65
	v_cmp_u_f32_e64 s[26:27], v22, v22
	v_cndmask_b32_e64 v68, v68, v67, s[28:29]
	v_cndmask_b32_e64 v66, v66, v67, s[28:29]
	;; [unrolled: 1-line block ×4, first 2 shown]
	v_cmp_neq_f32_e64 s[28:29], v68, v66
	v_cmp_class_f32_e64 s[30:31], v68, s34
	s_or_b64 s[28:29], s[28:29], s[30:31]
	s_and_saveexec_b64 s[30:31], s[28:29]
	s_cbranch_execz .LBB499_298
; %bb.297:
	v_sub_f32_e32 v67, v68, v66
	s_mov_b32 s28, 0x3fb8aa3b
	v_mul_f32_e32 v68, 0x3fb8aa3b, v67
	v_fma_f32 v69, v67, s28, -v68
	v_rndne_f32_e32 v70, v68
	v_fmamk_f32 v69, v67, 0x32a5705f, v69
	v_sub_f32_e32 v68, v68, v70
	v_add_f32_e32 v68, v68, v69
	v_exp_f32_e32 v68, v68
	v_cvt_i32_f32_e32 v69, v70
	s_mov_b32 s28, 0xc2ce8ed0
	v_cmp_ngt_f32_e64 s[28:29], s28, v67
	s_mov_b32 s35, 0x7f800000
	v_ldexp_f32 v68, v68, v69
	v_cndmask_b32_e64 v68, 0, v68, s[28:29]
	s_mov_b32 s28, 0x42b17218
	v_mov_b32_e32 v69, 0x7f800000
	v_cmp_nlt_f32_e64 s[28:29], s28, v67
	s_nop 1
	v_cndmask_b32_e64 v99, v69, v68, s[28:29]
	v_add_f32_e32 v67, 1.0, v99
	v_add_f32_e32 v68, -1.0, v67
	v_sub_f32_e32 v69, v68, v67
	v_add_f32_e32 v69, 1.0, v69
	v_sub_f32_e32 v68, v99, v68
	v_add_f32_e32 v70, v68, v69
	v_frexp_mant_f32_e32 v71, v67
	s_mov_b32 s28, 0x3f2aaaab
	v_cvt_f64_f32_e32 v[68:69], v67
	v_frexp_exp_i32_f64_e32 v68, v[68:69]
	v_cmp_gt_f32_e64 s[28:29], s28, v71
	s_nop 1
	v_subbrev_co_u32_e64 v84, s[28:29], 0, v68, s[28:29]
	v_sub_u32_e32 v68, 0, v84
	v_ldexp_f32 v67, v67, v68
	v_ldexp_f32 v68, v70, v68
	v_add_f32_e32 v70, -1.0, v67
	v_add_f32_e32 v69, 1.0, v70
	v_sub_f32_e32 v69, v67, v69
	v_add_f32_e32 v71, v68, v69
	v_add_f32_e32 v69, 1.0, v67
	v_add_f32_e32 v80, -1.0, v69
	v_sub_f32_e32 v67, v67, v80
	v_add_f32_e32 v67, v68, v67
	v_add_f32_e32 v85, v69, v67
	v_rcp_f32_e32 v86, v85
	v_sub_f32_e32 v68, v69, v85
	v_add_f32_e32 v69, v70, v71
	v_add_f32_e32 v67, v67, v68
	v_mul_f32_e32 v100, v69, v86
	v_sub_f32_e32 v68, v70, v69
	v_mul_f32_e32 v70, v85, v100
	v_fma_f32 v80, v100, v85, -v70
	v_fmac_f32_e32 v80, v100, v67
	v_add_f32_e32 v87, v71, v68
	v_add_f32_e32 v68, v70, v80
	v_sub_f32_e32 v71, v69, v68
	v_pk_add_f32 v[82:83], v[68:69], v[70:71] neg_lo:[0,1] neg_hi:[0,1]
	v_mov_b32_e32 v81, v68
	v_pk_add_f32 v[68:69], v[82:83], v[80:81] neg_lo:[0,1] neg_hi:[0,1]
	s_mov_b32 s28, 0x3f317218
	v_add_f32_e32 v69, v87, v69
	v_add_f32_e32 v68, v68, v69
	;; [unrolled: 1-line block ×3, first 2 shown]
	v_mul_f32_e32 v87, v86, v69
	v_mul_f32_e32 v70, v85, v87
	v_fma_f32 v80, v87, v85, -v70
	v_fmac_f32_e32 v80, v87, v67
	v_sub_f32_e32 v67, v71, v69
	v_add_f32_e32 v67, v68, v67
	v_add_f32_e32 v68, v70, v80
	v_sub_f32_e32 v71, v69, v68
	v_pk_add_f32 v[82:83], v[68:69], v[70:71] neg_lo:[0,1] neg_hi:[0,1]
	v_mov_b32_e32 v81, v68
	v_pk_add_f32 v[68:69], v[82:83], v[80:81] neg_lo:[0,1] neg_hi:[0,1]
	v_cvt_f32_i32_e32 v70, v84
	v_add_f32_e32 v67, v67, v69
	v_add_f32_e32 v67, v68, v67
	;; [unrolled: 1-line block ×4, first 2 shown]
	v_sub_f32_e32 v69, v68, v100
	v_mul_f32_e32 v67, v86, v67
	v_sub_f32_e32 v69, v87, v69
	v_add_f32_e32 v67, v69, v67
	v_add_f32_e32 v71, v68, v67
	v_mul_f32_e32 v80, v71, v71
	v_mov_b32_e32 v69, 0x3ecc95a3
	v_fmac_f32_e32 v69, 0x3e9b6dac, v80
	v_sub_f32_e32 v68, v71, v68
	v_fmaak_f32 v69, v80, v69, 0x3f2aaada
	v_sub_f32_e32 v67, v67, v68
	v_ldexp_f32 v81, v71, 1
	v_mul_f32_e32 v71, v71, v80
	v_mov_b32_e32 v68, 0x3f317218
	v_pk_mul_f32 v[68:69], v[70:71], v[68:69]
	v_ldexp_f32 v67, v67, 1
	v_fma_f32 v71, v70, s28, -v68
	v_fmamk_f32 v80, v70, 0xb102e308, v71
	v_pk_add_f32 v[70:71], v[68:69], v[80:81]
	v_mov_b32_e32 v82, v68
	v_sub_f32_e32 v81, v71, v81
	v_sub_f32_e32 v81, v69, v81
	v_add_f32_e32 v83, v67, v81
	v_pk_add_f32 v[68:69], v[70:71], v[68:69] neg_lo:[0,1] neg_hi:[0,1]
	v_pk_add_f32 v[84:85], v[70:71], v[82:83]
	v_mov_b32_e32 v81, v70
	v_mov_b32_e32 v69, v85
	v_pk_add_f32 v[86:87], v[80:81], v[68:69] neg_lo:[0,1] neg_hi:[0,1]
	v_pk_add_f32 v[68:69], v[80:81], v[68:69]
	v_mov_b32_e32 v82, v83
	v_mov_b32_e32 v80, v69
	v_pk_add_f32 v[100:101], v[80:81], v[70:71] neg_lo:[0,1] neg_hi:[0,1]
	v_mov_b32_e32 v68, v85
	v_mov_b32_e32 v67, v100
	v_pk_add_f32 v[102:103], v[84:85], v[66:67] neg_lo:[0,1] neg_hi:[0,1]
	v_mov_b32_e32 v84, v71
	v_mov_b32_e32 v85, v100
	;; [unrolled: 1-line block ×3, first 2 shown]
	v_pk_add_f32 v[68:69], v[68:69], v[84:85] neg_lo:[0,1] neg_hi:[0,1]
	v_mov_b32_e32 v83, v70
	v_pk_add_f32 v[68:69], v[82:83], v[68:69] neg_lo:[0,1] neg_hi:[0,1]
	v_mov_b32_e32 v102, v86
	v_pk_add_f32 v[70:71], v[102:103], v[68:69]
	v_cmp_eq_f32_e64 s[28:29], s35, v99
	v_mov_b32_e32 v82, v71
	v_pk_add_f32 v[82:83], v[70:71], v[82:83]
	s_mov_b32 s35, 0x33800000
	v_pk_add_f32 v[80:81], v[80:81], v[82:83]
	v_mov_b32_e32 v69, v82
	v_mov_b32_e32 v71, v80
	v_pk_add_f32 v[84:85], v[70:71], v[86:87] neg_lo:[0,1] neg_hi:[0,1]
	v_cmp_lt_f32_e64 s[36:37], |v99|, s35
	v_sub_f32_e32 v67, v70, v84
	v_pk_add_f32 v[68:69], v[68:69], v[84:85] neg_lo:[0,1] neg_hi:[0,1]
	v_sub_f32_e32 v67, v86, v67
	v_add_f32_e32 v67, v68, v67
	v_add_f32_e32 v67, v67, v69
	;; [unrolled: 1-line block ×3, first 2 shown]
	s_or_b64 s[28:29], s[28:29], s[36:37]
	v_cndmask_b32_e64 v67, v67, v99, s[28:29]
	v_add_f32_e32 v67, v66, v67
.LBB499_298:
	s_or_b64 exec, exec, s[30:31]
	v_bfe_u32 v66, v67, 16, 1
	s_movk_i32 s36, 0x7fff
	v_add3_u32 v66, v67, v66, s36
	v_and_b32_e32 v68, 0xffff0000, v66
	v_mov_b32_e32 v66, 0x7fc00000
	v_cmp_o_f32_e64 s[28:29], v67, v67
	v_lshlrev_b32_sdwa v55, v55, v23 dst_sel:DWORD dst_unused:UNUSED_PAD src0_sel:DWORD src1_sel:WORD_0
	v_max_f32_e32 v67, v55, v55
	v_cndmask_b32_e64 v69, v66, v68, s[28:29]
	v_max_f32_e32 v68, v69, v69
	v_min_f32_e32 v70, v68, v67
	v_cmp_u_f32_e64 s[30:31], v69, v69
	v_max_f32_e32 v68, v68, v67
	v_cmp_u_f32_e64 s[28:29], v55, v55
	v_cndmask_b32_e64 v70, v70, v69, s[30:31]
	v_cndmask_b32_e64 v68, v68, v69, s[30:31]
	;; [unrolled: 1-line block ×4, first 2 shown]
	v_cmp_neq_f32_e64 s[30:31], v70, v68
	v_cmp_class_f32_e64 s[34:35], v70, s34
	s_or_b64 s[30:31], s[30:31], s[34:35]
	s_and_saveexec_b64 s[34:35], s[30:31]
	s_cbranch_execz .LBB499_300
; %bb.299:
	v_sub_f32_e32 v69, v70, v68
	s_mov_b32 s30, 0x3fb8aa3b
	v_mul_f32_e32 v70, 0x3fb8aa3b, v69
	v_fma_f32 v71, v69, s30, -v70
	v_rndne_f32_e32 v80, v70
	v_fmamk_f32 v71, v69, 0x32a5705f, v71
	v_sub_f32_e32 v70, v70, v80
	v_add_f32_e32 v70, v70, v71
	v_exp_f32_e32 v70, v70
	v_cvt_i32_f32_e32 v71, v80
	s_mov_b32 s30, 0xc2ce8ed0
	v_cmp_ngt_f32_e64 s[30:31], s30, v69
	s_mov_b32 s37, 0x7f800000
	v_ldexp_f32 v70, v70, v71
	v_cndmask_b32_e64 v70, 0, v70, s[30:31]
	s_mov_b32 s30, 0x42b17218
	v_mov_b32_e32 v71, 0x7f800000
	v_cmp_nlt_f32_e64 s[30:31], s30, v69
	s_nop 1
	v_cndmask_b32_e64 v99, v71, v70, s[30:31]
	v_add_f32_e32 v69, 1.0, v99
	v_add_f32_e32 v70, -1.0, v69
	v_sub_f32_e32 v71, v70, v69
	v_add_f32_e32 v71, 1.0, v71
	v_sub_f32_e32 v70, v99, v70
	v_add_f32_e32 v80, v70, v71
	v_frexp_mant_f32_e32 v81, v69
	s_mov_b32 s30, 0x3f2aaaab
	v_cvt_f64_f32_e32 v[70:71], v69
	v_frexp_exp_i32_f64_e32 v70, v[70:71]
	v_cmp_gt_f32_e64 s[30:31], s30, v81
	s_nop 1
	v_subbrev_co_u32_e64 v86, s[30:31], 0, v70, s[30:31]
	v_sub_u32_e32 v70, 0, v86
	v_ldexp_f32 v69, v69, v70
	v_ldexp_f32 v70, v80, v70
	v_add_f32_e32 v80, -1.0, v69
	v_add_f32_e32 v71, 1.0, v80
	v_sub_f32_e32 v71, v69, v71
	v_add_f32_e32 v81, v70, v71
	v_add_f32_e32 v71, 1.0, v69
	v_add_f32_e32 v82, -1.0, v71
	v_sub_f32_e32 v69, v69, v82
	v_add_f32_e32 v69, v70, v69
	v_add_f32_e32 v87, v71, v69
	v_rcp_f32_e32 v100, v87
	v_sub_f32_e32 v70, v71, v87
	v_add_f32_e32 v71, v80, v81
	v_add_f32_e32 v69, v69, v70
	v_mul_f32_e32 v102, v71, v100
	v_sub_f32_e32 v70, v80, v71
	v_mul_f32_e32 v80, v87, v102
	v_fma_f32 v82, v102, v87, -v80
	v_fmac_f32_e32 v82, v102, v69
	v_add_f32_e32 v101, v81, v70
	v_add_f32_e32 v70, v80, v82
	v_sub_f32_e32 v81, v71, v70
	v_pk_add_f32 v[84:85], v[70:71], v[80:81] neg_lo:[0,1] neg_hi:[0,1]
	v_mov_b32_e32 v83, v70
	v_pk_add_f32 v[70:71], v[84:85], v[82:83] neg_lo:[0,1] neg_hi:[0,1]
	s_mov_b32 s30, 0x3f317218
	v_add_f32_e32 v71, v101, v71
	v_add_f32_e32 v70, v70, v71
	;; [unrolled: 1-line block ×3, first 2 shown]
	v_mul_f32_e32 v101, v100, v71
	v_mul_f32_e32 v80, v87, v101
	v_fma_f32 v82, v101, v87, -v80
	v_fmac_f32_e32 v82, v101, v69
	v_sub_f32_e32 v69, v81, v71
	v_add_f32_e32 v69, v70, v69
	v_add_f32_e32 v70, v80, v82
	v_sub_f32_e32 v81, v71, v70
	v_pk_add_f32 v[84:85], v[70:71], v[80:81] neg_lo:[0,1] neg_hi:[0,1]
	v_mov_b32_e32 v83, v70
	v_pk_add_f32 v[70:71], v[84:85], v[82:83] neg_lo:[0,1] neg_hi:[0,1]
	v_cvt_f32_i32_e32 v80, v86
	v_add_f32_e32 v69, v69, v71
	v_add_f32_e32 v69, v70, v69
	;; [unrolled: 1-line block ×4, first 2 shown]
	v_sub_f32_e32 v71, v70, v102
	v_mul_f32_e32 v69, v100, v69
	v_sub_f32_e32 v71, v101, v71
	v_add_f32_e32 v69, v71, v69
	v_add_f32_e32 v81, v70, v69
	v_mul_f32_e32 v82, v81, v81
	v_mov_b32_e32 v71, 0x3ecc95a3
	v_fmac_f32_e32 v71, 0x3e9b6dac, v82
	v_sub_f32_e32 v70, v81, v70
	v_fmaak_f32 v71, v82, v71, 0x3f2aaada
	v_sub_f32_e32 v69, v69, v70
	v_ldexp_f32 v83, v81, 1
	v_mul_f32_e32 v81, v81, v82
	v_mov_b32_e32 v70, 0x3f317218
	v_pk_mul_f32 v[70:71], v[80:81], v[70:71]
	v_ldexp_f32 v69, v69, 1
	v_fma_f32 v81, v80, s30, -v70
	v_fmamk_f32 v82, v80, 0xb102e308, v81
	v_pk_add_f32 v[80:81], v[70:71], v[82:83]
	v_mov_b32_e32 v84, v70
	v_sub_f32_e32 v83, v81, v83
	v_sub_f32_e32 v83, v71, v83
	v_add_f32_e32 v85, v69, v83
	v_pk_add_f32 v[70:71], v[80:81], v[70:71] neg_lo:[0,1] neg_hi:[0,1]
	v_pk_add_f32 v[86:87], v[80:81], v[84:85]
	v_mov_b32_e32 v83, v80
	v_mov_b32_e32 v71, v87
	v_pk_add_f32 v[100:101], v[82:83], v[70:71] neg_lo:[0,1] neg_hi:[0,1]
	v_pk_add_f32 v[70:71], v[82:83], v[70:71]
	v_mov_b32_e32 v84, v85
	v_mov_b32_e32 v82, v71
	v_pk_add_f32 v[102:103], v[82:83], v[80:81] neg_lo:[0,1] neg_hi:[0,1]
	v_mov_b32_e32 v70, v87
	v_mov_b32_e32 v69, v102
	v_pk_add_f32 v[112:113], v[86:87], v[68:69] neg_lo:[0,1] neg_hi:[0,1]
	v_mov_b32_e32 v86, v81
	v_mov_b32_e32 v87, v102
	;; [unrolled: 1-line block ×3, first 2 shown]
	v_pk_add_f32 v[70:71], v[70:71], v[86:87] neg_lo:[0,1] neg_hi:[0,1]
	v_mov_b32_e32 v85, v80
	v_pk_add_f32 v[70:71], v[84:85], v[70:71] neg_lo:[0,1] neg_hi:[0,1]
	v_mov_b32_e32 v112, v100
	v_pk_add_f32 v[80:81], v[112:113], v[70:71]
	v_cmp_eq_f32_e64 s[30:31], s37, v99
	v_mov_b32_e32 v84, v81
	v_pk_add_f32 v[84:85], v[80:81], v[84:85]
	s_mov_b32 s37, 0x33800000
	v_pk_add_f32 v[82:83], v[82:83], v[84:85]
	v_mov_b32_e32 v71, v84
	v_mov_b32_e32 v81, v82
	v_pk_add_f32 v[86:87], v[80:81], v[100:101] neg_lo:[0,1] neg_hi:[0,1]
	v_cmp_lt_f32_e64 s[38:39], |v99|, s37
	v_sub_f32_e32 v69, v80, v86
	v_pk_add_f32 v[70:71], v[70:71], v[86:87] neg_lo:[0,1] neg_hi:[0,1]
	v_sub_f32_e32 v69, v100, v69
	v_add_f32_e32 v69, v70, v69
	v_add_f32_e32 v69, v69, v71
	;; [unrolled: 1-line block ×3, first 2 shown]
	s_or_b64 s[30:31], s[30:31], s[38:39]
	v_cndmask_b32_e64 v69, v69, v99, s[30:31]
	v_add_f32_e32 v69, v68, v69
.LBB499_300:
	s_or_b64 exec, exec, s[34:35]
	v_bfe_u32 v68, v69, 16, 1
	v_add3_u32 v68, v69, v68, s36
	v_and_b32_e32 v68, 0xffff0000, v68
	v_cmp_o_f32_e64 s[30:31], v69, v69
	s_movk_i32 s38, 0x1f8
	s_nop 0
	v_cndmask_b32_e64 v70, v66, v68, s[30:31]
	v_mov_b32_e32 v66, 16
	v_lshlrev_b32_sdwa v23, v66, v23 dst_sel:DWORD dst_unused:UNUSED_PAD src0_sel:DWORD src1_sel:WORD_1
	v_max_f32_e32 v69, v70, v70
	v_max_f32_e32 v68, v23, v23
	v_min_f32_e32 v71, v69, v68
	v_cmp_u_f32_e64 s[34:35], v70, v70
	v_max_f32_e32 v69, v69, v68
	v_cmp_u_f32_e64 s[30:31], v23, v23
	v_cndmask_b32_e64 v71, v71, v70, s[34:35]
	v_cndmask_b32_e64 v69, v69, v70, s[34:35]
	;; [unrolled: 1-line block ×4, first 2 shown]
	v_cmp_neq_f32_e64 s[34:35], v71, v69
	v_cmp_class_f32_e64 s[36:37], v71, s38
	s_or_b64 s[34:35], s[34:35], s[36:37]
	s_and_saveexec_b64 s[36:37], s[34:35]
	s_cbranch_execz .LBB499_302
; %bb.301:
	v_sub_f32_e32 v70, v71, v69
	s_mov_b32 s34, 0x3fb8aa3b
	v_mul_f32_e32 v71, 0x3fb8aa3b, v70
	v_fma_f32 v80, v70, s34, -v71
	v_rndne_f32_e32 v81, v71
	v_fmamk_f32 v80, v70, 0x32a5705f, v80
	v_sub_f32_e32 v71, v71, v81
	v_add_f32_e32 v71, v71, v80
	v_exp_f32_e32 v71, v71
	v_cvt_i32_f32_e32 v80, v81
	s_mov_b32 s34, 0xc2ce8ed0
	v_cmp_ngt_f32_e64 s[34:35], s34, v70
	s_mov_b32 s39, 0x7f800000
	v_ldexp_f32 v71, v71, v80
	v_cndmask_b32_e64 v71, 0, v71, s[34:35]
	s_mov_b32 s34, 0x42b17218
	v_mov_b32_e32 v80, 0x7f800000
	v_cmp_nlt_f32_e64 s[34:35], s34, v70
	s_nop 1
	v_cndmask_b32_e64 v99, v80, v71, s[34:35]
	v_add_f32_e32 v80, 1.0, v99
	v_add_f32_e32 v70, -1.0, v80
	v_sub_f32_e32 v71, v70, v80
	v_add_f32_e32 v71, 1.0, v71
	v_sub_f32_e32 v70, v99, v70
	v_add_f32_e32 v81, v70, v71
	v_frexp_mant_f32_e32 v82, v80
	s_mov_b32 s34, 0x3f2aaaab
	v_cvt_f64_f32_e32 v[70:71], v80
	v_frexp_exp_i32_f64_e32 v70, v[70:71]
	v_cmp_gt_f32_e64 s[34:35], s34, v82
	s_nop 1
	v_subbrev_co_u32_e64 v86, s[34:35], 0, v70, s[34:35]
	v_sub_u32_e32 v70, 0, v86
	v_ldexp_f32 v71, v80, v70
	v_add_f32_e32 v80, -1.0, v71
	v_add_f32_e32 v82, 1.0, v71
	v_ldexp_f32 v70, v81, v70
	v_add_f32_e32 v81, 1.0, v80
	v_add_f32_e32 v83, -1.0, v82
	v_sub_f32_e32 v81, v71, v81
	v_sub_f32_e32 v71, v71, v83
	v_add_f32_e32 v81, v70, v81
	v_add_f32_e32 v70, v70, v71
	;; [unrolled: 1-line block ×3, first 2 shown]
	v_rcp_f32_e32 v101, v87
	v_sub_f32_e32 v71, v82, v87
	v_add_f32_e32 v100, v70, v71
	v_add_f32_e32 v71, v80, v81
	v_mul_f32_e32 v103, v71, v101
	v_sub_f32_e32 v70, v80, v71
	v_mul_f32_e32 v80, v87, v103
	v_fma_f32 v82, v103, v87, -v80
	v_fmac_f32_e32 v82, v103, v100
	v_add_f32_e32 v102, v81, v70
	v_add_f32_e32 v70, v80, v82
	v_sub_f32_e32 v81, v71, v70
	v_pk_add_f32 v[84:85], v[70:71], v[80:81] neg_lo:[0,1] neg_hi:[0,1]
	v_mov_b32_e32 v83, v70
	v_pk_add_f32 v[70:71], v[84:85], v[82:83] neg_lo:[0,1] neg_hi:[0,1]
	s_mov_b32 s34, 0x3f317218
	v_add_f32_e32 v71, v102, v71
	v_add_f32_e32 v70, v70, v71
	;; [unrolled: 1-line block ×3, first 2 shown]
	v_mul_f32_e32 v102, v101, v71
	v_mul_f32_e32 v80, v87, v102
	v_fma_f32 v82, v102, v87, -v80
	v_fmac_f32_e32 v82, v102, v100
	v_sub_f32_e32 v81, v81, v71
	v_add_f32_e32 v87, v70, v81
	v_add_f32_e32 v70, v80, v82
	v_sub_f32_e32 v81, v71, v70
	v_pk_add_f32 v[84:85], v[70:71], v[80:81] neg_lo:[0,1] neg_hi:[0,1]
	v_mov_b32_e32 v83, v70
	v_pk_add_f32 v[70:71], v[84:85], v[82:83] neg_lo:[0,1] neg_hi:[0,1]
	v_cvt_f32_i32_e32 v80, v86
	v_add_f32_e32 v71, v87, v71
	v_add_f32_e32 v70, v70, v71
	;; [unrolled: 1-line block ×4, first 2 shown]
	v_sub_f32_e32 v71, v81, v103
	v_mul_f32_e32 v70, v101, v70
	v_sub_f32_e32 v71, v102, v71
	v_add_f32_e32 v70, v71, v70
	v_add_f32_e32 v82, v81, v70
	v_mul_f32_e32 v84, v82, v82
	v_mov_b32_e32 v71, 0x3ecc95a3
	v_sub_f32_e32 v81, v82, v81
	v_fmac_f32_e32 v71, 0x3e9b6dac, v84
	v_sub_f32_e32 v70, v70, v81
	v_fmaak_f32 v71, v84, v71, 0x3f2aaada
	v_ldexp_f32 v85, v70, 1
	v_mul_f32_e32 v81, v82, v84
	v_mov_b32_e32 v70, 0x3f317218
	v_pk_mul_f32 v[70:71], v[80:81], v[70:71]
	v_ldexp_f32 v83, v82, 1
	v_fma_f32 v81, v80, s34, -v70
	v_fmamk_f32 v82, v80, 0xb102e308, v81
	v_pk_add_f32 v[80:81], v[70:71], v[82:83]
	v_mov_b32_e32 v84, v70
	v_sub_f32_e32 v83, v81, v83
	v_sub_f32_e32 v83, v71, v83
	v_add_f32_e32 v85, v85, v83
	v_pk_add_f32 v[70:71], v[80:81], v[70:71] neg_lo:[0,1] neg_hi:[0,1]
	v_pk_add_f32 v[86:87], v[80:81], v[84:85]
	v_mov_b32_e32 v83, v80
	v_mov_b32_e32 v71, v87
	v_pk_add_f32 v[100:101], v[82:83], v[70:71] neg_lo:[0,1] neg_hi:[0,1]
	v_pk_add_f32 v[70:71], v[82:83], v[70:71]
	v_mov_b32_e32 v84, v85
	v_mov_b32_e32 v82, v71
	v_pk_add_f32 v[102:103], v[82:83], v[80:81] neg_lo:[0,1] neg_hi:[0,1]
	v_mov_b32_e32 v70, v87
	v_mov_b32_e32 v83, v102
	v_pk_add_f32 v[112:113], v[86:87], v[82:83] neg_lo:[0,1] neg_hi:[0,1]
	v_mov_b32_e32 v86, v81
	v_mov_b32_e32 v87, v102
	;; [unrolled: 1-line block ×3, first 2 shown]
	v_pk_add_f32 v[70:71], v[70:71], v[86:87] neg_lo:[0,1] neg_hi:[0,1]
	v_mov_b32_e32 v85, v80
	v_pk_add_f32 v[70:71], v[84:85], v[70:71] neg_lo:[0,1] neg_hi:[0,1]
	v_mov_b32_e32 v112, v100
	v_pk_add_f32 v[80:81], v[112:113], v[70:71]
	v_cmp_eq_f32_e64 s[34:35], s39, v99
	v_mov_b32_e32 v84, v81
	v_pk_add_f32 v[84:85], v[80:81], v[84:85]
	s_mov_b32 s39, 0x33800000
	v_pk_add_f32 v[82:83], v[82:83], v[84:85]
	v_mov_b32_e32 v71, v84
	v_mov_b32_e32 v81, v82
	v_pk_add_f32 v[86:87], v[80:81], v[100:101] neg_lo:[0,1] neg_hi:[0,1]
	v_cmp_lt_f32_e64 s[40:41], |v99|, s39
	v_sub_f32_e32 v80, v80, v86
	v_pk_add_f32 v[70:71], v[70:71], v[86:87] neg_lo:[0,1] neg_hi:[0,1]
	v_sub_f32_e32 v80, v100, v80
	v_add_f32_e32 v70, v70, v80
	v_add_f32_e32 v70, v70, v71
	;; [unrolled: 1-line block ×3, first 2 shown]
	s_or_b64 s[34:35], s[34:35], s[40:41]
	v_cndmask_b32_e64 v70, v70, v99, s[34:35]
	v_add_f32_e32 v70, v69, v70
.LBB499_302:
	s_or_b64 exec, exec, s[36:37]
	v_bfe_u32 v69, v70, 16, 1
	s_movk_i32 s40, 0x7fff
	v_add3_u32 v69, v70, v69, s40
	v_and_b32_e32 v71, 0xffff0000, v69
	v_mov_b32_e32 v69, 0x7fc00000
	v_cmp_o_f32_e64 s[34:35], v70, v70
	v_lshlrev_b32_sdwa v66, v66, v16 dst_sel:DWORD dst_unused:UNUSED_PAD src0_sel:DWORD src1_sel:WORD_0
	v_max_f32_e32 v70, v66, v66
	v_cndmask_b32_e64 v80, v69, v71, s[34:35]
	v_max_f32_e32 v71, v80, v80
	v_min_f32_e32 v81, v71, v70
	v_cmp_u_f32_e64 s[36:37], v80, v80
	v_max_f32_e32 v71, v71, v70
	v_cmp_u_f32_e64 s[34:35], v66, v66
	v_cndmask_b32_e64 v81, v81, v80, s[36:37]
	v_cndmask_b32_e64 v71, v71, v80, s[36:37]
	;; [unrolled: 1-line block ×4, first 2 shown]
	v_cmp_neq_f32_e64 s[36:37], v81, v71
	v_cmp_class_f32_e64 s[38:39], v81, s38
	s_or_b64 s[36:37], s[36:37], s[38:39]
	s_and_saveexec_b64 s[38:39], s[36:37]
	s_cbranch_execz .LBB499_304
; %bb.303:
	v_sub_f32_e32 v80, v81, v71
	s_mov_b32 s36, 0x3fb8aa3b
	v_mul_f32_e32 v81, 0x3fb8aa3b, v80
	v_fma_f32 v82, v80, s36, -v81
	v_rndne_f32_e32 v83, v81
	v_fmamk_f32 v82, v80, 0x32a5705f, v82
	v_sub_f32_e32 v81, v81, v83
	v_add_f32_e32 v81, v81, v82
	v_exp_f32_e32 v81, v81
	v_cvt_i32_f32_e32 v82, v83
	s_mov_b32 s36, 0xc2ce8ed0
	v_cmp_ngt_f32_e64 s[36:37], s36, v80
	s_mov_b32 s41, 0x7f800000
	v_ldexp_f32 v81, v81, v82
	v_cndmask_b32_e64 v81, 0, v81, s[36:37]
	s_mov_b32 s36, 0x42b17218
	v_mov_b32_e32 v82, 0x7f800000
	v_cmp_nlt_f32_e64 s[36:37], s36, v80
	s_nop 1
	v_cndmask_b32_e64 v99, v82, v81, s[36:37]
	v_add_f32_e32 v82, 1.0, v99
	v_add_f32_e32 v80, -1.0, v82
	v_sub_f32_e32 v81, v80, v82
	v_add_f32_e32 v81, 1.0, v81
	v_sub_f32_e32 v80, v99, v80
	v_add_f32_e32 v83, v80, v81
	v_frexp_mant_f32_e32 v84, v82
	s_mov_b32 s36, 0x3f2aaaab
	v_cvt_f64_f32_e32 v[80:81], v82
	v_frexp_exp_i32_f64_e32 v80, v[80:81]
	v_cmp_gt_f32_e64 s[36:37], s36, v84
	s_nop 1
	v_subbrev_co_u32_e64 v100, s[36:37], 0, v80, s[36:37]
	v_sub_u32_e32 v80, 0, v100
	v_ldexp_f32 v81, v82, v80
	v_add_f32_e32 v82, -1.0, v81
	v_add_f32_e32 v84, 1.0, v81
	v_ldexp_f32 v80, v83, v80
	v_add_f32_e32 v83, 1.0, v82
	v_add_f32_e32 v85, -1.0, v84
	v_sub_f32_e32 v83, v81, v83
	v_sub_f32_e32 v81, v81, v85
	v_add_f32_e32 v83, v80, v83
	v_add_f32_e32 v80, v80, v81
	;; [unrolled: 1-line block ×3, first 2 shown]
	v_rcp_f32_e32 v103, v101
	v_sub_f32_e32 v81, v84, v101
	v_add_f32_e32 v102, v80, v81
	v_add_f32_e32 v81, v82, v83
	v_mul_f32_e32 v113, v81, v103
	v_sub_f32_e32 v80, v82, v81
	v_mul_f32_e32 v82, v101, v113
	v_fma_f32 v84, v113, v101, -v82
	v_fmac_f32_e32 v84, v113, v102
	v_add_f32_e32 v112, v83, v80
	v_add_f32_e32 v80, v82, v84
	v_sub_f32_e32 v83, v81, v80
	v_pk_add_f32 v[86:87], v[80:81], v[82:83] neg_lo:[0,1] neg_hi:[0,1]
	v_mov_b32_e32 v85, v80
	v_pk_add_f32 v[80:81], v[86:87], v[84:85] neg_lo:[0,1] neg_hi:[0,1]
	s_mov_b32 s36, 0x3f317218
	v_add_f32_e32 v81, v112, v81
	v_add_f32_e32 v80, v80, v81
	;; [unrolled: 1-line block ×3, first 2 shown]
	v_mul_f32_e32 v112, v103, v81
	v_mul_f32_e32 v82, v101, v112
	v_fma_f32 v84, v112, v101, -v82
	v_fmac_f32_e32 v84, v112, v102
	v_sub_f32_e32 v83, v83, v81
	v_add_f32_e32 v101, v80, v83
	v_add_f32_e32 v80, v82, v84
	v_sub_f32_e32 v83, v81, v80
	v_pk_add_f32 v[86:87], v[80:81], v[82:83] neg_lo:[0,1] neg_hi:[0,1]
	v_mov_b32_e32 v85, v80
	v_pk_add_f32 v[80:81], v[86:87], v[84:85] neg_lo:[0,1] neg_hi:[0,1]
	v_cvt_f32_i32_e32 v82, v100
	v_add_f32_e32 v81, v101, v81
	v_add_f32_e32 v80, v80, v81
	;; [unrolled: 1-line block ×4, first 2 shown]
	v_sub_f32_e32 v81, v83, v113
	v_mul_f32_e32 v80, v103, v80
	v_sub_f32_e32 v81, v112, v81
	v_add_f32_e32 v80, v81, v80
	v_add_f32_e32 v84, v83, v80
	v_mul_f32_e32 v86, v84, v84
	v_mov_b32_e32 v81, 0x3ecc95a3
	v_sub_f32_e32 v83, v84, v83
	v_fmac_f32_e32 v81, 0x3e9b6dac, v86
	v_sub_f32_e32 v80, v80, v83
	v_fmaak_f32 v81, v86, v81, 0x3f2aaada
	v_ldexp_f32 v87, v80, 1
	v_mul_f32_e32 v83, v84, v86
	v_mov_b32_e32 v80, 0x3f317218
	v_pk_mul_f32 v[80:81], v[82:83], v[80:81]
	v_ldexp_f32 v85, v84, 1
	v_fma_f32 v83, v82, s36, -v80
	v_fmamk_f32 v84, v82, 0xb102e308, v83
	v_pk_add_f32 v[82:83], v[80:81], v[84:85]
	v_mov_b32_e32 v86, v80
	v_sub_f32_e32 v85, v83, v85
	v_sub_f32_e32 v85, v81, v85
	v_add_f32_e32 v87, v87, v85
	v_pk_add_f32 v[80:81], v[82:83], v[80:81] neg_lo:[0,1] neg_hi:[0,1]
	v_pk_add_f32 v[100:101], v[82:83], v[86:87]
	v_mov_b32_e32 v85, v82
	v_mov_b32_e32 v81, v101
	v_pk_add_f32 v[102:103], v[84:85], v[80:81] neg_lo:[0,1] neg_hi:[0,1]
	v_pk_add_f32 v[80:81], v[84:85], v[80:81]
	v_mov_b32_e32 v86, v87
	v_mov_b32_e32 v84, v81
	v_pk_add_f32 v[112:113], v[84:85], v[82:83] neg_lo:[0,1] neg_hi:[0,1]
	v_mov_b32_e32 v80, v101
	v_mov_b32_e32 v85, v112
	v_pk_add_f32 v[114:115], v[100:101], v[84:85] neg_lo:[0,1] neg_hi:[0,1]
	v_mov_b32_e32 v100, v83
	v_mov_b32_e32 v101, v112
	;; [unrolled: 1-line block ×3, first 2 shown]
	v_pk_add_f32 v[80:81], v[80:81], v[100:101] neg_lo:[0,1] neg_hi:[0,1]
	v_mov_b32_e32 v87, v82
	v_pk_add_f32 v[80:81], v[86:87], v[80:81] neg_lo:[0,1] neg_hi:[0,1]
	v_mov_b32_e32 v114, v102
	v_pk_add_f32 v[82:83], v[114:115], v[80:81]
	v_cmp_eq_f32_e64 s[36:37], s41, v99
	v_mov_b32_e32 v86, v83
	v_pk_add_f32 v[86:87], v[82:83], v[86:87]
	s_mov_b32 s41, 0x33800000
	v_pk_add_f32 v[84:85], v[84:85], v[86:87]
	v_mov_b32_e32 v81, v86
	v_mov_b32_e32 v83, v84
	v_pk_add_f32 v[100:101], v[82:83], v[102:103] neg_lo:[0,1] neg_hi:[0,1]
	v_cmp_lt_f32_e64 s[42:43], |v99|, s41
	v_sub_f32_e32 v82, v82, v100
	v_pk_add_f32 v[80:81], v[80:81], v[100:101] neg_lo:[0,1] neg_hi:[0,1]
	v_sub_f32_e32 v82, v102, v82
	v_add_f32_e32 v80, v80, v82
	v_add_f32_e32 v80, v80, v81
	v_add_f32_e32 v80, v84, v80
	s_or_b64 s[36:37], s[36:37], s[42:43]
	v_cndmask_b32_e64 v80, v80, v99, s[36:37]
	v_add_f32_e32 v80, v71, v80
.LBB499_304:
	s_or_b64 exec, exec, s[38:39]
	v_bfe_u32 v71, v80, 16, 1
	v_add3_u32 v71, v80, v71, s40
	v_and_b32_e32 v71, 0xffff0000, v71
	v_cmp_o_f32_e64 s[36:37], v80, v80
	s_movk_i32 s42, 0x1f8
	s_nop 0
	v_cndmask_b32_e64 v81, v69, v71, s[36:37]
	v_mov_b32_e32 v69, 16
	v_lshlrev_b32_sdwa v16, v69, v16 dst_sel:DWORD dst_unused:UNUSED_PAD src0_sel:DWORD src1_sel:WORD_1
	v_max_f32_e32 v80, v81, v81
	v_max_f32_e32 v71, v16, v16
	v_min_f32_e32 v82, v80, v71
	v_cmp_u_f32_e64 s[38:39], v81, v81
	v_max_f32_e32 v80, v80, v71
	v_cmp_u_f32_e64 s[36:37], v16, v16
	v_cndmask_b32_e64 v82, v82, v81, s[38:39]
	v_cndmask_b32_e64 v80, v80, v81, s[38:39]
	;; [unrolled: 1-line block ×4, first 2 shown]
	v_cmp_neq_f32_e64 s[38:39], v82, v80
	v_cmp_class_f32_e64 s[40:41], v82, s42
	s_or_b64 s[38:39], s[38:39], s[40:41]
	s_and_saveexec_b64 s[40:41], s[38:39]
	s_cbranch_execz .LBB499_306
; %bb.305:
	v_sub_f32_e32 v81, v82, v80
	s_mov_b32 s38, 0x3fb8aa3b
	v_mul_f32_e32 v82, 0x3fb8aa3b, v81
	v_fma_f32 v83, v81, s38, -v82
	v_rndne_f32_e32 v84, v82
	v_fmamk_f32 v83, v81, 0x32a5705f, v83
	v_sub_f32_e32 v82, v82, v84
	v_add_f32_e32 v82, v82, v83
	v_exp_f32_e32 v82, v82
	v_cvt_i32_f32_e32 v83, v84
	s_mov_b32 s38, 0xc2ce8ed0
	v_cmp_ngt_f32_e64 s[38:39], s38, v81
	s_mov_b32 s43, 0x7f800000
	v_ldexp_f32 v82, v82, v83
	v_cndmask_b32_e64 v82, 0, v82, s[38:39]
	s_mov_b32 s38, 0x42b17218
	v_mov_b32_e32 v83, 0x7f800000
	v_cmp_nlt_f32_e64 s[38:39], s38, v81
	s_nop 1
	v_cndmask_b32_e64 v99, v83, v82, s[38:39]
	v_add_f32_e32 v81, 1.0, v99
	v_add_f32_e32 v82, -1.0, v81
	v_sub_f32_e32 v83, v82, v81
	v_add_f32_e32 v83, 1.0, v83
	v_sub_f32_e32 v82, v99, v82
	v_add_f32_e32 v84, v82, v83
	v_frexp_mant_f32_e32 v85, v81
	s_mov_b32 s38, 0x3f2aaaab
	v_cvt_f64_f32_e32 v[82:83], v81
	v_frexp_exp_i32_f64_e32 v82, v[82:83]
	v_cmp_gt_f32_e64 s[38:39], s38, v85
	s_nop 1
	v_subbrev_co_u32_e64 v102, s[38:39], 0, v82, s[38:39]
	v_sub_u32_e32 v82, 0, v102
	v_ldexp_f32 v81, v81, v82
	v_ldexp_f32 v82, v84, v82
	v_add_f32_e32 v84, -1.0, v81
	v_add_f32_e32 v83, 1.0, v84
	v_sub_f32_e32 v83, v81, v83
	v_add_f32_e32 v85, v82, v83
	v_add_f32_e32 v83, 1.0, v81
	v_add_f32_e32 v86, -1.0, v83
	v_sub_f32_e32 v81, v81, v86
	v_add_f32_e32 v81, v82, v81
	v_add_f32_e32 v103, v83, v81
	v_rcp_f32_e32 v112, v103
	v_sub_f32_e32 v82, v83, v103
	v_add_f32_e32 v83, v84, v85
	v_add_f32_e32 v81, v81, v82
	v_mul_f32_e32 v114, v83, v112
	v_sub_f32_e32 v82, v84, v83
	v_mul_f32_e32 v84, v103, v114
	v_fma_f32 v86, v114, v103, -v84
	v_fmac_f32_e32 v86, v114, v81
	v_add_f32_e32 v113, v85, v82
	v_add_f32_e32 v82, v84, v86
	v_sub_f32_e32 v85, v83, v82
	v_pk_add_f32 v[100:101], v[82:83], v[84:85] neg_lo:[0,1] neg_hi:[0,1]
	v_mov_b32_e32 v87, v82
	v_pk_add_f32 v[82:83], v[100:101], v[86:87] neg_lo:[0,1] neg_hi:[0,1]
	s_mov_b32 s38, 0x3f317218
	v_add_f32_e32 v83, v113, v83
	v_add_f32_e32 v82, v82, v83
	;; [unrolled: 1-line block ×3, first 2 shown]
	v_mul_f32_e32 v113, v112, v83
	v_mul_f32_e32 v84, v103, v113
	v_fma_f32 v86, v113, v103, -v84
	v_fmac_f32_e32 v86, v113, v81
	v_sub_f32_e32 v81, v85, v83
	v_add_f32_e32 v81, v82, v81
	v_add_f32_e32 v82, v84, v86
	v_sub_f32_e32 v85, v83, v82
	v_pk_add_f32 v[100:101], v[82:83], v[84:85] neg_lo:[0,1] neg_hi:[0,1]
	v_mov_b32_e32 v87, v82
	v_pk_add_f32 v[82:83], v[100:101], v[86:87] neg_lo:[0,1] neg_hi:[0,1]
	v_cvt_f32_i32_e32 v84, v102
	v_add_f32_e32 v81, v81, v83
	v_add_f32_e32 v81, v82, v81
	;; [unrolled: 1-line block ×4, first 2 shown]
	v_sub_f32_e32 v83, v82, v114
	v_mul_f32_e32 v81, v112, v81
	v_sub_f32_e32 v83, v113, v83
	v_add_f32_e32 v81, v83, v81
	v_add_f32_e32 v85, v82, v81
	v_mul_f32_e32 v86, v85, v85
	v_mov_b32_e32 v83, 0x3ecc95a3
	v_fmac_f32_e32 v83, 0x3e9b6dac, v86
	v_sub_f32_e32 v82, v85, v82
	v_fmaak_f32 v83, v86, v83, 0x3f2aaada
	v_sub_f32_e32 v81, v81, v82
	v_ldexp_f32 v87, v85, 1
	v_mul_f32_e32 v85, v85, v86
	v_mov_b32_e32 v82, 0x3f317218
	v_pk_mul_f32 v[82:83], v[84:85], v[82:83]
	v_ldexp_f32 v81, v81, 1
	v_fma_f32 v85, v84, s38, -v82
	v_fmamk_f32 v86, v84, 0xb102e308, v85
	v_pk_add_f32 v[84:85], v[82:83], v[86:87]
	v_mov_b32_e32 v100, v82
	v_sub_f32_e32 v87, v85, v87
	v_sub_f32_e32 v87, v83, v87
	v_add_f32_e32 v101, v81, v87
	v_pk_add_f32 v[82:83], v[84:85], v[82:83] neg_lo:[0,1] neg_hi:[0,1]
	v_pk_add_f32 v[102:103], v[84:85], v[100:101]
	v_mov_b32_e32 v87, v84
	v_mov_b32_e32 v83, v103
	v_pk_add_f32 v[112:113], v[86:87], v[82:83] neg_lo:[0,1] neg_hi:[0,1]
	v_pk_add_f32 v[82:83], v[86:87], v[82:83]
	v_mov_b32_e32 v100, v101
	v_mov_b32_e32 v86, v83
	v_pk_add_f32 v[114:115], v[86:87], v[84:85] neg_lo:[0,1] neg_hi:[0,1]
	v_mov_b32_e32 v82, v103
	v_mov_b32_e32 v81, v114
	v_pk_add_f32 v[116:117], v[102:103], v[80:81] neg_lo:[0,1] neg_hi:[0,1]
	v_mov_b32_e32 v102, v85
	v_mov_b32_e32 v103, v114
	;; [unrolled: 1-line block ×3, first 2 shown]
	v_pk_add_f32 v[82:83], v[82:83], v[102:103] neg_lo:[0,1] neg_hi:[0,1]
	v_mov_b32_e32 v101, v84
	v_pk_add_f32 v[82:83], v[100:101], v[82:83] neg_lo:[0,1] neg_hi:[0,1]
	v_mov_b32_e32 v116, v112
	v_pk_add_f32 v[84:85], v[116:117], v[82:83]
	v_cmp_eq_f32_e64 s[38:39], s43, v99
	v_mov_b32_e32 v100, v85
	v_pk_add_f32 v[100:101], v[84:85], v[100:101]
	s_mov_b32 s43, 0x33800000
	v_pk_add_f32 v[86:87], v[86:87], v[100:101]
	v_mov_b32_e32 v83, v100
	v_mov_b32_e32 v85, v86
	v_pk_add_f32 v[102:103], v[84:85], v[112:113] neg_lo:[0,1] neg_hi:[0,1]
	v_cmp_lt_f32_e64 s[44:45], |v99|, s43
	v_sub_f32_e32 v81, v84, v102
	v_pk_add_f32 v[82:83], v[82:83], v[102:103] neg_lo:[0,1] neg_hi:[0,1]
	v_sub_f32_e32 v81, v112, v81
	v_add_f32_e32 v81, v82, v81
	v_add_f32_e32 v81, v81, v83
	;; [unrolled: 1-line block ×3, first 2 shown]
	s_or_b64 s[38:39], s[38:39], s[44:45]
	v_cndmask_b32_e64 v81, v81, v99, s[38:39]
	v_add_f32_e32 v81, v80, v81
.LBB499_306:
	s_or_b64 exec, exec, s[40:41]
	v_bfe_u32 v80, v81, 16, 1
	s_movk_i32 s44, 0x7fff
	v_add3_u32 v80, v81, v80, s44
	v_and_b32_e32 v82, 0xffff0000, v80
	v_mov_b32_e32 v80, 0x7fc00000
	v_cmp_o_f32_e64 s[38:39], v81, v81
	v_lshlrev_b32_sdwa v69, v69, v17 dst_sel:DWORD dst_unused:UNUSED_PAD src0_sel:DWORD src1_sel:WORD_0
	v_max_f32_e32 v81, v69, v69
	v_cndmask_b32_e64 v83, v80, v82, s[38:39]
	v_max_f32_e32 v82, v83, v83
	v_min_f32_e32 v84, v82, v81
	v_cmp_u_f32_e64 s[40:41], v83, v83
	v_max_f32_e32 v82, v82, v81
	v_cmp_u_f32_e64 s[38:39], v69, v69
	v_cndmask_b32_e64 v84, v84, v83, s[40:41]
	v_cndmask_b32_e64 v82, v82, v83, s[40:41]
	v_cndmask_b32_e64 v84, v84, v69, s[38:39]
	v_cndmask_b32_e64 v82, v82, v69, s[38:39]
	v_cmp_neq_f32_e64 s[40:41], v84, v82
	v_cmp_class_f32_e64 s[42:43], v84, s42
	s_or_b64 s[40:41], s[40:41], s[42:43]
	s_and_saveexec_b64 s[42:43], s[40:41]
	s_cbranch_execz .LBB499_308
; %bb.307:
	v_sub_f32_e32 v83, v84, v82
	s_mov_b32 s40, 0x3fb8aa3b
	v_mul_f32_e32 v84, 0x3fb8aa3b, v83
	v_fma_f32 v85, v83, s40, -v84
	v_rndne_f32_e32 v86, v84
	v_fmamk_f32 v85, v83, 0x32a5705f, v85
	v_sub_f32_e32 v84, v84, v86
	v_add_f32_e32 v84, v84, v85
	v_exp_f32_e32 v84, v84
	v_cvt_i32_f32_e32 v85, v86
	s_mov_b32 s40, 0xc2ce8ed0
	v_cmp_ngt_f32_e64 s[40:41], s40, v83
	s_mov_b32 s45, 0x7f800000
	v_ldexp_f32 v84, v84, v85
	v_cndmask_b32_e64 v84, 0, v84, s[40:41]
	s_mov_b32 s40, 0x42b17218
	v_mov_b32_e32 v85, 0x7f800000
	v_cmp_nlt_f32_e64 s[40:41], s40, v83
	s_nop 1
	v_cndmask_b32_e64 v99, v85, v84, s[40:41]
	v_add_f32_e32 v83, 1.0, v99
	v_add_f32_e32 v84, -1.0, v83
	v_sub_f32_e32 v85, v84, v83
	v_add_f32_e32 v85, 1.0, v85
	v_sub_f32_e32 v84, v99, v84
	v_add_f32_e32 v86, v84, v85
	v_frexp_mant_f32_e32 v87, v83
	s_mov_b32 s40, 0x3f2aaaab
	v_cvt_f64_f32_e32 v[84:85], v83
	v_frexp_exp_i32_f64_e32 v84, v[84:85]
	v_cmp_gt_f32_e64 s[40:41], s40, v87
	s_nop 1
	v_subbrev_co_u32_e64 v112, s[40:41], 0, v84, s[40:41]
	v_sub_u32_e32 v84, 0, v112
	v_ldexp_f32 v83, v83, v84
	v_ldexp_f32 v84, v86, v84
	v_add_f32_e32 v86, -1.0, v83
	v_add_f32_e32 v85, 1.0, v86
	v_sub_f32_e32 v85, v83, v85
	v_add_f32_e32 v87, v84, v85
	v_add_f32_e32 v85, 1.0, v83
	v_add_f32_e32 v100, -1.0, v85
	v_sub_f32_e32 v83, v83, v100
	v_add_f32_e32 v83, v84, v83
	v_add_f32_e32 v113, v85, v83
	v_rcp_f32_e32 v114, v113
	v_sub_f32_e32 v84, v85, v113
	v_add_f32_e32 v85, v86, v87
	v_add_f32_e32 v83, v83, v84
	v_mul_f32_e32 v116, v85, v114
	v_sub_f32_e32 v84, v86, v85
	v_mul_f32_e32 v86, v113, v116
	v_fma_f32 v100, v116, v113, -v86
	v_fmac_f32_e32 v100, v116, v83
	v_add_f32_e32 v115, v87, v84
	v_add_f32_e32 v84, v86, v100
	v_sub_f32_e32 v87, v85, v84
	v_pk_add_f32 v[102:103], v[84:85], v[86:87] neg_lo:[0,1] neg_hi:[0,1]
	v_mov_b32_e32 v101, v84
	v_pk_add_f32 v[84:85], v[102:103], v[100:101] neg_lo:[0,1] neg_hi:[0,1]
	s_mov_b32 s40, 0x3f317218
	v_add_f32_e32 v85, v115, v85
	v_add_f32_e32 v84, v84, v85
	;; [unrolled: 1-line block ×3, first 2 shown]
	v_mul_f32_e32 v115, v114, v85
	v_mul_f32_e32 v86, v113, v115
	v_fma_f32 v100, v115, v113, -v86
	v_fmac_f32_e32 v100, v115, v83
	v_sub_f32_e32 v83, v87, v85
	v_add_f32_e32 v83, v84, v83
	v_add_f32_e32 v84, v86, v100
	v_sub_f32_e32 v87, v85, v84
	v_pk_add_f32 v[102:103], v[84:85], v[86:87] neg_lo:[0,1] neg_hi:[0,1]
	v_mov_b32_e32 v101, v84
	v_pk_add_f32 v[84:85], v[102:103], v[100:101] neg_lo:[0,1] neg_hi:[0,1]
	v_cvt_f32_i32_e32 v86, v112
	v_add_f32_e32 v83, v83, v85
	v_add_f32_e32 v83, v84, v83
	;; [unrolled: 1-line block ×4, first 2 shown]
	v_sub_f32_e32 v85, v84, v116
	v_mul_f32_e32 v83, v114, v83
	v_sub_f32_e32 v85, v115, v85
	v_add_f32_e32 v83, v85, v83
	v_add_f32_e32 v87, v84, v83
	v_mul_f32_e32 v100, v87, v87
	v_mov_b32_e32 v85, 0x3ecc95a3
	v_fmac_f32_e32 v85, 0x3e9b6dac, v100
	v_sub_f32_e32 v84, v87, v84
	v_fmaak_f32 v85, v100, v85, 0x3f2aaada
	v_sub_f32_e32 v83, v83, v84
	v_ldexp_f32 v101, v87, 1
	v_mul_f32_e32 v87, v87, v100
	v_mov_b32_e32 v84, 0x3f317218
	v_pk_mul_f32 v[84:85], v[86:87], v[84:85]
	v_ldexp_f32 v83, v83, 1
	v_fma_f32 v87, v86, s40, -v84
	v_fmamk_f32 v100, v86, 0xb102e308, v87
	v_pk_add_f32 v[86:87], v[84:85], v[100:101]
	v_mov_b32_e32 v102, v84
	v_sub_f32_e32 v101, v87, v101
	v_sub_f32_e32 v101, v85, v101
	v_add_f32_e32 v103, v83, v101
	v_pk_add_f32 v[84:85], v[86:87], v[84:85] neg_lo:[0,1] neg_hi:[0,1]
	v_pk_add_f32 v[112:113], v[86:87], v[102:103]
	v_mov_b32_e32 v101, v86
	v_mov_b32_e32 v85, v113
	v_pk_add_f32 v[114:115], v[100:101], v[84:85] neg_lo:[0,1] neg_hi:[0,1]
	v_pk_add_f32 v[84:85], v[100:101], v[84:85]
	v_mov_b32_e32 v102, v103
	v_mov_b32_e32 v100, v85
	v_pk_add_f32 v[116:117], v[100:101], v[86:87] neg_lo:[0,1] neg_hi:[0,1]
	v_mov_b32_e32 v84, v113
	v_mov_b32_e32 v83, v116
	v_pk_add_f32 v[118:119], v[112:113], v[82:83] neg_lo:[0,1] neg_hi:[0,1]
	v_mov_b32_e32 v112, v87
	v_mov_b32_e32 v113, v116
	;; [unrolled: 1-line block ×3, first 2 shown]
	v_pk_add_f32 v[84:85], v[84:85], v[112:113] neg_lo:[0,1] neg_hi:[0,1]
	v_mov_b32_e32 v103, v86
	v_pk_add_f32 v[84:85], v[102:103], v[84:85] neg_lo:[0,1] neg_hi:[0,1]
	v_mov_b32_e32 v118, v114
	v_pk_add_f32 v[86:87], v[118:119], v[84:85]
	v_cmp_eq_f32_e64 s[40:41], s45, v99
	v_mov_b32_e32 v102, v87
	v_pk_add_f32 v[102:103], v[86:87], v[102:103]
	s_mov_b32 s45, 0x33800000
	v_pk_add_f32 v[100:101], v[100:101], v[102:103]
	v_mov_b32_e32 v85, v102
	v_mov_b32_e32 v87, v100
	v_pk_add_f32 v[112:113], v[86:87], v[114:115] neg_lo:[0,1] neg_hi:[0,1]
	v_cmp_lt_f32_e64 s[46:47], |v99|, s45
	v_sub_f32_e32 v83, v86, v112
	v_pk_add_f32 v[84:85], v[84:85], v[112:113] neg_lo:[0,1] neg_hi:[0,1]
	v_sub_f32_e32 v83, v114, v83
	v_add_f32_e32 v83, v84, v83
	v_add_f32_e32 v83, v83, v85
	;; [unrolled: 1-line block ×3, first 2 shown]
	s_or_b64 s[40:41], s[40:41], s[46:47]
	v_cndmask_b32_e64 v83, v83, v99, s[40:41]
	v_add_f32_e32 v83, v82, v83
.LBB499_308:
	s_or_b64 exec, exec, s[42:43]
	v_bfe_u32 v82, v83, 16, 1
	v_add3_u32 v82, v83, v82, s44
	v_and_b32_e32 v82, 0xffff0000, v82
	v_cmp_o_f32_e64 s[40:41], v83, v83
	s_movk_i32 s46, 0x1f8
	s_nop 0
	v_cndmask_b32_e64 v84, v80, v82, s[40:41]
	v_mov_b32_e32 v80, 16
	v_lshlrev_b32_sdwa v17, v80, v17 dst_sel:DWORD dst_unused:UNUSED_PAD src0_sel:DWORD src1_sel:WORD_1
	v_max_f32_e32 v83, v84, v84
	v_max_f32_e32 v82, v17, v17
	v_min_f32_e32 v85, v83, v82
	v_cmp_u_f32_e64 s[42:43], v84, v84
	v_max_f32_e32 v83, v83, v82
	v_cmp_u_f32_e64 s[40:41], v17, v17
	v_cndmask_b32_e64 v85, v85, v84, s[42:43]
	v_cndmask_b32_e64 v83, v83, v84, s[42:43]
	;; [unrolled: 1-line block ×4, first 2 shown]
	v_cmp_neq_f32_e64 s[42:43], v85, v83
	v_cmp_class_f32_e64 s[44:45], v85, s46
	s_or_b64 s[42:43], s[42:43], s[44:45]
	s_and_saveexec_b64 s[44:45], s[42:43]
	s_cbranch_execz .LBB499_310
; %bb.309:
	v_sub_f32_e32 v84, v85, v83
	s_mov_b32 s42, 0x3fb8aa3b
	v_mul_f32_e32 v85, 0x3fb8aa3b, v84
	v_fma_f32 v86, v84, s42, -v85
	v_rndne_f32_e32 v87, v85
	v_fmamk_f32 v86, v84, 0x32a5705f, v86
	v_sub_f32_e32 v85, v85, v87
	v_add_f32_e32 v85, v85, v86
	v_exp_f32_e32 v85, v85
	v_cvt_i32_f32_e32 v86, v87
	s_mov_b32 s42, 0xc2ce8ed0
	v_cmp_ngt_f32_e64 s[42:43], s42, v84
	s_mov_b32 s47, 0x7f800000
	v_ldexp_f32 v85, v85, v86
	v_cndmask_b32_e64 v85, 0, v85, s[42:43]
	s_mov_b32 s42, 0x42b17218
	v_mov_b32_e32 v86, 0x7f800000
	v_cmp_nlt_f32_e64 s[42:43], s42, v84
	s_nop 1
	v_cndmask_b32_e64 v128, v86, v85, s[42:43]
	v_add_f32_e32 v86, 1.0, v128
	v_add_f32_e32 v84, -1.0, v86
	v_sub_f32_e32 v85, v84, v86
	v_add_f32_e32 v85, 1.0, v85
	v_sub_f32_e32 v84, v128, v84
	v_add_f32_e32 v87, v84, v85
	v_frexp_mant_f32_e32 v99, v86
	s_mov_b32 s42, 0x3f2aaaab
	v_cvt_f64_f32_e32 v[84:85], v86
	v_frexp_exp_i32_f64_e32 v84, v[84:85]
	v_cmp_gt_f32_e64 s[42:43], s42, v99
	s_nop 1
	v_subbrev_co_u32_e64 v99, s[42:43], 0, v84, s[42:43]
	v_sub_u32_e32 v84, 0, v99
	v_ldexp_f32 v85, v86, v84
	v_add_f32_e32 v86, -1.0, v85
	v_add_f32_e32 v100, 1.0, v85
	v_ldexp_f32 v84, v87, v84
	v_add_f32_e32 v87, 1.0, v86
	v_add_f32_e32 v101, -1.0, v100
	v_sub_f32_e32 v87, v85, v87
	v_sub_f32_e32 v85, v85, v101
	v_add_f32_e32 v87, v84, v87
	v_add_f32_e32 v84, v84, v85
	;; [unrolled: 1-line block ×3, first 2 shown]
	v_rcp_f32_e32 v114, v112
	v_sub_f32_e32 v85, v100, v112
	v_add_f32_e32 v113, v84, v85
	v_add_f32_e32 v85, v86, v87
	v_mul_f32_e32 v116, v85, v114
	v_sub_f32_e32 v84, v86, v85
	v_mul_f32_e32 v86, v112, v116
	v_fma_f32 v100, v116, v112, -v86
	v_fmac_f32_e32 v100, v116, v113
	v_add_f32_e32 v115, v87, v84
	v_add_f32_e32 v84, v86, v100
	v_sub_f32_e32 v87, v85, v84
	v_pk_add_f32 v[102:103], v[84:85], v[86:87] neg_lo:[0,1] neg_hi:[0,1]
	v_mov_b32_e32 v101, v84
	v_pk_add_f32 v[84:85], v[102:103], v[100:101] neg_lo:[0,1] neg_hi:[0,1]
	s_mov_b32 s42, 0x3f317218
	v_add_f32_e32 v85, v115, v85
	v_add_f32_e32 v84, v84, v85
	;; [unrolled: 1-line block ×3, first 2 shown]
	v_mul_f32_e32 v115, v114, v85
	v_mul_f32_e32 v86, v112, v115
	v_fma_f32 v100, v115, v112, -v86
	v_fmac_f32_e32 v100, v115, v113
	v_sub_f32_e32 v87, v87, v85
	v_add_f32_e32 v112, v84, v87
	v_add_f32_e32 v84, v86, v100
	v_sub_f32_e32 v87, v85, v84
	v_pk_add_f32 v[102:103], v[84:85], v[86:87] neg_lo:[0,1] neg_hi:[0,1]
	v_mov_b32_e32 v101, v84
	v_pk_add_f32 v[84:85], v[102:103], v[100:101] neg_lo:[0,1] neg_hi:[0,1]
	v_cvt_f32_i32_e32 v86, v99
	v_add_f32_e32 v85, v112, v85
	v_add_f32_e32 v84, v84, v85
	;; [unrolled: 1-line block ×4, first 2 shown]
	v_sub_f32_e32 v85, v87, v116
	v_mul_f32_e32 v84, v114, v84
	v_sub_f32_e32 v85, v115, v85
	v_add_f32_e32 v84, v85, v84
	v_add_f32_e32 v100, v87, v84
	v_mul_f32_e32 v102, v100, v100
	v_mov_b32_e32 v85, 0x3ecc95a3
	v_sub_f32_e32 v87, v100, v87
	v_fmac_f32_e32 v85, 0x3e9b6dac, v102
	v_sub_f32_e32 v84, v84, v87
	v_fmaak_f32 v85, v102, v85, 0x3f2aaada
	v_ldexp_f32 v99, v84, 1
	v_mul_f32_e32 v87, v100, v102
	v_mov_b32_e32 v84, 0x3f317218
	v_pk_mul_f32 v[84:85], v[86:87], v[84:85]
	v_ldexp_f32 v101, v100, 1
	v_fma_f32 v87, v86, s42, -v84
	v_fmamk_f32 v100, v86, 0xb102e308, v87
	v_pk_add_f32 v[86:87], v[84:85], v[100:101]
	v_mov_b32_e32 v102, v84
	v_sub_f32_e32 v101, v87, v101
	v_sub_f32_e32 v101, v85, v101
	v_add_f32_e32 v103, v99, v101
	v_pk_add_f32 v[84:85], v[86:87], v[84:85] neg_lo:[0,1] neg_hi:[0,1]
	v_pk_add_f32 v[112:113], v[86:87], v[102:103]
	v_mov_b32_e32 v101, v86
	v_mov_b32_e32 v85, v113
	v_pk_add_f32 v[114:115], v[100:101], v[84:85] neg_lo:[0,1] neg_hi:[0,1]
	v_pk_add_f32 v[84:85], v[100:101], v[84:85]
	v_mov_b32_e32 v102, v103
	v_mov_b32_e32 v100, v85
	v_pk_add_f32 v[116:117], v[100:101], v[86:87] neg_lo:[0,1] neg_hi:[0,1]
	v_mov_b32_e32 v84, v113
	v_mov_b32_e32 v99, v116
	v_pk_add_f32 v[118:119], v[112:113], v[98:99] neg_lo:[0,1] neg_hi:[0,1]
	v_mov_b32_e32 v112, v87
	v_mov_b32_e32 v113, v116
	;; [unrolled: 1-line block ×3, first 2 shown]
	v_pk_add_f32 v[84:85], v[84:85], v[112:113] neg_lo:[0,1] neg_hi:[0,1]
	v_mov_b32_e32 v103, v86
	v_pk_add_f32 v[84:85], v[102:103], v[84:85] neg_lo:[0,1] neg_hi:[0,1]
	v_mov_b32_e32 v118, v114
	v_pk_add_f32 v[86:87], v[118:119], v[84:85]
	v_cmp_eq_f32_e64 s[42:43], s47, v128
	v_mov_b32_e32 v102, v87
	v_pk_add_f32 v[102:103], v[86:87], v[102:103]
	s_mov_b32 s47, 0x33800000
	v_pk_add_f32 v[100:101], v[100:101], v[102:103]
	v_mov_b32_e32 v85, v102
	v_mov_b32_e32 v87, v100
	v_pk_add_f32 v[112:113], v[86:87], v[114:115] neg_lo:[0,1] neg_hi:[0,1]
	v_cmp_lt_f32_e64 s[48:49], |v128|, s47
	v_sub_f32_e32 v86, v86, v112
	v_pk_add_f32 v[84:85], v[84:85], v[112:113] neg_lo:[0,1] neg_hi:[0,1]
	v_sub_f32_e32 v86, v114, v86
	v_add_f32_e32 v84, v84, v86
	v_add_f32_e32 v84, v84, v85
	;; [unrolled: 1-line block ×3, first 2 shown]
	s_or_b64 s[42:43], s[42:43], s[48:49]
	v_cndmask_b32_e64 v84, v84, v128, s[42:43]
	v_add_f32_e32 v84, v83, v84
.LBB499_310:
	s_or_b64 exec, exec, s[44:45]
	v_bfe_u32 v83, v84, 16, 1
	s_movk_i32 s48, 0x7fff
	v_add3_u32 v83, v84, v83, s48
	v_and_b32_e32 v85, 0xffff0000, v83
	v_mov_b32_e32 v83, 0x7fc00000
	v_cmp_o_f32_e64 s[42:43], v84, v84
	v_lshlrev_b32_sdwa v80, v80, v18 dst_sel:DWORD dst_unused:UNUSED_PAD src0_sel:DWORD src1_sel:WORD_0
	v_max_f32_e32 v84, v80, v80
	v_cndmask_b32_e64 v86, v83, v85, s[42:43]
	v_max_f32_e32 v85, v86, v86
	v_min_f32_e32 v87, v85, v84
	v_cmp_u_f32_e64 s[44:45], v86, v86
	v_max_f32_e32 v85, v85, v84
	v_cmp_u_f32_e64 s[42:43], v80, v80
	v_cndmask_b32_e64 v87, v87, v86, s[44:45]
	v_cndmask_b32_e64 v85, v85, v86, s[44:45]
	;; [unrolled: 1-line block ×4, first 2 shown]
	v_cmp_neq_f32_e64 s[44:45], v87, v85
	v_cmp_class_f32_e64 s[46:47], v87, s46
	s_or_b64 s[44:45], s[44:45], s[46:47]
	s_and_saveexec_b64 s[46:47], s[44:45]
	s_cbranch_execz .LBB499_312
; %bb.311:
	v_sub_f32_e32 v86, v87, v85
	s_mov_b32 s44, 0x3fb8aa3b
	v_mul_f32_e32 v87, 0x3fb8aa3b, v86
	v_fma_f32 v99, v86, s44, -v87
	v_rndne_f32_e32 v100, v87
	v_fmamk_f32 v99, v86, 0x32a5705f, v99
	v_sub_f32_e32 v87, v87, v100
	v_add_f32_e32 v87, v87, v99
	v_exp_f32_e32 v87, v87
	v_cvt_i32_f32_e32 v99, v100
	s_mov_b32 s44, 0xc2ce8ed0
	v_cmp_ngt_f32_e64 s[44:45], s44, v86
	s_mov_b32 s49, 0x7f800000
	v_ldexp_f32 v87, v87, v99
	v_cndmask_b32_e64 v87, 0, v87, s[44:45]
	s_mov_b32 s44, 0x42b17218
	v_mov_b32_e32 v99, 0x7f800000
	v_cmp_nlt_f32_e64 s[44:45], s44, v86
	s_nop 1
	v_cndmask_b32_e64 v130, v99, v87, s[44:45]
	v_add_f32_e32 v99, 1.0, v130
	v_add_f32_e32 v86, -1.0, v99
	v_sub_f32_e32 v87, v86, v99
	v_add_f32_e32 v87, 1.0, v87
	v_sub_f32_e32 v86, v130, v86
	v_add_f32_e32 v100, v86, v87
	v_frexp_mant_f32_e32 v101, v99
	s_mov_b32 s44, 0x3f2aaaab
	v_cvt_f64_f32_e32 v[86:87], v99
	v_frexp_exp_i32_f64_e32 v86, v[86:87]
	v_cmp_gt_f32_e64 s[44:45], s44, v101
	s_nop 1
	v_subbrev_co_u32_e64 v114, s[44:45], 0, v86, s[44:45]
	v_sub_u32_e32 v86, 0, v114
	v_ldexp_f32 v87, v99, v86
	v_add_f32_e32 v99, -1.0, v87
	v_add_f32_e32 v101, 1.0, v87
	v_ldexp_f32 v86, v100, v86
	v_add_f32_e32 v100, 1.0, v99
	v_add_f32_e32 v102, -1.0, v101
	v_sub_f32_e32 v100, v87, v100
	v_sub_f32_e32 v87, v87, v102
	v_add_f32_e32 v100, v86, v100
	v_add_f32_e32 v86, v86, v87
	;; [unrolled: 1-line block ×3, first 2 shown]
	v_rcp_f32_e32 v117, v115
	v_sub_f32_e32 v87, v101, v115
	v_add_f32_e32 v116, v86, v87
	v_add_f32_e32 v87, v99, v100
	v_sub_f32_e32 v86, v99, v87
	v_mul_f32_e32 v118, v87, v117
	v_add_f32_e32 v99, v100, v86
	v_mul_f32_e32 v100, v115, v118
	v_fma_f32 v102, v118, v115, -v100
	v_fmac_f32_e32 v102, v118, v116
	v_add_f32_e32 v86, v100, v102
	v_sub_f32_e32 v101, v87, v86
	v_pk_add_f32 v[112:113], v[86:87], v[100:101] neg_lo:[0,1] neg_hi:[0,1]
	v_mov_b32_e32 v103, v86
	v_pk_add_f32 v[86:87], v[112:113], v[102:103] neg_lo:[0,1] neg_hi:[0,1]
	s_mov_b32 s44, 0x3f317218
	v_add_f32_e32 v87, v99, v87
	v_add_f32_e32 v86, v86, v87
	;; [unrolled: 1-line block ×3, first 2 shown]
	v_mul_f32_e32 v99, v117, v87
	v_mul_f32_e32 v100, v115, v99
	v_fma_f32 v102, v99, v115, -v100
	v_fmac_f32_e32 v102, v99, v116
	v_sub_f32_e32 v101, v101, v87
	v_add_f32_e32 v115, v86, v101
	v_add_f32_e32 v86, v100, v102
	v_sub_f32_e32 v101, v87, v86
	v_pk_add_f32 v[112:113], v[86:87], v[100:101] neg_lo:[0,1] neg_hi:[0,1]
	v_mov_b32_e32 v103, v86
	v_pk_add_f32 v[86:87], v[112:113], v[102:103] neg_lo:[0,1] neg_hi:[0,1]
	v_cvt_f32_i32_e32 v100, v114
	v_add_f32_e32 v87, v115, v87
	v_add_f32_e32 v86, v86, v87
	;; [unrolled: 1-line block ×4, first 2 shown]
	v_sub_f32_e32 v87, v101, v118
	v_mul_f32_e32 v86, v117, v86
	v_sub_f32_e32 v87, v99, v87
	v_add_f32_e32 v86, v87, v86
	v_add_f32_e32 v99, v101, v86
	v_mul_f32_e32 v102, v99, v99
	v_mov_b32_e32 v87, 0x3ecc95a3
	v_sub_f32_e32 v101, v99, v101
	v_fmac_f32_e32 v87, 0x3e9b6dac, v102
	v_sub_f32_e32 v86, v86, v101
	v_fmaak_f32 v87, v102, v87, 0x3f2aaada
	v_ldexp_f32 v112, v86, 1
	v_mul_f32_e32 v101, v99, v102
	v_mov_b32_e32 v86, 0x3f317218
	v_pk_mul_f32 v[86:87], v[100:101], v[86:87]
	v_ldexp_f32 v103, v99, 1
	v_fma_f32 v99, v100, s44, -v86
	v_fmamk_f32 v102, v100, 0xb102e308, v99
	v_pk_add_f32 v[100:101], v[86:87], v[102:103]
	v_cmp_eq_f32_e64 s[44:45], s49, v130
	v_sub_f32_e32 v99, v101, v103
	v_sub_f32_e32 v99, v87, v99
	v_add_f32_e32 v113, v112, v99
	v_mov_b32_e32 v112, v86
	v_pk_add_f32 v[86:87], v[100:101], v[86:87] neg_lo:[0,1] neg_hi:[0,1]
	v_pk_add_f32 v[114:115], v[100:101], v[112:113]
	v_mov_b32_e32 v103, v100
	v_mov_b32_e32 v87, v115
	v_pk_add_f32 v[116:117], v[102:103], v[86:87] neg_lo:[0,1] neg_hi:[0,1]
	v_pk_add_f32 v[86:87], v[102:103], v[86:87]
	v_mov_b32_e32 v112, v113
	v_mov_b32_e32 v102, v87
	v_pk_add_f32 v[118:119], v[102:103], v[100:101] neg_lo:[0,1] neg_hi:[0,1]
	v_mov_b32_e32 v86, v115
	v_mov_b32_e32 v99, v118
	v_pk_add_f32 v[128:129], v[114:115], v[98:99] neg_lo:[0,1] neg_hi:[0,1]
	v_mov_b32_e32 v114, v101
	v_mov_b32_e32 v115, v118
	;; [unrolled: 1-line block ×3, first 2 shown]
	v_pk_add_f32 v[86:87], v[86:87], v[114:115] neg_lo:[0,1] neg_hi:[0,1]
	v_mov_b32_e32 v113, v100
	v_pk_add_f32 v[86:87], v[112:113], v[86:87] neg_lo:[0,1] neg_hi:[0,1]
	v_mov_b32_e32 v128, v116
	v_pk_add_f32 v[100:101], v[128:129], v[86:87]
	s_mov_b32 s49, 0x33800000
	v_mov_b32_e32 v112, v101
	v_pk_add_f32 v[112:113], v[100:101], v[112:113]
	v_cmp_lt_f32_e64 s[52:53], |v130|, s49
	v_pk_add_f32 v[102:103], v[102:103], v[112:113]
	v_mov_b32_e32 v87, v112
	v_mov_b32_e32 v101, v102
	v_pk_add_f32 v[114:115], v[100:101], v[116:117] neg_lo:[0,1] neg_hi:[0,1]
	s_or_b64 s[44:45], s[44:45], s[52:53]
	v_sub_f32_e32 v99, v100, v114
	v_pk_add_f32 v[86:87], v[86:87], v[114:115] neg_lo:[0,1] neg_hi:[0,1]
	v_sub_f32_e32 v99, v116, v99
	v_add_f32_e32 v86, v86, v99
	v_add_f32_e32 v86, v86, v87
	;; [unrolled: 1-line block ×3, first 2 shown]
	v_cndmask_b32_e64 v86, v86, v130, s[44:45]
	v_add_f32_e32 v86, v85, v86
.LBB499_312:
	s_or_b64 exec, exec, s[46:47]
	v_bfe_u32 v85, v86, 16, 1
	v_add3_u32 v85, v86, v85, s48
	v_and_b32_e32 v85, 0xffff0000, v85
	v_cmp_o_f32_e64 s[44:45], v86, v86
	s_movk_i32 s52, 0x1f8
	s_nop 0
	v_cndmask_b32_e64 v99, v83, v85, s[44:45]
	v_mov_b32_e32 v83, 16
	v_lshlrev_b32_sdwa v18, v83, v18 dst_sel:DWORD dst_unused:UNUSED_PAD src0_sel:DWORD src1_sel:WORD_1
	v_max_f32_e32 v86, v99, v99
	v_max_f32_e32 v85, v18, v18
	v_min_f32_e32 v87, v86, v85
	v_cmp_u_f32_e64 s[46:47], v99, v99
	v_max_f32_e32 v86, v86, v85
	v_cmp_u_f32_e64 s[44:45], v18, v18
	v_cndmask_b32_e64 v87, v87, v99, s[46:47]
	v_cndmask_b32_e64 v86, v86, v99, s[46:47]
	;; [unrolled: 1-line block ×4, first 2 shown]
	v_cmp_neq_f32_e64 s[46:47], v87, v86
	v_cmp_class_f32_e64 s[48:49], v87, s52
	s_or_b64 s[46:47], s[46:47], s[48:49]
	s_and_saveexec_b64 s[48:49], s[46:47]
	s_cbranch_execz .LBB499_314
; %bb.313:
	v_sub_f32_e32 v87, v87, v86
	s_mov_b32 s46, 0x3fb8aa3b
	v_mul_f32_e32 v99, 0x3fb8aa3b, v87
	v_fma_f32 v100, v87, s46, -v99
	v_rndne_f32_e32 v101, v99
	v_fmamk_f32 v100, v87, 0x32a5705f, v100
	v_sub_f32_e32 v99, v99, v101
	v_add_f32_e32 v99, v99, v100
	v_exp_f32_e32 v99, v99
	v_cvt_i32_f32_e32 v100, v101
	s_mov_b32 s46, 0xc2ce8ed0
	v_cmp_ngt_f32_e64 s[46:47], s46, v87
	s_mov_b32 s53, 0x7f800000
	v_ldexp_f32 v99, v99, v100
	v_cndmask_b32_e64 v99, 0, v99, s[46:47]
	s_mov_b32 s46, 0x42b17218
	v_mov_b32_e32 v100, 0x7f800000
	v_cmp_nlt_f32_e64 s[46:47], s46, v87
	s_nop 1
	v_cndmask_b32_e64 v99, v100, v99, s[46:47]
	v_add_f32_e32 v87, 1.0, v99
	v_add_f32_e32 v100, -1.0, v87
	v_sub_f32_e32 v101, v100, v87
	v_add_f32_e32 v101, 1.0, v101
	v_sub_f32_e32 v100, v99, v100
	v_add_f32_e32 v102, v100, v101
	v_frexp_mant_f32_e32 v103, v87
	s_mov_b32 s46, 0x3f2aaaab
	v_cvt_f64_f32_e32 v[100:101], v87
	v_frexp_exp_i32_f64_e32 v100, v[100:101]
	v_cmp_gt_f32_e64 s[46:47], s46, v103
	s_nop 1
	v_subbrev_co_u32_e64 v116, s[46:47], 0, v100, s[46:47]
	v_sub_u32_e32 v100, 0, v116
	v_ldexp_f32 v87, v87, v100
	v_ldexp_f32 v100, v102, v100
	v_add_f32_e32 v102, -1.0, v87
	v_add_f32_e32 v101, 1.0, v102
	v_sub_f32_e32 v101, v87, v101
	v_add_f32_e32 v103, v100, v101
	v_add_f32_e32 v101, 1.0, v87
	v_add_f32_e32 v112, -1.0, v101
	v_sub_f32_e32 v87, v87, v112
	v_add_f32_e32 v87, v100, v87
	v_add_f32_e32 v117, v101, v87
	v_rcp_f32_e32 v118, v117
	v_sub_f32_e32 v100, v101, v117
	v_add_f32_e32 v101, v102, v103
	v_add_f32_e32 v87, v87, v100
	v_mul_f32_e32 v128, v101, v118
	v_sub_f32_e32 v100, v102, v101
	v_mul_f32_e32 v102, v117, v128
	v_fma_f32 v112, v128, v117, -v102
	v_fmac_f32_e32 v112, v128, v87
	v_add_f32_e32 v119, v103, v100
	v_add_f32_e32 v100, v102, v112
	v_sub_f32_e32 v103, v101, v100
	v_pk_add_f32 v[114:115], v[100:101], v[102:103] neg_lo:[0,1] neg_hi:[0,1]
	v_mov_b32_e32 v113, v100
	v_pk_add_f32 v[100:101], v[114:115], v[112:113] neg_lo:[0,1] neg_hi:[0,1]
	s_mov_b32 s46, 0x3f317218
	v_add_f32_e32 v101, v119, v101
	v_add_f32_e32 v100, v100, v101
	;; [unrolled: 1-line block ×3, first 2 shown]
	v_mul_f32_e32 v119, v118, v101
	v_mul_f32_e32 v102, v117, v119
	v_fma_f32 v112, v119, v117, -v102
	v_fmac_f32_e32 v112, v119, v87
	v_sub_f32_e32 v87, v103, v101
	v_add_f32_e32 v87, v100, v87
	v_add_f32_e32 v100, v102, v112
	v_sub_f32_e32 v103, v101, v100
	v_pk_add_f32 v[114:115], v[100:101], v[102:103] neg_lo:[0,1] neg_hi:[0,1]
	v_mov_b32_e32 v113, v100
	v_pk_add_f32 v[100:101], v[114:115], v[112:113] neg_lo:[0,1] neg_hi:[0,1]
	v_cvt_f32_i32_e32 v102, v116
	v_add_f32_e32 v87, v87, v101
	v_add_f32_e32 v87, v100, v87
	;; [unrolled: 1-line block ×4, first 2 shown]
	v_sub_f32_e32 v101, v100, v128
	v_mul_f32_e32 v87, v118, v87
	v_sub_f32_e32 v101, v119, v101
	v_add_f32_e32 v87, v101, v87
	v_add_f32_e32 v103, v100, v87
	v_mul_f32_e32 v112, v103, v103
	v_mov_b32_e32 v101, 0x3ecc95a3
	v_fmac_f32_e32 v101, 0x3e9b6dac, v112
	v_sub_f32_e32 v100, v103, v100
	v_fmaak_f32 v101, v112, v101, 0x3f2aaada
	v_sub_f32_e32 v87, v87, v100
	v_ldexp_f32 v113, v103, 1
	v_mul_f32_e32 v103, v103, v112
	v_mov_b32_e32 v100, 0x3f317218
	v_pk_mul_f32 v[100:101], v[102:103], v[100:101]
	v_ldexp_f32 v87, v87, 1
	v_fma_f32 v103, v102, s46, -v100
	v_fmamk_f32 v112, v102, 0xb102e308, v103
	v_pk_add_f32 v[102:103], v[100:101], v[112:113]
	v_mov_b32_e32 v114, v100
	v_sub_f32_e32 v113, v103, v113
	v_sub_f32_e32 v113, v101, v113
	v_add_f32_e32 v115, v87, v113
	v_pk_add_f32 v[100:101], v[102:103], v[100:101] neg_lo:[0,1] neg_hi:[0,1]
	v_pk_add_f32 v[116:117], v[102:103], v[114:115]
	v_mov_b32_e32 v113, v102
	v_mov_b32_e32 v101, v117
	v_pk_add_f32 v[118:119], v[112:113], v[100:101] neg_lo:[0,1] neg_hi:[0,1]
	v_pk_add_f32 v[100:101], v[112:113], v[100:101]
	v_mov_b32_e32 v114, v115
	v_mov_b32_e32 v112, v101
	v_pk_add_f32 v[128:129], v[112:113], v[102:103] neg_lo:[0,1] neg_hi:[0,1]
	v_mov_b32_e32 v100, v117
	v_mov_b32_e32 v87, v128
	v_pk_add_f32 v[130:131], v[116:117], v[86:87] neg_lo:[0,1] neg_hi:[0,1]
	v_mov_b32_e32 v116, v103
	v_mov_b32_e32 v117, v128
	;; [unrolled: 1-line block ×3, first 2 shown]
	v_pk_add_f32 v[100:101], v[100:101], v[116:117] neg_lo:[0,1] neg_hi:[0,1]
	v_mov_b32_e32 v115, v102
	v_pk_add_f32 v[100:101], v[114:115], v[100:101] neg_lo:[0,1] neg_hi:[0,1]
	v_mov_b32_e32 v130, v118
	v_pk_add_f32 v[102:103], v[130:131], v[100:101]
	v_cmp_eq_f32_e64 s[46:47], s53, v99
	v_mov_b32_e32 v114, v103
	v_pk_add_f32 v[114:115], v[102:103], v[114:115]
	s_mov_b32 s53, 0x33800000
	v_pk_add_f32 v[112:113], v[112:113], v[114:115]
	v_mov_b32_e32 v101, v114
	v_mov_b32_e32 v103, v112
	v_pk_add_f32 v[116:117], v[102:103], v[118:119] neg_lo:[0,1] neg_hi:[0,1]
	v_cmp_lt_f32_e64 s[54:55], |v99|, s53
	v_sub_f32_e32 v87, v102, v116
	v_pk_add_f32 v[100:101], v[100:101], v[116:117] neg_lo:[0,1] neg_hi:[0,1]
	v_sub_f32_e32 v87, v118, v87
	v_add_f32_e32 v87, v100, v87
	v_add_f32_e32 v87, v87, v101
	;; [unrolled: 1-line block ×3, first 2 shown]
	s_or_b64 s[46:47], s[46:47], s[54:55]
	v_cndmask_b32_e64 v87, v87, v99, s[46:47]
	v_add_f32_e32 v99, v86, v87
.LBB499_314:
	s_or_b64 exec, exec, s[48:49]
	v_bfe_u32 v86, v99, 16, 1
	s_movk_i32 s54, 0x7fff
	v_add3_u32 v86, v99, v86, s54
	v_and_b32_e32 v86, 0xffff0000, v86
	v_mov_b32_e32 v87, 0x7fc00000
	v_cmp_o_f32_e64 s[46:47], v99, v99
	v_lshlrev_b32_sdwa v83, v83, v19 dst_sel:DWORD dst_unused:UNUSED_PAD src0_sel:DWORD src1_sel:WORD_0
	s_nop 0
	v_cndmask_b32_e64 v100, v87, v86, s[46:47]
	v_max_f32_e32 v99, v100, v100
	v_max_f32_e32 v86, v83, v83
	v_min_f32_e32 v101, v99, v86
	v_cmp_u_f32_e64 s[48:49], v100, v100
	v_max_f32_e32 v99, v99, v86
	v_cmp_u_f32_e64 s[46:47], v83, v83
	v_cndmask_b32_e64 v101, v101, v100, s[48:49]
	v_cndmask_b32_e64 v99, v99, v100, s[48:49]
	;; [unrolled: 1-line block ×4, first 2 shown]
	v_cmp_neq_f32_e64 s[48:49], v101, v99
	v_cmp_class_f32_e64 s[52:53], v101, s52
	s_or_b64 s[48:49], s[48:49], s[52:53]
	s_and_saveexec_b64 s[52:53], s[48:49]
	s_cbranch_execz .LBB499_316
; %bb.315:
	v_sub_f32_e32 v100, v101, v99
	s_mov_b32 s48, 0x3fb8aa3b
	v_mul_f32_e32 v101, 0x3fb8aa3b, v100
	v_fma_f32 v102, v100, s48, -v101
	v_rndne_f32_e32 v103, v101
	v_fmamk_f32 v102, v100, 0x32a5705f, v102
	v_sub_f32_e32 v101, v101, v103
	v_add_f32_e32 v101, v101, v102
	v_exp_f32_e32 v101, v101
	v_cvt_i32_f32_e32 v102, v103
	s_mov_b32 s48, 0xc2ce8ed0
	v_cmp_ngt_f32_e64 s[48:49], s48, v100
	s_mov_b32 s55, 0x7f800000
	v_ldexp_f32 v101, v101, v102
	v_cndmask_b32_e64 v101, 0, v101, s[48:49]
	s_mov_b32 s48, 0x42b17218
	v_mov_b32_e32 v102, 0x7f800000
	v_cmp_nlt_f32_e64 s[48:49], s48, v100
	s_nop 1
	v_cndmask_b32_e64 v132, v102, v101, s[48:49]
	v_add_f32_e32 v102, 1.0, v132
	v_add_f32_e32 v100, -1.0, v102
	v_sub_f32_e32 v101, v100, v102
	v_add_f32_e32 v101, 1.0, v101
	v_sub_f32_e32 v100, v132, v100
	v_add_f32_e32 v103, v100, v101
	v_frexp_mant_f32_e32 v112, v102
	s_mov_b32 s48, 0x3f2aaaab
	v_cvt_f64_f32_e32 v[100:101], v102
	v_frexp_exp_i32_f64_e32 v100, v[100:101]
	v_cmp_gt_f32_e64 s[48:49], s48, v112
	s_nop 1
	v_subbrev_co_u32_e64 v116, s[48:49], 0, v100, s[48:49]
	v_sub_u32_e32 v100, 0, v116
	v_ldexp_f32 v101, v102, v100
	v_add_f32_e32 v102, -1.0, v101
	v_add_f32_e32 v112, 1.0, v101
	v_ldexp_f32 v100, v103, v100
	v_add_f32_e32 v103, 1.0, v102
	v_add_f32_e32 v113, -1.0, v112
	v_sub_f32_e32 v103, v101, v103
	v_sub_f32_e32 v101, v101, v113
	v_add_f32_e32 v103, v100, v103
	v_add_f32_e32 v100, v100, v101
	;; [unrolled: 1-line block ×3, first 2 shown]
	v_rcp_f32_e32 v119, v117
	v_sub_f32_e32 v101, v112, v117
	v_add_f32_e32 v118, v100, v101
	v_add_f32_e32 v101, v102, v103
	v_mul_f32_e32 v129, v101, v119
	v_sub_f32_e32 v100, v102, v101
	v_mul_f32_e32 v102, v117, v129
	v_fma_f32 v112, v129, v117, -v102
	v_fmac_f32_e32 v112, v129, v118
	v_add_f32_e32 v128, v103, v100
	v_add_f32_e32 v100, v102, v112
	v_sub_f32_e32 v103, v101, v100
	v_pk_add_f32 v[114:115], v[100:101], v[102:103] neg_lo:[0,1] neg_hi:[0,1]
	v_mov_b32_e32 v113, v100
	v_pk_add_f32 v[100:101], v[114:115], v[112:113] neg_lo:[0,1] neg_hi:[0,1]
	s_mov_b32 s48, 0x3f317218
	v_add_f32_e32 v101, v128, v101
	v_add_f32_e32 v100, v100, v101
	;; [unrolled: 1-line block ×3, first 2 shown]
	v_mul_f32_e32 v128, v119, v101
	v_mul_f32_e32 v102, v117, v128
	v_fma_f32 v112, v128, v117, -v102
	v_fmac_f32_e32 v112, v128, v118
	v_sub_f32_e32 v103, v103, v101
	v_add_f32_e32 v117, v100, v103
	v_add_f32_e32 v100, v102, v112
	v_sub_f32_e32 v103, v101, v100
	v_pk_add_f32 v[114:115], v[100:101], v[102:103] neg_lo:[0,1] neg_hi:[0,1]
	v_mov_b32_e32 v113, v100
	v_pk_add_f32 v[100:101], v[114:115], v[112:113] neg_lo:[0,1] neg_hi:[0,1]
	v_cvt_f32_i32_e32 v102, v116
	v_add_f32_e32 v101, v117, v101
	v_add_f32_e32 v100, v100, v101
	;; [unrolled: 1-line block ×4, first 2 shown]
	v_sub_f32_e32 v101, v103, v129
	v_mul_f32_e32 v100, v119, v100
	v_sub_f32_e32 v101, v128, v101
	v_add_f32_e32 v100, v101, v100
	v_add_f32_e32 v112, v103, v100
	v_mul_f32_e32 v114, v112, v112
	v_mov_b32_e32 v101, 0x3ecc95a3
	v_sub_f32_e32 v103, v112, v103
	v_fmac_f32_e32 v101, 0x3e9b6dac, v114
	v_sub_f32_e32 v100, v100, v103
	v_fmaak_f32 v101, v114, v101, 0x3f2aaada
	v_ldexp_f32 v115, v100, 1
	v_mul_f32_e32 v103, v112, v114
	v_mov_b32_e32 v100, 0x3f317218
	v_pk_mul_f32 v[100:101], v[102:103], v[100:101]
	v_ldexp_f32 v113, v112, 1
	v_fma_f32 v103, v102, s48, -v100
	v_fmamk_f32 v112, v102, 0xb102e308, v103
	v_pk_add_f32 v[102:103], v[100:101], v[112:113]
	v_mov_b32_e32 v114, v100
	v_sub_f32_e32 v113, v103, v113
	v_sub_f32_e32 v113, v101, v113
	v_add_f32_e32 v115, v115, v113
	v_pk_add_f32 v[100:101], v[102:103], v[100:101] neg_lo:[0,1] neg_hi:[0,1]
	v_pk_add_f32 v[116:117], v[102:103], v[114:115]
	v_mov_b32_e32 v113, v102
	v_mov_b32_e32 v101, v117
	v_pk_add_f32 v[118:119], v[112:113], v[100:101] neg_lo:[0,1] neg_hi:[0,1]
	v_pk_add_f32 v[100:101], v[112:113], v[100:101]
	v_mov_b32_e32 v114, v115
	v_mov_b32_e32 v112, v101
	v_pk_add_f32 v[128:129], v[112:113], v[102:103] neg_lo:[0,1] neg_hi:[0,1]
	v_mov_b32_e32 v100, v117
	v_mov_b32_e32 v113, v128
	v_pk_add_f32 v[130:131], v[116:117], v[112:113] neg_lo:[0,1] neg_hi:[0,1]
	v_mov_b32_e32 v116, v103
	v_mov_b32_e32 v117, v128
	;; [unrolled: 1-line block ×3, first 2 shown]
	v_pk_add_f32 v[100:101], v[100:101], v[116:117] neg_lo:[0,1] neg_hi:[0,1]
	v_mov_b32_e32 v115, v102
	v_pk_add_f32 v[100:101], v[114:115], v[100:101] neg_lo:[0,1] neg_hi:[0,1]
	v_mov_b32_e32 v130, v118
	v_pk_add_f32 v[102:103], v[130:131], v[100:101]
	v_cmp_eq_f32_e64 s[48:49], s55, v132
	v_mov_b32_e32 v114, v103
	v_pk_add_f32 v[114:115], v[102:103], v[114:115]
	s_mov_b32 s55, 0x33800000
	v_pk_add_f32 v[112:113], v[112:113], v[114:115]
	v_mov_b32_e32 v101, v114
	v_mov_b32_e32 v103, v112
	v_pk_add_f32 v[116:117], v[102:103], v[118:119] neg_lo:[0,1] neg_hi:[0,1]
	v_cmp_lt_f32_e64 s[56:57], |v132|, s55
	v_sub_f32_e32 v102, v102, v116
	v_pk_add_f32 v[100:101], v[100:101], v[116:117] neg_lo:[0,1] neg_hi:[0,1]
	v_sub_f32_e32 v102, v118, v102
	v_add_f32_e32 v100, v100, v102
	v_add_f32_e32 v100, v100, v101
	;; [unrolled: 1-line block ×3, first 2 shown]
	s_or_b64 s[48:49], s[48:49], s[56:57]
	v_cndmask_b32_e64 v100, v100, v132, s[48:49]
	v_add_f32_e32 v100, v99, v100
.LBB499_316:
	s_or_b64 exec, exec, s[52:53]
	v_bfe_u32 v99, v100, 16, 1
	v_add3_u32 v99, v100, v99, s54
	v_and_b32_e32 v99, 0xffff0000, v99
	v_cmp_o_f32_e64 s[48:49], v100, v100
	s_movk_i32 s54, 0x1f8
	s_nop 0
	v_cndmask_b32_e64 v100, v87, v99, s[48:49]
	v_mov_b32_e32 v87, 16
	v_lshlrev_b32_sdwa v19, v87, v19 dst_sel:DWORD dst_unused:UNUSED_PAD src0_sel:DWORD src1_sel:WORD_1
	v_max_f32_e32 v99, v100, v100
	v_max_f32_e32 v87, v19, v19
	v_min_f32_e32 v101, v99, v87
	v_cmp_u_f32_e64 s[52:53], v100, v100
	v_max_f32_e32 v99, v99, v87
	v_cmp_u_f32_e64 s[48:49], v19, v19
	v_cndmask_b32_e64 v101, v101, v100, s[52:53]
	v_cndmask_b32_e64 v99, v99, v100, s[52:53]
	;; [unrolled: 1-line block ×4, first 2 shown]
	v_cmp_neq_f32_e64 s[52:53], v101, v99
	v_cmp_class_f32_e64 s[54:55], v101, s54
	s_or_b64 s[52:53], s[52:53], s[54:55]
	s_and_saveexec_b64 s[54:55], s[52:53]
	s_cbranch_execz .LBB499_318
; %bb.317:
	v_sub_f32_e32 v100, v101, v99
	s_mov_b32 s52, 0x3fb8aa3b
	v_mul_f32_e32 v101, 0x3fb8aa3b, v100
	v_fma_f32 v102, v100, s52, -v101
	v_rndne_f32_e32 v103, v101
	v_fmamk_f32 v102, v100, 0x32a5705f, v102
	v_sub_f32_e32 v101, v101, v103
	v_add_f32_e32 v101, v101, v102
	v_exp_f32_e32 v101, v101
	v_cvt_i32_f32_e32 v102, v103
	s_mov_b32 s52, 0xc2ce8ed0
	v_cmp_ngt_f32_e64 s[52:53], s52, v100
	s_mov_b32 s56, 0x7f800000
	v_ldexp_f32 v101, v101, v102
	v_cndmask_b32_e64 v101, 0, v101, s[52:53]
	s_mov_b32 s52, 0x42b17218
	v_mov_b32_e32 v102, 0x7f800000
	v_cmp_nlt_f32_e64 s[52:53], s52, v100
	s_nop 1
	v_cndmask_b32_e64 v132, v102, v101, s[52:53]
	v_add_f32_e32 v102, 1.0, v132
	v_add_f32_e32 v100, -1.0, v102
	v_sub_f32_e32 v101, v100, v102
	v_add_f32_e32 v101, 1.0, v101
	v_sub_f32_e32 v100, v132, v100
	v_add_f32_e32 v103, v100, v101
	v_frexp_mant_f32_e32 v112, v102
	s_mov_b32 s52, 0x3f2aaaab
	v_cvt_f64_f32_e32 v[100:101], v102
	v_frexp_exp_i32_f64_e32 v100, v[100:101]
	v_cmp_gt_f32_e64 s[52:53], s52, v112
	s_nop 1
	v_subbrev_co_u32_e64 v116, s[52:53], 0, v100, s[52:53]
	v_sub_u32_e32 v100, 0, v116
	v_ldexp_f32 v101, v102, v100
	v_add_f32_e32 v102, -1.0, v101
	v_add_f32_e32 v112, 1.0, v101
	v_ldexp_f32 v100, v103, v100
	v_add_f32_e32 v103, 1.0, v102
	v_add_f32_e32 v113, -1.0, v112
	v_sub_f32_e32 v103, v101, v103
	v_sub_f32_e32 v101, v101, v113
	v_add_f32_e32 v103, v100, v103
	v_add_f32_e32 v100, v100, v101
	;; [unrolled: 1-line block ×3, first 2 shown]
	v_rcp_f32_e32 v119, v117
	v_sub_f32_e32 v101, v112, v117
	v_add_f32_e32 v118, v100, v101
	v_add_f32_e32 v101, v102, v103
	v_mul_f32_e32 v129, v101, v119
	v_sub_f32_e32 v100, v102, v101
	v_mul_f32_e32 v102, v117, v129
	v_fma_f32 v112, v129, v117, -v102
	v_fmac_f32_e32 v112, v129, v118
	v_add_f32_e32 v128, v103, v100
	v_add_f32_e32 v100, v102, v112
	v_sub_f32_e32 v103, v101, v100
	v_pk_add_f32 v[114:115], v[100:101], v[102:103] neg_lo:[0,1] neg_hi:[0,1]
	v_mov_b32_e32 v113, v100
	v_pk_add_f32 v[100:101], v[114:115], v[112:113] neg_lo:[0,1] neg_hi:[0,1]
	s_mov_b32 s52, 0x3f317218
	v_add_f32_e32 v101, v128, v101
	v_add_f32_e32 v100, v100, v101
	;; [unrolled: 1-line block ×3, first 2 shown]
	v_mul_f32_e32 v128, v119, v101
	v_mul_f32_e32 v102, v117, v128
	v_fma_f32 v112, v128, v117, -v102
	v_fmac_f32_e32 v112, v128, v118
	v_sub_f32_e32 v103, v103, v101
	v_add_f32_e32 v117, v100, v103
	v_add_f32_e32 v100, v102, v112
	v_sub_f32_e32 v103, v101, v100
	v_pk_add_f32 v[114:115], v[100:101], v[102:103] neg_lo:[0,1] neg_hi:[0,1]
	v_mov_b32_e32 v113, v100
	v_pk_add_f32 v[100:101], v[114:115], v[112:113] neg_lo:[0,1] neg_hi:[0,1]
	v_cvt_f32_i32_e32 v102, v116
	v_add_f32_e32 v101, v117, v101
	v_add_f32_e32 v100, v100, v101
	;; [unrolled: 1-line block ×4, first 2 shown]
	v_sub_f32_e32 v101, v103, v129
	v_mul_f32_e32 v100, v119, v100
	v_sub_f32_e32 v101, v128, v101
	v_add_f32_e32 v100, v101, v100
	v_add_f32_e32 v112, v103, v100
	v_mul_f32_e32 v114, v112, v112
	v_mov_b32_e32 v101, 0x3ecc95a3
	v_sub_f32_e32 v103, v112, v103
	v_fmac_f32_e32 v101, 0x3e9b6dac, v114
	v_sub_f32_e32 v100, v100, v103
	v_fmaak_f32 v101, v114, v101, 0x3f2aaada
	v_ldexp_f32 v115, v100, 1
	v_mul_f32_e32 v103, v112, v114
	v_mov_b32_e32 v100, 0x3f317218
	v_pk_mul_f32 v[100:101], v[102:103], v[100:101]
	v_ldexp_f32 v113, v112, 1
	v_fma_f32 v103, v102, s52, -v100
	v_fmamk_f32 v112, v102, 0xb102e308, v103
	v_pk_add_f32 v[102:103], v[100:101], v[112:113]
	v_mov_b32_e32 v114, v100
	v_sub_f32_e32 v113, v103, v113
	v_sub_f32_e32 v113, v101, v113
	v_add_f32_e32 v115, v115, v113
	v_pk_add_f32 v[100:101], v[102:103], v[100:101] neg_lo:[0,1] neg_hi:[0,1]
	v_pk_add_f32 v[116:117], v[102:103], v[114:115]
	v_mov_b32_e32 v113, v102
	v_mov_b32_e32 v101, v117
	v_pk_add_f32 v[118:119], v[112:113], v[100:101] neg_lo:[0,1] neg_hi:[0,1]
	v_pk_add_f32 v[100:101], v[112:113], v[100:101]
	v_mov_b32_e32 v114, v115
	v_mov_b32_e32 v112, v101
	v_pk_add_f32 v[128:129], v[112:113], v[102:103] neg_lo:[0,1] neg_hi:[0,1]
	v_mov_b32_e32 v100, v117
	v_mov_b32_e32 v113, v128
	v_pk_add_f32 v[130:131], v[116:117], v[112:113] neg_lo:[0,1] neg_hi:[0,1]
	v_mov_b32_e32 v116, v103
	v_mov_b32_e32 v117, v128
	v_mov_b32_e32 v119, v101
	v_pk_add_f32 v[100:101], v[100:101], v[116:117] neg_lo:[0,1] neg_hi:[0,1]
	v_mov_b32_e32 v115, v102
	v_pk_add_f32 v[100:101], v[114:115], v[100:101] neg_lo:[0,1] neg_hi:[0,1]
	v_mov_b32_e32 v130, v118
	v_pk_add_f32 v[102:103], v[130:131], v[100:101]
	v_cmp_eq_f32_e64 s[52:53], s56, v132
	v_mov_b32_e32 v114, v103
	v_pk_add_f32 v[114:115], v[102:103], v[114:115]
	s_mov_b32 s56, 0x33800000
	v_pk_add_f32 v[112:113], v[112:113], v[114:115]
	v_mov_b32_e32 v101, v114
	v_mov_b32_e32 v103, v112
	v_pk_add_f32 v[116:117], v[102:103], v[118:119] neg_lo:[0,1] neg_hi:[0,1]
	v_cmp_lt_f32_e64 s[56:57], |v132|, s56
	v_sub_f32_e32 v102, v102, v116
	v_pk_add_f32 v[100:101], v[100:101], v[116:117] neg_lo:[0,1] neg_hi:[0,1]
	v_sub_f32_e32 v102, v118, v102
	v_add_f32_e32 v100, v100, v102
	v_add_f32_e32 v100, v100, v101
	;; [unrolled: 1-line block ×3, first 2 shown]
	s_or_b64 s[52:53], s[52:53], s[56:57]
	v_cndmask_b32_e64 v100, v100, v132, s[52:53]
	v_add_f32_e32 v100, v99, v100
.LBB499_318:
	s_or_b64 exec, exec, s[54:55]
	v_bfe_u32 v99, v100, 16, 1
	s_movk_i32 s52, 0x7fff
	v_add3_u32 v99, v100, v99, s52
	v_lshrrev_b32_e32 v99, 16, v99
	v_mov_b32_e32 v101, 0x7fc0
	v_cmp_o_f32_e64 s[52:53], v100, v100
	s_nop 1
	v_cndmask_b32_e64 v101, v101, v99, s[52:53]
	v_mbcnt_lo_u32_b32 v99, -1, 0
	v_mbcnt_hi_u32_b32 v99, -1, v99
	v_and_b32_e32 v100, 15, v99
	v_and_b32_e32 v102, 0xffff, v101
	v_cmp_ne_u32_e64 s[52:53], 0, v100
	s_nop 0
	v_mov_b32_dpp v103, v102 row_shr:1 row_mask:0xf bank_mask:0xf
	s_and_saveexec_b64 s[56:57], s[52:53]
	s_cbranch_execz .LBB499_322
; %bb.319:
	v_lshlrev_b32_e32 v103, 16, v103
	v_lshlrev_b32_e32 v101, 16, v102
	v_max_f32_e32 v112, v101, v101
	v_max_f32_e32 v113, v103, v103
	v_min_f32_e32 v102, v113, v112
	v_cmp_u_f32_e64 s[52:53], v103, v103
	v_max_f32_e32 v112, v113, v112
	v_cmp_u_f32_e64 s[54:55], v101, v101
	v_cndmask_b32_e64 v102, v102, v103, s[52:53]
	v_cndmask_b32_e64 v112, v112, v103, s[52:53]
	;; [unrolled: 1-line block ×4, first 2 shown]
	s_movk_i32 s54, 0x1f8
	v_cmp_neq_f32_e64 s[52:53], v102, v101
	v_cmp_class_f32_e64 s[54:55], v102, s54
	s_or_b64 s[52:53], s[52:53], s[54:55]
	s_and_saveexec_b64 s[54:55], s[52:53]
	s_cbranch_execz .LBB499_321
; %bb.320:
	v_sub_f32_e32 v102, v102, v101
	s_mov_b32 s52, 0x3fb8aa3b
	v_mul_f32_e32 v103, 0x3fb8aa3b, v102
	v_fma_f32 v112, v102, s52, -v103
	v_rndne_f32_e32 v113, v103
	v_fmamk_f32 v112, v102, 0x32a5705f, v112
	v_sub_f32_e32 v103, v103, v113
	v_add_f32_e32 v103, v103, v112
	v_exp_f32_e32 v103, v103
	v_cvt_i32_f32_e32 v112, v113
	s_mov_b32 s52, 0xc2ce8ed0
	v_cmp_ngt_f32_e64 s[52:53], s52, v102
	s_mov_b32 s60, 0x7f800000
	v_ldexp_f32 v103, v103, v112
	v_cndmask_b32_e64 v103, 0, v103, s[52:53]
	s_mov_b32 s52, 0x42b17218
	v_mov_b32_e32 v112, 0x7f800000
	v_cmp_nlt_f32_e64 s[52:53], s52, v102
	s_nop 1
	v_cndmask_b32_e64 v134, v112, v103, s[52:53]
	v_add_f32_e32 v112, 1.0, v134
	v_add_f32_e32 v102, -1.0, v112
	v_sub_f32_e32 v103, v102, v112
	v_add_f32_e32 v103, 1.0, v103
	v_sub_f32_e32 v102, v134, v102
	v_add_f32_e32 v113, v102, v103
	v_frexp_mant_f32_e32 v114, v112
	s_mov_b32 s52, 0x3f2aaaab
	v_cvt_f64_f32_e32 v[102:103], v112
	v_frexp_exp_i32_f64_e32 v102, v[102:103]
	v_cmp_gt_f32_e64 s[52:53], s52, v114
	s_nop 1
	v_subbrev_co_u32_e64 v118, s[52:53], 0, v102, s[52:53]
	v_sub_u32_e32 v102, 0, v118
	v_ldexp_f32 v103, v112, v102
	v_add_f32_e32 v112, -1.0, v103
	v_add_f32_e32 v114, 1.0, v103
	v_ldexp_f32 v102, v113, v102
	v_add_f32_e32 v113, 1.0, v112
	v_add_f32_e32 v115, -1.0, v114
	v_sub_f32_e32 v113, v103, v113
	v_sub_f32_e32 v103, v103, v115
	v_add_f32_e32 v113, v102, v113
	v_add_f32_e32 v102, v102, v103
	;; [unrolled: 1-line block ×3, first 2 shown]
	v_rcp_f32_e32 v129, v119
	v_sub_f32_e32 v103, v114, v119
	v_add_f32_e32 v128, v102, v103
	v_add_f32_e32 v103, v112, v113
	v_mul_f32_e32 v131, v103, v129
	v_sub_f32_e32 v102, v112, v103
	v_mul_f32_e32 v112, v119, v131
	v_fma_f32 v114, v131, v119, -v112
	v_fmac_f32_e32 v114, v131, v128
	v_add_f32_e32 v130, v113, v102
	v_add_f32_e32 v102, v112, v114
	v_sub_f32_e32 v113, v103, v102
	v_pk_add_f32 v[116:117], v[102:103], v[112:113] neg_lo:[0,1] neg_hi:[0,1]
	v_mov_b32_e32 v115, v102
	v_pk_add_f32 v[102:103], v[116:117], v[114:115] neg_lo:[0,1] neg_hi:[0,1]
	s_mov_b32 s52, 0x3f317218
	v_add_f32_e32 v103, v130, v103
	v_add_f32_e32 v102, v102, v103
	;; [unrolled: 1-line block ×3, first 2 shown]
	v_mul_f32_e32 v130, v129, v103
	v_mul_f32_e32 v112, v119, v130
	v_fma_f32 v114, v130, v119, -v112
	v_fmac_f32_e32 v114, v130, v128
	v_sub_f32_e32 v113, v113, v103
	v_add_f32_e32 v119, v102, v113
	v_add_f32_e32 v102, v112, v114
	v_sub_f32_e32 v113, v103, v102
	v_pk_add_f32 v[116:117], v[102:103], v[112:113] neg_lo:[0,1] neg_hi:[0,1]
	v_mov_b32_e32 v115, v102
	v_pk_add_f32 v[102:103], v[116:117], v[114:115] neg_lo:[0,1] neg_hi:[0,1]
	v_cvt_f32_i32_e32 v112, v118
	v_add_f32_e32 v103, v119, v103
	v_add_f32_e32 v102, v102, v103
	;; [unrolled: 1-line block ×4, first 2 shown]
	v_sub_f32_e32 v103, v113, v131
	v_mul_f32_e32 v102, v129, v102
	v_sub_f32_e32 v103, v130, v103
	v_add_f32_e32 v102, v103, v102
	v_add_f32_e32 v114, v113, v102
	v_mul_f32_e32 v116, v114, v114
	v_mov_b32_e32 v103, 0x3ecc95a3
	v_sub_f32_e32 v113, v114, v113
	v_fmac_f32_e32 v103, 0x3e9b6dac, v116
	v_sub_f32_e32 v102, v102, v113
	v_fmaak_f32 v103, v116, v103, 0x3f2aaada
	v_ldexp_f32 v117, v102, 1
	v_mul_f32_e32 v113, v114, v116
	v_mov_b32_e32 v102, 0x3f317218
	v_pk_mul_f32 v[102:103], v[112:113], v[102:103]
	v_ldexp_f32 v115, v114, 1
	v_fma_f32 v113, v112, s52, -v102
	v_fmamk_f32 v114, v112, 0xb102e308, v113
	v_pk_add_f32 v[112:113], v[102:103], v[114:115]
	v_mov_b32_e32 v116, v102
	v_sub_f32_e32 v115, v113, v115
	v_sub_f32_e32 v115, v103, v115
	v_add_f32_e32 v117, v117, v115
	v_pk_add_f32 v[102:103], v[112:113], v[102:103] neg_lo:[0,1] neg_hi:[0,1]
	v_pk_add_f32 v[118:119], v[112:113], v[116:117]
	v_mov_b32_e32 v115, v112
	v_mov_b32_e32 v103, v119
	v_pk_add_f32 v[128:129], v[114:115], v[102:103] neg_lo:[0,1] neg_hi:[0,1]
	v_pk_add_f32 v[102:103], v[114:115], v[102:103]
	v_mov_b32_e32 v116, v117
	v_mov_b32_e32 v114, v103
	v_pk_add_f32 v[130:131], v[114:115], v[112:113] neg_lo:[0,1] neg_hi:[0,1]
	v_mov_b32_e32 v102, v119
	v_mov_b32_e32 v115, v130
	v_pk_add_f32 v[132:133], v[118:119], v[114:115] neg_lo:[0,1] neg_hi:[0,1]
	v_mov_b32_e32 v118, v113
	v_mov_b32_e32 v119, v130
	v_mov_b32_e32 v129, v103
	v_pk_add_f32 v[102:103], v[102:103], v[118:119] neg_lo:[0,1] neg_hi:[0,1]
	v_mov_b32_e32 v117, v112
	v_pk_add_f32 v[102:103], v[116:117], v[102:103] neg_lo:[0,1] neg_hi:[0,1]
	v_mov_b32_e32 v132, v128
	v_pk_add_f32 v[112:113], v[132:133], v[102:103]
	v_cmp_eq_f32_e64 s[52:53], s60, v134
	v_mov_b32_e32 v116, v113
	v_pk_add_f32 v[116:117], v[112:113], v[116:117]
	s_mov_b32 s60, 0x33800000
	v_pk_add_f32 v[114:115], v[114:115], v[116:117]
	v_mov_b32_e32 v103, v116
	v_mov_b32_e32 v113, v114
	v_pk_add_f32 v[118:119], v[112:113], v[128:129] neg_lo:[0,1] neg_hi:[0,1]
	v_cmp_lt_f32_e64 s[60:61], |v134|, s60
	v_sub_f32_e32 v112, v112, v118
	v_pk_add_f32 v[102:103], v[102:103], v[118:119] neg_lo:[0,1] neg_hi:[0,1]
	v_sub_f32_e32 v112, v128, v112
	v_add_f32_e32 v102, v102, v112
	v_add_f32_e32 v102, v102, v103
	v_add_f32_e32 v102, v114, v102
	s_or_b64 s[52:53], s[52:53], s[60:61]
	v_cndmask_b32_e64 v102, v102, v134, s[52:53]
	v_add_f32_e32 v103, v101, v102
.LBB499_321:
	s_or_b64 exec, exec, s[54:55]
	v_bfe_u32 v101, v103, 16, 1
	s_movk_i32 s52, 0x7fff
	v_add3_u32 v101, v103, v101, s52
	v_lshrrev_b32_e32 v101, 16, v101
	v_mov_b32_e32 v102, 0x7fc0
	v_cmp_o_f32_e64 s[52:53], v103, v103
	s_nop 1
	v_cndmask_b32_e64 v101, v102, v101, s[52:53]
	v_and_b32_e32 v102, 0xffff, v101
.LBB499_322:
	s_or_b64 exec, exec, s[56:57]
	s_nop 0
	v_mov_b32_dpp v103, v102 row_shr:2 row_mask:0xf bank_mask:0xf
	v_cmp_lt_u32_e64 s[52:53], 1, v100
	s_and_saveexec_b64 s[56:57], s[52:53]
	s_cbranch_execz .LBB499_326
; %bb.323:
	v_lshlrev_b32_e32 v103, 16, v103
	v_lshlrev_b32_e32 v101, 16, v102
	v_max_f32_e32 v112, v101, v101
	v_max_f32_e32 v113, v103, v103
	v_min_f32_e32 v102, v113, v112
	v_cmp_u_f32_e64 s[52:53], v103, v103
	v_max_f32_e32 v112, v113, v112
	v_cmp_u_f32_e64 s[54:55], v101, v101
	v_cndmask_b32_e64 v102, v102, v103, s[52:53]
	v_cndmask_b32_e64 v112, v112, v103, s[52:53]
	;; [unrolled: 1-line block ×4, first 2 shown]
	s_movk_i32 s54, 0x1f8
	v_cmp_neq_f32_e64 s[52:53], v102, v101
	v_cmp_class_f32_e64 s[54:55], v102, s54
	s_or_b64 s[52:53], s[52:53], s[54:55]
	s_and_saveexec_b64 s[54:55], s[52:53]
	s_cbranch_execz .LBB499_325
; %bb.324:
	v_sub_f32_e32 v102, v102, v101
	s_mov_b32 s52, 0x3fb8aa3b
	v_mul_f32_e32 v103, 0x3fb8aa3b, v102
	v_fma_f32 v112, v102, s52, -v103
	v_rndne_f32_e32 v113, v103
	v_fmamk_f32 v112, v102, 0x32a5705f, v112
	v_sub_f32_e32 v103, v103, v113
	v_add_f32_e32 v103, v103, v112
	v_exp_f32_e32 v103, v103
	v_cvt_i32_f32_e32 v112, v113
	s_mov_b32 s52, 0xc2ce8ed0
	v_cmp_ngt_f32_e64 s[52:53], s52, v102
	s_mov_b32 s60, 0x7f800000
	v_ldexp_f32 v103, v103, v112
	v_cndmask_b32_e64 v103, 0, v103, s[52:53]
	s_mov_b32 s52, 0x42b17218
	v_mov_b32_e32 v112, 0x7f800000
	v_cmp_nlt_f32_e64 s[52:53], s52, v102
	s_nop 1
	v_cndmask_b32_e64 v134, v112, v103, s[52:53]
	v_add_f32_e32 v112, 1.0, v134
	v_add_f32_e32 v102, -1.0, v112
	v_sub_f32_e32 v103, v102, v112
	v_add_f32_e32 v103, 1.0, v103
	v_sub_f32_e32 v102, v134, v102
	v_add_f32_e32 v113, v102, v103
	v_frexp_mant_f32_e32 v114, v112
	s_mov_b32 s52, 0x3f2aaaab
	v_cvt_f64_f32_e32 v[102:103], v112
	v_frexp_exp_i32_f64_e32 v102, v[102:103]
	v_cmp_gt_f32_e64 s[52:53], s52, v114
	s_nop 1
	v_subbrev_co_u32_e64 v118, s[52:53], 0, v102, s[52:53]
	v_sub_u32_e32 v102, 0, v118
	v_ldexp_f32 v103, v112, v102
	v_add_f32_e32 v112, -1.0, v103
	v_add_f32_e32 v114, 1.0, v103
	v_ldexp_f32 v102, v113, v102
	v_add_f32_e32 v113, 1.0, v112
	v_add_f32_e32 v115, -1.0, v114
	v_sub_f32_e32 v113, v103, v113
	v_sub_f32_e32 v103, v103, v115
	v_add_f32_e32 v113, v102, v113
	v_add_f32_e32 v102, v102, v103
	;; [unrolled: 1-line block ×3, first 2 shown]
	v_rcp_f32_e32 v129, v119
	v_sub_f32_e32 v103, v114, v119
	v_add_f32_e32 v128, v102, v103
	v_add_f32_e32 v103, v112, v113
	v_mul_f32_e32 v131, v103, v129
	v_sub_f32_e32 v102, v112, v103
	v_mul_f32_e32 v112, v119, v131
	v_fma_f32 v114, v131, v119, -v112
	v_fmac_f32_e32 v114, v131, v128
	v_add_f32_e32 v130, v113, v102
	v_add_f32_e32 v102, v112, v114
	v_sub_f32_e32 v113, v103, v102
	v_pk_add_f32 v[116:117], v[102:103], v[112:113] neg_lo:[0,1] neg_hi:[0,1]
	v_mov_b32_e32 v115, v102
	v_pk_add_f32 v[102:103], v[116:117], v[114:115] neg_lo:[0,1] neg_hi:[0,1]
	s_mov_b32 s52, 0x3f317218
	v_add_f32_e32 v103, v130, v103
	v_add_f32_e32 v102, v102, v103
	v_add_f32_e32 v103, v113, v102
	v_mul_f32_e32 v130, v129, v103
	v_mul_f32_e32 v112, v119, v130
	v_fma_f32 v114, v130, v119, -v112
	v_fmac_f32_e32 v114, v130, v128
	v_sub_f32_e32 v113, v113, v103
	v_add_f32_e32 v119, v102, v113
	v_add_f32_e32 v102, v112, v114
	v_sub_f32_e32 v113, v103, v102
	v_pk_add_f32 v[116:117], v[102:103], v[112:113] neg_lo:[0,1] neg_hi:[0,1]
	v_mov_b32_e32 v115, v102
	v_pk_add_f32 v[102:103], v[116:117], v[114:115] neg_lo:[0,1] neg_hi:[0,1]
	v_cvt_f32_i32_e32 v112, v118
	v_add_f32_e32 v103, v119, v103
	v_add_f32_e32 v102, v102, v103
	;; [unrolled: 1-line block ×4, first 2 shown]
	v_sub_f32_e32 v103, v113, v131
	v_mul_f32_e32 v102, v129, v102
	v_sub_f32_e32 v103, v130, v103
	v_add_f32_e32 v102, v103, v102
	v_add_f32_e32 v114, v113, v102
	v_mul_f32_e32 v116, v114, v114
	v_mov_b32_e32 v103, 0x3ecc95a3
	v_sub_f32_e32 v113, v114, v113
	v_fmac_f32_e32 v103, 0x3e9b6dac, v116
	v_sub_f32_e32 v102, v102, v113
	v_fmaak_f32 v103, v116, v103, 0x3f2aaada
	v_ldexp_f32 v117, v102, 1
	v_mul_f32_e32 v113, v114, v116
	v_mov_b32_e32 v102, 0x3f317218
	v_pk_mul_f32 v[102:103], v[112:113], v[102:103]
	v_ldexp_f32 v115, v114, 1
	v_fma_f32 v113, v112, s52, -v102
	v_fmamk_f32 v114, v112, 0xb102e308, v113
	v_pk_add_f32 v[112:113], v[102:103], v[114:115]
	v_mov_b32_e32 v116, v102
	v_sub_f32_e32 v115, v113, v115
	v_sub_f32_e32 v115, v103, v115
	v_add_f32_e32 v117, v117, v115
	v_pk_add_f32 v[102:103], v[112:113], v[102:103] neg_lo:[0,1] neg_hi:[0,1]
	v_pk_add_f32 v[118:119], v[112:113], v[116:117]
	v_mov_b32_e32 v115, v112
	v_mov_b32_e32 v103, v119
	v_pk_add_f32 v[128:129], v[114:115], v[102:103] neg_lo:[0,1] neg_hi:[0,1]
	v_pk_add_f32 v[102:103], v[114:115], v[102:103]
	v_mov_b32_e32 v116, v117
	v_mov_b32_e32 v114, v103
	v_pk_add_f32 v[130:131], v[114:115], v[112:113] neg_lo:[0,1] neg_hi:[0,1]
	v_mov_b32_e32 v102, v119
	v_mov_b32_e32 v115, v130
	v_pk_add_f32 v[132:133], v[118:119], v[114:115] neg_lo:[0,1] neg_hi:[0,1]
	v_mov_b32_e32 v118, v113
	v_mov_b32_e32 v119, v130
	;; [unrolled: 1-line block ×3, first 2 shown]
	v_pk_add_f32 v[102:103], v[102:103], v[118:119] neg_lo:[0,1] neg_hi:[0,1]
	v_mov_b32_e32 v117, v112
	v_pk_add_f32 v[102:103], v[116:117], v[102:103] neg_lo:[0,1] neg_hi:[0,1]
	v_mov_b32_e32 v132, v128
	v_pk_add_f32 v[112:113], v[132:133], v[102:103]
	v_cmp_eq_f32_e64 s[52:53], s60, v134
	v_mov_b32_e32 v116, v113
	v_pk_add_f32 v[116:117], v[112:113], v[116:117]
	s_mov_b32 s60, 0x33800000
	v_pk_add_f32 v[114:115], v[114:115], v[116:117]
	v_mov_b32_e32 v103, v116
	v_mov_b32_e32 v113, v114
	v_pk_add_f32 v[118:119], v[112:113], v[128:129] neg_lo:[0,1] neg_hi:[0,1]
	v_cmp_lt_f32_e64 s[60:61], |v134|, s60
	v_sub_f32_e32 v112, v112, v118
	v_pk_add_f32 v[102:103], v[102:103], v[118:119] neg_lo:[0,1] neg_hi:[0,1]
	v_sub_f32_e32 v112, v128, v112
	v_add_f32_e32 v102, v102, v112
	v_add_f32_e32 v102, v102, v103
	;; [unrolled: 1-line block ×3, first 2 shown]
	s_or_b64 s[52:53], s[52:53], s[60:61]
	v_cndmask_b32_e64 v102, v102, v134, s[52:53]
	v_add_f32_e32 v103, v101, v102
.LBB499_325:
	s_or_b64 exec, exec, s[54:55]
	v_bfe_u32 v101, v103, 16, 1
	s_movk_i32 s52, 0x7fff
	v_add3_u32 v101, v103, v101, s52
	v_lshrrev_b32_e32 v101, 16, v101
	v_mov_b32_e32 v102, 0x7fc0
	v_cmp_o_f32_e64 s[52:53], v103, v103
	s_nop 1
	v_cndmask_b32_e64 v101, v102, v101, s[52:53]
	v_and_b32_e32 v102, 0xffff, v101
.LBB499_326:
	s_or_b64 exec, exec, s[56:57]
	s_nop 0
	v_mov_b32_dpp v103, v102 row_shr:4 row_mask:0xf bank_mask:0xf
	v_cmp_lt_u32_e64 s[52:53], 3, v100
	s_and_saveexec_b64 s[56:57], s[52:53]
	s_cbranch_execz .LBB499_330
; %bb.327:
	v_lshlrev_b32_e32 v103, 16, v103
	v_lshlrev_b32_e32 v101, 16, v102
	v_max_f32_e32 v112, v101, v101
	v_max_f32_e32 v113, v103, v103
	v_min_f32_e32 v102, v113, v112
	v_cmp_u_f32_e64 s[52:53], v103, v103
	v_max_f32_e32 v112, v113, v112
	v_cmp_u_f32_e64 s[54:55], v101, v101
	v_cndmask_b32_e64 v102, v102, v103, s[52:53]
	v_cndmask_b32_e64 v112, v112, v103, s[52:53]
	;; [unrolled: 1-line block ×4, first 2 shown]
	s_movk_i32 s54, 0x1f8
	v_cmp_neq_f32_e64 s[52:53], v102, v101
	v_cmp_class_f32_e64 s[54:55], v102, s54
	s_or_b64 s[52:53], s[52:53], s[54:55]
	s_and_saveexec_b64 s[54:55], s[52:53]
	s_cbranch_execz .LBB499_329
; %bb.328:
	v_sub_f32_e32 v102, v102, v101
	s_mov_b32 s52, 0x3fb8aa3b
	v_mul_f32_e32 v103, 0x3fb8aa3b, v102
	v_fma_f32 v112, v102, s52, -v103
	v_rndne_f32_e32 v113, v103
	v_fmamk_f32 v112, v102, 0x32a5705f, v112
	v_sub_f32_e32 v103, v103, v113
	v_add_f32_e32 v103, v103, v112
	v_exp_f32_e32 v103, v103
	v_cvt_i32_f32_e32 v112, v113
	s_mov_b32 s52, 0xc2ce8ed0
	v_cmp_ngt_f32_e64 s[52:53], s52, v102
	s_mov_b32 s60, 0x7f800000
	v_ldexp_f32 v103, v103, v112
	v_cndmask_b32_e64 v103, 0, v103, s[52:53]
	s_mov_b32 s52, 0x42b17218
	v_mov_b32_e32 v112, 0x7f800000
	v_cmp_nlt_f32_e64 s[52:53], s52, v102
	s_nop 1
	v_cndmask_b32_e64 v134, v112, v103, s[52:53]
	v_add_f32_e32 v112, 1.0, v134
	v_add_f32_e32 v102, -1.0, v112
	v_sub_f32_e32 v103, v102, v112
	v_add_f32_e32 v103, 1.0, v103
	v_sub_f32_e32 v102, v134, v102
	v_add_f32_e32 v113, v102, v103
	v_frexp_mant_f32_e32 v114, v112
	s_mov_b32 s52, 0x3f2aaaab
	v_cvt_f64_f32_e32 v[102:103], v112
	v_frexp_exp_i32_f64_e32 v102, v[102:103]
	v_cmp_gt_f32_e64 s[52:53], s52, v114
	s_nop 1
	v_subbrev_co_u32_e64 v118, s[52:53], 0, v102, s[52:53]
	v_sub_u32_e32 v102, 0, v118
	v_ldexp_f32 v103, v112, v102
	v_add_f32_e32 v112, -1.0, v103
	v_add_f32_e32 v114, 1.0, v103
	v_ldexp_f32 v102, v113, v102
	v_add_f32_e32 v113, 1.0, v112
	v_add_f32_e32 v115, -1.0, v114
	v_sub_f32_e32 v113, v103, v113
	v_sub_f32_e32 v103, v103, v115
	v_add_f32_e32 v113, v102, v113
	v_add_f32_e32 v102, v102, v103
	;; [unrolled: 1-line block ×3, first 2 shown]
	v_rcp_f32_e32 v129, v119
	v_sub_f32_e32 v103, v114, v119
	v_add_f32_e32 v128, v102, v103
	v_add_f32_e32 v103, v112, v113
	v_mul_f32_e32 v131, v103, v129
	v_sub_f32_e32 v102, v112, v103
	v_mul_f32_e32 v112, v119, v131
	v_fma_f32 v114, v131, v119, -v112
	v_fmac_f32_e32 v114, v131, v128
	v_add_f32_e32 v130, v113, v102
	v_add_f32_e32 v102, v112, v114
	v_sub_f32_e32 v113, v103, v102
	v_pk_add_f32 v[116:117], v[102:103], v[112:113] neg_lo:[0,1] neg_hi:[0,1]
	v_mov_b32_e32 v115, v102
	v_pk_add_f32 v[102:103], v[116:117], v[114:115] neg_lo:[0,1] neg_hi:[0,1]
	s_mov_b32 s52, 0x3f317218
	v_add_f32_e32 v103, v130, v103
	v_add_f32_e32 v102, v102, v103
	;; [unrolled: 1-line block ×3, first 2 shown]
	v_mul_f32_e32 v130, v129, v103
	v_mul_f32_e32 v112, v119, v130
	v_fma_f32 v114, v130, v119, -v112
	v_fmac_f32_e32 v114, v130, v128
	v_sub_f32_e32 v113, v113, v103
	v_add_f32_e32 v119, v102, v113
	v_add_f32_e32 v102, v112, v114
	v_sub_f32_e32 v113, v103, v102
	v_pk_add_f32 v[116:117], v[102:103], v[112:113] neg_lo:[0,1] neg_hi:[0,1]
	v_mov_b32_e32 v115, v102
	v_pk_add_f32 v[102:103], v[116:117], v[114:115] neg_lo:[0,1] neg_hi:[0,1]
	v_cvt_f32_i32_e32 v112, v118
	v_add_f32_e32 v103, v119, v103
	v_add_f32_e32 v102, v102, v103
	;; [unrolled: 1-line block ×4, first 2 shown]
	v_sub_f32_e32 v103, v113, v131
	v_mul_f32_e32 v102, v129, v102
	v_sub_f32_e32 v103, v130, v103
	v_add_f32_e32 v102, v103, v102
	v_add_f32_e32 v114, v113, v102
	v_mul_f32_e32 v116, v114, v114
	v_mov_b32_e32 v103, 0x3ecc95a3
	v_sub_f32_e32 v113, v114, v113
	v_fmac_f32_e32 v103, 0x3e9b6dac, v116
	v_sub_f32_e32 v102, v102, v113
	v_fmaak_f32 v103, v116, v103, 0x3f2aaada
	v_ldexp_f32 v117, v102, 1
	v_mul_f32_e32 v113, v114, v116
	v_mov_b32_e32 v102, 0x3f317218
	v_pk_mul_f32 v[102:103], v[112:113], v[102:103]
	v_ldexp_f32 v115, v114, 1
	v_fma_f32 v113, v112, s52, -v102
	v_fmamk_f32 v114, v112, 0xb102e308, v113
	v_pk_add_f32 v[112:113], v[102:103], v[114:115]
	v_mov_b32_e32 v116, v102
	v_sub_f32_e32 v115, v113, v115
	v_sub_f32_e32 v115, v103, v115
	v_add_f32_e32 v117, v117, v115
	v_pk_add_f32 v[102:103], v[112:113], v[102:103] neg_lo:[0,1] neg_hi:[0,1]
	v_pk_add_f32 v[118:119], v[112:113], v[116:117]
	v_mov_b32_e32 v115, v112
	v_mov_b32_e32 v103, v119
	v_pk_add_f32 v[128:129], v[114:115], v[102:103] neg_lo:[0,1] neg_hi:[0,1]
	v_pk_add_f32 v[102:103], v[114:115], v[102:103]
	v_mov_b32_e32 v116, v117
	v_mov_b32_e32 v114, v103
	v_pk_add_f32 v[130:131], v[114:115], v[112:113] neg_lo:[0,1] neg_hi:[0,1]
	v_mov_b32_e32 v102, v119
	v_mov_b32_e32 v115, v130
	v_pk_add_f32 v[132:133], v[118:119], v[114:115] neg_lo:[0,1] neg_hi:[0,1]
	v_mov_b32_e32 v118, v113
	v_mov_b32_e32 v119, v130
	v_mov_b32_e32 v129, v103
	v_pk_add_f32 v[102:103], v[102:103], v[118:119] neg_lo:[0,1] neg_hi:[0,1]
	v_mov_b32_e32 v117, v112
	v_pk_add_f32 v[102:103], v[116:117], v[102:103] neg_lo:[0,1] neg_hi:[0,1]
	v_mov_b32_e32 v132, v128
	v_pk_add_f32 v[112:113], v[132:133], v[102:103]
	v_cmp_eq_f32_e64 s[52:53], s60, v134
	v_mov_b32_e32 v116, v113
	v_pk_add_f32 v[116:117], v[112:113], v[116:117]
	s_mov_b32 s60, 0x33800000
	v_pk_add_f32 v[114:115], v[114:115], v[116:117]
	v_mov_b32_e32 v103, v116
	v_mov_b32_e32 v113, v114
	v_pk_add_f32 v[118:119], v[112:113], v[128:129] neg_lo:[0,1] neg_hi:[0,1]
	v_cmp_lt_f32_e64 s[60:61], |v134|, s60
	v_sub_f32_e32 v112, v112, v118
	v_pk_add_f32 v[102:103], v[102:103], v[118:119] neg_lo:[0,1] neg_hi:[0,1]
	v_sub_f32_e32 v112, v128, v112
	v_add_f32_e32 v102, v102, v112
	v_add_f32_e32 v102, v102, v103
	v_add_f32_e32 v102, v114, v102
	s_or_b64 s[52:53], s[52:53], s[60:61]
	v_cndmask_b32_e64 v102, v102, v134, s[52:53]
	v_add_f32_e32 v103, v101, v102
.LBB499_329:
	s_or_b64 exec, exec, s[54:55]
	v_bfe_u32 v101, v103, 16, 1
	s_movk_i32 s52, 0x7fff
	v_add3_u32 v101, v103, v101, s52
	v_lshrrev_b32_e32 v101, 16, v101
	v_mov_b32_e32 v102, 0x7fc0
	v_cmp_o_f32_e64 s[52:53], v103, v103
	s_nop 1
	v_cndmask_b32_e64 v101, v102, v101, s[52:53]
	v_and_b32_e32 v102, 0xffff, v101
.LBB499_330:
	s_or_b64 exec, exec, s[56:57]
	s_nop 0
	v_mov_b32_dpp v103, v102 row_shr:8 row_mask:0xf bank_mask:0xf
	v_cmp_lt_u32_e64 s[52:53], 7, v100
	s_and_saveexec_b64 s[56:57], s[52:53]
	s_cbranch_execz .LBB499_334
; %bb.331:
	v_lshlrev_b32_e32 v101, 16, v103
	v_lshlrev_b32_e32 v100, 16, v102
	v_max_f32_e32 v103, v100, v100
	v_max_f32_e32 v112, v101, v101
	v_min_f32_e32 v102, v112, v103
	v_cmp_u_f32_e64 s[52:53], v101, v101
	v_max_f32_e32 v103, v112, v103
	v_cmp_u_f32_e64 s[54:55], v100, v100
	v_cndmask_b32_e64 v102, v102, v101, s[52:53]
	v_cndmask_b32_e64 v103, v103, v101, s[52:53]
	;; [unrolled: 1-line block ×4, first 2 shown]
	s_movk_i32 s54, 0x1f8
	v_cmp_neq_f32_e64 s[52:53], v102, v100
	v_cmp_class_f32_e64 s[54:55], v102, s54
	s_or_b64 s[52:53], s[52:53], s[54:55]
	s_and_saveexec_b64 s[54:55], s[52:53]
	s_cbranch_execz .LBB499_333
; %bb.332:
	v_sub_f32_e32 v101, v102, v100
	s_mov_b32 s52, 0x3fb8aa3b
	v_mul_f32_e32 v102, 0x3fb8aa3b, v101
	v_fma_f32 v103, v101, s52, -v102
	v_rndne_f32_e32 v112, v102
	v_fmamk_f32 v103, v101, 0x32a5705f, v103
	v_sub_f32_e32 v102, v102, v112
	v_add_f32_e32 v102, v102, v103
	v_exp_f32_e32 v102, v102
	v_cvt_i32_f32_e32 v103, v112
	s_mov_b32 s52, 0xc2ce8ed0
	v_cmp_ngt_f32_e64 s[52:53], s52, v101
	s_mov_b32 s60, 0x7f800000
	v_ldexp_f32 v102, v102, v103
	v_cndmask_b32_e64 v102, 0, v102, s[52:53]
	s_mov_b32 s52, 0x42b17218
	v_mov_b32_e32 v103, 0x7f800000
	v_cmp_nlt_f32_e64 s[52:53], s52, v101
	s_nop 1
	v_cndmask_b32_e64 v134, v103, v102, s[52:53]
	v_add_f32_e32 v101, 1.0, v134
	v_add_f32_e32 v102, -1.0, v101
	v_sub_f32_e32 v103, v102, v101
	v_add_f32_e32 v103, 1.0, v103
	v_sub_f32_e32 v102, v134, v102
	v_add_f32_e32 v112, v102, v103
	v_frexp_mant_f32_e32 v113, v101
	s_mov_b32 s52, 0x3f2aaaab
	v_cvt_f64_f32_e32 v[102:103], v101
	v_frexp_exp_i32_f64_e32 v102, v[102:103]
	v_cmp_gt_f32_e64 s[52:53], s52, v113
	s_nop 1
	v_subbrev_co_u32_e64 v118, s[52:53], 0, v102, s[52:53]
	v_sub_u32_e32 v102, 0, v118
	v_ldexp_f32 v101, v101, v102
	v_ldexp_f32 v102, v112, v102
	v_add_f32_e32 v112, -1.0, v101
	v_add_f32_e32 v103, 1.0, v112
	v_sub_f32_e32 v103, v101, v103
	v_add_f32_e32 v113, v102, v103
	v_add_f32_e32 v103, 1.0, v101
	v_add_f32_e32 v114, -1.0, v103
	v_sub_f32_e32 v101, v101, v114
	v_add_f32_e32 v101, v102, v101
	v_add_f32_e32 v119, v103, v101
	v_rcp_f32_e32 v128, v119
	v_sub_f32_e32 v102, v103, v119
	v_add_f32_e32 v103, v112, v113
	v_add_f32_e32 v101, v101, v102
	v_mul_f32_e32 v130, v103, v128
	v_sub_f32_e32 v102, v112, v103
	v_mul_f32_e32 v112, v119, v130
	v_fma_f32 v114, v130, v119, -v112
	v_fmac_f32_e32 v114, v130, v101
	v_add_f32_e32 v129, v113, v102
	v_add_f32_e32 v102, v112, v114
	v_sub_f32_e32 v113, v103, v102
	v_pk_add_f32 v[116:117], v[102:103], v[112:113] neg_lo:[0,1] neg_hi:[0,1]
	v_mov_b32_e32 v115, v102
	v_pk_add_f32 v[102:103], v[116:117], v[114:115] neg_lo:[0,1] neg_hi:[0,1]
	s_mov_b32 s52, 0x3f317218
	v_add_f32_e32 v103, v129, v103
	v_add_f32_e32 v102, v102, v103
	;; [unrolled: 1-line block ×3, first 2 shown]
	v_mul_f32_e32 v129, v128, v103
	v_mul_f32_e32 v112, v119, v129
	v_fma_f32 v114, v129, v119, -v112
	v_fmac_f32_e32 v114, v129, v101
	v_sub_f32_e32 v101, v113, v103
	v_add_f32_e32 v101, v102, v101
	v_add_f32_e32 v102, v112, v114
	v_sub_f32_e32 v113, v103, v102
	v_pk_add_f32 v[116:117], v[102:103], v[112:113] neg_lo:[0,1] neg_hi:[0,1]
	v_mov_b32_e32 v115, v102
	v_pk_add_f32 v[102:103], v[116:117], v[114:115] neg_lo:[0,1] neg_hi:[0,1]
	v_cvt_f32_i32_e32 v112, v118
	v_add_f32_e32 v101, v101, v103
	v_add_f32_e32 v101, v102, v101
	;; [unrolled: 1-line block ×4, first 2 shown]
	v_sub_f32_e32 v103, v102, v130
	v_mul_f32_e32 v101, v128, v101
	v_sub_f32_e32 v103, v129, v103
	v_add_f32_e32 v101, v103, v101
	v_add_f32_e32 v113, v102, v101
	v_mul_f32_e32 v114, v113, v113
	v_mov_b32_e32 v103, 0x3ecc95a3
	v_fmac_f32_e32 v103, 0x3e9b6dac, v114
	v_sub_f32_e32 v102, v113, v102
	v_fmaak_f32 v103, v114, v103, 0x3f2aaada
	v_sub_f32_e32 v101, v101, v102
	v_ldexp_f32 v115, v113, 1
	v_mul_f32_e32 v113, v113, v114
	v_mov_b32_e32 v102, 0x3f317218
	v_pk_mul_f32 v[102:103], v[112:113], v[102:103]
	v_ldexp_f32 v101, v101, 1
	v_fma_f32 v113, v112, s52, -v102
	v_fmamk_f32 v114, v112, 0xb102e308, v113
	v_pk_add_f32 v[112:113], v[102:103], v[114:115]
	v_mov_b32_e32 v116, v102
	v_sub_f32_e32 v115, v113, v115
	v_sub_f32_e32 v115, v103, v115
	v_add_f32_e32 v117, v101, v115
	v_pk_add_f32 v[102:103], v[112:113], v[102:103] neg_lo:[0,1] neg_hi:[0,1]
	v_pk_add_f32 v[118:119], v[112:113], v[116:117]
	v_mov_b32_e32 v115, v112
	v_mov_b32_e32 v103, v119
	v_pk_add_f32 v[128:129], v[114:115], v[102:103] neg_lo:[0,1] neg_hi:[0,1]
	v_pk_add_f32 v[102:103], v[114:115], v[102:103]
	v_mov_b32_e32 v116, v117
	v_mov_b32_e32 v114, v103
	v_pk_add_f32 v[130:131], v[114:115], v[112:113] neg_lo:[0,1] neg_hi:[0,1]
	v_mov_b32_e32 v102, v119
	v_mov_b32_e32 v101, v130
	v_pk_add_f32 v[132:133], v[118:119], v[100:101] neg_lo:[0,1] neg_hi:[0,1]
	v_mov_b32_e32 v118, v113
	v_mov_b32_e32 v119, v130
	;; [unrolled: 1-line block ×3, first 2 shown]
	v_pk_add_f32 v[102:103], v[102:103], v[118:119] neg_lo:[0,1] neg_hi:[0,1]
	v_mov_b32_e32 v117, v112
	v_pk_add_f32 v[102:103], v[116:117], v[102:103] neg_lo:[0,1] neg_hi:[0,1]
	v_mov_b32_e32 v132, v128
	v_pk_add_f32 v[112:113], v[132:133], v[102:103]
	v_cmp_eq_f32_e64 s[52:53], s60, v134
	v_mov_b32_e32 v116, v113
	v_pk_add_f32 v[116:117], v[112:113], v[116:117]
	s_mov_b32 s60, 0x33800000
	v_pk_add_f32 v[114:115], v[114:115], v[116:117]
	v_mov_b32_e32 v103, v116
	v_mov_b32_e32 v113, v114
	v_pk_add_f32 v[118:119], v[112:113], v[128:129] neg_lo:[0,1] neg_hi:[0,1]
	v_cmp_lt_f32_e64 s[60:61], |v134|, s60
	v_sub_f32_e32 v101, v112, v118
	v_pk_add_f32 v[102:103], v[102:103], v[118:119] neg_lo:[0,1] neg_hi:[0,1]
	v_sub_f32_e32 v101, v128, v101
	v_add_f32_e32 v101, v102, v101
	v_add_f32_e32 v101, v101, v103
	;; [unrolled: 1-line block ×3, first 2 shown]
	s_or_b64 s[52:53], s[52:53], s[60:61]
	v_cndmask_b32_e64 v101, v101, v134, s[52:53]
	v_add_f32_e32 v101, v100, v101
.LBB499_333:
	s_or_b64 exec, exec, s[54:55]
	v_bfe_u32 v100, v101, 16, 1
	s_movk_i32 s52, 0x7fff
	v_add3_u32 v100, v101, v100, s52
	v_lshrrev_b32_e32 v100, 16, v100
	v_mov_b32_e32 v102, 0x7fc0
	v_cmp_o_f32_e64 s[52:53], v101, v101
	s_nop 1
	v_cndmask_b32_e64 v101, v102, v100, s[52:53]
	v_and_b32_e32 v102, 0xffff, v101
.LBB499_334:
	s_or_b64 exec, exec, s[56:57]
	v_and_b32_e32 v103, 16, v99
	v_mov_b32_dpp v100, v102 row_bcast:15 row_mask:0xf bank_mask:0xf
	v_cmp_ne_u32_e64 s[52:53], 0, v103
	s_and_saveexec_b64 s[56:57], s[52:53]
	s_cbranch_execz .LBB499_338
; %bb.335:
	v_lshlrev_b32_e32 v101, 16, v100
	v_lshlrev_b32_e32 v100, 16, v102
	v_max_f32_e32 v103, v100, v100
	v_max_f32_e32 v112, v101, v101
	v_min_f32_e32 v102, v112, v103
	v_cmp_u_f32_e64 s[52:53], v101, v101
	v_max_f32_e32 v103, v112, v103
	v_cmp_u_f32_e64 s[54:55], v100, v100
	v_cndmask_b32_e64 v102, v102, v101, s[52:53]
	v_cndmask_b32_e64 v103, v103, v101, s[52:53]
	;; [unrolled: 1-line block ×4, first 2 shown]
	s_movk_i32 s54, 0x1f8
	v_cmp_neq_f32_e64 s[52:53], v102, v100
	v_cmp_class_f32_e64 s[54:55], v102, s54
	s_or_b64 s[52:53], s[52:53], s[54:55]
	s_and_saveexec_b64 s[54:55], s[52:53]
	s_cbranch_execz .LBB499_337
; %bb.336:
	v_sub_f32_e32 v101, v102, v100
	s_mov_b32 s52, 0x3fb8aa3b
	v_mul_f32_e32 v102, 0x3fb8aa3b, v101
	v_fma_f32 v103, v101, s52, -v102
	v_rndne_f32_e32 v112, v102
	v_fmamk_f32 v103, v101, 0x32a5705f, v103
	v_sub_f32_e32 v102, v102, v112
	v_add_f32_e32 v102, v102, v103
	v_exp_f32_e32 v102, v102
	v_cvt_i32_f32_e32 v103, v112
	s_mov_b32 s52, 0xc2ce8ed0
	v_cmp_ngt_f32_e64 s[52:53], s52, v101
	s_mov_b32 s60, 0x7f800000
	v_ldexp_f32 v102, v102, v103
	v_cndmask_b32_e64 v102, 0, v102, s[52:53]
	s_mov_b32 s52, 0x42b17218
	v_mov_b32_e32 v103, 0x7f800000
	v_cmp_nlt_f32_e64 s[52:53], s52, v101
	s_nop 1
	v_cndmask_b32_e64 v134, v103, v102, s[52:53]
	v_add_f32_e32 v101, 1.0, v134
	v_add_f32_e32 v102, -1.0, v101
	v_sub_f32_e32 v103, v102, v101
	v_add_f32_e32 v103, 1.0, v103
	v_sub_f32_e32 v102, v134, v102
	v_add_f32_e32 v112, v102, v103
	v_frexp_mant_f32_e32 v113, v101
	s_mov_b32 s52, 0x3f2aaaab
	v_cvt_f64_f32_e32 v[102:103], v101
	v_frexp_exp_i32_f64_e32 v102, v[102:103]
	v_cmp_gt_f32_e64 s[52:53], s52, v113
	s_nop 1
	v_subbrev_co_u32_e64 v118, s[52:53], 0, v102, s[52:53]
	v_sub_u32_e32 v102, 0, v118
	v_ldexp_f32 v101, v101, v102
	v_ldexp_f32 v102, v112, v102
	v_add_f32_e32 v112, -1.0, v101
	v_add_f32_e32 v103, 1.0, v112
	v_sub_f32_e32 v103, v101, v103
	v_add_f32_e32 v113, v102, v103
	v_add_f32_e32 v103, 1.0, v101
	v_add_f32_e32 v114, -1.0, v103
	v_sub_f32_e32 v101, v101, v114
	v_add_f32_e32 v101, v102, v101
	v_add_f32_e32 v119, v103, v101
	v_rcp_f32_e32 v128, v119
	v_sub_f32_e32 v102, v103, v119
	v_add_f32_e32 v103, v112, v113
	v_add_f32_e32 v101, v101, v102
	v_mul_f32_e32 v130, v103, v128
	v_sub_f32_e32 v102, v112, v103
	v_mul_f32_e32 v112, v119, v130
	v_fma_f32 v114, v130, v119, -v112
	v_fmac_f32_e32 v114, v130, v101
	v_add_f32_e32 v129, v113, v102
	v_add_f32_e32 v102, v112, v114
	v_sub_f32_e32 v113, v103, v102
	v_pk_add_f32 v[116:117], v[102:103], v[112:113] neg_lo:[0,1] neg_hi:[0,1]
	v_mov_b32_e32 v115, v102
	v_pk_add_f32 v[102:103], v[116:117], v[114:115] neg_lo:[0,1] neg_hi:[0,1]
	s_mov_b32 s52, 0x3f317218
	v_add_f32_e32 v103, v129, v103
	v_add_f32_e32 v102, v102, v103
	;; [unrolled: 1-line block ×3, first 2 shown]
	v_mul_f32_e32 v129, v128, v103
	v_mul_f32_e32 v112, v119, v129
	v_fma_f32 v114, v129, v119, -v112
	v_fmac_f32_e32 v114, v129, v101
	v_sub_f32_e32 v101, v113, v103
	v_add_f32_e32 v101, v102, v101
	v_add_f32_e32 v102, v112, v114
	v_sub_f32_e32 v113, v103, v102
	v_pk_add_f32 v[116:117], v[102:103], v[112:113] neg_lo:[0,1] neg_hi:[0,1]
	v_mov_b32_e32 v115, v102
	v_pk_add_f32 v[102:103], v[116:117], v[114:115] neg_lo:[0,1] neg_hi:[0,1]
	v_cvt_f32_i32_e32 v112, v118
	v_add_f32_e32 v101, v101, v103
	v_add_f32_e32 v101, v102, v101
	v_add_f32_e32 v102, v130, v129
	v_add_f32_e32 v101, v113, v101
	v_sub_f32_e32 v103, v102, v130
	v_mul_f32_e32 v101, v128, v101
	v_sub_f32_e32 v103, v129, v103
	v_add_f32_e32 v101, v103, v101
	v_add_f32_e32 v113, v102, v101
	v_mul_f32_e32 v114, v113, v113
	v_mov_b32_e32 v103, 0x3ecc95a3
	v_fmac_f32_e32 v103, 0x3e9b6dac, v114
	v_sub_f32_e32 v102, v113, v102
	v_fmaak_f32 v103, v114, v103, 0x3f2aaada
	v_sub_f32_e32 v101, v101, v102
	v_ldexp_f32 v115, v113, 1
	v_mul_f32_e32 v113, v113, v114
	v_mov_b32_e32 v102, 0x3f317218
	v_pk_mul_f32 v[102:103], v[112:113], v[102:103]
	v_ldexp_f32 v101, v101, 1
	v_fma_f32 v113, v112, s52, -v102
	v_fmamk_f32 v114, v112, 0xb102e308, v113
	v_pk_add_f32 v[112:113], v[102:103], v[114:115]
	v_mov_b32_e32 v116, v102
	v_sub_f32_e32 v115, v113, v115
	v_sub_f32_e32 v115, v103, v115
	v_add_f32_e32 v117, v101, v115
	v_pk_add_f32 v[102:103], v[112:113], v[102:103] neg_lo:[0,1] neg_hi:[0,1]
	v_pk_add_f32 v[118:119], v[112:113], v[116:117]
	v_mov_b32_e32 v115, v112
	v_mov_b32_e32 v103, v119
	v_pk_add_f32 v[128:129], v[114:115], v[102:103] neg_lo:[0,1] neg_hi:[0,1]
	v_pk_add_f32 v[102:103], v[114:115], v[102:103]
	v_mov_b32_e32 v116, v117
	v_mov_b32_e32 v114, v103
	v_pk_add_f32 v[130:131], v[114:115], v[112:113] neg_lo:[0,1] neg_hi:[0,1]
	v_mov_b32_e32 v102, v119
	v_mov_b32_e32 v101, v130
	v_pk_add_f32 v[132:133], v[118:119], v[100:101] neg_lo:[0,1] neg_hi:[0,1]
	v_mov_b32_e32 v118, v113
	v_mov_b32_e32 v119, v130
	;; [unrolled: 1-line block ×3, first 2 shown]
	v_pk_add_f32 v[102:103], v[102:103], v[118:119] neg_lo:[0,1] neg_hi:[0,1]
	v_mov_b32_e32 v117, v112
	v_pk_add_f32 v[102:103], v[116:117], v[102:103] neg_lo:[0,1] neg_hi:[0,1]
	v_mov_b32_e32 v132, v128
	v_pk_add_f32 v[112:113], v[132:133], v[102:103]
	v_cmp_eq_f32_e64 s[52:53], s60, v134
	v_mov_b32_e32 v116, v113
	v_pk_add_f32 v[116:117], v[112:113], v[116:117]
	s_mov_b32 s60, 0x33800000
	v_pk_add_f32 v[114:115], v[114:115], v[116:117]
	v_mov_b32_e32 v103, v116
	v_mov_b32_e32 v113, v114
	v_pk_add_f32 v[118:119], v[112:113], v[128:129] neg_lo:[0,1] neg_hi:[0,1]
	v_cmp_lt_f32_e64 s[60:61], |v134|, s60
	v_sub_f32_e32 v101, v112, v118
	v_pk_add_f32 v[102:103], v[102:103], v[118:119] neg_lo:[0,1] neg_hi:[0,1]
	v_sub_f32_e32 v101, v128, v101
	v_add_f32_e32 v101, v102, v101
	v_add_f32_e32 v101, v101, v103
	;; [unrolled: 1-line block ×3, first 2 shown]
	s_or_b64 s[52:53], s[52:53], s[60:61]
	v_cndmask_b32_e64 v101, v101, v134, s[52:53]
	v_add_f32_e32 v101, v100, v101
.LBB499_337:
	s_or_b64 exec, exec, s[54:55]
	v_bfe_u32 v100, v101, 16, 1
	s_movk_i32 s52, 0x7fff
	v_add3_u32 v100, v101, v100, s52
	v_lshrrev_b32_e32 v100, 16, v100
	v_mov_b32_e32 v102, 0x7fc0
	v_cmp_o_f32_e64 s[52:53], v101, v101
	s_nop 1
	v_cndmask_b32_e64 v101, v102, v100, s[52:53]
	v_and_b32_e32 v102, 0xffff, v101
.LBB499_338:
	s_or_b64 exec, exec, s[56:57]
	s_nop 0
	v_mov_b32_dpp v100, v102 row_bcast:31 row_mask:0xf bank_mask:0xf
	v_cmp_lt_u32_e64 s[52:53], 31, v99
	s_and_saveexec_b64 s[56:57], s[52:53]
	s_cbranch_execz .LBB499_342
; %bb.339:
	v_lshlrev_b32_e32 v101, 16, v100
	v_lshlrev_b32_e32 v100, 16, v102
	v_max_f32_e32 v103, v100, v100
	v_max_f32_e32 v112, v101, v101
	v_min_f32_e32 v102, v112, v103
	v_cmp_u_f32_e64 s[52:53], v101, v101
	v_max_f32_e32 v103, v112, v103
	v_cmp_u_f32_e64 s[54:55], v100, v100
	v_cndmask_b32_e64 v102, v102, v101, s[52:53]
	v_cndmask_b32_e64 v103, v103, v101, s[52:53]
	;; [unrolled: 1-line block ×4, first 2 shown]
	s_movk_i32 s54, 0x1f8
	v_cmp_neq_f32_e64 s[52:53], v102, v100
	v_cmp_class_f32_e64 s[54:55], v102, s54
	s_or_b64 s[52:53], s[52:53], s[54:55]
	s_and_saveexec_b64 s[54:55], s[52:53]
	s_cbranch_execz .LBB499_341
; %bb.340:
	v_sub_f32_e32 v101, v102, v100
	s_mov_b32 s52, 0x3fb8aa3b
	v_mul_f32_e32 v102, 0x3fb8aa3b, v101
	v_fma_f32 v103, v101, s52, -v102
	v_rndne_f32_e32 v112, v102
	v_fmamk_f32 v103, v101, 0x32a5705f, v103
	v_sub_f32_e32 v102, v102, v112
	v_add_f32_e32 v102, v102, v103
	v_exp_f32_e32 v102, v102
	v_cvt_i32_f32_e32 v103, v112
	s_mov_b32 s52, 0xc2ce8ed0
	v_cmp_ngt_f32_e64 s[52:53], s52, v101
	s_mov_b32 s60, 0x7f800000
	v_ldexp_f32 v102, v102, v103
	v_cndmask_b32_e64 v102, 0, v102, s[52:53]
	s_mov_b32 s52, 0x42b17218
	v_mov_b32_e32 v103, 0x7f800000
	v_cmp_nlt_f32_e64 s[52:53], s52, v101
	s_nop 1
	v_cndmask_b32_e64 v134, v103, v102, s[52:53]
	v_add_f32_e32 v101, 1.0, v134
	v_add_f32_e32 v102, -1.0, v101
	v_sub_f32_e32 v103, v102, v101
	v_add_f32_e32 v103, 1.0, v103
	v_sub_f32_e32 v102, v134, v102
	v_add_f32_e32 v112, v102, v103
	v_frexp_mant_f32_e32 v113, v101
	s_mov_b32 s52, 0x3f2aaaab
	v_cvt_f64_f32_e32 v[102:103], v101
	v_frexp_exp_i32_f64_e32 v102, v[102:103]
	v_cmp_gt_f32_e64 s[52:53], s52, v113
	s_nop 1
	v_subbrev_co_u32_e64 v118, s[52:53], 0, v102, s[52:53]
	v_sub_u32_e32 v102, 0, v118
	v_ldexp_f32 v101, v101, v102
	v_ldexp_f32 v102, v112, v102
	v_add_f32_e32 v112, -1.0, v101
	v_add_f32_e32 v103, 1.0, v112
	v_sub_f32_e32 v103, v101, v103
	v_add_f32_e32 v113, v102, v103
	v_add_f32_e32 v103, 1.0, v101
	v_add_f32_e32 v114, -1.0, v103
	v_sub_f32_e32 v101, v101, v114
	v_add_f32_e32 v101, v102, v101
	v_add_f32_e32 v119, v103, v101
	v_rcp_f32_e32 v128, v119
	v_sub_f32_e32 v102, v103, v119
	v_add_f32_e32 v103, v112, v113
	v_add_f32_e32 v101, v101, v102
	v_mul_f32_e32 v130, v103, v128
	v_sub_f32_e32 v102, v112, v103
	v_mul_f32_e32 v112, v119, v130
	v_fma_f32 v114, v130, v119, -v112
	v_fmac_f32_e32 v114, v130, v101
	v_add_f32_e32 v129, v113, v102
	v_add_f32_e32 v102, v112, v114
	v_sub_f32_e32 v113, v103, v102
	v_pk_add_f32 v[116:117], v[102:103], v[112:113] neg_lo:[0,1] neg_hi:[0,1]
	v_mov_b32_e32 v115, v102
	v_pk_add_f32 v[102:103], v[116:117], v[114:115] neg_lo:[0,1] neg_hi:[0,1]
	s_mov_b32 s52, 0x3f317218
	v_add_f32_e32 v103, v129, v103
	v_add_f32_e32 v102, v102, v103
	;; [unrolled: 1-line block ×3, first 2 shown]
	v_mul_f32_e32 v129, v128, v103
	v_mul_f32_e32 v112, v119, v129
	v_fma_f32 v114, v129, v119, -v112
	v_fmac_f32_e32 v114, v129, v101
	v_sub_f32_e32 v101, v113, v103
	v_add_f32_e32 v101, v102, v101
	v_add_f32_e32 v102, v112, v114
	v_sub_f32_e32 v113, v103, v102
	v_pk_add_f32 v[116:117], v[102:103], v[112:113] neg_lo:[0,1] neg_hi:[0,1]
	v_mov_b32_e32 v115, v102
	v_pk_add_f32 v[102:103], v[116:117], v[114:115] neg_lo:[0,1] neg_hi:[0,1]
	v_cvt_f32_i32_e32 v112, v118
	v_add_f32_e32 v101, v101, v103
	v_add_f32_e32 v101, v102, v101
	;; [unrolled: 1-line block ×4, first 2 shown]
	v_sub_f32_e32 v103, v102, v130
	v_mul_f32_e32 v101, v128, v101
	v_sub_f32_e32 v103, v129, v103
	v_add_f32_e32 v101, v103, v101
	v_add_f32_e32 v113, v102, v101
	v_mul_f32_e32 v114, v113, v113
	v_mov_b32_e32 v103, 0x3ecc95a3
	v_fmac_f32_e32 v103, 0x3e9b6dac, v114
	v_sub_f32_e32 v102, v113, v102
	v_fmaak_f32 v103, v114, v103, 0x3f2aaada
	v_sub_f32_e32 v101, v101, v102
	v_ldexp_f32 v115, v113, 1
	v_mul_f32_e32 v113, v113, v114
	v_mov_b32_e32 v102, 0x3f317218
	v_pk_mul_f32 v[102:103], v[112:113], v[102:103]
	v_ldexp_f32 v101, v101, 1
	v_fma_f32 v113, v112, s52, -v102
	v_fmamk_f32 v114, v112, 0xb102e308, v113
	v_pk_add_f32 v[112:113], v[102:103], v[114:115]
	v_mov_b32_e32 v116, v102
	v_sub_f32_e32 v115, v113, v115
	v_sub_f32_e32 v115, v103, v115
	v_add_f32_e32 v117, v101, v115
	v_pk_add_f32 v[102:103], v[112:113], v[102:103] neg_lo:[0,1] neg_hi:[0,1]
	v_pk_add_f32 v[118:119], v[112:113], v[116:117]
	v_mov_b32_e32 v115, v112
	v_mov_b32_e32 v103, v119
	v_pk_add_f32 v[128:129], v[114:115], v[102:103] neg_lo:[0,1] neg_hi:[0,1]
	v_pk_add_f32 v[102:103], v[114:115], v[102:103]
	v_mov_b32_e32 v116, v117
	v_mov_b32_e32 v114, v103
	v_pk_add_f32 v[130:131], v[114:115], v[112:113] neg_lo:[0,1] neg_hi:[0,1]
	v_mov_b32_e32 v102, v119
	v_mov_b32_e32 v101, v130
	v_pk_add_f32 v[132:133], v[118:119], v[100:101] neg_lo:[0,1] neg_hi:[0,1]
	v_mov_b32_e32 v118, v113
	v_mov_b32_e32 v119, v130
	;; [unrolled: 1-line block ×3, first 2 shown]
	v_pk_add_f32 v[102:103], v[102:103], v[118:119] neg_lo:[0,1] neg_hi:[0,1]
	v_mov_b32_e32 v117, v112
	v_pk_add_f32 v[102:103], v[116:117], v[102:103] neg_lo:[0,1] neg_hi:[0,1]
	v_mov_b32_e32 v132, v128
	v_pk_add_f32 v[112:113], v[132:133], v[102:103]
	v_cmp_eq_f32_e64 s[52:53], s60, v134
	v_mov_b32_e32 v116, v113
	v_pk_add_f32 v[116:117], v[112:113], v[116:117]
	s_mov_b32 s60, 0x33800000
	v_pk_add_f32 v[114:115], v[114:115], v[116:117]
	v_mov_b32_e32 v103, v116
	v_mov_b32_e32 v113, v114
	v_pk_add_f32 v[118:119], v[112:113], v[128:129] neg_lo:[0,1] neg_hi:[0,1]
	v_cmp_lt_f32_e64 s[60:61], |v134|, s60
	v_sub_f32_e32 v101, v112, v118
	v_pk_add_f32 v[102:103], v[102:103], v[118:119] neg_lo:[0,1] neg_hi:[0,1]
	v_sub_f32_e32 v101, v128, v101
	v_add_f32_e32 v101, v102, v101
	v_add_f32_e32 v101, v101, v103
	;; [unrolled: 1-line block ×3, first 2 shown]
	s_or_b64 s[52:53], s[52:53], s[60:61]
	v_cndmask_b32_e64 v101, v101, v134, s[52:53]
	v_add_f32_e32 v101, v100, v101
.LBB499_341:
	s_or_b64 exec, exec, s[54:55]
	v_bfe_u32 v100, v101, 16, 1
	s_movk_i32 s52, 0x7fff
	v_add3_u32 v100, v101, v100, s52
	v_lshrrev_b32_e32 v100, 16, v100
	v_mov_b32_e32 v102, 0x7fc0
	v_cmp_o_f32_e64 s[52:53], v101, v101
	s_nop 1
	v_cndmask_b32_e64 v101, v102, v100, s[52:53]
.LBB499_342:
	s_or_b64 exec, exec, s[56:57]
	v_and_b32_e32 v102, 0x3c0, v0
	v_min_u32_e32 v102, 0xc0, v102
	v_or_b32_e32 v102, 63, v102
	v_lshrrev_b32_e32 v100, 6, v0
	v_cmp_eq_u32_e64 s[52:53], v102, v0
	s_and_saveexec_b64 s[54:55], s[52:53]
	s_cbranch_execz .LBB499_344
; %bb.343:
	v_lshlrev_b32_e32 v102, 1, v100
	ds_write_b16 v102, v101
.LBB499_344:
	s_or_b64 exec, exec, s[54:55]
	v_cmp_gt_u32_e64 s[52:53], 4, v0
	s_waitcnt lgkmcnt(0)
	s_barrier
	s_and_saveexec_b64 s[56:57], s[52:53]
	s_cbranch_execz .LBB499_354
; %bb.345:
	ds_read_u16 v103, v10
	v_and_b32_e32 v102, 3, v99
	v_cmp_ne_u32_e64 s[52:53], 0, v102
	s_waitcnt lgkmcnt(0)
	v_and_b32_e32 v113, 0xffff, v103
	s_nop 1
	v_mov_b32_dpp v112, v113 row_shr:1 row_mask:0xf bank_mask:0xf
	s_and_saveexec_b64 s[60:61], s[52:53]
	s_cbranch_execz .LBB499_349
; %bb.346:
	v_lshlrev_b32_e32 v112, 16, v112
	v_lshlrev_b32_e32 v103, 16, v113
	v_max_f32_e32 v114, v103, v103
	v_max_f32_e32 v115, v112, v112
	v_min_f32_e32 v113, v115, v114
	v_cmp_u_f32_e64 s[52:53], v112, v112
	v_max_f32_e32 v114, v115, v114
	v_cmp_u_f32_e64 s[54:55], v103, v103
	v_cndmask_b32_e64 v113, v113, v112, s[52:53]
	v_cndmask_b32_e64 v114, v114, v112, s[52:53]
	v_cndmask_b32_e64 v113, v113, v103, s[54:55]
	v_cndmask_b32_e64 v103, v114, v103, s[54:55]
	s_movk_i32 s54, 0x1f8
	v_cmp_neq_f32_e64 s[52:53], v113, v103
	v_cmp_class_f32_e64 s[54:55], v113, s54
	s_or_b64 s[52:53], s[52:53], s[54:55]
	s_and_saveexec_b64 s[54:55], s[52:53]
	s_cbranch_execz .LBB499_348
; %bb.347:
	v_sub_f32_e32 v112, v113, v103
	s_mov_b32 s52, 0x3fb8aa3b
	v_mul_f32_e32 v113, 0x3fb8aa3b, v112
	v_fma_f32 v114, v112, s52, -v113
	v_rndne_f32_e32 v115, v113
	v_fmamk_f32 v114, v112, 0x32a5705f, v114
	v_sub_f32_e32 v113, v113, v115
	v_add_f32_e32 v113, v113, v114
	v_exp_f32_e32 v113, v113
	v_cvt_i32_f32_e32 v114, v115
	s_mov_b32 s52, 0xc2ce8ed0
	v_cmp_ngt_f32_e64 s[52:53], s52, v112
	s_mov_b32 s62, 0x7f800000
	v_ldexp_f32 v113, v113, v114
	v_cndmask_b32_e64 v113, 0, v113, s[52:53]
	s_mov_b32 s52, 0x42b17218
	v_mov_b32_e32 v114, 0x7f800000
	v_cmp_nlt_f32_e64 s[52:53], s52, v112
	s_nop 1
	v_cndmask_b32_e64 v144, v114, v113, s[52:53]
	v_add_f32_e32 v114, 1.0, v144
	v_add_f32_e32 v112, -1.0, v114
	v_sub_f32_e32 v113, v112, v114
	v_add_f32_e32 v113, 1.0, v113
	v_sub_f32_e32 v112, v144, v112
	v_add_f32_e32 v115, v112, v113
	v_frexp_mant_f32_e32 v116, v114
	s_mov_b32 s52, 0x3f2aaaab
	v_cvt_f64_f32_e32 v[112:113], v114
	v_frexp_exp_i32_f64_e32 v112, v[112:113]
	v_cmp_gt_f32_e64 s[52:53], s52, v116
	s_nop 1
	v_subbrev_co_u32_e64 v128, s[52:53], 0, v112, s[52:53]
	v_sub_u32_e32 v112, 0, v128
	v_ldexp_f32 v113, v114, v112
	v_add_f32_e32 v114, -1.0, v113
	v_add_f32_e32 v116, 1.0, v113
	v_ldexp_f32 v112, v115, v112
	v_add_f32_e32 v115, 1.0, v114
	v_add_f32_e32 v117, -1.0, v116
	v_sub_f32_e32 v115, v113, v115
	v_sub_f32_e32 v113, v113, v117
	v_add_f32_e32 v115, v112, v115
	v_add_f32_e32 v112, v112, v113
	;; [unrolled: 1-line block ×3, first 2 shown]
	v_rcp_f32_e32 v131, v129
	v_sub_f32_e32 v113, v116, v129
	v_add_f32_e32 v130, v112, v113
	v_add_f32_e32 v113, v114, v115
	v_mul_f32_e32 v133, v113, v131
	v_sub_f32_e32 v112, v114, v113
	v_mul_f32_e32 v114, v129, v133
	v_fma_f32 v116, v133, v129, -v114
	v_fmac_f32_e32 v116, v133, v130
	v_add_f32_e32 v132, v115, v112
	v_add_f32_e32 v112, v114, v116
	v_sub_f32_e32 v115, v113, v112
	v_pk_add_f32 v[118:119], v[112:113], v[114:115] neg_lo:[0,1] neg_hi:[0,1]
	v_mov_b32_e32 v117, v112
	v_pk_add_f32 v[112:113], v[118:119], v[116:117] neg_lo:[0,1] neg_hi:[0,1]
	s_mov_b32 s52, 0x3f317218
	v_add_f32_e32 v113, v132, v113
	v_add_f32_e32 v112, v112, v113
	;; [unrolled: 1-line block ×3, first 2 shown]
	v_mul_f32_e32 v132, v131, v113
	v_mul_f32_e32 v114, v129, v132
	v_fma_f32 v116, v132, v129, -v114
	v_fmac_f32_e32 v116, v132, v130
	v_sub_f32_e32 v115, v115, v113
	v_add_f32_e32 v129, v112, v115
	v_add_f32_e32 v112, v114, v116
	v_sub_f32_e32 v115, v113, v112
	v_pk_add_f32 v[118:119], v[112:113], v[114:115] neg_lo:[0,1] neg_hi:[0,1]
	v_mov_b32_e32 v117, v112
	v_pk_add_f32 v[112:113], v[118:119], v[116:117] neg_lo:[0,1] neg_hi:[0,1]
	v_cvt_f32_i32_e32 v114, v128
	v_add_f32_e32 v113, v129, v113
	v_add_f32_e32 v112, v112, v113
	v_add_f32_e32 v112, v115, v112
	v_add_f32_e32 v115, v133, v132
	v_sub_f32_e32 v113, v115, v133
	v_mul_f32_e32 v112, v131, v112
	v_sub_f32_e32 v113, v132, v113
	v_add_f32_e32 v112, v113, v112
	v_add_f32_e32 v116, v115, v112
	v_mul_f32_e32 v118, v116, v116
	v_mov_b32_e32 v113, 0x3ecc95a3
	v_sub_f32_e32 v115, v116, v115
	v_fmac_f32_e32 v113, 0x3e9b6dac, v118
	v_sub_f32_e32 v112, v112, v115
	v_fmaak_f32 v113, v118, v113, 0x3f2aaada
	v_ldexp_f32 v119, v112, 1
	v_mul_f32_e32 v115, v116, v118
	v_mov_b32_e32 v112, 0x3f317218
	v_pk_mul_f32 v[112:113], v[114:115], v[112:113]
	v_ldexp_f32 v117, v116, 1
	v_fma_f32 v115, v114, s52, -v112
	v_fmamk_f32 v116, v114, 0xb102e308, v115
	v_pk_add_f32 v[114:115], v[112:113], v[116:117]
	v_mov_b32_e32 v118, v112
	v_sub_f32_e32 v117, v115, v117
	v_sub_f32_e32 v117, v113, v117
	v_add_f32_e32 v119, v119, v117
	v_pk_add_f32 v[112:113], v[114:115], v[112:113] neg_lo:[0,1] neg_hi:[0,1]
	v_pk_add_f32 v[128:129], v[114:115], v[118:119]
	v_mov_b32_e32 v117, v114
	v_mov_b32_e32 v113, v129
	v_pk_add_f32 v[130:131], v[116:117], v[112:113] neg_lo:[0,1] neg_hi:[0,1]
	v_pk_add_f32 v[112:113], v[116:117], v[112:113]
	v_mov_b32_e32 v118, v119
	v_mov_b32_e32 v116, v113
	v_pk_add_f32 v[132:133], v[116:117], v[114:115] neg_lo:[0,1] neg_hi:[0,1]
	v_mov_b32_e32 v112, v129
	v_mov_b32_e32 v117, v132
	v_pk_add_f32 v[134:135], v[128:129], v[116:117] neg_lo:[0,1] neg_hi:[0,1]
	v_mov_b32_e32 v128, v115
	v_mov_b32_e32 v129, v132
	;; [unrolled: 1-line block ×3, first 2 shown]
	v_pk_add_f32 v[112:113], v[112:113], v[128:129] neg_lo:[0,1] neg_hi:[0,1]
	v_mov_b32_e32 v119, v114
	v_pk_add_f32 v[112:113], v[118:119], v[112:113] neg_lo:[0,1] neg_hi:[0,1]
	v_mov_b32_e32 v134, v130
	v_pk_add_f32 v[114:115], v[134:135], v[112:113]
	v_cmp_eq_f32_e64 s[52:53], s62, v144
	v_mov_b32_e32 v118, v115
	v_pk_add_f32 v[118:119], v[114:115], v[118:119]
	s_mov_b32 s62, 0x33800000
	v_pk_add_f32 v[116:117], v[116:117], v[118:119]
	v_mov_b32_e32 v113, v118
	v_mov_b32_e32 v115, v116
	v_pk_add_f32 v[128:129], v[114:115], v[130:131] neg_lo:[0,1] neg_hi:[0,1]
	v_cmp_lt_f32_e64 s[62:63], |v144|, s62
	v_sub_f32_e32 v114, v114, v128
	v_pk_add_f32 v[112:113], v[112:113], v[128:129] neg_lo:[0,1] neg_hi:[0,1]
	v_sub_f32_e32 v114, v130, v114
	v_add_f32_e32 v112, v112, v114
	v_add_f32_e32 v112, v112, v113
	;; [unrolled: 1-line block ×3, first 2 shown]
	s_or_b64 s[52:53], s[52:53], s[62:63]
	v_cndmask_b32_e64 v112, v112, v144, s[52:53]
	v_add_f32_e32 v112, v103, v112
.LBB499_348:
	s_or_b64 exec, exec, s[54:55]
	v_bfe_u32 v103, v112, 16, 1
	s_movk_i32 s52, 0x7fff
	v_add3_u32 v103, v112, v103, s52
	v_lshrrev_b32_e32 v103, 16, v103
	v_mov_b32_e32 v113, 0x7fc0
	v_cmp_o_f32_e64 s[52:53], v112, v112
	s_nop 1
	v_cndmask_b32_e64 v103, v113, v103, s[52:53]
	v_and_b32_e32 v113, 0xffff, v103
.LBB499_349:
	s_or_b64 exec, exec, s[60:61]
	s_nop 0
	v_mov_b32_dpp v112, v113 row_shr:2 row_mask:0xf bank_mask:0xf
	v_cmp_lt_u32_e64 s[52:53], 1, v102
	s_and_saveexec_b64 s[60:61], s[52:53]
	s_cbranch_execz .LBB499_353
; %bb.350:
	v_lshlrev_b32_e32 v103, 16, v112
	v_lshlrev_b32_e32 v102, 16, v113
	v_max_f32_e32 v113, v102, v102
	v_max_f32_e32 v114, v103, v103
	v_min_f32_e32 v112, v114, v113
	v_cmp_u_f32_e64 s[52:53], v103, v103
	v_max_f32_e32 v113, v114, v113
	v_cmp_u_f32_e64 s[54:55], v102, v102
	v_cndmask_b32_e64 v112, v112, v103, s[52:53]
	v_cndmask_b32_e64 v113, v113, v103, s[52:53]
	;; [unrolled: 1-line block ×4, first 2 shown]
	s_movk_i32 s54, 0x1f8
	v_cmp_neq_f32_e64 s[52:53], v112, v102
	v_cmp_class_f32_e64 s[54:55], v112, s54
	s_or_b64 s[52:53], s[52:53], s[54:55]
	s_and_saveexec_b64 s[54:55], s[52:53]
	s_cbranch_execz .LBB499_352
; %bb.351:
	v_sub_f32_e32 v103, v112, v102
	s_mov_b32 s52, 0x3fb8aa3b
	v_mul_f32_e32 v112, 0x3fb8aa3b, v103
	v_fma_f32 v113, v103, s52, -v112
	v_rndne_f32_e32 v114, v112
	v_fmamk_f32 v113, v103, 0x32a5705f, v113
	v_sub_f32_e32 v112, v112, v114
	v_add_f32_e32 v112, v112, v113
	v_exp_f32_e32 v112, v112
	v_cvt_i32_f32_e32 v113, v114
	s_mov_b32 s52, 0xc2ce8ed0
	v_cmp_ngt_f32_e64 s[52:53], s52, v103
	s_mov_b32 s62, 0x7f800000
	v_ldexp_f32 v112, v112, v113
	v_cndmask_b32_e64 v112, 0, v112, s[52:53]
	s_mov_b32 s52, 0x42b17218
	v_mov_b32_e32 v113, 0x7f800000
	v_cmp_nlt_f32_e64 s[52:53], s52, v103
	s_nop 1
	v_cndmask_b32_e64 v144, v113, v112, s[52:53]
	v_add_f32_e32 v103, 1.0, v144
	v_add_f32_e32 v112, -1.0, v103
	v_sub_f32_e32 v113, v112, v103
	v_add_f32_e32 v113, 1.0, v113
	v_sub_f32_e32 v112, v144, v112
	v_add_f32_e32 v114, v112, v113
	v_frexp_mant_f32_e32 v115, v103
	s_mov_b32 s52, 0x3f2aaaab
	v_cvt_f64_f32_e32 v[112:113], v103
	v_frexp_exp_i32_f64_e32 v112, v[112:113]
	v_cmp_gt_f32_e64 s[52:53], s52, v115
	s_nop 1
	v_subbrev_co_u32_e64 v128, s[52:53], 0, v112, s[52:53]
	v_sub_u32_e32 v112, 0, v128
	v_ldexp_f32 v103, v103, v112
	v_ldexp_f32 v112, v114, v112
	v_add_f32_e32 v114, -1.0, v103
	v_add_f32_e32 v113, 1.0, v114
	v_sub_f32_e32 v113, v103, v113
	v_add_f32_e32 v115, v112, v113
	v_add_f32_e32 v113, 1.0, v103
	v_add_f32_e32 v116, -1.0, v113
	v_sub_f32_e32 v103, v103, v116
	v_add_f32_e32 v103, v112, v103
	v_add_f32_e32 v129, v113, v103
	v_rcp_f32_e32 v130, v129
	v_sub_f32_e32 v112, v113, v129
	v_add_f32_e32 v113, v114, v115
	v_add_f32_e32 v103, v103, v112
	v_mul_f32_e32 v132, v113, v130
	v_sub_f32_e32 v112, v114, v113
	v_mul_f32_e32 v114, v129, v132
	v_fma_f32 v116, v132, v129, -v114
	v_fmac_f32_e32 v116, v132, v103
	v_add_f32_e32 v131, v115, v112
	v_add_f32_e32 v112, v114, v116
	v_sub_f32_e32 v115, v113, v112
	v_pk_add_f32 v[118:119], v[112:113], v[114:115] neg_lo:[0,1] neg_hi:[0,1]
	v_mov_b32_e32 v117, v112
	v_pk_add_f32 v[112:113], v[118:119], v[116:117] neg_lo:[0,1] neg_hi:[0,1]
	s_mov_b32 s52, 0x3f317218
	v_add_f32_e32 v113, v131, v113
	v_add_f32_e32 v112, v112, v113
	;; [unrolled: 1-line block ×3, first 2 shown]
	v_mul_f32_e32 v131, v130, v113
	v_mul_f32_e32 v114, v129, v131
	v_fma_f32 v116, v131, v129, -v114
	v_fmac_f32_e32 v116, v131, v103
	v_sub_f32_e32 v103, v115, v113
	v_add_f32_e32 v103, v112, v103
	v_add_f32_e32 v112, v114, v116
	v_sub_f32_e32 v115, v113, v112
	v_pk_add_f32 v[118:119], v[112:113], v[114:115] neg_lo:[0,1] neg_hi:[0,1]
	v_mov_b32_e32 v117, v112
	v_pk_add_f32 v[112:113], v[118:119], v[116:117] neg_lo:[0,1] neg_hi:[0,1]
	v_cvt_f32_i32_e32 v114, v128
	v_add_f32_e32 v103, v103, v113
	v_add_f32_e32 v103, v112, v103
	;; [unrolled: 1-line block ×4, first 2 shown]
	v_sub_f32_e32 v113, v112, v132
	v_mul_f32_e32 v103, v130, v103
	v_sub_f32_e32 v113, v131, v113
	v_add_f32_e32 v103, v113, v103
	v_add_f32_e32 v115, v112, v103
	v_mul_f32_e32 v116, v115, v115
	v_mov_b32_e32 v113, 0x3ecc95a3
	v_fmac_f32_e32 v113, 0x3e9b6dac, v116
	v_sub_f32_e32 v112, v115, v112
	v_fmaak_f32 v113, v116, v113, 0x3f2aaada
	v_sub_f32_e32 v103, v103, v112
	v_ldexp_f32 v117, v115, 1
	v_mul_f32_e32 v115, v115, v116
	v_mov_b32_e32 v112, 0x3f317218
	v_pk_mul_f32 v[112:113], v[114:115], v[112:113]
	v_ldexp_f32 v103, v103, 1
	v_fma_f32 v115, v114, s52, -v112
	v_fmamk_f32 v116, v114, 0xb102e308, v115
	v_pk_add_f32 v[114:115], v[112:113], v[116:117]
	v_mov_b32_e32 v118, v112
	v_sub_f32_e32 v117, v115, v117
	v_sub_f32_e32 v117, v113, v117
	v_add_f32_e32 v119, v103, v117
	v_pk_add_f32 v[112:113], v[114:115], v[112:113] neg_lo:[0,1] neg_hi:[0,1]
	v_pk_add_f32 v[128:129], v[114:115], v[118:119]
	v_mov_b32_e32 v117, v114
	v_mov_b32_e32 v113, v129
	v_pk_add_f32 v[130:131], v[116:117], v[112:113] neg_lo:[0,1] neg_hi:[0,1]
	v_pk_add_f32 v[112:113], v[116:117], v[112:113]
	v_mov_b32_e32 v118, v119
	v_mov_b32_e32 v116, v113
	v_pk_add_f32 v[132:133], v[116:117], v[114:115] neg_lo:[0,1] neg_hi:[0,1]
	v_mov_b32_e32 v112, v129
	v_mov_b32_e32 v103, v132
	v_pk_add_f32 v[134:135], v[128:129], v[102:103] neg_lo:[0,1] neg_hi:[0,1]
	v_mov_b32_e32 v128, v115
	v_mov_b32_e32 v129, v132
	;; [unrolled: 1-line block ×3, first 2 shown]
	v_pk_add_f32 v[112:113], v[112:113], v[128:129] neg_lo:[0,1] neg_hi:[0,1]
	v_mov_b32_e32 v119, v114
	v_pk_add_f32 v[112:113], v[118:119], v[112:113] neg_lo:[0,1] neg_hi:[0,1]
	v_mov_b32_e32 v134, v130
	v_pk_add_f32 v[114:115], v[134:135], v[112:113]
	v_cmp_eq_f32_e64 s[52:53], s62, v144
	v_mov_b32_e32 v118, v115
	v_pk_add_f32 v[118:119], v[114:115], v[118:119]
	s_mov_b32 s62, 0x33800000
	v_pk_add_f32 v[116:117], v[116:117], v[118:119]
	v_mov_b32_e32 v113, v118
	v_mov_b32_e32 v115, v116
	v_pk_add_f32 v[128:129], v[114:115], v[130:131] neg_lo:[0,1] neg_hi:[0,1]
	v_cmp_lt_f32_e64 s[62:63], |v144|, s62
	v_sub_f32_e32 v103, v114, v128
	v_pk_add_f32 v[112:113], v[112:113], v[128:129] neg_lo:[0,1] neg_hi:[0,1]
	v_sub_f32_e32 v103, v130, v103
	v_add_f32_e32 v103, v112, v103
	v_add_f32_e32 v103, v103, v113
	;; [unrolled: 1-line block ×3, first 2 shown]
	s_or_b64 s[52:53], s[52:53], s[62:63]
	v_cndmask_b32_e64 v103, v103, v144, s[52:53]
	v_add_f32_e32 v103, v102, v103
.LBB499_352:
	s_or_b64 exec, exec, s[54:55]
	v_bfe_u32 v102, v103, 16, 1
	s_movk_i32 s52, 0x7fff
	v_add3_u32 v102, v103, v102, s52
	v_lshrrev_b32_e32 v102, 16, v102
	v_mov_b32_e32 v112, 0x7fc0
	v_cmp_o_f32_e64 s[52:53], v103, v103
	s_nop 1
	v_cndmask_b32_e64 v103, v112, v102, s[52:53]
.LBB499_353:
	s_or_b64 exec, exec, s[60:61]
	ds_write_b16 v10, v103
.LBB499_354:
	s_or_b64 exec, exec, s[56:57]
	v_cmp_lt_u32_e64 s[52:53], 63, v0
	s_waitcnt lgkmcnt(0)
	s_barrier
	s_waitcnt lgkmcnt(0)
                                        ; implicit-def: $vgpr102
	s_and_saveexec_b64 s[56:57], s[52:53]
	s_cbranch_execz .LBB499_358
; %bb.355:
	v_lshl_add_u32 v100, v100, 1, -2
	ds_read_u16 v102, v100
	v_lshlrev_b32_e32 v100, 16, v101
	v_max_f32_e32 v112, v100, v100
	v_cmp_u_f32_e64 s[54:55], v100, v100
	s_waitcnt lgkmcnt(0)
	v_lshlrev_b32_e32 v101, 16, v102
	v_max_f32_e32 v113, v101, v101
	v_min_f32_e32 v103, v113, v112
	v_cmp_u_f32_e64 s[52:53], v101, v101
	v_max_f32_e32 v112, v113, v112
	s_nop 0
	v_cndmask_b32_e64 v103, v103, v101, s[52:53]
	v_cndmask_b32_e64 v112, v112, v101, s[52:53]
	;; [unrolled: 1-line block ×4, first 2 shown]
	s_movk_i32 s54, 0x1f8
	v_cmp_neq_f32_e64 s[52:53], v103, v100
	v_cmp_class_f32_e64 s[54:55], v103, s54
	s_or_b64 s[52:53], s[52:53], s[54:55]
	s_and_saveexec_b64 s[54:55], s[52:53]
	s_cbranch_execz .LBB499_357
; %bb.356:
	v_sub_f32_e32 v101, v103, v100
	s_mov_b32 s52, 0x3fb8aa3b
	v_mul_f32_e32 v103, 0x3fb8aa3b, v101
	v_fma_f32 v112, v101, s52, -v103
	v_rndne_f32_e32 v113, v103
	v_fmamk_f32 v112, v101, 0x32a5705f, v112
	v_sub_f32_e32 v103, v103, v113
	v_add_f32_e32 v103, v103, v112
	v_exp_f32_e32 v103, v103
	v_cvt_i32_f32_e32 v112, v113
	s_mov_b32 s52, 0xc2ce8ed0
	v_cmp_ngt_f32_e64 s[52:53], s52, v101
	s_mov_b32 s60, 0x7f800000
	v_ldexp_f32 v103, v103, v112
	v_cndmask_b32_e64 v103, 0, v103, s[52:53]
	s_mov_b32 s52, 0x42b17218
	v_mov_b32_e32 v112, 0x7f800000
	v_cmp_nlt_f32_e64 s[52:53], s52, v101
	s_nop 1
	v_cndmask_b32_e64 v103, v112, v103, s[52:53]
	v_add_f32_e32 v101, 1.0, v103
	v_add_f32_e32 v112, -1.0, v101
	v_sub_f32_e32 v113, v112, v101
	v_add_f32_e32 v113, 1.0, v113
	v_sub_f32_e32 v112, v103, v112
	v_add_f32_e32 v114, v112, v113
	v_frexp_mant_f32_e32 v115, v101
	s_mov_b32 s52, 0x3f2aaaab
	v_cvt_f64_f32_e32 v[112:113], v101
	v_frexp_exp_i32_f64_e32 v112, v[112:113]
	v_cmp_gt_f32_e64 s[52:53], s52, v115
	s_nop 1
	v_subbrev_co_u32_e64 v128, s[52:53], 0, v112, s[52:53]
	v_sub_u32_e32 v112, 0, v128
	v_ldexp_f32 v101, v101, v112
	v_ldexp_f32 v112, v114, v112
	v_add_f32_e32 v114, -1.0, v101
	v_add_f32_e32 v113, 1.0, v114
	v_sub_f32_e32 v113, v101, v113
	v_add_f32_e32 v115, v112, v113
	v_add_f32_e32 v113, 1.0, v101
	v_add_f32_e32 v116, -1.0, v113
	v_sub_f32_e32 v101, v101, v116
	v_add_f32_e32 v101, v112, v101
	v_add_f32_e32 v129, v113, v101
	v_rcp_f32_e32 v130, v129
	v_sub_f32_e32 v112, v113, v129
	v_add_f32_e32 v113, v114, v115
	v_add_f32_e32 v101, v101, v112
	v_mul_f32_e32 v132, v113, v130
	v_sub_f32_e32 v112, v114, v113
	v_mul_f32_e32 v114, v129, v132
	v_fma_f32 v116, v132, v129, -v114
	v_fmac_f32_e32 v116, v132, v101
	v_add_f32_e32 v131, v115, v112
	v_add_f32_e32 v112, v114, v116
	v_sub_f32_e32 v115, v113, v112
	v_pk_add_f32 v[118:119], v[112:113], v[114:115] neg_lo:[0,1] neg_hi:[0,1]
	v_mov_b32_e32 v117, v112
	v_pk_add_f32 v[112:113], v[118:119], v[116:117] neg_lo:[0,1] neg_hi:[0,1]
	s_mov_b32 s52, 0x3f317218
	v_add_f32_e32 v113, v131, v113
	v_add_f32_e32 v112, v112, v113
	;; [unrolled: 1-line block ×3, first 2 shown]
	v_mul_f32_e32 v131, v130, v113
	v_mul_f32_e32 v114, v129, v131
	v_fma_f32 v116, v131, v129, -v114
	v_fmac_f32_e32 v116, v131, v101
	v_sub_f32_e32 v101, v115, v113
	v_add_f32_e32 v101, v112, v101
	v_add_f32_e32 v112, v114, v116
	v_sub_f32_e32 v115, v113, v112
	v_pk_add_f32 v[118:119], v[112:113], v[114:115] neg_lo:[0,1] neg_hi:[0,1]
	v_mov_b32_e32 v117, v112
	v_pk_add_f32 v[112:113], v[118:119], v[116:117] neg_lo:[0,1] neg_hi:[0,1]
	v_cvt_f32_i32_e32 v114, v128
	v_add_f32_e32 v101, v101, v113
	v_add_f32_e32 v101, v112, v101
	;; [unrolled: 1-line block ×4, first 2 shown]
	v_sub_f32_e32 v113, v112, v132
	v_mul_f32_e32 v101, v130, v101
	v_sub_f32_e32 v113, v131, v113
	v_add_f32_e32 v101, v113, v101
	v_add_f32_e32 v115, v112, v101
	v_mul_f32_e32 v116, v115, v115
	v_mov_b32_e32 v113, 0x3ecc95a3
	v_fmac_f32_e32 v113, 0x3e9b6dac, v116
	v_sub_f32_e32 v112, v115, v112
	v_fmaak_f32 v113, v116, v113, 0x3f2aaada
	v_sub_f32_e32 v101, v101, v112
	v_ldexp_f32 v117, v115, 1
	v_mul_f32_e32 v115, v115, v116
	v_mov_b32_e32 v112, 0x3f317218
	v_pk_mul_f32 v[112:113], v[114:115], v[112:113]
	v_ldexp_f32 v101, v101, 1
	v_fma_f32 v115, v114, s52, -v112
	v_fmamk_f32 v116, v114, 0xb102e308, v115
	v_pk_add_f32 v[114:115], v[112:113], v[116:117]
	v_mov_b32_e32 v118, v112
	v_sub_f32_e32 v117, v115, v117
	v_sub_f32_e32 v117, v113, v117
	v_add_f32_e32 v119, v101, v117
	v_pk_add_f32 v[112:113], v[114:115], v[112:113] neg_lo:[0,1] neg_hi:[0,1]
	v_pk_add_f32 v[128:129], v[114:115], v[118:119]
	v_mov_b32_e32 v117, v114
	v_mov_b32_e32 v113, v129
	v_pk_add_f32 v[130:131], v[116:117], v[112:113] neg_lo:[0,1] neg_hi:[0,1]
	v_pk_add_f32 v[112:113], v[116:117], v[112:113]
	v_mov_b32_e32 v118, v119
	v_mov_b32_e32 v116, v113
	v_pk_add_f32 v[132:133], v[116:117], v[114:115] neg_lo:[0,1] neg_hi:[0,1]
	v_mov_b32_e32 v112, v129
	v_mov_b32_e32 v101, v132
	v_pk_add_f32 v[134:135], v[128:129], v[100:101] neg_lo:[0,1] neg_hi:[0,1]
	v_mov_b32_e32 v128, v115
	v_mov_b32_e32 v129, v132
	v_mov_b32_e32 v131, v113
	v_pk_add_f32 v[112:113], v[112:113], v[128:129] neg_lo:[0,1] neg_hi:[0,1]
	v_mov_b32_e32 v119, v114
	v_pk_add_f32 v[112:113], v[118:119], v[112:113] neg_lo:[0,1] neg_hi:[0,1]
	v_mov_b32_e32 v134, v130
	v_pk_add_f32 v[114:115], v[134:135], v[112:113]
	v_cmp_eq_f32_e64 s[52:53], s60, v103
	v_mov_b32_e32 v118, v115
	v_pk_add_f32 v[118:119], v[114:115], v[118:119]
	s_mov_b32 s60, 0x33800000
	v_pk_add_f32 v[116:117], v[116:117], v[118:119]
	v_mov_b32_e32 v113, v118
	v_mov_b32_e32 v115, v116
	v_pk_add_f32 v[128:129], v[114:115], v[130:131] neg_lo:[0,1] neg_hi:[0,1]
	v_cmp_lt_f32_e64 s[60:61], |v103|, s60
	v_sub_f32_e32 v101, v114, v128
	v_pk_add_f32 v[112:113], v[112:113], v[128:129] neg_lo:[0,1] neg_hi:[0,1]
	v_sub_f32_e32 v101, v130, v101
	v_add_f32_e32 v101, v112, v101
	v_add_f32_e32 v101, v101, v113
	;; [unrolled: 1-line block ×3, first 2 shown]
	s_or_b64 s[52:53], s[52:53], s[60:61]
	v_cndmask_b32_e64 v101, v101, v103, s[52:53]
	v_add_f32_e32 v101, v100, v101
.LBB499_357:
	s_or_b64 exec, exec, s[54:55]
	v_bfe_u32 v100, v101, 16, 1
	s_movk_i32 s52, 0x7fff
	v_add3_u32 v100, v101, v100, s52
	v_lshrrev_b32_e32 v100, 16, v100
	v_mov_b32_e32 v103, 0x7fc0
	v_cmp_o_f32_e64 s[52:53], v101, v101
	s_nop 1
	v_cndmask_b32_e64 v101, v103, v100, s[52:53]
.LBB499_358:
	s_or_b64 exec, exec, s[56:57]
	v_and_b32_e32 v100, 0xffff, v101
	v_add_u32_e32 v101, -1, v99
	v_and_b32_e32 v103, 64, v99
	v_cmp_lt_i32_e64 s[52:53], v101, v103
	s_nop 1
	v_cndmask_b32_e64 v101, v101, v99, s[52:53]
	v_lshlrev_b32_e32 v101, 2, v101
	ds_bpermute_b32 v100, v101, v100
	s_and_saveexec_b64 s[52:53], vcc
	s_cbranch_execz .LBB499_362
; %bb.359:
	v_cmp_eq_u32_e32 vcc, 0, v99
	s_waitcnt lgkmcnt(0)
	s_nop 0
	v_cndmask_b32_e32 v11, v100, v102, vcc
	v_lshlrev_b32_e32 v96, 16, v11
	v_max_f32_e32 v11, v96, v96
	v_min_f32_e32 v98, v11, v97
	v_cmp_u_f32_e32 vcc, v96, v96
	v_max_f32_e32 v11, v11, v97
	s_nop 0
	v_cndmask_b32_e32 v98, v98, v96, vcc
	v_cndmask_b32_e32 v11, v11, v96, vcc
	v_cndmask_b32_e64 v98, v98, v33, s[50:51]
	v_cndmask_b32_e64 v11, v11, v33, s[50:51]
	s_movk_i32 s50, 0x1f8
	v_cmp_neq_f32_e32 vcc, v98, v11
	v_cmp_class_f32_e64 s[50:51], v98, s50
	s_or_b64 vcc, vcc, s[50:51]
	s_and_saveexec_b64 s[50:51], vcc
	s_cbranch_execz .LBB499_361
; %bb.360:
	v_sub_f32_e32 v33, v98, v11
	s_mov_b32 s54, 0x3fb8aa3b
	v_mul_f32_e32 v96, 0x3fb8aa3b, v33
	v_fma_f32 v97, v33, s54, -v96
	v_rndne_f32_e32 v98, v96
	v_fmamk_f32 v97, v33, 0x32a5705f, v97
	v_sub_f32_e32 v96, v96, v98
	v_add_f32_e32 v96, v96, v97
	v_exp_f32_e32 v96, v96
	v_cvt_i32_f32_e32 v97, v98
	s_mov_b32 s54, 0xc2ce8ed0
	v_cmp_ngt_f32_e32 vcc, s54, v33
	s_mov_b32 s54, 0x42b17218
	v_ldexp_f32 v96, v96, v97
	v_cndmask_b32_e32 v96, 0, v96, vcc
	v_mov_b32_e32 v97, 0x7f800000
	v_cmp_nlt_f32_e32 vcc, s54, v33
	s_mov_b32 s54, 0x3f2aaaab
	s_mov_b32 s55, 0x7f800000
	v_cndmask_b32_e32 v128, v97, v96, vcc
	v_add_f32_e32 v33, 1.0, v128
	v_add_f32_e32 v96, -1.0, v33
	v_sub_f32_e32 v97, v96, v33
	v_add_f32_e32 v97, 1.0, v97
	v_sub_f32_e32 v96, v128, v96
	v_add_f32_e32 v98, v96, v97
	v_frexp_mant_f32_e32 v99, v33
	v_cvt_f64_f32_e32 v[96:97], v33
	v_frexp_exp_i32_f64_e32 v96, v[96:97]
	v_cmp_gt_f32_e32 vcc, s54, v99
	s_mov_b32 s54, 0x3f317218
	s_nop 0
	v_subbrev_co_u32_e32 v112, vcc, 0, v96, vcc
	v_sub_u32_e32 v96, 0, v112
	v_ldexp_f32 v33, v33, v96
	v_ldexp_f32 v96, v98, v96
	v_add_f32_e32 v98, -1.0, v33
	v_add_f32_e32 v97, 1.0, v98
	v_sub_f32_e32 v97, v33, v97
	v_add_f32_e32 v99, v96, v97
	v_add_f32_e32 v97, 1.0, v33
	v_add_f32_e32 v100, -1.0, v97
	v_sub_f32_e32 v33, v33, v100
	v_add_f32_e32 v33, v96, v33
	v_add_f32_e32 v113, v97, v33
	v_rcp_f32_e32 v114, v113
	v_sub_f32_e32 v96, v97, v113
	v_add_f32_e32 v97, v98, v99
	v_add_f32_e32 v33, v33, v96
	v_mul_f32_e32 v116, v97, v114
	v_sub_f32_e32 v96, v98, v97
	v_mul_f32_e32 v98, v113, v116
	v_fma_f32 v100, v116, v113, -v98
	v_fmac_f32_e32 v100, v116, v33
	v_add_f32_e32 v115, v99, v96
	v_add_f32_e32 v96, v98, v100
	v_sub_f32_e32 v99, v97, v96
	v_pk_add_f32 v[102:103], v[96:97], v[98:99] neg_lo:[0,1] neg_hi:[0,1]
	v_mov_b32_e32 v101, v96
	v_pk_add_f32 v[96:97], v[102:103], v[100:101] neg_lo:[0,1] neg_hi:[0,1]
	v_cmp_eq_f32_e32 vcc, s55, v128
	v_add_f32_e32 v97, v115, v97
	v_add_f32_e32 v96, v96, v97
	;; [unrolled: 1-line block ×3, first 2 shown]
	v_mul_f32_e32 v115, v114, v97
	v_mul_f32_e32 v98, v113, v115
	v_fma_f32 v100, v115, v113, -v98
	v_fmac_f32_e32 v100, v115, v33
	v_sub_f32_e32 v33, v99, v97
	v_add_f32_e32 v33, v96, v33
	v_add_f32_e32 v96, v98, v100
	v_sub_f32_e32 v99, v97, v96
	v_pk_add_f32 v[102:103], v[96:97], v[98:99] neg_lo:[0,1] neg_hi:[0,1]
	v_mov_b32_e32 v101, v96
	v_pk_add_f32 v[96:97], v[102:103], v[100:101] neg_lo:[0,1] neg_hi:[0,1]
	v_cvt_f32_i32_e32 v98, v112
	v_add_f32_e32 v33, v33, v97
	v_add_f32_e32 v33, v96, v33
	v_add_f32_e32 v96, v116, v115
	v_add_f32_e32 v33, v99, v33
	v_sub_f32_e32 v97, v96, v116
	v_mul_f32_e32 v33, v114, v33
	v_sub_f32_e32 v97, v115, v97
	v_add_f32_e32 v33, v97, v33
	v_add_f32_e32 v99, v96, v33
	v_mul_f32_e32 v100, v99, v99
	v_mov_b32_e32 v97, 0x3ecc95a3
	v_fmac_f32_e32 v97, 0x3e9b6dac, v100
	v_sub_f32_e32 v96, v99, v96
	v_fmaak_f32 v97, v100, v97, 0x3f2aaada
	v_sub_f32_e32 v33, v33, v96
	v_ldexp_f32 v101, v99, 1
	v_mul_f32_e32 v99, v99, v100
	v_mov_b32_e32 v96, 0x3f317218
	v_pk_mul_f32 v[96:97], v[98:99], v[96:97]
	v_ldexp_f32 v33, v33, 1
	v_fma_f32 v99, v98, s54, -v96
	v_fmamk_f32 v100, v98, 0xb102e308, v99
	v_pk_add_f32 v[98:99], v[96:97], v[100:101]
	v_mov_b32_e32 v102, v96
	v_sub_f32_e32 v101, v99, v101
	v_sub_f32_e32 v101, v97, v101
	v_add_f32_e32 v103, v33, v101
	v_pk_add_f32 v[96:97], v[98:99], v[96:97] neg_lo:[0,1] neg_hi:[0,1]
	v_pk_add_f32 v[112:113], v[98:99], v[102:103]
	v_mov_b32_e32 v101, v98
	v_mov_b32_e32 v97, v113
	v_pk_add_f32 v[114:115], v[100:101], v[96:97] neg_lo:[0,1] neg_hi:[0,1]
	v_pk_add_f32 v[96:97], v[100:101], v[96:97]
	v_mov_b32_e32 v102, v103
	v_mov_b32_e32 v100, v97
	v_pk_add_f32 v[116:117], v[100:101], v[98:99] neg_lo:[0,1] neg_hi:[0,1]
	v_mov_b32_e32 v96, v113
	v_mov_b32_e32 v33, v116
	v_pk_add_f32 v[118:119], v[112:113], v[32:33] neg_lo:[0,1] neg_hi:[0,1]
	v_mov_b32_e32 v112, v99
	v_mov_b32_e32 v113, v116
	;; [unrolled: 1-line block ×3, first 2 shown]
	v_pk_add_f32 v[96:97], v[96:97], v[112:113] neg_lo:[0,1] neg_hi:[0,1]
	v_mov_b32_e32 v103, v98
	v_pk_add_f32 v[96:97], v[102:103], v[96:97] neg_lo:[0,1] neg_hi:[0,1]
	v_mov_b32_e32 v118, v114
	v_pk_add_f32 v[98:99], v[118:119], v[96:97]
	s_mov_b32 s54, 0x33800000
	v_mov_b32_e32 v102, v99
	v_pk_add_f32 v[102:103], v[98:99], v[102:103]
	v_cmp_lt_f32_e64 s[54:55], |v128|, s54
	v_pk_add_f32 v[100:101], v[100:101], v[102:103]
	v_mov_b32_e32 v97, v102
	v_mov_b32_e32 v99, v100
	v_pk_add_f32 v[112:113], v[98:99], v[114:115] neg_lo:[0,1] neg_hi:[0,1]
	s_or_b64 vcc, vcc, s[54:55]
	v_sub_f32_e32 v33, v98, v112
	v_pk_add_f32 v[96:97], v[96:97], v[112:113] neg_lo:[0,1] neg_hi:[0,1]
	v_sub_f32_e32 v33, v114, v33
	v_add_f32_e32 v33, v96, v33
	v_add_f32_e32 v33, v33, v97
	;; [unrolled: 1-line block ×3, first 2 shown]
	v_cndmask_b32_e32 v33, v33, v128, vcc
	v_add_f32_e32 v96, v11, v33
.LBB499_361:
	s_or_b64 exec, exec, s[50:51]
	v_bfe_u32 v11, v96, 16, 1
	s_movk_i32 vcc_lo, 0x7fff
	v_add3_u32 v11, v96, v11, vcc_lo
	v_lshrrev_b32_e32 v11, 16, v11
	v_mov_b32_e32 v33, 0x7fc0
	v_cmp_o_f32_e32 vcc, v96, v96
	;;#ASMSTART
	;;#ASMEND
	s_nop 1
	v_cndmask_b32_e32 v11, v33, v11, vcc
	v_lshlrev_b32_e32 v33, 16, v11
	v_max_f32_e32 v97, v33, v33
	v_min_f32_e32 v96, v97, v32
	v_max_f32_e32 v98, v97, v32
.LBB499_362:
	s_or_b64 exec, exec, s[52:53]
	v_cmp_u_f32_e32 vcc, v33, v33
	s_movk_i32 s50, 0x1f8
	s_nop 0
	v_cndmask_b32_e32 v32, v96, v33, vcc
	v_cndmask_b32_e32 v96, v98, v33, vcc
	v_cndmask_b32_e64 v32, v32, v2, s[2:3]
	v_cndmask_b32_e64 v2, v96, v2, s[2:3]
	v_cmp_neq_f32_e32 vcc, v32, v2
	v_cmp_class_f32_e64 s[2:3], v32, s50
	s_or_b64 vcc, vcc, s[2:3]
	s_and_saveexec_b64 s[2:3], vcc
	s_cbranch_execz .LBB499_364
; %bb.363:
	v_sub_f32_e32 v32, v32, v2
	s_mov_b32 s51, 0x3fb8aa3b
	v_mul_f32_e32 v33, 0x3fb8aa3b, v32
	v_fma_f32 v96, v32, s51, -v33
	v_rndne_f32_e32 v97, v33
	v_fmamk_f32 v96, v32, 0x32a5705f, v96
	v_sub_f32_e32 v33, v33, v97
	v_add_f32_e32 v33, v33, v96
	v_exp_f32_e32 v33, v33
	v_cvt_i32_f32_e32 v96, v97
	s_mov_b32 s51, 0xc2ce8ed0
	v_cmp_ngt_f32_e32 vcc, s51, v32
	s_mov_b32 s51, 0x42b17218
	v_ldexp_f32 v33, v33, v96
	v_cndmask_b32_e32 v33, 0, v33, vcc
	v_mov_b32_e32 v96, 0x7f800000
	v_cmp_nlt_f32_e32 vcc, s51, v32
	s_mov_b32 s51, 0x3f2aaaab
	s_mov_b32 s52, 0x7f800000
	v_cndmask_b32_e32 v118, v96, v33, vcc
	v_add_f32_e32 v96, 1.0, v118
	v_add_f32_e32 v32, -1.0, v96
	v_sub_f32_e32 v33, v32, v96
	v_add_f32_e32 v33, 1.0, v33
	v_sub_f32_e32 v32, v118, v32
	v_add_f32_e32 v97, v32, v33
	v_frexp_mant_f32_e32 v98, v96
	v_cvt_f64_f32_e32 v[32:33], v96
	v_frexp_exp_i32_f64_e32 v32, v[32:33]
	v_cmp_gt_f32_e32 vcc, s51, v98
	s_mov_b32 s51, 0x3f317218
	s_nop 0
	v_subbrev_co_u32_e32 v102, vcc, 0, v32, vcc
	v_sub_u32_e32 v32, 0, v102
	v_ldexp_f32 v33, v96, v32
	v_add_f32_e32 v96, -1.0, v33
	v_add_f32_e32 v98, 1.0, v33
	v_ldexp_f32 v32, v97, v32
	v_add_f32_e32 v97, 1.0, v96
	v_add_f32_e32 v99, -1.0, v98
	v_sub_f32_e32 v97, v33, v97
	v_sub_f32_e32 v33, v33, v99
	v_add_f32_e32 v97, v32, v97
	v_add_f32_e32 v32, v32, v33
	;; [unrolled: 1-line block ×3, first 2 shown]
	v_rcp_f32_e32 v113, v103
	v_sub_f32_e32 v33, v98, v103
	v_add_f32_e32 v112, v32, v33
	v_add_f32_e32 v33, v96, v97
	v_mul_f32_e32 v115, v33, v113
	v_sub_f32_e32 v32, v96, v33
	v_mul_f32_e32 v96, v103, v115
	v_fma_f32 v98, v115, v103, -v96
	v_fmac_f32_e32 v98, v115, v112
	v_add_f32_e32 v114, v97, v32
	v_add_f32_e32 v32, v96, v98
	v_sub_f32_e32 v97, v33, v32
	s_waitcnt lgkmcnt(0)
	v_pk_add_f32 v[100:101], v[32:33], v[96:97] neg_lo:[0,1] neg_hi:[0,1]
	v_mov_b32_e32 v99, v32
	v_pk_add_f32 v[32:33], v[100:101], v[98:99] neg_lo:[0,1] neg_hi:[0,1]
	v_cmp_eq_f32_e32 vcc, s52, v118
	v_add_f32_e32 v33, v114, v33
	v_add_f32_e32 v32, v32, v33
	;; [unrolled: 1-line block ×3, first 2 shown]
	v_mul_f32_e32 v114, v113, v33
	v_mul_f32_e32 v96, v103, v114
	v_fma_f32 v98, v114, v103, -v96
	v_fmac_f32_e32 v98, v114, v112
	v_sub_f32_e32 v97, v97, v33
	v_add_f32_e32 v103, v32, v97
	v_add_f32_e32 v32, v96, v98
	v_sub_f32_e32 v97, v33, v32
	v_pk_add_f32 v[100:101], v[32:33], v[96:97] neg_lo:[0,1] neg_hi:[0,1]
	v_mov_b32_e32 v99, v32
	v_pk_add_f32 v[32:33], v[100:101], v[98:99] neg_lo:[0,1] neg_hi:[0,1]
	v_cvt_f32_i32_e32 v96, v102
	v_add_f32_e32 v33, v103, v33
	v_add_f32_e32 v32, v32, v33
	;; [unrolled: 1-line block ×4, first 2 shown]
	v_sub_f32_e32 v33, v97, v115
	v_mul_f32_e32 v32, v113, v32
	v_sub_f32_e32 v33, v114, v33
	v_add_f32_e32 v32, v33, v32
	v_add_f32_e32 v98, v97, v32
	v_mul_f32_e32 v100, v98, v98
	v_mov_b32_e32 v33, 0x3ecc95a3
	v_sub_f32_e32 v97, v98, v97
	v_fmac_f32_e32 v33, 0x3e9b6dac, v100
	v_sub_f32_e32 v32, v32, v97
	v_fmaak_f32 v33, v100, v33, 0x3f2aaada
	v_ldexp_f32 v101, v32, 1
	v_mul_f32_e32 v97, v98, v100
	v_mov_b32_e32 v32, 0x3f317218
	v_pk_mul_f32 v[32:33], v[96:97], v[32:33]
	v_ldexp_f32 v99, v98, 1
	v_fma_f32 v97, v96, s51, -v32
	v_fmamk_f32 v98, v96, 0xb102e308, v97
	v_pk_add_f32 v[96:97], v[32:33], v[98:99]
	v_mov_b32_e32 v100, v32
	v_sub_f32_e32 v99, v97, v99
	v_sub_f32_e32 v99, v33, v99
	v_add_f32_e32 v101, v101, v99
	v_pk_add_f32 v[32:33], v[96:97], v[32:33] neg_lo:[0,1] neg_hi:[0,1]
	v_pk_add_f32 v[102:103], v[96:97], v[100:101]
	v_mov_b32_e32 v99, v96
	v_mov_b32_e32 v33, v103
	v_pk_add_f32 v[112:113], v[98:99], v[32:33] neg_lo:[0,1] neg_hi:[0,1]
	v_pk_add_f32 v[32:33], v[98:99], v[32:33]
	v_mov_b32_e32 v100, v101
	v_mov_b32_e32 v98, v33
	v_pk_add_f32 v[114:115], v[98:99], v[96:97] neg_lo:[0,1] neg_hi:[0,1]
	v_mov_b32_e32 v32, v103
	v_mov_b32_e32 v99, v114
	v_pk_add_f32 v[116:117], v[102:103], v[98:99] neg_lo:[0,1] neg_hi:[0,1]
	v_mov_b32_e32 v102, v97
	v_mov_b32_e32 v103, v114
	;; [unrolled: 1-line block ×3, first 2 shown]
	v_pk_add_f32 v[32:33], v[32:33], v[102:103] neg_lo:[0,1] neg_hi:[0,1]
	v_mov_b32_e32 v101, v96
	v_pk_add_f32 v[32:33], v[100:101], v[32:33] neg_lo:[0,1] neg_hi:[0,1]
	v_mov_b32_e32 v116, v112
	v_pk_add_f32 v[96:97], v[116:117], v[32:33]
	s_mov_b32 s51, 0x33800000
	v_mov_b32_e32 v100, v97
	v_pk_add_f32 v[100:101], v[96:97], v[100:101]
	v_cmp_lt_f32_e64 s[52:53], |v118|, s51
	v_pk_add_f32 v[98:99], v[98:99], v[100:101]
	v_mov_b32_e32 v33, v100
	v_mov_b32_e32 v97, v98
	v_pk_add_f32 v[102:103], v[96:97], v[112:113] neg_lo:[0,1] neg_hi:[0,1]
	s_or_b64 vcc, vcc, s[52:53]
	v_sub_f32_e32 v96, v96, v102
	v_pk_add_f32 v[32:33], v[32:33], v[102:103] neg_lo:[0,1] neg_hi:[0,1]
	v_sub_f32_e32 v96, v112, v96
	v_add_f32_e32 v32, v32, v96
	v_add_f32_e32 v32, v32, v33
	;; [unrolled: 1-line block ×3, first 2 shown]
	v_cndmask_b32_e32 v32, v32, v118, vcc
	v_add_f32_e32 v33, v2, v32
.LBB499_364:
	s_or_b64 exec, exec, s[2:3]
	v_bfe_u32 v2, v33, 16, 1
	s_movk_i32 s51, 0x7fff
	v_add3_u32 v2, v33, v2, s51
	v_lshrrev_b32_e32 v32, 16, v2
	v_mov_b32_e32 v2, 0x7fc0
	v_cmp_o_f32_e32 vcc, v33, v33
	s_nop 1
	v_cndmask_b32_e32 v32, v2, v32, vcc
	v_lshlrev_b32_e32 v33, 16, v32
	v_max_f32_e32 v97, v33, v33
	v_min_f32_e32 v96, v97, v24
	v_cmp_u_f32_e32 vcc, v33, v33
	v_max_f32_e32 v24, v97, v24
	s_nop 0
	v_cndmask_b32_e32 v96, v96, v33, vcc
	v_cndmask_b32_e32 v24, v24, v33, vcc
	v_cndmask_b32_e64 v96, v96, v3, s[4:5]
	v_cndmask_b32_e64 v3, v24, v3, s[4:5]
	v_cmp_neq_f32_e32 vcc, v96, v3
	v_cmp_class_f32_e64 s[2:3], v96, s50
	s_or_b64 s[4:5], vcc, s[2:3]
	s_and_saveexec_b64 s[2:3], s[4:5]
	s_cbranch_execz .LBB499_366
; %bb.365:
	v_sub_f32_e32 v24, v96, v3
	s_mov_b32 s4, 0x3fb8aa3b
	v_mul_f32_e32 v33, 0x3fb8aa3b, v24
	v_fma_f32 v96, v24, s4, -v33
	v_rndne_f32_e32 v97, v33
	v_fmamk_f32 v96, v24, 0x32a5705f, v96
	v_sub_f32_e32 v33, v33, v97
	v_add_f32_e32 v33, v33, v96
	v_exp_f32_e32 v33, v33
	v_cvt_i32_f32_e32 v96, v97
	s_mov_b32 s4, 0xc2ce8ed0
	v_cmp_ngt_f32_e32 vcc, s4, v24
	s_mov_b32 s4, 0x42b17218
	v_ldexp_f32 v33, v33, v96
	v_cndmask_b32_e32 v33, 0, v33, vcc
	v_mov_b32_e32 v96, 0x7f800000
	v_cmp_nlt_f32_e32 vcc, s4, v24
	s_mov_b32 s4, 0x3f2aaaab
	s_mov_b32 s5, 0x7f800000
	v_cndmask_b32_e32 v118, v96, v33, vcc
	v_add_f32_e32 v24, 1.0, v118
	v_add_f32_e32 v33, -1.0, v24
	v_sub_f32_e32 v96, v33, v24
	v_add_f32_e32 v96, 1.0, v96
	v_sub_f32_e32 v33, v118, v33
	v_add_f32_e32 v33, v33, v96
	v_frexp_mant_f32_e32 v98, v24
	v_cvt_f64_f32_e32 v[96:97], v24
	v_frexp_exp_i32_f64_e32 v96, v[96:97]
	v_cmp_gt_f32_e32 vcc, s4, v98
	s_mov_b32 s4, 0x3f317218
	s_nop 0
	v_subbrev_co_u32_e32 v112, vcc, 0, v96, vcc
	v_sub_u32_e32 v96, 0, v112
	v_ldexp_f32 v24, v24, v96
	v_ldexp_f32 v33, v33, v96
	v_add_f32_e32 v96, -1.0, v24
	v_add_f32_e32 v97, 1.0, v96
	v_sub_f32_e32 v97, v24, v97
	v_add_f32_e32 v98, v33, v97
	v_add_f32_e32 v97, 1.0, v24
	v_add_f32_e32 v99, -1.0, v97
	v_sub_f32_e32 v24, v24, v99
	v_add_f32_e32 v24, v33, v24
	v_add_f32_e32 v33, v97, v24
	v_rcp_f32_e32 v113, v33
	v_sub_f32_e32 v97, v97, v33
	v_add_f32_e32 v24, v24, v97
	v_add_f32_e32 v97, v96, v98
	v_sub_f32_e32 v96, v96, v97
	v_mul_f32_e32 v115, v97, v113
	v_add_f32_e32 v114, v98, v96
	v_mul_f32_e32 v98, v33, v115
	s_waitcnt lgkmcnt(0)
	v_fma_f32 v100, v115, v33, -v98
	v_fmac_f32_e32 v100, v115, v24
	v_add_f32_e32 v96, v98, v100
	v_sub_f32_e32 v99, v97, v96
	v_pk_add_f32 v[102:103], v[96:97], v[98:99] neg_lo:[0,1] neg_hi:[0,1]
	v_mov_b32_e32 v101, v96
	v_pk_add_f32 v[96:97], v[102:103], v[100:101] neg_lo:[0,1] neg_hi:[0,1]
	v_cmp_eq_f32_e32 vcc, s5, v118
	v_add_f32_e32 v97, v114, v97
	v_add_f32_e32 v96, v96, v97
	;; [unrolled: 1-line block ×3, first 2 shown]
	v_mul_f32_e32 v114, v113, v97
	v_mul_f32_e32 v98, v33, v114
	v_fma_f32 v100, v114, v33, -v98
	v_fmac_f32_e32 v100, v114, v24
	v_sub_f32_e32 v24, v99, v97
	v_add_f32_e32 v24, v96, v24
	v_add_f32_e32 v96, v98, v100
	v_sub_f32_e32 v99, v97, v96
	v_pk_add_f32 v[102:103], v[96:97], v[98:99] neg_lo:[0,1] neg_hi:[0,1]
	v_mov_b32_e32 v101, v96
	v_pk_add_f32 v[96:97], v[102:103], v[100:101] neg_lo:[0,1] neg_hi:[0,1]
	v_add_f32_e32 v33, v115, v114
	v_add_f32_e32 v24, v24, v97
	;; [unrolled: 1-line block ×4, first 2 shown]
	v_sub_f32_e32 v96, v33, v115
	v_mul_f32_e32 v24, v113, v24
	v_sub_f32_e32 v96, v114, v96
	v_add_f32_e32 v24, v96, v24
	v_add_f32_e32 v96, v33, v24
	v_cvt_f32_i32_e32 v98, v112
	v_mul_f32_e32 v99, v96, v96
	v_mov_b32_e32 v97, 0x3ecc95a3
	v_fmac_f32_e32 v97, 0x3e9b6dac, v99
	v_fmaak_f32 v97, v99, v97, 0x3f2aaada
	v_sub_f32_e32 v33, v96, v33
	v_ldexp_f32 v101, v96, 1
	v_mul_f32_e32 v99, v96, v99
	v_mov_b32_e32 v96, 0x3f317218
	v_pk_mul_f32 v[96:97], v[98:99], v[96:97]
	v_sub_f32_e32 v24, v24, v33
	v_fma_f32 v33, v98, s4, -v96
	v_fmamk_f32 v100, v98, 0xb102e308, v33
	v_pk_add_f32 v[98:99], v[96:97], v[100:101]
	v_ldexp_f32 v24, v24, 1
	v_sub_f32_e32 v33, v99, v101
	v_sub_f32_e32 v33, v97, v33
	v_add_f32_e32 v103, v24, v33
	v_mov_b32_e32 v102, v96
	v_pk_add_f32 v[96:97], v[98:99], v[96:97] neg_lo:[0,1] neg_hi:[0,1]
	v_pk_add_f32 v[112:113], v[98:99], v[102:103]
	v_mov_b32_e32 v101, v98
	v_mov_b32_e32 v97, v113
	v_pk_add_f32 v[114:115], v[100:101], v[96:97] neg_lo:[0,1] neg_hi:[0,1]
	v_pk_add_f32 v[96:97], v[100:101], v[96:97]
	s_mov_b32 s4, 0x33800000
	v_mov_b32_e32 v24, v97
	v_pk_add_f32 v[100:101], v[24:25], v[98:99] neg_lo:[0,1] neg_hi:[0,1]
	v_mov_b32_e32 v96, v113
	v_mov_b32_e32 v33, v100
	v_pk_add_f32 v[116:117], v[112:113], v[32:33] neg_lo:[0,1] neg_hi:[0,1]
	v_mov_b32_e32 v112, v99
	v_mov_b32_e32 v113, v100
	;; [unrolled: 1-line block ×3, first 2 shown]
	v_pk_add_f32 v[96:97], v[96:97], v[112:113] neg_lo:[0,1] neg_hi:[0,1]
	v_mov_b32_e32 v100, v103
	v_mov_b32_e32 v101, v98
	v_pk_add_f32 v[96:97], v[100:101], v[96:97] neg_lo:[0,1] neg_hi:[0,1]
	v_mov_b32_e32 v116, v114
	v_pk_add_f32 v[98:99], v[116:117], v[96:97]
	v_cmp_lt_f32_e64 s[4:5], |v118|, s4
	v_mov_b32_e32 v100, v99
	v_pk_add_f32 v[100:101], v[98:99], v[100:101]
	s_or_b64 vcc, vcc, s[4:5]
	v_pk_add_f32 v[102:103], v[24:25], v[100:101]
	v_mov_b32_e32 v97, v100
	v_mov_b32_e32 v99, v102
	v_pk_add_f32 v[112:113], v[98:99], v[114:115] neg_lo:[0,1] neg_hi:[0,1]
	s_nop 0
	v_sub_f32_e32 v24, v98, v112
	v_pk_add_f32 v[96:97], v[96:97], v[112:113] neg_lo:[0,1] neg_hi:[0,1]
	v_sub_f32_e32 v24, v114, v24
	v_add_f32_e32 v24, v96, v24
	v_add_f32_e32 v24, v24, v97
	v_add_f32_e32 v24, v102, v24
	v_cndmask_b32_e32 v24, v24, v118, vcc
	v_add_f32_e32 v33, v3, v24
.LBB499_366:
	s_or_b64 exec, exec, s[2:3]
	v_bfe_u32 v3, v33, 16, 1
	v_add3_u32 v3, v33, v3, s51
	v_lshrrev_b32_e32 v3, 16, v3
	v_cmp_o_f32_e32 vcc, v33, v33
	s_movk_i32 s4, 0x1f8
	s_nop 0
	v_cndmask_b32_e32 v33, v2, v3, vcc
	v_lshlrev_b32_e32 v3, 16, v33
	v_max_f32_e32 v2, v3, v3
	v_min_f32_e32 v24, v2, v34
	v_cmp_u_f32_e32 vcc, v3, v3
	v_max_f32_e32 v2, v2, v34
	s_nop 0
	v_cndmask_b32_e32 v24, v24, v3, vcc
	v_cndmask_b32_e32 v2, v2, v3, vcc
	v_cndmask_b32_e64 v24, v24, v6, s[6:7]
	v_cndmask_b32_e64 v2, v2, v6, s[6:7]
	v_cmp_neq_f32_e32 vcc, v24, v2
	v_cmp_class_f32_e64 s[2:3], v24, s4
	s_or_b64 s[6:7], vcc, s[2:3]
	s_and_saveexec_b64 s[2:3], s[6:7]
	s_cbranch_execz .LBB499_368
; %bb.367:
	v_sub_f32_e32 v3, v24, v2
	s_mov_b32 s5, 0x3fb8aa3b
	v_mul_f32_e32 v6, 0x3fb8aa3b, v3
	v_fma_f32 v24, v3, s5, -v6
	v_rndne_f32_e32 v34, v6
	v_fmamk_f32 v24, v3, 0x32a5705f, v24
	v_sub_f32_e32 v6, v6, v34
	v_add_f32_e32 v6, v6, v24
	v_exp_f32_e32 v6, v6
	v_cvt_i32_f32_e32 v24, v34
	s_mov_b32 s5, 0xc2ce8ed0
	v_cmp_ngt_f32_e32 vcc, s5, v3
	s_mov_b32 s5, 0x42b17218
	v_ldexp_f32 v6, v6, v24
	v_cndmask_b32_e32 v6, 0, v6, vcc
	v_mov_b32_e32 v24, 0x7f800000
	v_cmp_nlt_f32_e32 vcc, s5, v3
	s_mov_b32 s5, 0x3f2aaaab
	s_mov_b32 s6, 0x7f800000
	v_cndmask_b32_e32 v34, v24, v6, vcc
	v_add_f32_e32 v3, 1.0, v34
	v_add_f32_e32 v6, -1.0, v3
	v_sub_f32_e32 v24, v6, v3
	v_add_f32_e32 v24, 1.0, v24
	v_sub_f32_e32 v6, v34, v6
	v_add_f32_e32 v6, v6, v24
	v_frexp_mant_f32_e32 v24, v3
	v_cvt_f64_f32_e32 v[96:97], v3
	v_frexp_exp_i32_f64_e32 v96, v[96:97]
	v_cmp_gt_f32_e32 vcc, s5, v24
	s_mov_b32 s5, 0x3f317218
	s_nop 0
	v_subbrev_co_u32_e32 v24, vcc, 0, v96, vcc
	v_sub_u32_e32 v96, 0, v24
	v_ldexp_f32 v3, v3, v96
	v_ldexp_f32 v6, v6, v96
	v_add_f32_e32 v96, -1.0, v3
	v_add_f32_e32 v97, 1.0, v96
	v_sub_f32_e32 v97, v3, v97
	v_add_f32_e32 v98, v6, v97
	v_add_f32_e32 v97, 1.0, v3
	v_add_f32_e32 v99, -1.0, v97
	v_sub_f32_e32 v3, v3, v99
	v_add_f32_e32 v3, v6, v3
	v_add_f32_e32 v6, v97, v3
	v_rcp_f32_e32 v112, v6
	v_sub_f32_e32 v97, v97, v6
	v_add_f32_e32 v3, v3, v97
	v_add_f32_e32 v97, v96, v98
	v_sub_f32_e32 v96, v96, v97
	v_mul_f32_e32 v114, v97, v112
	v_add_f32_e32 v113, v98, v96
	v_mul_f32_e32 v98, v6, v114
	s_waitcnt lgkmcnt(0)
	v_fma_f32 v100, v114, v6, -v98
	v_fmac_f32_e32 v100, v114, v3
	v_add_f32_e32 v96, v98, v100
	v_sub_f32_e32 v99, v97, v96
	v_pk_add_f32 v[102:103], v[96:97], v[98:99] neg_lo:[0,1] neg_hi:[0,1]
	v_mov_b32_e32 v101, v96
	v_pk_add_f32 v[96:97], v[102:103], v[100:101] neg_lo:[0,1] neg_hi:[0,1]
	v_cmp_eq_f32_e32 vcc, s6, v34
	v_add_f32_e32 v97, v113, v97
	v_add_f32_e32 v96, v96, v97
	;; [unrolled: 1-line block ×3, first 2 shown]
	v_mul_f32_e32 v113, v112, v97
	v_mul_f32_e32 v98, v6, v113
	v_fma_f32 v100, v113, v6, -v98
	v_fmac_f32_e32 v100, v113, v3
	v_sub_f32_e32 v3, v99, v97
	v_add_f32_e32 v3, v96, v3
	v_add_f32_e32 v96, v98, v100
	v_sub_f32_e32 v99, v97, v96
	v_pk_add_f32 v[102:103], v[96:97], v[98:99] neg_lo:[0,1] neg_hi:[0,1]
	v_mov_b32_e32 v101, v96
	v_pk_add_f32 v[96:97], v[102:103], v[100:101] neg_lo:[0,1] neg_hi:[0,1]
	v_add_f32_e32 v6, v114, v113
	v_add_f32_e32 v3, v3, v97
	;; [unrolled: 1-line block ×4, first 2 shown]
	v_sub_f32_e32 v96, v6, v114
	v_mul_f32_e32 v3, v112, v3
	v_sub_f32_e32 v96, v113, v96
	v_add_f32_e32 v3, v96, v3
	v_add_f32_e32 v96, v6, v3
	v_cvt_f32_i32_e32 v98, v24
	v_mul_f32_e32 v99, v96, v96
	v_mov_b32_e32 v97, 0x3ecc95a3
	v_fmac_f32_e32 v97, 0x3e9b6dac, v99
	v_fmaak_f32 v97, v99, v97, 0x3f2aaada
	v_sub_f32_e32 v6, v96, v6
	v_ldexp_f32 v101, v96, 1
	v_mul_f32_e32 v99, v96, v99
	v_mov_b32_e32 v96, 0x3f317218
	v_pk_mul_f32 v[96:97], v[98:99], v[96:97]
	v_sub_f32_e32 v3, v3, v6
	v_fma_f32 v6, v98, s5, -v96
	v_fmamk_f32 v100, v98, 0xb102e308, v6
	v_pk_add_f32 v[98:99], v[96:97], v[100:101]
	v_ldexp_f32 v3, v3, 1
	v_sub_f32_e32 v6, v99, v101
	v_sub_f32_e32 v6, v97, v6
	v_add_f32_e32 v103, v3, v6
	v_mov_b32_e32 v102, v96
	v_pk_add_f32 v[96:97], v[98:99], v[96:97] neg_lo:[0,1] neg_hi:[0,1]
	v_pk_add_f32 v[112:113], v[98:99], v[102:103]
	v_mov_b32_e32 v101, v98
	v_mov_b32_e32 v97, v113
	v_pk_add_f32 v[114:115], v[100:101], v[96:97] neg_lo:[0,1] neg_hi:[0,1]
	v_pk_add_f32 v[96:97], v[100:101], v[96:97]
	s_mov_b32 s5, 0x33800000
	v_mov_b32_e32 v6, v97
	v_pk_add_f32 v[100:101], v[6:7], v[98:99] neg_lo:[0,1] neg_hi:[0,1]
	v_mov_b32_e32 v96, v113
	v_mov_b32_e32 v3, v100
	v_pk_add_f32 v[116:117], v[112:113], v[2:3] neg_lo:[0,1] neg_hi:[0,1]
	v_mov_b32_e32 v112, v99
	v_mov_b32_e32 v113, v100
	;; [unrolled: 1-line block ×3, first 2 shown]
	v_pk_add_f32 v[96:97], v[96:97], v[112:113] neg_lo:[0,1] neg_hi:[0,1]
	v_mov_b32_e32 v100, v103
	v_mov_b32_e32 v101, v98
	v_pk_add_f32 v[96:97], v[100:101], v[96:97] neg_lo:[0,1] neg_hi:[0,1]
	v_mov_b32_e32 v116, v114
	v_pk_add_f32 v[98:99], v[116:117], v[96:97]
	v_cmp_lt_f32_e64 s[6:7], |v34|, s5
	v_mov_b32_e32 v24, v99
	v_pk_add_f32 v[100:101], v[98:99], v[24:25]
	s_or_b64 vcc, vcc, s[6:7]
	v_pk_add_f32 v[102:103], v[6:7], v[100:101]
	v_mov_b32_e32 v97, v100
	v_mov_b32_e32 v99, v102
	v_pk_add_f32 v[112:113], v[98:99], v[114:115] neg_lo:[0,1] neg_hi:[0,1]
	s_nop 0
	v_sub_f32_e32 v3, v98, v112
	v_pk_add_f32 v[96:97], v[96:97], v[112:113] neg_lo:[0,1] neg_hi:[0,1]
	v_sub_f32_e32 v3, v114, v3
	v_add_f32_e32 v3, v96, v3
	v_add_f32_e32 v3, v3, v97
	;; [unrolled: 1-line block ×3, first 2 shown]
	v_cndmask_b32_e32 v3, v3, v34, vcc
	v_add_f32_e32 v3, v2, v3
.LBB499_368:
	s_or_b64 exec, exec, s[2:3]
	v_bfe_u32 v2, v3, 16, 1
	s_movk_i32 s5, 0x7fff
	v_add3_u32 v2, v3, v2, s5
	v_lshrrev_b32_e32 v6, 16, v2
	v_mov_b32_e32 v2, 0x7fc0
	v_cmp_o_f32_e32 vcc, v3, v3
	s_nop 1
	v_cndmask_b32_e32 v34, v2, v6, vcc
	v_lshlrev_b32_e32 v6, 16, v34
	v_max_f32_e32 v3, v6, v6
	v_min_f32_e32 v24, v3, v35
	v_cmp_u_f32_e32 vcc, v6, v6
	v_max_f32_e32 v3, v3, v35
	s_nop 0
	v_cndmask_b32_e32 v24, v24, v6, vcc
	v_cndmask_b32_e32 v3, v3, v6, vcc
	v_cndmask_b32_e64 v24, v24, v7, s[8:9]
	v_cndmask_b32_e64 v3, v3, v7, s[8:9]
	v_cmp_neq_f32_e32 vcc, v24, v3
	v_cmp_class_f32_e64 s[2:3], v24, s4
	s_or_b64 s[6:7], vcc, s[2:3]
	s_and_saveexec_b64 s[2:3], s[6:7]
	s_cbranch_execz .LBB499_370
; %bb.369:
	v_sub_f32_e32 v6, v24, v3
	s_mov_b32 s4, 0x3fb8aa3b
	v_mul_f32_e32 v7, 0x3fb8aa3b, v6
	v_fma_f32 v24, v6, s4, -v7
	v_rndne_f32_e32 v35, v7
	v_fmamk_f32 v24, v6, 0x32a5705f, v24
	v_sub_f32_e32 v7, v7, v35
	v_add_f32_e32 v7, v7, v24
	v_exp_f32_e32 v7, v7
	v_cvt_i32_f32_e32 v24, v35
	s_mov_b32 s4, 0xc2ce8ed0
	v_cmp_ngt_f32_e32 vcc, s4, v6
	s_mov_b32 s4, 0x42b17218
	v_ldexp_f32 v7, v7, v24
	v_cndmask_b32_e32 v7, 0, v7, vcc
	v_mov_b32_e32 v24, 0x7f800000
	v_cmp_nlt_f32_e32 vcc, s4, v6
	s_mov_b32 s4, 0x3f2aaaab
	s_mov_b32 s6, 0x7f800000
	v_cndmask_b32_e32 v116, v24, v7, vcc
	v_add_f32_e32 v24, 1.0, v116
	v_add_f32_e32 v6, -1.0, v24
	v_sub_f32_e32 v7, v6, v24
	v_add_f32_e32 v7, 1.0, v7
	v_sub_f32_e32 v6, v116, v6
	v_add_f32_e32 v35, v6, v7
	v_frexp_mant_f32_e32 v96, v24
	v_cvt_f64_f32_e32 v[6:7], v24
	v_frexp_exp_i32_f64_e32 v6, v[6:7]
	v_cmp_gt_f32_e32 vcc, s4, v96
	s_mov_b32 s4, 0x3f317218
	s_nop 0
	v_subbrev_co_u32_e32 v102, vcc, 0, v6, vcc
	v_sub_u32_e32 v6, 0, v102
	v_ldexp_f32 v7, v24, v6
	v_add_f32_e32 v24, -1.0, v7
	v_add_f32_e32 v96, 1.0, v7
	v_ldexp_f32 v6, v35, v6
	v_add_f32_e32 v35, 1.0, v24
	v_add_f32_e32 v97, -1.0, v96
	v_sub_f32_e32 v35, v7, v35
	v_sub_f32_e32 v7, v7, v97
	v_add_f32_e32 v35, v6, v35
	v_add_f32_e32 v6, v6, v7
	;; [unrolled: 1-line block ×3, first 2 shown]
	v_rcp_f32_e32 v113, v103
	v_sub_f32_e32 v7, v96, v103
	v_add_f32_e32 v112, v6, v7
	v_add_f32_e32 v7, v24, v35
	v_sub_f32_e32 v6, v24, v7
	v_add_f32_e32 v24, v35, v6
	v_mul_f32_e32 v35, v7, v113
	v_mul_f32_e32 v96, v103, v35
	v_fma_f32 v98, v35, v103, -v96
	v_fmac_f32_e32 v98, v35, v112
	v_add_f32_e32 v6, v96, v98
	v_sub_f32_e32 v97, v7, v6
	s_waitcnt lgkmcnt(0)
	v_pk_add_f32 v[100:101], v[6:7], v[96:97] neg_lo:[0,1] neg_hi:[0,1]
	v_mov_b32_e32 v99, v6
	v_pk_add_f32 v[6:7], v[100:101], v[98:99] neg_lo:[0,1] neg_hi:[0,1]
	v_cmp_eq_f32_e32 vcc, s6, v116
	v_add_f32_e32 v7, v24, v7
	v_add_f32_e32 v6, v6, v7
	;; [unrolled: 1-line block ×3, first 2 shown]
	v_mul_f32_e32 v24, v113, v7
	v_mul_f32_e32 v96, v103, v24
	v_fma_f32 v98, v24, v103, -v96
	v_fmac_f32_e32 v98, v24, v112
	v_sub_f32_e32 v97, v97, v7
	v_add_f32_e32 v103, v6, v97
	v_add_f32_e32 v6, v96, v98
	v_sub_f32_e32 v97, v7, v6
	v_pk_add_f32 v[100:101], v[6:7], v[96:97] neg_lo:[0,1] neg_hi:[0,1]
	v_mov_b32_e32 v99, v6
	v_pk_add_f32 v[6:7], v[100:101], v[98:99] neg_lo:[0,1] neg_hi:[0,1]
	v_cvt_f32_i32_e32 v96, v102
	v_add_f32_e32 v7, v103, v7
	v_add_f32_e32 v6, v6, v7
	;; [unrolled: 1-line block ×4, first 2 shown]
	v_sub_f32_e32 v7, v97, v35
	v_mul_f32_e32 v6, v113, v6
	v_sub_f32_e32 v7, v24, v7
	v_add_f32_e32 v6, v7, v6
	v_add_f32_e32 v24, v97, v6
	v_mul_f32_e32 v35, v24, v24
	v_mov_b32_e32 v7, 0x3ecc95a3
	v_sub_f32_e32 v97, v24, v97
	v_fmac_f32_e32 v7, 0x3e9b6dac, v35
	v_sub_f32_e32 v6, v6, v97
	v_fmaak_f32 v7, v35, v7, 0x3f2aaada
	v_ldexp_f32 v100, v6, 1
	v_mul_f32_e32 v97, v24, v35
	v_mov_b32_e32 v6, 0x3f317218
	v_pk_mul_f32 v[6:7], v[96:97], v[6:7]
	v_ldexp_f32 v99, v24, 1
	v_fma_f32 v24, v96, s4, -v6
	v_fmamk_f32 v98, v96, 0xb102e308, v24
	v_pk_add_f32 v[96:97], v[6:7], v[98:99]
	s_mov_b32 s4, 0x33800000
	v_sub_f32_e32 v24, v97, v99
	v_sub_f32_e32 v24, v7, v24
	v_add_f32_e32 v101, v100, v24
	v_mov_b32_e32 v100, v6
	v_pk_add_f32 v[6:7], v[96:97], v[6:7] neg_lo:[0,1] neg_hi:[0,1]
	v_pk_add_f32 v[102:103], v[96:97], v[100:101]
	v_mov_b32_e32 v99, v96
	v_mov_b32_e32 v7, v103
	v_pk_add_f32 v[112:113], v[98:99], v[6:7] neg_lo:[0,1] neg_hi:[0,1]
	v_pk_add_f32 v[6:7], v[98:99], v[6:7]
	v_cmp_lt_f32_e64 s[6:7], |v116|, s4
	v_mov_b32_e32 v24, v7
	v_pk_add_f32 v[98:99], v[24:25], v[96:97] neg_lo:[0,1] neg_hi:[0,1]
	v_mov_b32_e32 v6, v103
	v_mov_b32_e32 v35, v98
	v_pk_add_f32 v[114:115], v[102:103], v[34:35] neg_lo:[0,1] neg_hi:[0,1]
	v_mov_b32_e32 v102, v97
	v_mov_b32_e32 v103, v98
	v_mov_b32_e32 v113, v7
	v_pk_add_f32 v[6:7], v[6:7], v[102:103] neg_lo:[0,1] neg_hi:[0,1]
	v_mov_b32_e32 v98, v101
	v_mov_b32_e32 v99, v96
	v_pk_add_f32 v[6:7], v[98:99], v[6:7] neg_lo:[0,1] neg_hi:[0,1]
	v_mov_b32_e32 v114, v112
	v_pk_add_f32 v[96:97], v[114:115], v[6:7]
	s_or_b64 vcc, vcc, s[6:7]
	v_mov_b32_e32 v98, v97
	v_pk_add_f32 v[98:99], v[96:97], v[98:99]
	s_nop 0
	v_pk_add_f32 v[100:101], v[24:25], v[98:99]
	v_mov_b32_e32 v7, v98
	v_mov_b32_e32 v97, v100
	v_pk_add_f32 v[102:103], v[96:97], v[112:113] neg_lo:[0,1] neg_hi:[0,1]
	s_nop 0
	v_sub_f32_e32 v24, v96, v102
	v_pk_add_f32 v[6:7], v[6:7], v[102:103] neg_lo:[0,1] neg_hi:[0,1]
	v_sub_f32_e32 v24, v112, v24
	v_add_f32_e32 v6, v6, v24
	v_add_f32_e32 v6, v6, v7
	;; [unrolled: 1-line block ×3, first 2 shown]
	v_cndmask_b32_e32 v6, v6, v116, vcc
	v_add_f32_e32 v6, v3, v6
.LBB499_370:
	s_or_b64 exec, exec, s[2:3]
	v_bfe_u32 v3, v6, 16, 1
	v_add3_u32 v3, v6, v3, s5
	v_lshrrev_b32_e32 v3, 16, v3
	v_cmp_o_f32_e32 vcc, v6, v6
	s_movk_i32 s4, 0x1f8
	s_nop 0
	v_cndmask_b32_e32 v35, v2, v3, vcc
	v_lshlrev_b32_e32 v3, 16, v35
	v_max_f32_e32 v2, v3, v3
	v_min_f32_e32 v6, v2, v36
	v_cmp_u_f32_e32 vcc, v3, v3
	v_max_f32_e32 v2, v2, v36
	s_nop 0
	v_cndmask_b32_e32 v6, v6, v3, vcc
	v_cndmask_b32_e32 v2, v2, v3, vcc
	v_cndmask_b32_e64 v6, v6, v25, s[10:11]
	v_cndmask_b32_e64 v2, v2, v25, s[10:11]
	v_cmp_neq_f32_e32 vcc, v6, v2
	v_cmp_class_f32_e64 s[2:3], v6, s4
	s_or_b64 s[6:7], vcc, s[2:3]
	s_and_saveexec_b64 s[2:3], s[6:7]
	s_cbranch_execz .LBB499_372
; %bb.371:
	v_sub_f32_e32 v3, v6, v2
	s_mov_b32 s5, 0x3fb8aa3b
	v_mul_f32_e32 v6, 0x3fb8aa3b, v3
	v_fma_f32 v7, v3, s5, -v6
	v_rndne_f32_e32 v24, v6
	v_fmamk_f32 v7, v3, 0x32a5705f, v7
	v_sub_f32_e32 v6, v6, v24
	v_add_f32_e32 v6, v6, v7
	v_exp_f32_e32 v6, v6
	v_cvt_i32_f32_e32 v7, v24
	s_mov_b32 s5, 0xc2ce8ed0
	v_cmp_ngt_f32_e32 vcc, s5, v3
	s_mov_b32 s5, 0x42b17218
	v_ldexp_f32 v6, v6, v7
	v_cndmask_b32_e32 v6, 0, v6, vcc
	v_mov_b32_e32 v7, 0x7f800000
	v_cmp_nlt_f32_e32 vcc, s5, v3
	s_mov_b32 s5, 0x3f2aaaab
	s_mov_b32 s6, 0x7f800000
	v_cndmask_b32_e32 v114, v7, v6, vcc
	v_add_f32_e32 v3, 1.0, v114
	v_add_f32_e32 v6, -1.0, v3
	v_sub_f32_e32 v7, v6, v3
	v_add_f32_e32 v7, 1.0, v7
	v_sub_f32_e32 v6, v114, v6
	v_add_f32_e32 v24, v6, v7
	v_frexp_mant_f32_e32 v25, v3
	v_cvt_f64_f32_e32 v[6:7], v3
	v_frexp_exp_i32_f64_e32 v6, v[6:7]
	v_cmp_gt_f32_e32 vcc, s5, v25
	s_mov_b32 s5, 0x3f317218
	s_nop 0
	v_subbrev_co_u32_e32 v36, vcc, 0, v6, vcc
	v_sub_u32_e32 v6, 0, v36
	v_ldexp_f32 v3, v3, v6
	v_ldexp_f32 v6, v24, v6
	v_add_f32_e32 v24, -1.0, v3
	v_add_f32_e32 v7, 1.0, v24
	v_sub_f32_e32 v7, v3, v7
	v_add_f32_e32 v25, v6, v7
	v_add_f32_e32 v7, 1.0, v3
	v_add_f32_e32 v96, -1.0, v7
	v_sub_f32_e32 v3, v3, v96
	v_add_f32_e32 v3, v6, v3
	s_waitcnt lgkmcnt(0)
	v_add_f32_e32 v100, v7, v3
	v_rcp_f32_e32 v101, v100
	v_sub_f32_e32 v6, v7, v100
	v_add_f32_e32 v7, v24, v25
	v_add_f32_e32 v3, v3, v6
	v_mul_f32_e32 v103, v7, v101
	v_sub_f32_e32 v6, v24, v7
	v_mul_f32_e32 v24, v100, v103
	v_fma_f32 v96, v103, v100, -v24
	v_fmac_f32_e32 v96, v103, v3
	v_add_f32_e32 v102, v25, v6
	v_add_f32_e32 v6, v24, v96
	v_sub_f32_e32 v25, v7, v6
	v_pk_add_f32 v[98:99], v[6:7], v[24:25] neg_lo:[0,1] neg_hi:[0,1]
	v_mov_b32_e32 v97, v6
	v_pk_add_f32 v[6:7], v[98:99], v[96:97] neg_lo:[0,1] neg_hi:[0,1]
	v_cmp_eq_f32_e32 vcc, s6, v114
	v_add_f32_e32 v7, v102, v7
	v_add_f32_e32 v6, v6, v7
	;; [unrolled: 1-line block ×3, first 2 shown]
	v_mul_f32_e32 v102, v101, v7
	v_mul_f32_e32 v24, v100, v102
	v_fma_f32 v96, v102, v100, -v24
	v_fmac_f32_e32 v96, v102, v3
	v_sub_f32_e32 v3, v25, v7
	v_add_f32_e32 v3, v6, v3
	v_add_f32_e32 v6, v24, v96
	v_sub_f32_e32 v25, v7, v6
	v_pk_add_f32 v[98:99], v[6:7], v[24:25] neg_lo:[0,1] neg_hi:[0,1]
	v_mov_b32_e32 v97, v6
	v_pk_add_f32 v[6:7], v[98:99], v[96:97] neg_lo:[0,1] neg_hi:[0,1]
	v_cvt_f32_i32_e32 v24, v36
	v_add_f32_e32 v3, v3, v7
	v_add_f32_e32 v3, v6, v3
	;; [unrolled: 1-line block ×4, first 2 shown]
	v_sub_f32_e32 v7, v6, v103
	v_mul_f32_e32 v3, v101, v3
	v_sub_f32_e32 v7, v102, v7
	v_add_f32_e32 v3, v7, v3
	v_add_f32_e32 v25, v6, v3
	v_mul_f32_e32 v96, v25, v25
	v_mov_b32_e32 v7, 0x3ecc95a3
	v_fmac_f32_e32 v7, 0x3e9b6dac, v96
	v_sub_f32_e32 v6, v25, v6
	v_fmaak_f32 v7, v96, v7, 0x3f2aaada
	v_sub_f32_e32 v3, v3, v6
	v_ldexp_f32 v97, v25, 1
	v_mul_f32_e32 v25, v25, v96
	v_mov_b32_e32 v6, 0x3f317218
	v_pk_mul_f32 v[6:7], v[24:25], v[6:7]
	v_ldexp_f32 v3, v3, 1
	v_fma_f32 v25, v24, s5, -v6
	v_fmamk_f32 v96, v24, 0xb102e308, v25
	v_pk_add_f32 v[24:25], v[6:7], v[96:97]
	v_mov_b32_e32 v98, v6
	v_sub_f32_e32 v36, v25, v97
	v_sub_f32_e32 v36, v7, v36
	v_add_f32_e32 v99, v3, v36
	v_pk_add_f32 v[6:7], v[24:25], v[6:7] neg_lo:[0,1] neg_hi:[0,1]
	v_pk_add_f32 v[100:101], v[24:25], v[98:99]
	v_mov_b32_e32 v97, v24
	v_mov_b32_e32 v7, v101
	v_pk_add_f32 v[102:103], v[96:97], v[6:7] neg_lo:[0,1] neg_hi:[0,1]
	v_pk_add_f32 v[6:7], v[96:97], v[6:7]
	s_mov_b32 s5, 0x33800000
	v_mov_b32_e32 v36, v7
	v_pk_add_f32 v[96:97], v[36:37], v[24:25] neg_lo:[0,1] neg_hi:[0,1]
	v_mov_b32_e32 v6, v101
	v_mov_b32_e32 v3, v96
	v_pk_add_f32 v[112:113], v[100:101], v[2:3] neg_lo:[0,1] neg_hi:[0,1]
	v_mov_b32_e32 v100, v25
	v_mov_b32_e32 v101, v96
	v_mov_b32_e32 v103, v7
	v_pk_add_f32 v[6:7], v[6:7], v[100:101] neg_lo:[0,1] neg_hi:[0,1]
	v_mov_b32_e32 v96, v99
	v_mov_b32_e32 v97, v24
	v_pk_add_f32 v[6:7], v[96:97], v[6:7] neg_lo:[0,1] neg_hi:[0,1]
	v_mov_b32_e32 v112, v102
	v_pk_add_f32 v[24:25], v[112:113], v[6:7]
	v_cmp_lt_f32_e64 s[6:7], |v114|, s5
	v_mov_b32_e32 v96, v25
	v_pk_add_f32 v[96:97], v[24:25], v[96:97]
	s_or_b64 vcc, vcc, s[6:7]
	v_pk_add_f32 v[98:99], v[36:37], v[96:97]
	v_mov_b32_e32 v7, v96
	v_mov_b32_e32 v25, v98
	v_pk_add_f32 v[100:101], v[24:25], v[102:103] neg_lo:[0,1] neg_hi:[0,1]
	s_nop 0
	v_sub_f32_e32 v3, v24, v100
	v_pk_add_f32 v[6:7], v[6:7], v[100:101] neg_lo:[0,1] neg_hi:[0,1]
	v_sub_f32_e32 v3, v102, v3
	v_add_f32_e32 v3, v6, v3
	v_add_f32_e32 v3, v3, v7
	;; [unrolled: 1-line block ×3, first 2 shown]
	v_cndmask_b32_e32 v3, v3, v114, vcc
	v_add_f32_e32 v3, v2, v3
.LBB499_372:
	s_or_b64 exec, exec, s[2:3]
	v_bfe_u32 v2, v3, 16, 1
	s_movk_i32 s5, 0x7fff
	v_add3_u32 v2, v3, v2, s5
	v_lshrrev_b32_e32 v6, 16, v2
	v_mov_b32_e32 v2, 0x7fc0
	v_cmp_o_f32_e32 vcc, v3, v3
	s_nop 1
	v_cndmask_b32_e32 v36, v2, v6, vcc
	v_lshlrev_b32_e32 v6, 16, v36
	v_max_f32_e32 v3, v6, v6
	v_min_f32_e32 v7, v3, v37
	v_cmp_u_f32_e32 vcc, v6, v6
	v_max_f32_e32 v3, v3, v37
	s_nop 0
	v_cndmask_b32_e32 v7, v7, v6, vcc
	v_cndmask_b32_e32 v3, v3, v6, vcc
	v_cndmask_b32_e64 v7, v7, v26, s[12:13]
	v_cndmask_b32_e64 v3, v3, v26, s[12:13]
	v_cmp_neq_f32_e32 vcc, v7, v3
	v_cmp_class_f32_e64 s[2:3], v7, s4
	s_or_b64 s[6:7], vcc, s[2:3]
	s_and_saveexec_b64 s[2:3], s[6:7]
	s_cbranch_execz .LBB499_374
; %bb.373:
	v_sub_f32_e32 v6, v7, v3
	s_mov_b32 s4, 0x3fb8aa3b
	v_mul_f32_e32 v7, 0x3fb8aa3b, v6
	v_fma_f32 v24, v6, s4, -v7
	v_rndne_f32_e32 v25, v7
	v_fmamk_f32 v24, v6, 0x32a5705f, v24
	v_sub_f32_e32 v7, v7, v25
	v_add_f32_e32 v7, v7, v24
	v_exp_f32_e32 v7, v7
	v_cvt_i32_f32_e32 v24, v25
	s_mov_b32 s4, 0xc2ce8ed0
	v_cmp_ngt_f32_e32 vcc, s4, v6
	s_mov_b32 s4, 0x42b17218
	v_ldexp_f32 v7, v7, v24
	v_cndmask_b32_e32 v7, 0, v7, vcc
	v_mov_b32_e32 v24, 0x7f800000
	v_cmp_nlt_f32_e32 vcc, s4, v6
	s_mov_b32 s4, 0x3f2aaaab
	s_mov_b32 s6, 0x7f800000
	v_cndmask_b32_e32 v114, v24, v7, vcc
	v_add_f32_e32 v24, 1.0, v114
	v_add_f32_e32 v6, -1.0, v24
	v_sub_f32_e32 v7, v6, v24
	v_add_f32_e32 v7, 1.0, v7
	v_sub_f32_e32 v6, v114, v6
	v_add_f32_e32 v25, v6, v7
	v_frexp_mant_f32_e32 v26, v24
	v_cvt_f64_f32_e32 v[6:7], v24
	v_frexp_exp_i32_f64_e32 v6, v[6:7]
	v_cmp_gt_f32_e32 vcc, s4, v26
	s_mov_b32 s4, 0x3f317218
	s_nop 0
	v_subbrev_co_u32_e32 v26, vcc, 0, v6, vcc
	v_sub_u32_e32 v6, 0, v26
	v_ldexp_f32 v7, v24, v6
	v_add_f32_e32 v24, -1.0, v7
	v_add_f32_e32 v37, 1.0, v7
	v_ldexp_f32 v6, v25, v6
	v_add_f32_e32 v25, 1.0, v24
	v_add_f32_e32 v96, -1.0, v37
	v_sub_f32_e32 v25, v7, v25
	v_sub_f32_e32 v7, v7, v96
	v_add_f32_e32 v25, v6, v25
	v_add_f32_e32 v6, v6, v7
	s_waitcnt lgkmcnt(0)
	v_add_f32_e32 v100, v37, v6
	v_rcp_f32_e32 v101, v100
	v_sub_f32_e32 v7, v37, v100
	v_add_f32_e32 v37, v6, v7
	v_add_f32_e32 v7, v24, v25
	v_mul_f32_e32 v103, v7, v101
	v_sub_f32_e32 v6, v24, v7
	v_mul_f32_e32 v24, v100, v103
	v_fma_f32 v96, v103, v100, -v24
	v_fmac_f32_e32 v96, v103, v37
	v_add_f32_e32 v102, v25, v6
	v_add_f32_e32 v6, v24, v96
	v_sub_f32_e32 v25, v7, v6
	v_pk_add_f32 v[98:99], v[6:7], v[24:25] neg_lo:[0,1] neg_hi:[0,1]
	v_mov_b32_e32 v97, v6
	v_pk_add_f32 v[6:7], v[98:99], v[96:97] neg_lo:[0,1] neg_hi:[0,1]
	v_cmp_eq_f32_e32 vcc, s6, v114
	v_add_f32_e32 v7, v102, v7
	v_add_f32_e32 v6, v6, v7
	;; [unrolled: 1-line block ×3, first 2 shown]
	v_mul_f32_e32 v102, v101, v7
	v_mul_f32_e32 v24, v100, v102
	v_fma_f32 v96, v102, v100, -v24
	v_fmac_f32_e32 v96, v102, v37
	v_sub_f32_e32 v25, v25, v7
	v_add_f32_e32 v37, v6, v25
	v_add_f32_e32 v6, v24, v96
	v_sub_f32_e32 v25, v7, v6
	v_pk_add_f32 v[98:99], v[6:7], v[24:25] neg_lo:[0,1] neg_hi:[0,1]
	v_mov_b32_e32 v97, v6
	v_pk_add_f32 v[6:7], v[98:99], v[96:97] neg_lo:[0,1] neg_hi:[0,1]
	v_cvt_f32_i32_e32 v24, v26
	v_add_f32_e32 v7, v37, v7
	v_add_f32_e32 v6, v6, v7
	;; [unrolled: 1-line block ×4, first 2 shown]
	v_sub_f32_e32 v7, v25, v103
	v_mul_f32_e32 v6, v101, v6
	v_sub_f32_e32 v7, v102, v7
	v_add_f32_e32 v6, v7, v6
	v_add_f32_e32 v37, v25, v6
	v_mul_f32_e32 v96, v37, v37
	v_mov_b32_e32 v7, 0x3ecc95a3
	v_sub_f32_e32 v25, v37, v25
	v_fmac_f32_e32 v7, 0x3e9b6dac, v96
	v_sub_f32_e32 v6, v6, v25
	v_fmaak_f32 v7, v96, v7, 0x3f2aaada
	v_ldexp_f32 v26, v6, 1
	v_mul_f32_e32 v25, v37, v96
	v_mov_b32_e32 v6, 0x3f317218
	v_pk_mul_f32 v[6:7], v[24:25], v[6:7]
	v_ldexp_f32 v97, v37, 1
	v_fma_f32 v25, v24, s4, -v6
	v_fmamk_f32 v96, v24, 0xb102e308, v25
	v_pk_add_f32 v[24:25], v[6:7], v[96:97]
	v_mov_b32_e32 v98, v6
	v_sub_f32_e32 v37, v25, v97
	v_sub_f32_e32 v37, v7, v37
	v_add_f32_e32 v99, v26, v37
	v_pk_add_f32 v[6:7], v[24:25], v[6:7] neg_lo:[0,1] neg_hi:[0,1]
	v_pk_add_f32 v[100:101], v[24:25], v[98:99]
	v_mov_b32_e32 v97, v24
	v_mov_b32_e32 v7, v101
	v_pk_add_f32 v[102:103], v[96:97], v[6:7] neg_lo:[0,1] neg_hi:[0,1]
	v_pk_add_f32 v[6:7], v[96:97], v[6:7]
	s_mov_b32 s4, 0x33800000
	v_mov_b32_e32 v26, v7
	v_pk_add_f32 v[96:97], v[26:27], v[24:25] neg_lo:[0,1] neg_hi:[0,1]
	v_mov_b32_e32 v6, v101
	v_mov_b32_e32 v37, v96
	v_pk_add_f32 v[112:113], v[100:101], v[36:37] neg_lo:[0,1] neg_hi:[0,1]
	v_mov_b32_e32 v100, v25
	v_mov_b32_e32 v101, v96
	;; [unrolled: 1-line block ×3, first 2 shown]
	v_pk_add_f32 v[6:7], v[6:7], v[100:101] neg_lo:[0,1] neg_hi:[0,1]
	v_mov_b32_e32 v96, v99
	v_mov_b32_e32 v97, v24
	v_pk_add_f32 v[6:7], v[96:97], v[6:7] neg_lo:[0,1] neg_hi:[0,1]
	v_mov_b32_e32 v112, v102
	v_pk_add_f32 v[24:25], v[112:113], v[6:7]
	v_cmp_lt_f32_e64 s[6:7], |v114|, s4
	v_mov_b32_e32 v96, v25
	v_pk_add_f32 v[96:97], v[24:25], v[96:97]
	s_or_b64 vcc, vcc, s[6:7]
	v_pk_add_f32 v[98:99], v[26:27], v[96:97]
	v_mov_b32_e32 v7, v96
	v_mov_b32_e32 v25, v98
	v_pk_add_f32 v[100:101], v[24:25], v[102:103] neg_lo:[0,1] neg_hi:[0,1]
	s_nop 0
	v_sub_f32_e32 v24, v24, v100
	v_pk_add_f32 v[6:7], v[6:7], v[100:101] neg_lo:[0,1] neg_hi:[0,1]
	v_sub_f32_e32 v24, v102, v24
	v_add_f32_e32 v6, v6, v24
	v_add_f32_e32 v6, v6, v7
	;; [unrolled: 1-line block ×3, first 2 shown]
	v_cndmask_b32_e32 v6, v6, v114, vcc
	v_add_f32_e32 v6, v3, v6
.LBB499_374:
	s_or_b64 exec, exec, s[2:3]
	v_bfe_u32 v3, v6, 16, 1
	v_add3_u32 v3, v6, v3, s5
	v_lshrrev_b32_e32 v3, 16, v3
	v_cmp_o_f32_e32 vcc, v6, v6
	s_movk_i32 s4, 0x1f8
	s_nop 0
	v_cndmask_b32_e32 v37, v2, v3, vcc
	v_lshlrev_b32_e32 v3, 16, v37
	v_max_f32_e32 v2, v3, v3
	v_min_f32_e32 v6, v2, v39
	v_cmp_u_f32_e32 vcc, v3, v3
	v_max_f32_e32 v2, v2, v39
	s_nop 0
	v_cndmask_b32_e32 v6, v6, v3, vcc
	v_cndmask_b32_e32 v2, v2, v3, vcc
	v_cndmask_b32_e64 v6, v6, v27, s[14:15]
	v_cndmask_b32_e64 v2, v2, v27, s[14:15]
	v_cmp_neq_f32_e32 vcc, v6, v2
	v_cmp_class_f32_e64 s[2:3], v6, s4
	s_or_b64 s[6:7], vcc, s[2:3]
	s_and_saveexec_b64 s[2:3], s[6:7]
	s_cbranch_execz .LBB499_376
; %bb.375:
	v_sub_f32_e32 v3, v6, v2
	s_mov_b32 s5, 0x3fb8aa3b
	v_mul_f32_e32 v6, 0x3fb8aa3b, v3
	v_fma_f32 v7, v3, s5, -v6
	v_rndne_f32_e32 v24, v6
	v_fmamk_f32 v7, v3, 0x32a5705f, v7
	v_sub_f32_e32 v6, v6, v24
	v_add_f32_e32 v6, v6, v7
	v_exp_f32_e32 v6, v6
	v_cvt_i32_f32_e32 v7, v24
	s_mov_b32 s5, 0xc2ce8ed0
	v_cmp_ngt_f32_e32 vcc, s5, v3
	s_mov_b32 s5, 0x42b17218
	v_ldexp_f32 v6, v6, v7
	v_cndmask_b32_e32 v6, 0, v6, vcc
	v_mov_b32_e32 v7, 0x7f800000
	v_cmp_nlt_f32_e32 vcc, s5, v3
	s_mov_b32 s5, 0x3f2aaaab
	s_mov_b32 s6, 0x7f800000
	v_cndmask_b32_e32 v39, v7, v6, vcc
	v_add_f32_e32 v3, 1.0, v39
	v_add_f32_e32 v6, -1.0, v3
	v_sub_f32_e32 v7, v6, v3
	v_add_f32_e32 v7, 1.0, v7
	v_sub_f32_e32 v6, v39, v6
	v_add_f32_e32 v24, v6, v7
	v_frexp_mant_f32_e32 v25, v3
	v_cvt_f64_f32_e32 v[6:7], v3
	v_frexp_exp_i32_f64_e32 v6, v[6:7]
	v_cmp_gt_f32_e32 vcc, s5, v25
	s_mov_b32 s5, 0x3f317218
	s_nop 0
	v_subbrev_co_u32_e32 v98, vcc, 0, v6, vcc
	v_sub_u32_e32 v6, 0, v98
	v_ldexp_f32 v3, v3, v6
	v_ldexp_f32 v6, v24, v6
	v_add_f32_e32 v24, -1.0, v3
	v_add_f32_e32 v7, 1.0, v24
	v_sub_f32_e32 v7, v3, v7
	v_add_f32_e32 v25, v6, v7
	v_add_f32_e32 v7, 1.0, v3
	v_add_f32_e32 v26, -1.0, v7
	v_sub_f32_e32 v3, v3, v26
	v_add_f32_e32 v3, v6, v3
	v_add_f32_e32 v99, v7, v3
	s_waitcnt lgkmcnt(0)
	v_rcp_f32_e32 v100, v99
	v_sub_f32_e32 v6, v7, v99
	v_add_f32_e32 v7, v24, v25
	v_add_f32_e32 v3, v3, v6
	v_mul_f32_e32 v102, v7, v100
	v_sub_f32_e32 v6, v24, v7
	v_mul_f32_e32 v24, v99, v102
	v_fma_f32 v26, v102, v99, -v24
	v_fmac_f32_e32 v26, v102, v3
	v_add_f32_e32 v101, v25, v6
	v_add_f32_e32 v6, v24, v26
	v_sub_f32_e32 v25, v7, v6
	v_pk_add_f32 v[96:97], v[6:7], v[24:25] neg_lo:[0,1] neg_hi:[0,1]
	v_mov_b32_e32 v27, v6
	v_pk_add_f32 v[6:7], v[96:97], v[26:27] neg_lo:[0,1] neg_hi:[0,1]
	v_cmp_eq_f32_e32 vcc, s6, v39
	v_add_f32_e32 v7, v101, v7
	v_add_f32_e32 v6, v6, v7
	;; [unrolled: 1-line block ×3, first 2 shown]
	v_mul_f32_e32 v101, v100, v7
	v_mul_f32_e32 v24, v99, v101
	v_fma_f32 v26, v101, v99, -v24
	v_fmac_f32_e32 v26, v101, v3
	v_sub_f32_e32 v3, v25, v7
	v_add_f32_e32 v3, v6, v3
	v_add_f32_e32 v6, v24, v26
	v_sub_f32_e32 v25, v7, v6
	v_pk_add_f32 v[96:97], v[6:7], v[24:25] neg_lo:[0,1] neg_hi:[0,1]
	v_mov_b32_e32 v27, v6
	v_pk_add_f32 v[6:7], v[96:97], v[26:27] neg_lo:[0,1] neg_hi:[0,1]
	v_cvt_f32_i32_e32 v24, v98
	v_add_f32_e32 v3, v3, v7
	v_add_f32_e32 v3, v6, v3
	;; [unrolled: 1-line block ×4, first 2 shown]
	v_sub_f32_e32 v7, v6, v102
	v_mul_f32_e32 v3, v100, v3
	v_sub_f32_e32 v7, v101, v7
	v_add_f32_e32 v3, v7, v3
	v_add_f32_e32 v25, v6, v3
	v_mul_f32_e32 v26, v25, v25
	v_mov_b32_e32 v7, 0x3ecc95a3
	v_fmac_f32_e32 v7, 0x3e9b6dac, v26
	v_sub_f32_e32 v6, v25, v6
	v_fmaak_f32 v7, v26, v7, 0x3f2aaada
	v_sub_f32_e32 v3, v3, v6
	v_ldexp_f32 v27, v25, 1
	v_mul_f32_e32 v25, v25, v26
	v_mov_b32_e32 v6, 0x3f317218
	v_pk_mul_f32 v[6:7], v[24:25], v[6:7]
	v_ldexp_f32 v3, v3, 1
	v_fma_f32 v25, v24, s5, -v6
	v_fmamk_f32 v26, v24, 0xb102e308, v25
	v_pk_add_f32 v[24:25], v[6:7], v[26:27]
	v_mov_b32_e32 v96, v6
	v_sub_f32_e32 v27, v25, v27
	v_sub_f32_e32 v27, v7, v27
	v_add_f32_e32 v97, v3, v27
	v_pk_add_f32 v[6:7], v[24:25], v[6:7] neg_lo:[0,1] neg_hi:[0,1]
	v_pk_add_f32 v[98:99], v[24:25], v[96:97]
	v_mov_b32_e32 v27, v24
	v_mov_b32_e32 v7, v99
	v_pk_add_f32 v[100:101], v[26:27], v[6:7] neg_lo:[0,1] neg_hi:[0,1]
	v_pk_add_f32 v[6:7], v[26:27], v[6:7]
	v_mov_b32_e32 v96, v97
	v_mov_b32_e32 v26, v7
	v_pk_add_f32 v[102:103], v[26:27], v[24:25] neg_lo:[0,1] neg_hi:[0,1]
	v_mov_b32_e32 v6, v99
	v_mov_b32_e32 v3, v102
	v_pk_add_f32 v[112:113], v[98:99], v[2:3] neg_lo:[0,1] neg_hi:[0,1]
	v_mov_b32_e32 v98, v25
	v_mov_b32_e32 v99, v102
	v_mov_b32_e32 v101, v7
	v_pk_add_f32 v[6:7], v[6:7], v[98:99] neg_lo:[0,1] neg_hi:[0,1]
	v_mov_b32_e32 v97, v24
	v_pk_add_f32 v[6:7], v[96:97], v[6:7] neg_lo:[0,1] neg_hi:[0,1]
	v_mov_b32_e32 v112, v100
	v_pk_add_f32 v[24:25], v[112:113], v[6:7]
	s_mov_b32 s5, 0x33800000
	v_mov_b32_e32 v96, v25
	v_pk_add_f32 v[96:97], v[24:25], v[96:97]
	v_cmp_lt_f32_e64 s[6:7], |v39|, s5
	v_pk_add_f32 v[26:27], v[26:27], v[96:97]
	v_mov_b32_e32 v7, v96
	v_mov_b32_e32 v25, v26
	v_pk_add_f32 v[98:99], v[24:25], v[100:101] neg_lo:[0,1] neg_hi:[0,1]
	s_or_b64 vcc, vcc, s[6:7]
	v_sub_f32_e32 v3, v24, v98
	v_pk_add_f32 v[6:7], v[6:7], v[98:99] neg_lo:[0,1] neg_hi:[0,1]
	v_sub_f32_e32 v3, v100, v3
	v_add_f32_e32 v3, v6, v3
	v_add_f32_e32 v3, v3, v7
	;; [unrolled: 1-line block ×3, first 2 shown]
	v_cndmask_b32_e32 v3, v3, v39, vcc
	v_add_f32_e32 v3, v2, v3
.LBB499_376:
	s_or_b64 exec, exec, s[2:3]
	v_bfe_u32 v2, v3, 16, 1
	s_movk_i32 s5, 0x7fff
	v_add3_u32 v2, v3, v2, s5
	v_lshrrev_b32_e32 v6, 16, v2
	v_mov_b32_e32 v2, 0x7fc0
	v_cmp_o_f32_e32 vcc, v3, v3
	s_nop 1
	v_cndmask_b32_e32 v39, v2, v6, vcc
	v_lshlrev_b32_e32 v6, 16, v39
	v_max_f32_e32 v3, v6, v6
	v_min_f32_e32 v7, v3, v50
	v_cmp_u_f32_e32 vcc, v6, v6
	v_max_f32_e32 v3, v3, v50
	s_nop 0
	v_cndmask_b32_e32 v7, v7, v6, vcc
	v_cndmask_b32_e32 v3, v3, v6, vcc
	v_cndmask_b32_e64 v7, v7, v38, s[16:17]
	v_cndmask_b32_e64 v3, v3, v38, s[16:17]
	v_cmp_neq_f32_e32 vcc, v7, v3
	v_cmp_class_f32_e64 s[2:3], v7, s4
	s_or_b64 s[6:7], vcc, s[2:3]
	s_and_saveexec_b64 s[2:3], s[6:7]
	s_cbranch_execz .LBB499_378
; %bb.377:
	v_sub_f32_e32 v6, v7, v3
	s_mov_b32 s4, 0x3fb8aa3b
	v_mul_f32_e32 v7, 0x3fb8aa3b, v6
	v_fma_f32 v24, v6, s4, -v7
	v_rndne_f32_e32 v25, v7
	v_fmamk_f32 v24, v6, 0x32a5705f, v24
	v_sub_f32_e32 v7, v7, v25
	v_add_f32_e32 v7, v7, v24
	v_exp_f32_e32 v7, v7
	v_cvt_i32_f32_e32 v24, v25
	s_mov_b32 s4, 0xc2ce8ed0
	v_cmp_ngt_f32_e32 vcc, s4, v6
	s_mov_b32 s4, 0x42b17218
	v_ldexp_f32 v7, v7, v24
	v_cndmask_b32_e32 v7, 0, v7, vcc
	v_mov_b32_e32 v24, 0x7f800000
	v_cmp_nlt_f32_e32 vcc, s4, v6
	s_mov_b32 s4, 0x3f2aaaab
	s_mov_b32 s6, 0x7f800000
	v_cndmask_b32_e32 v50, v24, v7, vcc
	v_add_f32_e32 v24, 1.0, v50
	v_add_f32_e32 v6, -1.0, v24
	v_sub_f32_e32 v7, v6, v24
	v_add_f32_e32 v7, 1.0, v7
	v_sub_f32_e32 v6, v50, v6
	v_add_f32_e32 v25, v6, v7
	v_frexp_mant_f32_e32 v26, v24
	v_cvt_f64_f32_e32 v[6:7], v24
	v_frexp_exp_i32_f64_e32 v6, v[6:7]
	v_cmp_gt_f32_e32 vcc, s4, v26
	s_mov_b32 s4, 0x3f317218
	s_nop 0
	v_subbrev_co_u32_e32 v38, vcc, 0, v6, vcc
	v_sub_u32_e32 v6, 0, v38
	v_ldexp_f32 v7, v24, v6
	v_add_f32_e32 v24, -1.0, v7
	v_add_f32_e32 v26, 1.0, v7
	v_ldexp_f32 v6, v25, v6
	v_add_f32_e32 v25, 1.0, v24
	v_add_f32_e32 v27, -1.0, v26
	v_sub_f32_e32 v25, v7, v25
	v_sub_f32_e32 v7, v7, v27
	v_add_f32_e32 v25, v6, v25
	v_add_f32_e32 v6, v6, v7
	;; [unrolled: 1-line block ×3, first 2 shown]
	s_waitcnt lgkmcnt(0)
	v_rcp_f32_e32 v100, v98
	v_sub_f32_e32 v7, v26, v98
	v_add_f32_e32 v99, v6, v7
	v_add_f32_e32 v7, v24, v25
	v_mul_f32_e32 v102, v7, v100
	v_sub_f32_e32 v6, v24, v7
	v_mul_f32_e32 v24, v98, v102
	v_fma_f32 v26, v102, v98, -v24
	v_fmac_f32_e32 v26, v102, v99
	v_add_f32_e32 v101, v25, v6
	v_add_f32_e32 v6, v24, v26
	v_sub_f32_e32 v25, v7, v6
	v_pk_add_f32 v[96:97], v[6:7], v[24:25] neg_lo:[0,1] neg_hi:[0,1]
	v_mov_b32_e32 v27, v6
	v_pk_add_f32 v[6:7], v[96:97], v[26:27] neg_lo:[0,1] neg_hi:[0,1]
	v_cmp_eq_f32_e32 vcc, s6, v50
	v_add_f32_e32 v7, v101, v7
	v_add_f32_e32 v6, v6, v7
	;; [unrolled: 1-line block ×3, first 2 shown]
	v_mul_f32_e32 v101, v100, v7
	v_mul_f32_e32 v24, v98, v101
	v_fma_f32 v26, v101, v98, -v24
	v_fmac_f32_e32 v26, v101, v99
	v_sub_f32_e32 v25, v25, v7
	v_add_f32_e32 v98, v6, v25
	v_add_f32_e32 v6, v24, v26
	v_sub_f32_e32 v25, v7, v6
	v_pk_add_f32 v[96:97], v[6:7], v[24:25] neg_lo:[0,1] neg_hi:[0,1]
	v_mov_b32_e32 v27, v6
	v_pk_add_f32 v[6:7], v[96:97], v[26:27] neg_lo:[0,1] neg_hi:[0,1]
	v_cvt_f32_i32_e32 v24, v38
	v_add_f32_e32 v7, v98, v7
	v_add_f32_e32 v6, v6, v7
	;; [unrolled: 1-line block ×4, first 2 shown]
	v_sub_f32_e32 v7, v25, v102
	v_mul_f32_e32 v6, v100, v6
	v_sub_f32_e32 v7, v101, v7
	v_add_f32_e32 v6, v7, v6
	v_add_f32_e32 v26, v25, v6
	v_mul_f32_e32 v96, v26, v26
	v_mov_b32_e32 v7, 0x3ecc95a3
	v_sub_f32_e32 v25, v26, v25
	v_fmac_f32_e32 v7, 0x3e9b6dac, v96
	v_sub_f32_e32 v6, v6, v25
	v_fmaak_f32 v7, v96, v7, 0x3f2aaada
	v_ldexp_f32 v38, v6, 1
	v_mul_f32_e32 v25, v26, v96
	v_mov_b32_e32 v6, 0x3f317218
	v_pk_mul_f32 v[6:7], v[24:25], v[6:7]
	v_ldexp_f32 v27, v26, 1
	v_fma_f32 v25, v24, s4, -v6
	v_fmamk_f32 v26, v24, 0xb102e308, v25
	v_pk_add_f32 v[24:25], v[6:7], v[26:27]
	v_mov_b32_e32 v96, v6
	v_sub_f32_e32 v27, v25, v27
	v_sub_f32_e32 v27, v7, v27
	v_add_f32_e32 v97, v38, v27
	v_pk_add_f32 v[6:7], v[24:25], v[6:7] neg_lo:[0,1] neg_hi:[0,1]
	v_pk_add_f32 v[98:99], v[24:25], v[96:97]
	v_mov_b32_e32 v27, v24
	v_mov_b32_e32 v7, v99
	v_pk_add_f32 v[100:101], v[26:27], v[6:7] neg_lo:[0,1] neg_hi:[0,1]
	v_pk_add_f32 v[6:7], v[26:27], v[6:7]
	v_mov_b32_e32 v96, v97
	v_mov_b32_e32 v26, v7
	v_pk_add_f32 v[102:103], v[26:27], v[24:25] neg_lo:[0,1] neg_hi:[0,1]
	v_mov_b32_e32 v6, v99
	v_mov_b32_e32 v27, v102
	v_pk_add_f32 v[112:113], v[98:99], v[26:27] neg_lo:[0,1] neg_hi:[0,1]
	v_mov_b32_e32 v98, v25
	v_mov_b32_e32 v99, v102
	;; [unrolled: 1-line block ×3, first 2 shown]
	v_pk_add_f32 v[6:7], v[6:7], v[98:99] neg_lo:[0,1] neg_hi:[0,1]
	v_mov_b32_e32 v97, v24
	v_pk_add_f32 v[6:7], v[96:97], v[6:7] neg_lo:[0,1] neg_hi:[0,1]
	v_mov_b32_e32 v112, v100
	v_pk_add_f32 v[24:25], v[112:113], v[6:7]
	s_mov_b32 s4, 0x33800000
	v_mov_b32_e32 v38, v25
	v_pk_add_f32 v[96:97], v[24:25], v[38:39]
	v_cmp_lt_f32_e64 s[6:7], |v50|, s4
	v_pk_add_f32 v[26:27], v[26:27], v[96:97]
	v_mov_b32_e32 v7, v96
	v_mov_b32_e32 v25, v26
	v_pk_add_f32 v[98:99], v[24:25], v[100:101] neg_lo:[0,1] neg_hi:[0,1]
	s_or_b64 vcc, vcc, s[6:7]
	v_sub_f32_e32 v24, v24, v98
	v_pk_add_f32 v[6:7], v[6:7], v[98:99] neg_lo:[0,1] neg_hi:[0,1]
	v_sub_f32_e32 v24, v100, v24
	v_add_f32_e32 v6, v6, v24
	v_add_f32_e32 v6, v6, v7
	;; [unrolled: 1-line block ×3, first 2 shown]
	v_cndmask_b32_e32 v6, v6, v50, vcc
	v_add_f32_e32 v6, v3, v6
.LBB499_378:
	s_or_b64 exec, exec, s[2:3]
	v_bfe_u32 v3, v6, 16, 1
	v_add3_u32 v3, v6, v3, s5
	v_lshrrev_b32_e32 v3, 16, v3
	v_cmp_o_f32_e32 vcc, v6, v6
	s_movk_i32 s4, 0x1f8
	s_nop 0
	v_cndmask_b32_e32 v38, v2, v3, vcc
	v_lshlrev_b32_e32 v3, 16, v38
	v_max_f32_e32 v2, v3, v3
	v_min_f32_e32 v6, v2, v51
	v_cmp_u_f32_e32 vcc, v3, v3
	v_max_f32_e32 v2, v2, v51
	s_nop 0
	v_cndmask_b32_e32 v6, v6, v3, vcc
	v_cndmask_b32_e32 v2, v2, v3, vcc
	v_cndmask_b32_e64 v6, v6, v20, s[18:19]
	v_cndmask_b32_e64 v2, v2, v20, s[18:19]
	v_cmp_neq_f32_e32 vcc, v6, v2
	v_cmp_class_f32_e64 s[2:3], v6, s4
	s_or_b64 s[6:7], vcc, s[2:3]
	s_and_saveexec_b64 s[2:3], s[6:7]
	s_cbranch_execz .LBB499_380
; %bb.379:
	v_sub_f32_e32 v3, v6, v2
	s_mov_b32 s5, 0x3fb8aa3b
	v_mul_f32_e32 v6, 0x3fb8aa3b, v3
	v_fma_f32 v7, v3, s5, -v6
	v_rndne_f32_e32 v20, v6
	v_fmamk_f32 v7, v3, 0x32a5705f, v7
	v_sub_f32_e32 v6, v6, v20
	v_add_f32_e32 v6, v6, v7
	v_exp_f32_e32 v6, v6
	v_cvt_i32_f32_e32 v7, v20
	s_mov_b32 s5, 0xc2ce8ed0
	v_cmp_ngt_f32_e32 vcc, s5, v3
	s_mov_b32 s5, 0x42b17218
	v_ldexp_f32 v6, v6, v7
	v_cndmask_b32_e32 v6, 0, v6, vcc
	v_mov_b32_e32 v7, 0x7f800000
	v_cmp_nlt_f32_e32 vcc, s5, v3
	s_mov_b32 s5, 0x3f2aaaab
	s_mov_b32 s6, 0x7f800000
	v_cndmask_b32_e32 v102, v7, v6, vcc
	v_add_f32_e32 v3, 1.0, v102
	v_add_f32_e32 v6, -1.0, v3
	v_sub_f32_e32 v7, v6, v3
	v_add_f32_e32 v7, 1.0, v7
	v_sub_f32_e32 v6, v102, v6
	v_add_f32_e32 v20, v6, v7
	v_frexp_mant_f32_e32 v24, v3
	v_cvt_f64_f32_e32 v[6:7], v3
	v_frexp_exp_i32_f64_e32 v6, v[6:7]
	v_cmp_gt_f32_e32 vcc, s5, v24
	s_mov_b32 s5, 0x3f317218
	s_nop 0
	v_subbrev_co_u32_e32 v96, vcc, 0, v6, vcc
	v_sub_u32_e32 v6, 0, v96
	v_ldexp_f32 v3, v3, v6
	v_ldexp_f32 v6, v20, v6
	v_add_f32_e32 v20, -1.0, v3
	v_add_f32_e32 v7, 1.0, v20
	v_sub_f32_e32 v7, v3, v7
	v_add_f32_e32 v24, v6, v7
	v_add_f32_e32 v7, 1.0, v3
	v_add_f32_e32 v25, -1.0, v7
	v_sub_f32_e32 v3, v3, v25
	v_add_f32_e32 v3, v6, v3
	v_add_f32_e32 v97, v7, v3
	v_rcp_f32_e32 v98, v97
	v_sub_f32_e32 v6, v7, v97
	v_add_f32_e32 v7, v20, v24
	v_add_f32_e32 v3, v3, v6
	v_sub_f32_e32 v6, v20, v7
	v_mul_f32_e32 v99, v7, v98
	v_add_f32_e32 v20, v24, v6
	v_mul_f32_e32 v24, v97, v99
	v_fma_f32 v26, v99, v97, -v24
	v_fmac_f32_e32 v26, v99, v3
	v_add_f32_e32 v6, v24, v26
	v_sub_f32_e32 v25, v7, v6
	v_pk_add_f32 v[50:51], v[6:7], v[24:25] neg_lo:[0,1] neg_hi:[0,1]
	v_mov_b32_e32 v27, v6
	v_pk_add_f32 v[6:7], v[50:51], v[26:27] neg_lo:[0,1] neg_hi:[0,1]
	v_cmp_eq_f32_e32 vcc, s6, v102
	v_add_f32_e32 v7, v20, v7
	v_add_f32_e32 v6, v6, v7
	;; [unrolled: 1-line block ×3, first 2 shown]
	v_mul_f32_e32 v20, v98, v7
	v_mul_f32_e32 v24, v97, v20
	v_fma_f32 v26, v20, v97, -v24
	v_fmac_f32_e32 v26, v20, v3
	v_sub_f32_e32 v3, v25, v7
	v_add_f32_e32 v3, v6, v3
	v_add_f32_e32 v6, v24, v26
	v_sub_f32_e32 v25, v7, v6
	v_pk_add_f32 v[50:51], v[6:7], v[24:25] neg_lo:[0,1] neg_hi:[0,1]
	v_mov_b32_e32 v27, v6
	v_pk_add_f32 v[6:7], v[50:51], v[26:27] neg_lo:[0,1] neg_hi:[0,1]
	v_cvt_f32_i32_e32 v24, v96
	v_add_f32_e32 v3, v3, v7
	v_add_f32_e32 v3, v6, v3
	;; [unrolled: 1-line block ×4, first 2 shown]
	v_sub_f32_e32 v7, v6, v99
	v_mul_f32_e32 v3, v98, v3
	v_sub_f32_e32 v7, v20, v7
	v_add_f32_e32 v3, v7, v3
	v_add_f32_e32 v20, v6, v3
	v_mul_f32_e32 v25, v20, v20
	v_mov_b32_e32 v7, 0x3ecc95a3
	v_fmac_f32_e32 v7, 0x3e9b6dac, v25
	v_sub_f32_e32 v6, v20, v6
	v_fmaak_f32 v7, v25, v7, 0x3f2aaada
	v_sub_f32_e32 v3, v3, v6
	v_mul_f32_e32 v25, v20, v25
	v_mov_b32_e32 v6, 0x3f317218
	v_pk_mul_f32 v[6:7], v[24:25], v[6:7]
	v_ldexp_f32 v27, v20, 1
	v_fma_f32 v20, v24, s5, -v6
	v_fmamk_f32 v26, v24, 0xb102e308, v20
	v_pk_add_f32 v[24:25], v[6:7], v[26:27]
	v_ldexp_f32 v3, v3, 1
	v_sub_f32_e32 v20, v25, v27
	v_sub_f32_e32 v20, v7, v20
	v_add_f32_e32 v51, v3, v20
	v_mov_b32_e32 v50, v6
	v_pk_add_f32 v[6:7], v[24:25], v[6:7] neg_lo:[0,1] neg_hi:[0,1]
	v_pk_add_f32 v[96:97], v[24:25], v[50:51]
	v_mov_b32_e32 v27, v24
	v_mov_b32_e32 v7, v97
	v_pk_add_f32 v[98:99], v[26:27], v[6:7] neg_lo:[0,1] neg_hi:[0,1]
	v_pk_add_f32 v[6:7], v[26:27], v[6:7]
	s_mov_b32 s5, 0x33800000
	v_mov_b32_e32 v20, v7
	v_pk_add_f32 v[26:27], v[20:21], v[24:25] neg_lo:[0,1] neg_hi:[0,1]
	v_mov_b32_e32 v6, v97
	v_mov_b32_e32 v3, v26
	s_waitcnt lgkmcnt(0)
	v_pk_add_f32 v[100:101], v[96:97], v[2:3] neg_lo:[0,1] neg_hi:[0,1]
	v_mov_b32_e32 v96, v25
	v_mov_b32_e32 v97, v26
	;; [unrolled: 1-line block ×3, first 2 shown]
	v_pk_add_f32 v[6:7], v[6:7], v[96:97] neg_lo:[0,1] neg_hi:[0,1]
	v_mov_b32_e32 v26, v51
	v_mov_b32_e32 v27, v24
	v_pk_add_f32 v[6:7], v[26:27], v[6:7] neg_lo:[0,1] neg_hi:[0,1]
	v_mov_b32_e32 v100, v98
	v_pk_add_f32 v[24:25], v[100:101], v[6:7]
	v_cmp_lt_f32_e64 s[6:7], |v102|, s5
	v_mov_b32_e32 v26, v25
	v_pk_add_f32 v[26:27], v[24:25], v[26:27]
	s_or_b64 vcc, vcc, s[6:7]
	v_pk_add_f32 v[50:51], v[20:21], v[26:27]
	v_mov_b32_e32 v7, v26
	v_mov_b32_e32 v25, v50
	v_pk_add_f32 v[96:97], v[24:25], v[98:99] neg_lo:[0,1] neg_hi:[0,1]
	s_nop 0
	v_sub_f32_e32 v3, v24, v96
	v_pk_add_f32 v[6:7], v[6:7], v[96:97] neg_lo:[0,1] neg_hi:[0,1]
	v_sub_f32_e32 v3, v98, v3
	v_add_f32_e32 v3, v6, v3
	v_add_f32_e32 v3, v3, v7
	;; [unrolled: 1-line block ×3, first 2 shown]
	v_cndmask_b32_e32 v3, v3, v102, vcc
	v_add_f32_e32 v3, v2, v3
.LBB499_380:
	s_or_b64 exec, exec, s[2:3]
	v_bfe_u32 v2, v3, 16, 1
	s_movk_i32 s5, 0x7fff
	v_add3_u32 v2, v3, v2, s5
	v_lshrrev_b32_e32 v6, 16, v2
	v_mov_b32_e32 v2, 0x7fc0
	v_cmp_o_f32_e32 vcc, v3, v3
	s_nop 1
	v_cndmask_b32_e32 v50, v2, v6, vcc
	v_lshlrev_b32_e32 v6, 16, v50
	v_max_f32_e32 v3, v6, v6
	v_min_f32_e32 v7, v3, v53
	v_cmp_u_f32_e32 vcc, v6, v6
	v_max_f32_e32 v3, v3, v53
	s_nop 0
	v_cndmask_b32_e32 v7, v7, v6, vcc
	v_cndmask_b32_e32 v3, v3, v6, vcc
	v_cndmask_b32_e64 v7, v7, v49, s[20:21]
	v_cndmask_b32_e64 v3, v3, v49, s[20:21]
	v_cmp_neq_f32_e32 vcc, v7, v3
	v_cmp_class_f32_e64 s[2:3], v7, s4
	s_or_b64 s[6:7], vcc, s[2:3]
	s_and_saveexec_b64 s[2:3], s[6:7]
	s_cbranch_execz .LBB499_382
; %bb.381:
	v_sub_f32_e32 v6, v7, v3
	s_mov_b32 s4, 0x3fb8aa3b
	v_mul_f32_e32 v7, 0x3fb8aa3b, v6
	v_fma_f32 v20, v6, s4, -v7
	v_rndne_f32_e32 v24, v7
	v_fmamk_f32 v20, v6, 0x32a5705f, v20
	v_sub_f32_e32 v7, v7, v24
	v_add_f32_e32 v7, v7, v20
	v_exp_f32_e32 v7, v7
	v_cvt_i32_f32_e32 v20, v24
	s_mov_b32 s4, 0xc2ce8ed0
	v_cmp_ngt_f32_e32 vcc, s4, v6
	s_mov_b32 s4, 0x42b17218
	v_ldexp_f32 v7, v7, v20
	v_cndmask_b32_e32 v7, 0, v7, vcc
	v_mov_b32_e32 v20, 0x7f800000
	v_cmp_nlt_f32_e32 vcc, s4, v6
	s_mov_b32 s4, 0x3f2aaaab
	s_mov_b32 s6, 0x7f800000
	v_cndmask_b32_e32 v49, v20, v7, vcc
	v_add_f32_e32 v20, 1.0, v49
	v_add_f32_e32 v6, -1.0, v20
	v_sub_f32_e32 v7, v6, v20
	v_add_f32_e32 v7, 1.0, v7
	v_sub_f32_e32 v6, v49, v6
	v_add_f32_e32 v24, v6, v7
	v_frexp_mant_f32_e32 v25, v20
	v_cvt_f64_f32_e32 v[6:7], v20
	v_frexp_exp_i32_f64_e32 v6, v[6:7]
	v_cmp_gt_f32_e32 vcc, s4, v25
	s_mov_b32 s4, 0x3f317218
	s_nop 0
	v_subbrev_co_u32_e32 v51, vcc, 0, v6, vcc
	v_sub_u32_e32 v6, 0, v51
	v_ldexp_f32 v7, v20, v6
	v_add_f32_e32 v20, -1.0, v7
	v_add_f32_e32 v25, 1.0, v7
	v_ldexp_f32 v6, v24, v6
	v_add_f32_e32 v24, 1.0, v20
	v_add_f32_e32 v26, -1.0, v25
	v_sub_f32_e32 v24, v7, v24
	v_sub_f32_e32 v7, v7, v26
	v_add_f32_e32 v24, v6, v24
	v_add_f32_e32 v6, v6, v7
	;; [unrolled: 1-line block ×3, first 2 shown]
	v_rcp_f32_e32 v99, v53
	v_sub_f32_e32 v7, v25, v53
	v_add_f32_e32 v98, v6, v7
	v_add_f32_e32 v7, v20, v24
	v_sub_f32_e32 v6, v20, v7
	s_waitcnt lgkmcnt(0)
	v_mul_f32_e32 v100, v7, v99
	v_add_f32_e32 v20, v24, v6
	v_mul_f32_e32 v24, v53, v100
	v_fma_f32 v26, v100, v53, -v24
	v_fmac_f32_e32 v26, v100, v98
	v_add_f32_e32 v6, v24, v26
	v_sub_f32_e32 v25, v7, v6
	v_pk_add_f32 v[96:97], v[6:7], v[24:25] neg_lo:[0,1] neg_hi:[0,1]
	v_mov_b32_e32 v27, v6
	v_pk_add_f32 v[6:7], v[96:97], v[26:27] neg_lo:[0,1] neg_hi:[0,1]
	v_cmp_eq_f32_e32 vcc, s6, v49
	v_add_f32_e32 v7, v20, v7
	v_add_f32_e32 v6, v6, v7
	;; [unrolled: 1-line block ×3, first 2 shown]
	v_mul_f32_e32 v20, v99, v7
	v_mul_f32_e32 v24, v53, v20
	v_fma_f32 v26, v20, v53, -v24
	v_fmac_f32_e32 v26, v20, v98
	v_sub_f32_e32 v25, v25, v7
	v_add_f32_e32 v53, v6, v25
	v_add_f32_e32 v6, v24, v26
	v_sub_f32_e32 v25, v7, v6
	v_pk_add_f32 v[96:97], v[6:7], v[24:25] neg_lo:[0,1] neg_hi:[0,1]
	v_mov_b32_e32 v27, v6
	v_pk_add_f32 v[6:7], v[96:97], v[26:27] neg_lo:[0,1] neg_hi:[0,1]
	v_cvt_f32_i32_e32 v24, v51
	v_add_f32_e32 v7, v53, v7
	v_add_f32_e32 v6, v6, v7
	;; [unrolled: 1-line block ×4, first 2 shown]
	v_sub_f32_e32 v7, v25, v100
	v_mul_f32_e32 v6, v99, v6
	v_sub_f32_e32 v7, v20, v7
	v_add_f32_e32 v6, v7, v6
	v_add_f32_e32 v20, v25, v6
	v_mul_f32_e32 v26, v20, v20
	v_mov_b32_e32 v7, 0x3ecc95a3
	v_sub_f32_e32 v25, v20, v25
	v_fmac_f32_e32 v7, 0x3e9b6dac, v26
	v_sub_f32_e32 v6, v6, v25
	v_fmaak_f32 v7, v26, v7, 0x3f2aaada
	v_ldexp_f32 v51, v6, 1
	v_mul_f32_e32 v25, v20, v26
	v_mov_b32_e32 v6, 0x3f317218
	v_pk_mul_f32 v[6:7], v[24:25], v[6:7]
	v_ldexp_f32 v27, v20, 1
	v_fma_f32 v20, v24, s4, -v6
	v_fmamk_f32 v26, v24, 0xb102e308, v20
	v_pk_add_f32 v[24:25], v[6:7], v[26:27]
	v_mov_b32_e32 v96, v6
	v_sub_f32_e32 v20, v25, v27
	v_sub_f32_e32 v20, v7, v20
	v_add_f32_e32 v97, v51, v20
	v_pk_add_f32 v[6:7], v[24:25], v[6:7] neg_lo:[0,1] neg_hi:[0,1]
	v_pk_add_f32 v[98:99], v[24:25], v[96:97]
	v_mov_b32_e32 v27, v24
	v_mov_b32_e32 v7, v99
	v_pk_add_f32 v[100:101], v[26:27], v[6:7] neg_lo:[0,1] neg_hi:[0,1]
	v_pk_add_f32 v[6:7], v[26:27], v[6:7]
	s_mov_b32 s4, 0x33800000
	v_mov_b32_e32 v20, v7
	v_pk_add_f32 v[26:27], v[20:21], v[24:25] neg_lo:[0,1] neg_hi:[0,1]
	v_mov_b32_e32 v6, v99
	v_mov_b32_e32 v27, v26
	v_pk_add_f32 v[102:103], v[98:99], v[26:27] neg_lo:[0,1] neg_hi:[0,1]
	v_mov_b32_e32 v98, v25
	v_mov_b32_e32 v99, v26
	;; [unrolled: 1-line block ×3, first 2 shown]
	v_pk_add_f32 v[6:7], v[6:7], v[98:99] neg_lo:[0,1] neg_hi:[0,1]
	v_mov_b32_e32 v26, v97
	v_mov_b32_e32 v27, v24
	v_pk_add_f32 v[6:7], v[26:27], v[6:7] neg_lo:[0,1] neg_hi:[0,1]
	v_mov_b32_e32 v102, v100
	v_pk_add_f32 v[24:25], v[102:103], v[6:7]
	v_cmp_lt_f32_e64 s[6:7], |v49|, s4
	v_mov_b32_e32 v26, v25
	v_pk_add_f32 v[26:27], v[24:25], v[26:27]
	s_or_b64 vcc, vcc, s[6:7]
	v_pk_add_f32 v[96:97], v[20:21], v[26:27]
	v_mov_b32_e32 v7, v26
	v_mov_b32_e32 v25, v96
	v_pk_add_f32 v[98:99], v[24:25], v[100:101] neg_lo:[0,1] neg_hi:[0,1]
	s_nop 0
	v_sub_f32_e32 v20, v24, v98
	v_pk_add_f32 v[6:7], v[6:7], v[98:99] neg_lo:[0,1] neg_hi:[0,1]
	v_sub_f32_e32 v20, v100, v20
	v_add_f32_e32 v6, v6, v20
	v_add_f32_e32 v6, v6, v7
	;; [unrolled: 1-line block ×3, first 2 shown]
	v_cndmask_b32_e32 v6, v6, v49, vcc
	v_add_f32_e32 v6, v3, v6
.LBB499_382:
	s_or_b64 exec, exec, s[2:3]
	v_bfe_u32 v3, v6, 16, 1
	v_add3_u32 v3, v6, v3, s5
	v_lshrrev_b32_e32 v3, 16, v3
	v_cmp_o_f32_e32 vcc, v6, v6
	s_movk_i32 s4, 0x1f8
	s_nop 0
	v_cndmask_b32_e32 v49, v2, v3, vcc
	v_lshlrev_b32_e32 v3, 16, v49
	v_max_f32_e32 v2, v3, v3
	v_min_f32_e32 v6, v2, v54
	v_cmp_u_f32_e32 vcc, v3, v3
	v_max_f32_e32 v2, v2, v54
	s_nop 0
	v_cndmask_b32_e32 v6, v6, v3, vcc
	v_cndmask_b32_e32 v2, v2, v3, vcc
	v_cndmask_b32_e64 v6, v6, v21, s[22:23]
	v_cndmask_b32_e64 v2, v2, v21, s[22:23]
	v_cmp_neq_f32_e32 vcc, v6, v2
	v_cmp_class_f32_e64 s[2:3], v6, s4
	s_or_b64 s[6:7], vcc, s[2:3]
	s_and_saveexec_b64 s[2:3], s[6:7]
	s_cbranch_execz .LBB499_384
; %bb.383:
	v_sub_f32_e32 v3, v6, v2
	s_mov_b32 s5, 0x3fb8aa3b
	v_mul_f32_e32 v6, 0x3fb8aa3b, v3
	v_fma_f32 v7, v3, s5, -v6
	v_rndne_f32_e32 v20, v6
	v_fmamk_f32 v7, v3, 0x32a5705f, v7
	v_sub_f32_e32 v6, v6, v20
	v_add_f32_e32 v6, v6, v7
	v_exp_f32_e32 v6, v6
	v_cvt_i32_f32_e32 v7, v20
	s_mov_b32 s5, 0xc2ce8ed0
	v_cmp_ngt_f32_e32 vcc, s5, v3
	s_mov_b32 s5, 0x42b17218
	v_ldexp_f32 v6, v6, v7
	v_cndmask_b32_e32 v6, 0, v6, vcc
	v_mov_b32_e32 v7, 0x7f800000
	v_cmp_nlt_f32_e32 vcc, s5, v3
	s_mov_b32 s5, 0x3f2aaaab
	s_mov_b32 s6, 0x7f800000
	v_cndmask_b32_e32 v51, v7, v6, vcc
	v_add_f32_e32 v3, 1.0, v51
	v_add_f32_e32 v6, -1.0, v3
	v_sub_f32_e32 v7, v6, v3
	v_add_f32_e32 v7, 1.0, v7
	v_sub_f32_e32 v6, v51, v6
	v_add_f32_e32 v20, v6, v7
	v_frexp_mant_f32_e32 v21, v3
	v_cvt_f64_f32_e32 v[6:7], v3
	v_frexp_exp_i32_f64_e32 v6, v[6:7]
	v_cmp_gt_f32_e32 vcc, s5, v21
	s_mov_b32 s5, 0x3f317218
	s_nop 0
	v_subbrev_co_u32_e32 v53, vcc, 0, v6, vcc
	v_sub_u32_e32 v6, 0, v53
	v_ldexp_f32 v3, v3, v6
	v_ldexp_f32 v6, v20, v6
	v_add_f32_e32 v20, -1.0, v3
	v_add_f32_e32 v7, 1.0, v20
	v_sub_f32_e32 v7, v3, v7
	v_add_f32_e32 v21, v6, v7
	v_add_f32_e32 v7, 1.0, v3
	v_add_f32_e32 v24, -1.0, v7
	v_sub_f32_e32 v3, v3, v24
	v_add_f32_e32 v3, v6, v3
	v_add_f32_e32 v54, v7, v3
	v_rcp_f32_e32 v96, v54
	v_sub_f32_e32 v6, v7, v54
	v_add_f32_e32 v7, v20, v21
	v_add_f32_e32 v3, v3, v6
	v_mul_f32_e32 v98, v7, v96
	v_sub_f32_e32 v6, v20, v7
	v_mul_f32_e32 v20, v54, v98
	v_fma_f32 v24, v98, v54, -v20
	v_fmac_f32_e32 v24, v98, v3
	v_add_f32_e32 v97, v21, v6
	v_add_f32_e32 v6, v20, v24
	v_sub_f32_e32 v21, v7, v6
	v_pk_add_f32 v[26:27], v[6:7], v[20:21] neg_lo:[0,1] neg_hi:[0,1]
	v_mov_b32_e32 v25, v6
	v_pk_add_f32 v[6:7], v[26:27], v[24:25] neg_lo:[0,1] neg_hi:[0,1]
	v_cmp_eq_f32_e32 vcc, s6, v51
	v_add_f32_e32 v7, v97, v7
	v_add_f32_e32 v6, v6, v7
	;; [unrolled: 1-line block ×3, first 2 shown]
	v_mul_f32_e32 v97, v96, v7
	v_mul_f32_e32 v20, v54, v97
	v_fma_f32 v24, v97, v54, -v20
	v_fmac_f32_e32 v24, v97, v3
	v_sub_f32_e32 v3, v21, v7
	v_add_f32_e32 v3, v6, v3
	v_add_f32_e32 v6, v20, v24
	v_sub_f32_e32 v21, v7, v6
	v_pk_add_f32 v[26:27], v[6:7], v[20:21] neg_lo:[0,1] neg_hi:[0,1]
	v_mov_b32_e32 v25, v6
	v_pk_add_f32 v[6:7], v[26:27], v[24:25] neg_lo:[0,1] neg_hi:[0,1]
	v_cvt_f32_i32_e32 v20, v53
	v_add_f32_e32 v3, v3, v7
	v_add_f32_e32 v3, v6, v3
	;; [unrolled: 1-line block ×4, first 2 shown]
	v_sub_f32_e32 v7, v6, v98
	v_mul_f32_e32 v3, v96, v3
	v_sub_f32_e32 v7, v97, v7
	v_add_f32_e32 v3, v7, v3
	v_add_f32_e32 v21, v6, v3
	v_mul_f32_e32 v24, v21, v21
	v_mov_b32_e32 v7, 0x3ecc95a3
	v_fmac_f32_e32 v7, 0x3e9b6dac, v24
	v_sub_f32_e32 v6, v21, v6
	v_fmaak_f32 v7, v24, v7, 0x3f2aaada
	v_sub_f32_e32 v3, v3, v6
	v_ldexp_f32 v25, v21, 1
	v_mul_f32_e32 v21, v21, v24
	v_mov_b32_e32 v6, 0x3f317218
	v_pk_mul_f32 v[6:7], v[20:21], v[6:7]
	v_ldexp_f32 v3, v3, 1
	v_fma_f32 v21, v20, s5, -v6
	v_fmamk_f32 v24, v20, 0xb102e308, v21
	v_pk_add_f32 v[20:21], v[6:7], v[24:25]
	v_mov_b32_e32 v26, v6
	v_sub_f32_e32 v25, v21, v25
	v_sub_f32_e32 v25, v7, v25
	v_add_f32_e32 v27, v3, v25
	v_pk_add_f32 v[6:7], v[20:21], v[6:7] neg_lo:[0,1] neg_hi:[0,1]
	v_pk_add_f32 v[96:97], v[20:21], v[26:27]
	v_mov_b32_e32 v25, v20
	v_mov_b32_e32 v7, v97
	v_pk_add_f32 v[98:99], v[24:25], v[6:7] neg_lo:[0,1] neg_hi:[0,1]
	v_pk_add_f32 v[6:7], v[24:25], v[6:7]
	v_mov_b32_e32 v26, v27
	v_mov_b32_e32 v24, v7
	s_waitcnt lgkmcnt(0)
	v_pk_add_f32 v[100:101], v[24:25], v[20:21] neg_lo:[0,1] neg_hi:[0,1]
	v_mov_b32_e32 v6, v97
	v_mov_b32_e32 v3, v100
	v_pk_add_f32 v[102:103], v[96:97], v[2:3] neg_lo:[0,1] neg_hi:[0,1]
	v_mov_b32_e32 v96, v21
	v_mov_b32_e32 v97, v100
	;; [unrolled: 1-line block ×3, first 2 shown]
	v_pk_add_f32 v[6:7], v[6:7], v[96:97] neg_lo:[0,1] neg_hi:[0,1]
	v_mov_b32_e32 v27, v20
	v_pk_add_f32 v[6:7], v[26:27], v[6:7] neg_lo:[0,1] neg_hi:[0,1]
	v_mov_b32_e32 v102, v98
	v_pk_add_f32 v[20:21], v[102:103], v[6:7]
	s_mov_b32 s5, 0x33800000
	v_mov_b32_e32 v26, v21
	v_pk_add_f32 v[26:27], v[20:21], v[26:27]
	v_cmp_lt_f32_e64 s[6:7], |v51|, s5
	v_pk_add_f32 v[24:25], v[24:25], v[26:27]
	v_mov_b32_e32 v7, v26
	v_mov_b32_e32 v21, v24
	v_pk_add_f32 v[96:97], v[20:21], v[98:99] neg_lo:[0,1] neg_hi:[0,1]
	s_or_b64 vcc, vcc, s[6:7]
	v_sub_f32_e32 v3, v20, v96
	v_pk_add_f32 v[6:7], v[6:7], v[96:97] neg_lo:[0,1] neg_hi:[0,1]
	v_sub_f32_e32 v3, v98, v3
	v_add_f32_e32 v3, v6, v3
	v_add_f32_e32 v3, v3, v7
	;; [unrolled: 1-line block ×3, first 2 shown]
	v_cndmask_b32_e32 v3, v3, v51, vcc
	v_add_f32_e32 v3, v2, v3
.LBB499_384:
	s_or_b64 exec, exec, s[2:3]
	v_bfe_u32 v2, v3, 16, 1
	s_movk_i32 s5, 0x7fff
	v_add3_u32 v2, v3, v2, s5
	v_lshrrev_b32_e32 v6, 16, v2
	v_mov_b32_e32 v2, 0x7fc0
	v_cmp_o_f32_e32 vcc, v3, v3
	s_nop 1
	v_cndmask_b32_e32 v51, v2, v6, vcc
	v_lshlrev_b32_e32 v6, 16, v51
	v_max_f32_e32 v3, v6, v6
	v_min_f32_e32 v7, v3, v64
	v_cmp_u_f32_e32 vcc, v6, v6
	v_max_f32_e32 v3, v3, v64
	s_nop 0
	v_cndmask_b32_e32 v7, v7, v6, vcc
	v_cndmask_b32_e32 v3, v3, v6, vcc
	v_cndmask_b32_e64 v7, v7, v52, s[24:25]
	v_cndmask_b32_e64 v3, v3, v52, s[24:25]
	v_cmp_neq_f32_e32 vcc, v7, v3
	v_cmp_class_f32_e64 s[2:3], v7, s4
	s_or_b64 s[6:7], vcc, s[2:3]
	s_and_saveexec_b64 s[2:3], s[6:7]
	s_cbranch_execz .LBB499_386
; %bb.385:
	v_sub_f32_e32 v6, v7, v3
	s_mov_b32 s4, 0x3fb8aa3b
	v_mul_f32_e32 v7, 0x3fb8aa3b, v6
	v_fma_f32 v20, v6, s4, -v7
	v_rndne_f32_e32 v21, v7
	v_fmamk_f32 v20, v6, 0x32a5705f, v20
	v_sub_f32_e32 v7, v7, v21
	v_add_f32_e32 v7, v7, v20
	v_exp_f32_e32 v7, v7
	v_cvt_i32_f32_e32 v20, v21
	s_mov_b32 s4, 0xc2ce8ed0
	v_cmp_ngt_f32_e32 vcc, s4, v6
	s_mov_b32 s4, 0x42b17218
	v_ldexp_f32 v7, v7, v20
	v_cndmask_b32_e32 v7, 0, v7, vcc
	v_mov_b32_e32 v20, 0x7f800000
	v_cmp_nlt_f32_e32 vcc, s4, v6
	s_mov_b32 s4, 0x3f2aaaab
	s_mov_b32 s6, 0x7f800000
	v_cndmask_b32_e32 v54, v20, v7, vcc
	v_add_f32_e32 v20, 1.0, v54
	v_add_f32_e32 v6, -1.0, v20
	v_sub_f32_e32 v7, v6, v20
	v_add_f32_e32 v7, 1.0, v7
	v_sub_f32_e32 v6, v54, v6
	v_add_f32_e32 v21, v6, v7
	v_frexp_mant_f32_e32 v24, v20
	v_cvt_f64_f32_e32 v[6:7], v20
	v_frexp_exp_i32_f64_e32 v6, v[6:7]
	v_cmp_gt_f32_e32 vcc, s4, v24
	s_mov_b32 s4, 0x3f317218
	s_nop 0
	v_subbrev_co_u32_e32 v52, vcc, 0, v6, vcc
	v_sub_u32_e32 v6, 0, v52
	v_ldexp_f32 v7, v20, v6
	v_add_f32_e32 v20, -1.0, v7
	v_add_f32_e32 v24, 1.0, v7
	v_ldexp_f32 v6, v21, v6
	v_add_f32_e32 v21, 1.0, v20
	v_add_f32_e32 v25, -1.0, v24
	v_sub_f32_e32 v21, v7, v21
	v_sub_f32_e32 v7, v7, v25
	v_add_f32_e32 v21, v6, v21
	v_add_f32_e32 v6, v6, v7
	;; [unrolled: 1-line block ×3, first 2 shown]
	v_rcp_f32_e32 v96, v53
	v_sub_f32_e32 v7, v24, v53
	v_add_f32_e32 v64, v6, v7
	v_add_f32_e32 v7, v20, v21
	v_mul_f32_e32 v98, v7, v96
	v_sub_f32_e32 v6, v20, v7
	v_mul_f32_e32 v20, v53, v98
	v_fma_f32 v24, v98, v53, -v20
	v_fmac_f32_e32 v24, v98, v64
	v_add_f32_e32 v97, v21, v6
	v_add_f32_e32 v6, v20, v24
	v_sub_f32_e32 v21, v7, v6
	v_pk_add_f32 v[26:27], v[6:7], v[20:21] neg_lo:[0,1] neg_hi:[0,1]
	v_mov_b32_e32 v25, v6
	v_pk_add_f32 v[6:7], v[26:27], v[24:25] neg_lo:[0,1] neg_hi:[0,1]
	v_cmp_eq_f32_e32 vcc, s6, v54
	v_add_f32_e32 v7, v97, v7
	v_add_f32_e32 v6, v6, v7
	;; [unrolled: 1-line block ×3, first 2 shown]
	v_mul_f32_e32 v97, v96, v7
	v_mul_f32_e32 v20, v53, v97
	v_fma_f32 v24, v97, v53, -v20
	v_fmac_f32_e32 v24, v97, v64
	v_sub_f32_e32 v21, v21, v7
	v_add_f32_e32 v53, v6, v21
	v_add_f32_e32 v6, v20, v24
	v_sub_f32_e32 v21, v7, v6
	v_pk_add_f32 v[26:27], v[6:7], v[20:21] neg_lo:[0,1] neg_hi:[0,1]
	v_mov_b32_e32 v25, v6
	v_pk_add_f32 v[6:7], v[26:27], v[24:25] neg_lo:[0,1] neg_hi:[0,1]
	v_cvt_f32_i32_e32 v20, v52
	v_add_f32_e32 v7, v53, v7
	v_add_f32_e32 v6, v6, v7
	;; [unrolled: 1-line block ×4, first 2 shown]
	v_sub_f32_e32 v7, v21, v98
	v_mul_f32_e32 v6, v96, v6
	v_sub_f32_e32 v7, v97, v7
	v_add_f32_e32 v6, v7, v6
	v_add_f32_e32 v24, v21, v6
	v_mul_f32_e32 v26, v24, v24
	v_mov_b32_e32 v7, 0x3ecc95a3
	v_sub_f32_e32 v21, v24, v21
	v_fmac_f32_e32 v7, 0x3e9b6dac, v26
	v_sub_f32_e32 v6, v6, v21
	v_fmaak_f32 v7, v26, v7, 0x3f2aaada
	v_ldexp_f32 v27, v6, 1
	v_mul_f32_e32 v21, v24, v26
	v_mov_b32_e32 v6, 0x3f317218
	v_pk_mul_f32 v[6:7], v[20:21], v[6:7]
	v_ldexp_f32 v25, v24, 1
	v_fma_f32 v21, v20, s4, -v6
	v_fmamk_f32 v24, v20, 0xb102e308, v21
	v_pk_add_f32 v[20:21], v[6:7], v[24:25]
	v_mov_b32_e32 v26, v6
	v_sub_f32_e32 v25, v21, v25
	v_sub_f32_e32 v25, v7, v25
	v_add_f32_e32 v27, v27, v25
	v_pk_add_f32 v[6:7], v[20:21], v[6:7] neg_lo:[0,1] neg_hi:[0,1]
	v_pk_add_f32 v[52:53], v[20:21], v[26:27]
	v_mov_b32_e32 v25, v20
	v_mov_b32_e32 v7, v53
	v_pk_add_f32 v[96:97], v[24:25], v[6:7] neg_lo:[0,1] neg_hi:[0,1]
	v_pk_add_f32 v[6:7], v[24:25], v[6:7]
	v_mov_b32_e32 v26, v27
	v_mov_b32_e32 v24, v7
	v_pk_add_f32 v[98:99], v[24:25], v[20:21] neg_lo:[0,1] neg_hi:[0,1]
	v_mov_b32_e32 v6, v53
	v_mov_b32_e32 v25, v98
	s_waitcnt lgkmcnt(0)
	v_pk_add_f32 v[100:101], v[52:53], v[24:25] neg_lo:[0,1] neg_hi:[0,1]
	v_mov_b32_e32 v52, v21
	v_mov_b32_e32 v53, v98
	;; [unrolled: 1-line block ×3, first 2 shown]
	v_pk_add_f32 v[6:7], v[6:7], v[52:53] neg_lo:[0,1] neg_hi:[0,1]
	v_mov_b32_e32 v27, v20
	v_pk_add_f32 v[6:7], v[26:27], v[6:7] neg_lo:[0,1] neg_hi:[0,1]
	v_mov_b32_e32 v100, v96
	v_pk_add_f32 v[20:21], v[100:101], v[6:7]
	s_mov_b32 s4, 0x33800000
	v_mov_b32_e32 v26, v21
	v_pk_add_f32 v[26:27], v[20:21], v[26:27]
	v_cmp_lt_f32_e64 s[6:7], |v54|, s4
	v_pk_add_f32 v[24:25], v[24:25], v[26:27]
	v_mov_b32_e32 v7, v26
	v_mov_b32_e32 v21, v24
	v_pk_add_f32 v[52:53], v[20:21], v[96:97] neg_lo:[0,1] neg_hi:[0,1]
	s_or_b64 vcc, vcc, s[6:7]
	v_sub_f32_e32 v20, v20, v52
	v_pk_add_f32 v[6:7], v[6:7], v[52:53] neg_lo:[0,1] neg_hi:[0,1]
	v_sub_f32_e32 v20, v96, v20
	v_add_f32_e32 v6, v6, v20
	v_add_f32_e32 v6, v6, v7
	;; [unrolled: 1-line block ×3, first 2 shown]
	v_cndmask_b32_e32 v6, v6, v54, vcc
	v_add_f32_e32 v6, v3, v6
.LBB499_386:
	s_or_b64 exec, exec, s[2:3]
	v_bfe_u32 v3, v6, 16, 1
	v_add3_u32 v3, v6, v3, s5
	v_lshrrev_b32_e32 v3, 16, v3
	v_cmp_o_f32_e32 vcc, v6, v6
	s_movk_i32 s4, 0x1f8
	s_nop 0
	v_cndmask_b32_e32 v52, v2, v3, vcc
	v_lshlrev_b32_e32 v3, 16, v52
	v_max_f32_e32 v2, v3, v3
	v_min_f32_e32 v6, v2, v65
	v_cmp_u_f32_e32 vcc, v3, v3
	v_max_f32_e32 v2, v2, v65
	s_nop 0
	v_cndmask_b32_e32 v6, v6, v3, vcc
	v_cndmask_b32_e32 v2, v2, v3, vcc
	v_cndmask_b32_e64 v6, v6, v22, s[26:27]
	v_cndmask_b32_e64 v2, v2, v22, s[26:27]
	v_cmp_neq_f32_e32 vcc, v6, v2
	v_cmp_class_f32_e64 s[2:3], v6, s4
	s_or_b64 s[6:7], vcc, s[2:3]
	s_and_saveexec_b64 s[2:3], s[6:7]
	s_cbranch_execz .LBB499_388
; %bb.387:
	v_sub_f32_e32 v3, v6, v2
	s_mov_b32 s5, 0x3fb8aa3b
	v_mul_f32_e32 v6, 0x3fb8aa3b, v3
	v_fma_f32 v7, v3, s5, -v6
	v_rndne_f32_e32 v20, v6
	v_fmamk_f32 v7, v3, 0x32a5705f, v7
	v_sub_f32_e32 v6, v6, v20
	v_add_f32_e32 v6, v6, v7
	v_exp_f32_e32 v6, v6
	v_cvt_i32_f32_e32 v7, v20
	s_mov_b32 s5, 0xc2ce8ed0
	v_cmp_ngt_f32_e32 vcc, s5, v3
	s_mov_b32 s5, 0x42b17218
	v_ldexp_f32 v6, v6, v7
	v_cndmask_b32_e32 v6, 0, v6, vcc
	v_mov_b32_e32 v7, 0x7f800000
	v_cmp_nlt_f32_e32 vcc, s5, v3
	s_mov_b32 s5, 0x3f2aaaab
	s_mov_b32 s6, 0x7f800000
	v_cndmask_b32_e32 v53, v7, v6, vcc
	v_add_f32_e32 v3, 1.0, v53
	v_add_f32_e32 v6, -1.0, v3
	v_sub_f32_e32 v7, v6, v3
	v_add_f32_e32 v7, 1.0, v7
	v_sub_f32_e32 v6, v53, v6
	v_add_f32_e32 v20, v6, v7
	v_frexp_mant_f32_e32 v21, v3
	v_cvt_f64_f32_e32 v[6:7], v3
	v_frexp_exp_i32_f64_e32 v6, v[6:7]
	v_cmp_gt_f32_e32 vcc, s5, v21
	s_mov_b32 s5, 0x3f317218
	s_nop 0
	v_subbrev_co_u32_e32 v22, vcc, 0, v6, vcc
	v_sub_u32_e32 v6, 0, v22
	v_ldexp_f32 v3, v3, v6
	v_ldexp_f32 v6, v20, v6
	v_add_f32_e32 v20, -1.0, v3
	v_add_f32_e32 v7, 1.0, v20
	v_sub_f32_e32 v7, v3, v7
	v_add_f32_e32 v21, v6, v7
	v_add_f32_e32 v7, 1.0, v3
	v_add_f32_e32 v24, -1.0, v7
	v_sub_f32_e32 v3, v3, v24
	v_add_f32_e32 v3, v6, v3
	v_add_f32_e32 v54, v7, v3
	v_rcp_f32_e32 v64, v54
	v_sub_f32_e32 v6, v7, v54
	v_add_f32_e32 v7, v20, v21
	v_add_f32_e32 v3, v3, v6
	v_mul_f32_e32 v96, v7, v64
	v_sub_f32_e32 v6, v20, v7
	v_mul_f32_e32 v20, v54, v96
	v_fma_f32 v24, v96, v54, -v20
	v_fmac_f32_e32 v24, v96, v3
	v_add_f32_e32 v65, v21, v6
	v_add_f32_e32 v6, v20, v24
	v_sub_f32_e32 v21, v7, v6
	v_pk_add_f32 v[26:27], v[6:7], v[20:21] neg_lo:[0,1] neg_hi:[0,1]
	v_mov_b32_e32 v25, v6
	v_pk_add_f32 v[6:7], v[26:27], v[24:25] neg_lo:[0,1] neg_hi:[0,1]
	v_cmp_eq_f32_e32 vcc, s6, v53
	v_add_f32_e32 v7, v65, v7
	v_add_f32_e32 v6, v6, v7
	;; [unrolled: 1-line block ×3, first 2 shown]
	v_mul_f32_e32 v65, v64, v7
	v_mul_f32_e32 v20, v54, v65
	v_fma_f32 v24, v65, v54, -v20
	v_fmac_f32_e32 v24, v65, v3
	v_sub_f32_e32 v3, v21, v7
	v_add_f32_e32 v3, v6, v3
	v_add_f32_e32 v6, v20, v24
	v_sub_f32_e32 v21, v7, v6
	v_pk_add_f32 v[26:27], v[6:7], v[20:21] neg_lo:[0,1] neg_hi:[0,1]
	v_mov_b32_e32 v25, v6
	v_pk_add_f32 v[6:7], v[26:27], v[24:25] neg_lo:[0,1] neg_hi:[0,1]
	v_cvt_f32_i32_e32 v20, v22
	v_add_f32_e32 v3, v3, v7
	v_add_f32_e32 v3, v6, v3
	;; [unrolled: 1-line block ×4, first 2 shown]
	v_sub_f32_e32 v7, v6, v96
	v_mul_f32_e32 v3, v64, v3
	v_sub_f32_e32 v7, v65, v7
	v_add_f32_e32 v3, v7, v3
	v_add_f32_e32 v21, v6, v3
	v_mul_f32_e32 v24, v21, v21
	v_mov_b32_e32 v7, 0x3ecc95a3
	v_fmac_f32_e32 v7, 0x3e9b6dac, v24
	v_sub_f32_e32 v6, v21, v6
	v_fmaak_f32 v7, v24, v7, 0x3f2aaada
	v_sub_f32_e32 v3, v3, v6
	v_ldexp_f32 v25, v21, 1
	v_mul_f32_e32 v21, v21, v24
	v_mov_b32_e32 v6, 0x3f317218
	v_pk_mul_f32 v[6:7], v[20:21], v[6:7]
	v_ldexp_f32 v3, v3, 1
	v_fma_f32 v21, v20, s5, -v6
	v_fmamk_f32 v24, v20, 0xb102e308, v21
	v_pk_add_f32 v[20:21], v[6:7], v[24:25]
	v_mov_b32_e32 v26, v6
	v_sub_f32_e32 v22, v21, v25
	v_sub_f32_e32 v22, v7, v22
	v_add_f32_e32 v27, v3, v22
	v_pk_add_f32 v[6:7], v[20:21], v[6:7] neg_lo:[0,1] neg_hi:[0,1]
	v_pk_add_f32 v[64:65], v[20:21], v[26:27]
	v_mov_b32_e32 v25, v20
	v_mov_b32_e32 v7, v65
	v_pk_add_f32 v[96:97], v[24:25], v[6:7] neg_lo:[0,1] neg_hi:[0,1]
	v_pk_add_f32 v[6:7], v[24:25], v[6:7]
	s_mov_b32 s5, 0x33800000
	v_mov_b32_e32 v22, v7
	v_pk_add_f32 v[24:25], v[22:23], v[20:21] neg_lo:[0,1] neg_hi:[0,1]
	v_mov_b32_e32 v6, v65
	v_mov_b32_e32 v3, v24
	v_pk_add_f32 v[98:99], v[64:65], v[2:3] neg_lo:[0,1] neg_hi:[0,1]
	v_mov_b32_e32 v64, v21
	v_mov_b32_e32 v65, v24
	;; [unrolled: 1-line block ×3, first 2 shown]
	v_pk_add_f32 v[6:7], v[6:7], v[64:65] neg_lo:[0,1] neg_hi:[0,1]
	v_mov_b32_e32 v24, v27
	v_mov_b32_e32 v25, v20
	v_pk_add_f32 v[6:7], v[24:25], v[6:7] neg_lo:[0,1] neg_hi:[0,1]
	v_mov_b32_e32 v98, v96
	v_pk_add_f32 v[20:21], v[98:99], v[6:7]
	v_cmp_lt_f32_e64 s[6:7], |v53|, s5
	v_mov_b32_e32 v24, v21
	v_pk_add_f32 v[24:25], v[20:21], v[24:25]
	s_or_b64 vcc, vcc, s[6:7]
	v_pk_add_f32 v[26:27], v[22:23], v[24:25]
	v_mov_b32_e32 v7, v24
	v_mov_b32_e32 v21, v26
	v_pk_add_f32 v[64:65], v[20:21], v[96:97] neg_lo:[0,1] neg_hi:[0,1]
	s_nop 0
	v_sub_f32_e32 v3, v20, v64
	v_pk_add_f32 v[6:7], v[6:7], v[64:65] neg_lo:[0,1] neg_hi:[0,1]
	v_sub_f32_e32 v3, v96, v3
	v_add_f32_e32 v3, v6, v3
	v_add_f32_e32 v3, v3, v7
	;; [unrolled: 1-line block ×3, first 2 shown]
	v_cndmask_b32_e32 v3, v3, v53, vcc
	v_add_f32_e32 v3, v2, v3
.LBB499_388:
	s_or_b64 exec, exec, s[2:3]
	v_bfe_u32 v2, v3, 16, 1
	s_movk_i32 s5, 0x7fff
	v_add3_u32 v2, v3, v2, s5
	v_lshrrev_b32_e32 v6, 16, v2
	v_mov_b32_e32 v2, 0x7fc0
	v_cmp_o_f32_e32 vcc, v3, v3
	s_nop 1
	v_cndmask_b32_e32 v53, v2, v6, vcc
	v_lshlrev_b32_e32 v6, 16, v53
	v_max_f32_e32 v3, v6, v6
	v_min_f32_e32 v7, v3, v67
	v_cmp_u_f32_e32 vcc, v6, v6
	v_max_f32_e32 v3, v3, v67
	s_nop 0
	v_cndmask_b32_e32 v7, v7, v6, vcc
	v_cndmask_b32_e32 v3, v3, v6, vcc
	v_cndmask_b32_e64 v7, v7, v55, s[28:29]
	v_cndmask_b32_e64 v3, v3, v55, s[28:29]
	v_cmp_neq_f32_e32 vcc, v7, v3
	v_cmp_class_f32_e64 s[2:3], v7, s4
	s_or_b64 s[6:7], vcc, s[2:3]
	s_and_saveexec_b64 s[2:3], s[6:7]
	s_cbranch_execz .LBB499_390
; %bb.389:
	v_sub_f32_e32 v6, v7, v3
	s_mov_b32 s4, 0x3fb8aa3b
	v_mul_f32_e32 v7, 0x3fb8aa3b, v6
	v_fma_f32 v20, v6, s4, -v7
	v_rndne_f32_e32 v21, v7
	v_fmamk_f32 v20, v6, 0x32a5705f, v20
	v_sub_f32_e32 v7, v7, v21
	v_add_f32_e32 v7, v7, v20
	v_exp_f32_e32 v7, v7
	v_cvt_i32_f32_e32 v20, v21
	s_mov_b32 s4, 0xc2ce8ed0
	v_cmp_ngt_f32_e32 vcc, s4, v6
	s_mov_b32 s4, 0x42b17218
	v_ldexp_f32 v7, v7, v20
	v_cndmask_b32_e32 v7, 0, v7, vcc
	v_mov_b32_e32 v20, 0x7f800000
	v_cmp_nlt_f32_e32 vcc, s4, v6
	s_mov_b32 s4, 0x3f2aaaab
	s_mov_b32 s6, 0x7f800000
	v_cndmask_b32_e32 v67, v20, v7, vcc
	v_add_f32_e32 v20, 1.0, v67
	v_add_f32_e32 v6, -1.0, v20
	v_sub_f32_e32 v7, v6, v20
	v_add_f32_e32 v7, 1.0, v7
	v_sub_f32_e32 v6, v67, v6
	v_add_f32_e32 v21, v6, v7
	v_frexp_mant_f32_e32 v22, v20
	v_cvt_f64_f32_e32 v[6:7], v20
	v_frexp_exp_i32_f64_e32 v6, v[6:7]
	v_cmp_gt_f32_e32 vcc, s4, v22
	s_mov_b32 s4, 0x3f317218
	s_nop 0
	v_subbrev_co_u32_e32 v22, vcc, 0, v6, vcc
	v_sub_u32_e32 v6, 0, v22
	v_ldexp_f32 v7, v20, v6
	v_add_f32_e32 v20, -1.0, v7
	v_add_f32_e32 v24, 1.0, v7
	v_ldexp_f32 v6, v21, v6
	v_add_f32_e32 v21, 1.0, v20
	v_add_f32_e32 v25, -1.0, v24
	v_sub_f32_e32 v21, v7, v21
	v_sub_f32_e32 v7, v7, v25
	v_add_f32_e32 v21, v6, v21
	v_add_f32_e32 v6, v6, v7
	;; [unrolled: 1-line block ×3, first 2 shown]
	v_rcp_f32_e32 v64, v54
	v_sub_f32_e32 v7, v24, v54
	v_add_f32_e32 v55, v6, v7
	v_add_f32_e32 v7, v20, v21
	v_mul_f32_e32 v96, v7, v64
	v_sub_f32_e32 v6, v20, v7
	v_mul_f32_e32 v20, v54, v96
	v_fma_f32 v24, v96, v54, -v20
	v_fmac_f32_e32 v24, v96, v55
	v_add_f32_e32 v65, v21, v6
	v_add_f32_e32 v6, v20, v24
	v_sub_f32_e32 v21, v7, v6
	v_pk_add_f32 v[26:27], v[6:7], v[20:21] neg_lo:[0,1] neg_hi:[0,1]
	v_mov_b32_e32 v25, v6
	v_pk_add_f32 v[6:7], v[26:27], v[24:25] neg_lo:[0,1] neg_hi:[0,1]
	v_cmp_eq_f32_e32 vcc, s6, v67
	v_add_f32_e32 v7, v65, v7
	v_add_f32_e32 v6, v6, v7
	;; [unrolled: 1-line block ×3, first 2 shown]
	v_mul_f32_e32 v65, v64, v7
	v_mul_f32_e32 v20, v54, v65
	v_fma_f32 v24, v65, v54, -v20
	v_fmac_f32_e32 v24, v65, v55
	v_sub_f32_e32 v21, v21, v7
	v_add_f32_e32 v54, v6, v21
	v_add_f32_e32 v6, v20, v24
	v_sub_f32_e32 v21, v7, v6
	v_pk_add_f32 v[26:27], v[6:7], v[20:21] neg_lo:[0,1] neg_hi:[0,1]
	v_mov_b32_e32 v25, v6
	v_pk_add_f32 v[6:7], v[26:27], v[24:25] neg_lo:[0,1] neg_hi:[0,1]
	v_cvt_f32_i32_e32 v20, v22
	v_add_f32_e32 v7, v54, v7
	v_add_f32_e32 v6, v6, v7
	;; [unrolled: 1-line block ×4, first 2 shown]
	v_sub_f32_e32 v7, v21, v96
	v_mul_f32_e32 v6, v64, v6
	v_sub_f32_e32 v7, v65, v7
	v_add_f32_e32 v6, v7, v6
	v_add_f32_e32 v24, v21, v6
	v_mul_f32_e32 v26, v24, v24
	v_mov_b32_e32 v7, 0x3ecc95a3
	v_sub_f32_e32 v21, v24, v21
	v_fmac_f32_e32 v7, 0x3e9b6dac, v26
	v_sub_f32_e32 v6, v6, v21
	v_fmaak_f32 v7, v26, v7, 0x3f2aaada
	v_ldexp_f32 v22, v6, 1
	v_mul_f32_e32 v21, v24, v26
	v_mov_b32_e32 v6, 0x3f317218
	v_pk_mul_f32 v[6:7], v[20:21], v[6:7]
	v_ldexp_f32 v25, v24, 1
	v_fma_f32 v21, v20, s4, -v6
	v_fmamk_f32 v24, v20, 0xb102e308, v21
	v_pk_add_f32 v[20:21], v[6:7], v[24:25]
	v_mov_b32_e32 v26, v6
	v_sub_f32_e32 v25, v21, v25
	v_sub_f32_e32 v25, v7, v25
	v_add_f32_e32 v27, v22, v25
	v_pk_add_f32 v[6:7], v[20:21], v[6:7] neg_lo:[0,1] neg_hi:[0,1]
	v_pk_add_f32 v[54:55], v[20:21], v[26:27]
	v_mov_b32_e32 v25, v20
	v_mov_b32_e32 v7, v55
	v_pk_add_f32 v[64:65], v[24:25], v[6:7] neg_lo:[0,1] neg_hi:[0,1]
	v_pk_add_f32 v[6:7], v[24:25], v[6:7]
	s_mov_b32 s4, 0x33800000
	v_mov_b32_e32 v22, v7
	v_pk_add_f32 v[24:25], v[22:23], v[20:21] neg_lo:[0,1] neg_hi:[0,1]
	v_mov_b32_e32 v6, v55
	v_mov_b32_e32 v25, v24
	v_pk_add_f32 v[96:97], v[54:55], v[24:25] neg_lo:[0,1] neg_hi:[0,1]
	v_mov_b32_e32 v54, v21
	v_mov_b32_e32 v55, v24
	;; [unrolled: 1-line block ×3, first 2 shown]
	v_pk_add_f32 v[6:7], v[6:7], v[54:55] neg_lo:[0,1] neg_hi:[0,1]
	v_mov_b32_e32 v24, v27
	v_mov_b32_e32 v25, v20
	v_pk_add_f32 v[6:7], v[24:25], v[6:7] neg_lo:[0,1] neg_hi:[0,1]
	v_mov_b32_e32 v96, v64
	v_pk_add_f32 v[20:21], v[96:97], v[6:7]
	v_cmp_lt_f32_e64 s[6:7], |v67|, s4
	v_mov_b32_e32 v24, v21
	v_pk_add_f32 v[24:25], v[20:21], v[24:25]
	s_or_b64 vcc, vcc, s[6:7]
	v_pk_add_f32 v[26:27], v[22:23], v[24:25]
	v_mov_b32_e32 v7, v24
	v_mov_b32_e32 v21, v26
	v_pk_add_f32 v[54:55], v[20:21], v[64:65] neg_lo:[0,1] neg_hi:[0,1]
	s_nop 0
	v_sub_f32_e32 v20, v20, v54
	v_pk_add_f32 v[6:7], v[6:7], v[54:55] neg_lo:[0,1] neg_hi:[0,1]
	v_sub_f32_e32 v20, v64, v20
	v_add_f32_e32 v6, v6, v20
	v_add_f32_e32 v6, v6, v7
	;; [unrolled: 1-line block ×3, first 2 shown]
	v_cndmask_b32_e32 v6, v6, v67, vcc
	v_add_f32_e32 v6, v3, v6
.LBB499_390:
	s_or_b64 exec, exec, s[2:3]
	v_bfe_u32 v3, v6, 16, 1
	v_add3_u32 v3, v6, v3, s5
	v_lshrrev_b32_e32 v3, 16, v3
	v_cmp_o_f32_e32 vcc, v6, v6
	s_movk_i32 s4, 0x1f8
	s_nop 0
	v_cndmask_b32_e32 v54, v2, v3, vcc
	v_lshlrev_b32_e32 v3, 16, v54
	v_max_f32_e32 v2, v3, v3
	v_min_f32_e32 v6, v2, v68
	v_cmp_u_f32_e32 vcc, v3, v3
	v_max_f32_e32 v2, v2, v68
	s_nop 0
	v_cndmask_b32_e32 v6, v6, v3, vcc
	v_cndmask_b32_e32 v2, v2, v3, vcc
	v_cndmask_b32_e64 v6, v6, v23, s[30:31]
	v_cndmask_b32_e64 v2, v2, v23, s[30:31]
	v_cmp_neq_f32_e32 vcc, v6, v2
	v_cmp_class_f32_e64 s[2:3], v6, s4
	s_or_b64 s[6:7], vcc, s[2:3]
	s_and_saveexec_b64 s[2:3], s[6:7]
	s_cbranch_execz .LBB499_392
; %bb.391:
	v_sub_f32_e32 v3, v6, v2
	s_mov_b32 s5, 0x3fb8aa3b
	v_mul_f32_e32 v6, 0x3fb8aa3b, v3
	v_fma_f32 v7, v3, s5, -v6
	v_rndne_f32_e32 v20, v6
	v_fmamk_f32 v7, v3, 0x32a5705f, v7
	v_sub_f32_e32 v6, v6, v20
	v_add_f32_e32 v6, v6, v7
	v_exp_f32_e32 v6, v6
	v_cvt_i32_f32_e32 v7, v20
	s_mov_b32 s5, 0xc2ce8ed0
	v_cmp_ngt_f32_e32 vcc, s5, v3
	s_mov_b32 s5, 0x42b17218
	v_ldexp_f32 v6, v6, v7
	v_cndmask_b32_e32 v6, 0, v6, vcc
	v_mov_b32_e32 v7, 0x7f800000
	v_cmp_nlt_f32_e32 vcc, s5, v3
	s_mov_b32 s5, 0x3f2aaaab
	s_mov_b32 s6, 0x7f800000
	v_cndmask_b32_e32 v55, v7, v6, vcc
	v_add_f32_e32 v3, 1.0, v55
	v_add_f32_e32 v6, -1.0, v3
	v_sub_f32_e32 v7, v6, v3
	v_add_f32_e32 v7, 1.0, v7
	v_sub_f32_e32 v6, v55, v6
	v_add_f32_e32 v20, v6, v7
	v_frexp_mant_f32_e32 v21, v3
	v_cvt_f64_f32_e32 v[6:7], v3
	v_frexp_exp_i32_f64_e32 v6, v[6:7]
	v_cmp_gt_f32_e32 vcc, s5, v21
	s_mov_b32 s5, 0x3f317218
	s_nop 0
	v_subbrev_co_u32_e32 v26, vcc, 0, v6, vcc
	v_sub_u32_e32 v6, 0, v26
	v_ldexp_f32 v3, v3, v6
	v_ldexp_f32 v6, v20, v6
	v_add_f32_e32 v20, -1.0, v3
	v_add_f32_e32 v7, 1.0, v20
	v_sub_f32_e32 v7, v3, v7
	v_add_f32_e32 v21, v6, v7
	v_add_f32_e32 v7, 1.0, v3
	v_add_f32_e32 v22, -1.0, v7
	v_sub_f32_e32 v3, v3, v22
	v_add_f32_e32 v3, v6, v3
	v_add_f32_e32 v27, v7, v3
	v_rcp_f32_e32 v64, v27
	v_sub_f32_e32 v6, v7, v27
	v_add_f32_e32 v7, v20, v21
	v_add_f32_e32 v3, v3, v6
	v_mul_f32_e32 v67, v7, v64
	v_sub_f32_e32 v6, v20, v7
	v_mul_f32_e32 v20, v27, v67
	v_fma_f32 v22, v67, v27, -v20
	v_fmac_f32_e32 v22, v67, v3
	v_add_f32_e32 v65, v21, v6
	v_add_f32_e32 v6, v20, v22
	v_sub_f32_e32 v21, v7, v6
	v_pk_add_f32 v[24:25], v[6:7], v[20:21] neg_lo:[0,1] neg_hi:[0,1]
	v_mov_b32_e32 v23, v6
	v_pk_add_f32 v[6:7], v[24:25], v[22:23] neg_lo:[0,1] neg_hi:[0,1]
	v_cmp_eq_f32_e32 vcc, s6, v55
	v_add_f32_e32 v7, v65, v7
	v_add_f32_e32 v6, v6, v7
	;; [unrolled: 1-line block ×3, first 2 shown]
	v_mul_f32_e32 v65, v64, v7
	v_mul_f32_e32 v20, v27, v65
	v_fma_f32 v22, v65, v27, -v20
	v_fmac_f32_e32 v22, v65, v3
	v_sub_f32_e32 v3, v21, v7
	v_add_f32_e32 v3, v6, v3
	v_add_f32_e32 v6, v20, v22
	v_sub_f32_e32 v21, v7, v6
	v_pk_add_f32 v[24:25], v[6:7], v[20:21] neg_lo:[0,1] neg_hi:[0,1]
	v_mov_b32_e32 v23, v6
	v_pk_add_f32 v[6:7], v[24:25], v[22:23] neg_lo:[0,1] neg_hi:[0,1]
	v_cvt_f32_i32_e32 v20, v26
	v_add_f32_e32 v3, v3, v7
	v_add_f32_e32 v3, v6, v3
	;; [unrolled: 1-line block ×4, first 2 shown]
	v_sub_f32_e32 v7, v6, v67
	v_mul_f32_e32 v3, v64, v3
	v_sub_f32_e32 v7, v65, v7
	v_add_f32_e32 v3, v7, v3
	v_add_f32_e32 v21, v6, v3
	v_mul_f32_e32 v22, v21, v21
	v_mov_b32_e32 v7, 0x3ecc95a3
	v_fmac_f32_e32 v7, 0x3e9b6dac, v22
	v_sub_f32_e32 v6, v21, v6
	v_fmaak_f32 v7, v22, v7, 0x3f2aaada
	v_sub_f32_e32 v3, v3, v6
	v_ldexp_f32 v23, v21, 1
	v_mul_f32_e32 v21, v21, v22
	v_mov_b32_e32 v6, 0x3f317218
	v_pk_mul_f32 v[6:7], v[20:21], v[6:7]
	v_ldexp_f32 v3, v3, 1
	v_fma_f32 v21, v20, s5, -v6
	v_fmamk_f32 v22, v20, 0xb102e308, v21
	v_pk_add_f32 v[20:21], v[6:7], v[22:23]
	v_mov_b32_e32 v24, v6
	v_sub_f32_e32 v23, v21, v23
	v_sub_f32_e32 v23, v7, v23
	v_add_f32_e32 v25, v3, v23
	v_pk_add_f32 v[6:7], v[20:21], v[6:7] neg_lo:[0,1] neg_hi:[0,1]
	v_pk_add_f32 v[26:27], v[20:21], v[24:25]
	v_mov_b32_e32 v23, v20
	v_mov_b32_e32 v7, v27
	v_pk_add_f32 v[64:65], v[22:23], v[6:7] neg_lo:[0,1] neg_hi:[0,1]
	v_pk_add_f32 v[6:7], v[22:23], v[6:7]
	v_mov_b32_e32 v24, v25
	v_mov_b32_e32 v22, v7
	v_pk_add_f32 v[96:97], v[22:23], v[20:21] neg_lo:[0,1] neg_hi:[0,1]
	v_mov_b32_e32 v6, v27
	v_mov_b32_e32 v3, v96
	v_pk_add_f32 v[98:99], v[26:27], v[2:3] neg_lo:[0,1] neg_hi:[0,1]
	v_mov_b32_e32 v26, v21
	v_mov_b32_e32 v27, v96
	;; [unrolled: 1-line block ×3, first 2 shown]
	v_pk_add_f32 v[6:7], v[6:7], v[26:27] neg_lo:[0,1] neg_hi:[0,1]
	v_mov_b32_e32 v25, v20
	v_pk_add_f32 v[6:7], v[24:25], v[6:7] neg_lo:[0,1] neg_hi:[0,1]
	v_mov_b32_e32 v98, v64
	v_pk_add_f32 v[20:21], v[98:99], v[6:7]
	s_mov_b32 s5, 0x33800000
	v_mov_b32_e32 v24, v21
	v_pk_add_f32 v[24:25], v[20:21], v[24:25]
	v_cmp_lt_f32_e64 s[6:7], |v55|, s5
	v_pk_add_f32 v[22:23], v[22:23], v[24:25]
	v_mov_b32_e32 v7, v24
	v_mov_b32_e32 v21, v22
	v_pk_add_f32 v[26:27], v[20:21], v[64:65] neg_lo:[0,1] neg_hi:[0,1]
	s_or_b64 vcc, vcc, s[6:7]
	v_sub_f32_e32 v3, v20, v26
	v_pk_add_f32 v[6:7], v[6:7], v[26:27] neg_lo:[0,1] neg_hi:[0,1]
	v_sub_f32_e32 v3, v64, v3
	v_add_f32_e32 v3, v6, v3
	v_add_f32_e32 v3, v3, v7
	;; [unrolled: 1-line block ×3, first 2 shown]
	v_cndmask_b32_e32 v3, v3, v55, vcc
	v_add_f32_e32 v3, v2, v3
.LBB499_392:
	s_or_b64 exec, exec, s[2:3]
	v_bfe_u32 v2, v3, 16, 1
	s_movk_i32 s5, 0x7fff
	v_add3_u32 v2, v3, v2, s5
	v_lshrrev_b32_e32 v6, 16, v2
	v_mov_b32_e32 v2, 0x7fc0
	v_cmp_o_f32_e32 vcc, v3, v3
	s_nop 1
	v_cndmask_b32_e32 v55, v2, v6, vcc
	v_lshlrev_b32_e32 v6, 16, v55
	v_max_f32_e32 v3, v6, v6
	v_min_f32_e32 v7, v3, v70
	v_cmp_u_f32_e32 vcc, v6, v6
	v_max_f32_e32 v3, v3, v70
	s_nop 0
	v_cndmask_b32_e32 v7, v7, v6, vcc
	v_cndmask_b32_e32 v3, v3, v6, vcc
	v_cndmask_b32_e64 v7, v7, v66, s[34:35]
	v_cndmask_b32_e64 v3, v3, v66, s[34:35]
	v_cmp_neq_f32_e32 vcc, v7, v3
	v_cmp_class_f32_e64 s[2:3], v7, s4
	s_or_b64 s[6:7], vcc, s[2:3]
	s_and_saveexec_b64 s[2:3], s[6:7]
	s_cbranch_execz .LBB499_394
; %bb.393:
	v_sub_f32_e32 v6, v7, v3
	s_mov_b32 s4, 0x3fb8aa3b
	v_mul_f32_e32 v7, 0x3fb8aa3b, v6
	v_fma_f32 v20, v6, s4, -v7
	v_rndne_f32_e32 v21, v7
	v_fmamk_f32 v20, v6, 0x32a5705f, v20
	v_sub_f32_e32 v7, v7, v21
	v_add_f32_e32 v7, v7, v20
	v_exp_f32_e32 v7, v7
	v_cvt_i32_f32_e32 v20, v21
	s_mov_b32 s4, 0xc2ce8ed0
	v_cmp_ngt_f32_e32 vcc, s4, v6
	s_mov_b32 s4, 0x42b17218
	v_ldexp_f32 v7, v7, v20
	v_cndmask_b32_e32 v7, 0, v7, vcc
	v_mov_b32_e32 v20, 0x7f800000
	v_cmp_nlt_f32_e32 vcc, s4, v6
	s_mov_b32 s4, 0x3f2aaaab
	s_mov_b32 s6, 0x7f800000
	v_cndmask_b32_e32 v68, v20, v7, vcc
	v_add_f32_e32 v20, 1.0, v68
	v_add_f32_e32 v6, -1.0, v20
	v_sub_f32_e32 v7, v6, v20
	v_add_f32_e32 v7, 1.0, v7
	v_sub_f32_e32 v6, v68, v6
	v_add_f32_e32 v21, v6, v7
	v_frexp_mant_f32_e32 v22, v20
	v_cvt_f64_f32_e32 v[6:7], v20
	v_frexp_exp_i32_f64_e32 v6, v[6:7]
	v_cmp_gt_f32_e32 vcc, s4, v22
	s_mov_b32 s4, 0x3f317218
	s_nop 0
	v_subbrev_co_u32_e32 v26, vcc, 0, v6, vcc
	v_sub_u32_e32 v6, 0, v26
	v_ldexp_f32 v7, v20, v6
	v_add_f32_e32 v20, -1.0, v7
	v_add_f32_e32 v22, 1.0, v7
	v_ldexp_f32 v6, v21, v6
	v_add_f32_e32 v21, 1.0, v20
	v_add_f32_e32 v23, -1.0, v22
	v_sub_f32_e32 v21, v7, v21
	v_sub_f32_e32 v7, v7, v23
	v_add_f32_e32 v21, v6, v21
	v_add_f32_e32 v6, v6, v7
	;; [unrolled: 1-line block ×3, first 2 shown]
	v_rcp_f32_e32 v65, v27
	v_sub_f32_e32 v7, v22, v27
	v_add_f32_e32 v64, v6, v7
	v_add_f32_e32 v7, v20, v21
	v_mul_f32_e32 v67, v7, v65
	v_sub_f32_e32 v6, v20, v7
	v_mul_f32_e32 v20, v27, v67
	v_fma_f32 v22, v67, v27, -v20
	v_fmac_f32_e32 v22, v67, v64
	v_add_f32_e32 v66, v21, v6
	v_add_f32_e32 v6, v20, v22
	v_sub_f32_e32 v21, v7, v6
	v_pk_add_f32 v[24:25], v[6:7], v[20:21] neg_lo:[0,1] neg_hi:[0,1]
	v_mov_b32_e32 v23, v6
	v_pk_add_f32 v[6:7], v[24:25], v[22:23] neg_lo:[0,1] neg_hi:[0,1]
	v_cmp_eq_f32_e32 vcc, s6, v68
	v_add_f32_e32 v7, v66, v7
	v_add_f32_e32 v6, v6, v7
	;; [unrolled: 1-line block ×3, first 2 shown]
	v_mul_f32_e32 v66, v65, v7
	v_mul_f32_e32 v20, v27, v66
	v_fma_f32 v22, v66, v27, -v20
	v_fmac_f32_e32 v22, v66, v64
	v_sub_f32_e32 v21, v21, v7
	v_add_f32_e32 v27, v6, v21
	v_add_f32_e32 v6, v20, v22
	v_sub_f32_e32 v21, v7, v6
	v_pk_add_f32 v[24:25], v[6:7], v[20:21] neg_lo:[0,1] neg_hi:[0,1]
	v_mov_b32_e32 v23, v6
	v_pk_add_f32 v[6:7], v[24:25], v[22:23] neg_lo:[0,1] neg_hi:[0,1]
	v_cvt_f32_i32_e32 v20, v26
	v_add_f32_e32 v7, v27, v7
	v_add_f32_e32 v6, v6, v7
	;; [unrolled: 1-line block ×4, first 2 shown]
	v_sub_f32_e32 v7, v21, v67
	v_mul_f32_e32 v6, v65, v6
	v_sub_f32_e32 v7, v66, v7
	v_add_f32_e32 v6, v7, v6
	v_add_f32_e32 v22, v21, v6
	v_mul_f32_e32 v24, v22, v22
	v_mov_b32_e32 v7, 0x3ecc95a3
	v_sub_f32_e32 v21, v22, v21
	v_fmac_f32_e32 v7, 0x3e9b6dac, v24
	v_sub_f32_e32 v6, v6, v21
	v_fmaak_f32 v7, v24, v7, 0x3f2aaada
	v_ldexp_f32 v25, v6, 1
	v_mul_f32_e32 v21, v22, v24
	v_mov_b32_e32 v6, 0x3f317218
	v_pk_mul_f32 v[6:7], v[20:21], v[6:7]
	v_ldexp_f32 v23, v22, 1
	v_fma_f32 v21, v20, s4, -v6
	v_fmamk_f32 v22, v20, 0xb102e308, v21
	v_pk_add_f32 v[20:21], v[6:7], v[22:23]
	v_mov_b32_e32 v24, v6
	v_sub_f32_e32 v23, v21, v23
	v_sub_f32_e32 v23, v7, v23
	v_add_f32_e32 v25, v25, v23
	v_pk_add_f32 v[6:7], v[20:21], v[6:7] neg_lo:[0,1] neg_hi:[0,1]
	v_pk_add_f32 v[26:27], v[20:21], v[24:25]
	v_mov_b32_e32 v23, v20
	v_mov_b32_e32 v7, v27
	v_pk_add_f32 v[64:65], v[22:23], v[6:7] neg_lo:[0,1] neg_hi:[0,1]
	v_pk_add_f32 v[6:7], v[22:23], v[6:7]
	v_mov_b32_e32 v24, v25
	v_mov_b32_e32 v22, v7
	v_pk_add_f32 v[66:67], v[22:23], v[20:21] neg_lo:[0,1] neg_hi:[0,1]
	v_mov_b32_e32 v6, v27
	v_mov_b32_e32 v23, v66
	v_pk_add_f32 v[96:97], v[26:27], v[22:23] neg_lo:[0,1] neg_hi:[0,1]
	v_mov_b32_e32 v26, v21
	v_mov_b32_e32 v27, v66
	;; [unrolled: 1-line block ×3, first 2 shown]
	v_pk_add_f32 v[6:7], v[6:7], v[26:27] neg_lo:[0,1] neg_hi:[0,1]
	v_mov_b32_e32 v25, v20
	v_pk_add_f32 v[6:7], v[24:25], v[6:7] neg_lo:[0,1] neg_hi:[0,1]
	v_mov_b32_e32 v96, v64
	v_pk_add_f32 v[20:21], v[96:97], v[6:7]
	s_mov_b32 s4, 0x33800000
	v_mov_b32_e32 v24, v21
	v_pk_add_f32 v[24:25], v[20:21], v[24:25]
	v_cmp_lt_f32_e64 s[6:7], |v68|, s4
	v_pk_add_f32 v[22:23], v[22:23], v[24:25]
	v_mov_b32_e32 v7, v24
	v_mov_b32_e32 v21, v22
	v_pk_add_f32 v[26:27], v[20:21], v[64:65] neg_lo:[0,1] neg_hi:[0,1]
	s_or_b64 vcc, vcc, s[6:7]
	v_sub_f32_e32 v20, v20, v26
	v_pk_add_f32 v[6:7], v[6:7], v[26:27] neg_lo:[0,1] neg_hi:[0,1]
	v_sub_f32_e32 v20, v64, v20
	v_add_f32_e32 v6, v6, v20
	v_add_f32_e32 v6, v6, v7
	;; [unrolled: 1-line block ×3, first 2 shown]
	v_cndmask_b32_e32 v6, v6, v68, vcc
	v_add_f32_e32 v6, v3, v6
.LBB499_394:
	s_or_b64 exec, exec, s[2:3]
	v_bfe_u32 v3, v6, 16, 1
	v_add3_u32 v3, v6, v3, s5
	v_lshrrev_b32_e32 v3, 16, v3
	v_cmp_o_f32_e32 vcc, v6, v6
	s_movk_i32 s4, 0x1f8
	s_nop 0
	v_cndmask_b32_e32 v64, v2, v3, vcc
	v_lshlrev_b32_e32 v3, 16, v64
	v_max_f32_e32 v2, v3, v3
	v_min_f32_e32 v6, v2, v71
	v_cmp_u_f32_e32 vcc, v3, v3
	v_max_f32_e32 v2, v2, v71
	s_nop 0
	v_cndmask_b32_e32 v6, v6, v3, vcc
	v_cndmask_b32_e32 v2, v2, v3, vcc
	v_cndmask_b32_e64 v6, v6, v16, s[36:37]
	v_cndmask_b32_e64 v2, v2, v16, s[36:37]
	v_cmp_neq_f32_e32 vcc, v6, v2
	v_cmp_class_f32_e64 s[2:3], v6, s4
	s_or_b64 s[6:7], vcc, s[2:3]
	s_and_saveexec_b64 s[2:3], s[6:7]
	s_cbranch_execz .LBB499_396
; %bb.395:
	v_sub_f32_e32 v3, v6, v2
	s_mov_b32 s5, 0x3fb8aa3b
	v_mul_f32_e32 v6, 0x3fb8aa3b, v3
	v_fma_f32 v7, v3, s5, -v6
	v_rndne_f32_e32 v16, v6
	v_fmamk_f32 v7, v3, 0x32a5705f, v7
	v_sub_f32_e32 v6, v6, v16
	v_add_f32_e32 v6, v6, v7
	v_exp_f32_e32 v6, v6
	v_cvt_i32_f32_e32 v7, v16
	s_mov_b32 s5, 0xc2ce8ed0
	v_cmp_ngt_f32_e32 vcc, s5, v3
	s_mov_b32 s5, 0x42b17218
	v_ldexp_f32 v6, v6, v7
	v_cndmask_b32_e32 v6, 0, v6, vcc
	v_mov_b32_e32 v7, 0x7f800000
	v_cmp_nlt_f32_e32 vcc, s5, v3
	s_mov_b32 s5, 0x3f2aaaab
	s_mov_b32 s6, 0x7f800000
	v_cndmask_b32_e32 v65, v7, v6, vcc
	v_add_f32_e32 v3, 1.0, v65
	v_add_f32_e32 v6, -1.0, v3
	v_sub_f32_e32 v7, v6, v3
	v_add_f32_e32 v7, 1.0, v7
	v_sub_f32_e32 v6, v65, v6
	v_add_f32_e32 v16, v6, v7
	v_frexp_mant_f32_e32 v20, v3
	v_cvt_f64_f32_e32 v[6:7], v3
	v_frexp_exp_i32_f64_e32 v6, v[6:7]
	v_cmp_gt_f32_e32 vcc, s5, v20
	s_mov_b32 s5, 0x3f317218
	s_nop 0
	v_subbrev_co_u32_e32 v26, vcc, 0, v6, vcc
	v_sub_u32_e32 v6, 0, v26
	v_ldexp_f32 v3, v3, v6
	v_ldexp_f32 v6, v16, v6
	v_add_f32_e32 v16, -1.0, v3
	v_add_f32_e32 v7, 1.0, v16
	v_sub_f32_e32 v7, v3, v7
	v_add_f32_e32 v20, v6, v7
	v_add_f32_e32 v7, 1.0, v3
	v_add_f32_e32 v21, -1.0, v7
	v_sub_f32_e32 v3, v3, v21
	v_add_f32_e32 v3, v6, v3
	v_add_f32_e32 v27, v7, v3
	v_rcp_f32_e32 v66, v27
	v_sub_f32_e32 v6, v7, v27
	v_add_f32_e32 v7, v16, v20
	v_add_f32_e32 v3, v3, v6
	v_sub_f32_e32 v6, v16, v7
	v_mul_f32_e32 v67, v7, v66
	v_add_f32_e32 v16, v20, v6
	v_mul_f32_e32 v20, v27, v67
	v_fma_f32 v22, v67, v27, -v20
	v_fmac_f32_e32 v22, v67, v3
	v_add_f32_e32 v6, v20, v22
	v_sub_f32_e32 v21, v7, v6
	v_pk_add_f32 v[24:25], v[6:7], v[20:21] neg_lo:[0,1] neg_hi:[0,1]
	v_mov_b32_e32 v23, v6
	v_pk_add_f32 v[6:7], v[24:25], v[22:23] neg_lo:[0,1] neg_hi:[0,1]
	v_cmp_eq_f32_e32 vcc, s6, v65
	v_add_f32_e32 v7, v16, v7
	v_add_f32_e32 v6, v6, v7
	;; [unrolled: 1-line block ×3, first 2 shown]
	v_mul_f32_e32 v16, v66, v7
	v_mul_f32_e32 v20, v27, v16
	v_fma_f32 v22, v16, v27, -v20
	v_fmac_f32_e32 v22, v16, v3
	v_sub_f32_e32 v3, v21, v7
	v_add_f32_e32 v3, v6, v3
	v_add_f32_e32 v6, v20, v22
	v_sub_f32_e32 v21, v7, v6
	v_pk_add_f32 v[24:25], v[6:7], v[20:21] neg_lo:[0,1] neg_hi:[0,1]
	v_mov_b32_e32 v23, v6
	v_pk_add_f32 v[6:7], v[24:25], v[22:23] neg_lo:[0,1] neg_hi:[0,1]
	v_cvt_f32_i32_e32 v20, v26
	v_add_f32_e32 v3, v3, v7
	v_add_f32_e32 v3, v6, v3
	;; [unrolled: 1-line block ×4, first 2 shown]
	v_sub_f32_e32 v7, v6, v67
	v_mul_f32_e32 v3, v66, v3
	v_sub_f32_e32 v7, v16, v7
	v_add_f32_e32 v3, v7, v3
	v_add_f32_e32 v16, v6, v3
	v_mul_f32_e32 v21, v16, v16
	v_mov_b32_e32 v7, 0x3ecc95a3
	v_fmac_f32_e32 v7, 0x3e9b6dac, v21
	v_sub_f32_e32 v6, v16, v6
	v_fmaak_f32 v7, v21, v7, 0x3f2aaada
	v_sub_f32_e32 v3, v3, v6
	v_mul_f32_e32 v21, v16, v21
	v_mov_b32_e32 v6, 0x3f317218
	v_pk_mul_f32 v[6:7], v[20:21], v[6:7]
	v_ldexp_f32 v23, v16, 1
	v_fma_f32 v16, v20, s5, -v6
	v_fmamk_f32 v22, v20, 0xb102e308, v16
	v_pk_add_f32 v[20:21], v[6:7], v[22:23]
	v_ldexp_f32 v3, v3, 1
	v_sub_f32_e32 v16, v21, v23
	v_sub_f32_e32 v16, v7, v16
	v_add_f32_e32 v25, v3, v16
	v_mov_b32_e32 v24, v6
	v_pk_add_f32 v[6:7], v[20:21], v[6:7] neg_lo:[0,1] neg_hi:[0,1]
	v_pk_add_f32 v[26:27], v[20:21], v[24:25]
	v_mov_b32_e32 v23, v20
	v_mov_b32_e32 v7, v27
	v_pk_add_f32 v[66:67], v[22:23], v[6:7] neg_lo:[0,1] neg_hi:[0,1]
	v_pk_add_f32 v[6:7], v[22:23], v[6:7]
	s_mov_b32 s5, 0x33800000
	v_mov_b32_e32 v16, v7
	v_pk_add_f32 v[22:23], v[16:17], v[20:21] neg_lo:[0,1] neg_hi:[0,1]
	v_mov_b32_e32 v6, v27
	v_mov_b32_e32 v3, v22
	v_pk_add_f32 v[70:71], v[26:27], v[2:3] neg_lo:[0,1] neg_hi:[0,1]
	v_mov_b32_e32 v26, v21
	v_mov_b32_e32 v27, v22
	;; [unrolled: 1-line block ×3, first 2 shown]
	v_pk_add_f32 v[6:7], v[6:7], v[26:27] neg_lo:[0,1] neg_hi:[0,1]
	v_mov_b32_e32 v22, v25
	v_mov_b32_e32 v23, v20
	v_pk_add_f32 v[6:7], v[22:23], v[6:7] neg_lo:[0,1] neg_hi:[0,1]
	v_mov_b32_e32 v70, v66
	v_pk_add_f32 v[20:21], v[70:71], v[6:7]
	v_cmp_lt_f32_e64 s[6:7], |v65|, s5
	v_mov_b32_e32 v22, v21
	v_pk_add_f32 v[22:23], v[20:21], v[22:23]
	s_or_b64 vcc, vcc, s[6:7]
	v_pk_add_f32 v[24:25], v[16:17], v[22:23]
	v_mov_b32_e32 v7, v22
	v_mov_b32_e32 v21, v24
	v_pk_add_f32 v[26:27], v[20:21], v[66:67] neg_lo:[0,1] neg_hi:[0,1]
	s_nop 0
	v_sub_f32_e32 v3, v20, v26
	v_pk_add_f32 v[6:7], v[6:7], v[26:27] neg_lo:[0,1] neg_hi:[0,1]
	v_sub_f32_e32 v3, v66, v3
	v_add_f32_e32 v3, v6, v3
	v_add_f32_e32 v3, v3, v7
	;; [unrolled: 1-line block ×3, first 2 shown]
	v_cndmask_b32_e32 v3, v3, v65, vcc
	v_add_f32_e32 v3, v2, v3
.LBB499_396:
	s_or_b64 exec, exec, s[2:3]
	v_bfe_u32 v2, v3, 16, 1
	s_movk_i32 s5, 0x7fff
	v_add3_u32 v2, v3, v2, s5
	v_lshrrev_b32_e32 v6, 16, v2
	v_mov_b32_e32 v2, 0x7fc0
	v_cmp_o_f32_e32 vcc, v3, v3
	s_nop 1
	v_cndmask_b32_e32 v65, v2, v6, vcc
	v_lshlrev_b32_e32 v6, 16, v65
	v_max_f32_e32 v3, v6, v6
	v_min_f32_e32 v7, v3, v81
	v_cmp_u_f32_e32 vcc, v6, v6
	v_max_f32_e32 v3, v3, v81
	s_nop 0
	v_cndmask_b32_e32 v7, v7, v6, vcc
	v_cndmask_b32_e32 v3, v3, v6, vcc
	v_cndmask_b32_e64 v7, v7, v69, s[38:39]
	v_cndmask_b32_e64 v3, v3, v69, s[38:39]
	v_cmp_neq_f32_e32 vcc, v7, v3
	v_cmp_class_f32_e64 s[2:3], v7, s4
	s_or_b64 s[6:7], vcc, s[2:3]
	s_and_saveexec_b64 s[2:3], s[6:7]
	s_cbranch_execz .LBB499_398
; %bb.397:
	v_sub_f32_e32 v6, v7, v3
	s_mov_b32 s4, 0x3fb8aa3b
	v_mul_f32_e32 v7, 0x3fb8aa3b, v6
	v_fma_f32 v16, v6, s4, -v7
	v_rndne_f32_e32 v20, v7
	v_fmamk_f32 v16, v6, 0x32a5705f, v16
	v_sub_f32_e32 v7, v7, v20
	v_add_f32_e32 v7, v7, v16
	v_exp_f32_e32 v7, v7
	v_cvt_i32_f32_e32 v16, v20
	s_mov_b32 s4, 0xc2ce8ed0
	v_cmp_ngt_f32_e32 vcc, s4, v6
	s_mov_b32 s4, 0x42b17218
	v_ldexp_f32 v7, v7, v16
	v_cndmask_b32_e32 v7, 0, v7, vcc
	v_mov_b32_e32 v16, 0x7f800000
	v_cmp_nlt_f32_e32 vcc, s4, v6
	s_mov_b32 s4, 0x3f2aaaab
	s_mov_b32 s6, 0x7f800000
	v_cndmask_b32_e32 v70, v16, v7, vcc
	v_add_f32_e32 v16, 1.0, v70
	v_add_f32_e32 v6, -1.0, v16
	v_sub_f32_e32 v7, v6, v16
	v_add_f32_e32 v7, 1.0, v7
	v_sub_f32_e32 v6, v70, v6
	v_add_f32_e32 v20, v6, v7
	v_frexp_mant_f32_e32 v21, v16
	v_cvt_f64_f32_e32 v[6:7], v16
	v_frexp_exp_i32_f64_e32 v6, v[6:7]
	v_cmp_gt_f32_e32 vcc, s4, v21
	s_mov_b32 s4, 0x3f317218
	s_nop 0
	v_subbrev_co_u32_e32 v26, vcc, 0, v6, vcc
	v_sub_u32_e32 v6, 0, v26
	v_ldexp_f32 v7, v16, v6
	v_add_f32_e32 v16, -1.0, v7
	v_add_f32_e32 v21, 1.0, v7
	v_ldexp_f32 v6, v20, v6
	v_add_f32_e32 v20, 1.0, v16
	v_add_f32_e32 v22, -1.0, v21
	v_sub_f32_e32 v20, v7, v20
	v_sub_f32_e32 v7, v7, v22
	v_add_f32_e32 v20, v6, v20
	v_add_f32_e32 v6, v6, v7
	;; [unrolled: 1-line block ×3, first 2 shown]
	v_rcp_f32_e32 v67, v27
	v_sub_f32_e32 v7, v21, v27
	v_add_f32_e32 v66, v6, v7
	v_add_f32_e32 v7, v16, v20
	v_sub_f32_e32 v6, v16, v7
	v_mul_f32_e32 v68, v7, v67
	v_add_f32_e32 v16, v20, v6
	v_mul_f32_e32 v20, v27, v68
	v_fma_f32 v22, v68, v27, -v20
	v_fmac_f32_e32 v22, v68, v66
	v_add_f32_e32 v6, v20, v22
	v_sub_f32_e32 v21, v7, v6
	v_pk_add_f32 v[24:25], v[6:7], v[20:21] neg_lo:[0,1] neg_hi:[0,1]
	v_mov_b32_e32 v23, v6
	v_pk_add_f32 v[6:7], v[24:25], v[22:23] neg_lo:[0,1] neg_hi:[0,1]
	v_cmp_eq_f32_e32 vcc, s6, v70
	v_add_f32_e32 v7, v16, v7
	v_add_f32_e32 v6, v6, v7
	;; [unrolled: 1-line block ×3, first 2 shown]
	v_mul_f32_e32 v16, v67, v7
	v_mul_f32_e32 v20, v27, v16
	v_fma_f32 v22, v16, v27, -v20
	v_fmac_f32_e32 v22, v16, v66
	v_sub_f32_e32 v21, v21, v7
	v_add_f32_e32 v27, v6, v21
	v_add_f32_e32 v6, v20, v22
	v_sub_f32_e32 v21, v7, v6
	v_pk_add_f32 v[24:25], v[6:7], v[20:21] neg_lo:[0,1] neg_hi:[0,1]
	v_mov_b32_e32 v23, v6
	v_pk_add_f32 v[6:7], v[24:25], v[22:23] neg_lo:[0,1] neg_hi:[0,1]
	v_cvt_f32_i32_e32 v20, v26
	v_add_f32_e32 v7, v27, v7
	v_add_f32_e32 v6, v6, v7
	;; [unrolled: 1-line block ×4, first 2 shown]
	v_sub_f32_e32 v7, v21, v68
	v_mul_f32_e32 v6, v67, v6
	v_sub_f32_e32 v7, v16, v7
	v_add_f32_e32 v6, v7, v6
	v_add_f32_e32 v16, v21, v6
	v_mul_f32_e32 v22, v16, v16
	v_mov_b32_e32 v7, 0x3ecc95a3
	v_sub_f32_e32 v21, v16, v21
	v_fmac_f32_e32 v7, 0x3e9b6dac, v22
	v_sub_f32_e32 v6, v6, v21
	v_fmaak_f32 v7, v22, v7, 0x3f2aaada
	v_ldexp_f32 v24, v6, 1
	v_mul_f32_e32 v21, v16, v22
	v_mov_b32_e32 v6, 0x3f317218
	v_pk_mul_f32 v[6:7], v[20:21], v[6:7]
	v_ldexp_f32 v23, v16, 1
	v_fma_f32 v16, v20, s4, -v6
	v_fmamk_f32 v22, v20, 0xb102e308, v16
	v_pk_add_f32 v[20:21], v[6:7], v[22:23]
	s_mov_b32 s4, 0x33800000
	v_sub_f32_e32 v16, v21, v23
	v_sub_f32_e32 v16, v7, v16
	v_add_f32_e32 v25, v24, v16
	v_mov_b32_e32 v24, v6
	v_pk_add_f32 v[6:7], v[20:21], v[6:7] neg_lo:[0,1] neg_hi:[0,1]
	v_pk_add_f32 v[26:27], v[20:21], v[24:25]
	v_mov_b32_e32 v23, v20
	v_mov_b32_e32 v7, v27
	v_pk_add_f32 v[66:67], v[22:23], v[6:7] neg_lo:[0,1] neg_hi:[0,1]
	v_pk_add_f32 v[6:7], v[22:23], v[6:7]
	v_cmp_lt_f32_e64 s[6:7], |v70|, s4
	v_mov_b32_e32 v16, v7
	v_pk_add_f32 v[22:23], v[16:17], v[20:21] neg_lo:[0,1] neg_hi:[0,1]
	v_mov_b32_e32 v6, v27
	v_mov_b32_e32 v23, v22
	v_pk_add_f32 v[68:69], v[26:27], v[22:23] neg_lo:[0,1] neg_hi:[0,1]
	v_mov_b32_e32 v26, v21
	v_mov_b32_e32 v27, v22
	;; [unrolled: 1-line block ×3, first 2 shown]
	v_pk_add_f32 v[6:7], v[6:7], v[26:27] neg_lo:[0,1] neg_hi:[0,1]
	v_mov_b32_e32 v22, v25
	v_mov_b32_e32 v23, v20
	v_pk_add_f32 v[6:7], v[22:23], v[6:7] neg_lo:[0,1] neg_hi:[0,1]
	v_mov_b32_e32 v68, v66
	v_pk_add_f32 v[20:21], v[68:69], v[6:7]
	s_or_b64 vcc, vcc, s[6:7]
	v_mov_b32_e32 v22, v21
	v_pk_add_f32 v[22:23], v[20:21], v[22:23]
	s_nop 0
	v_pk_add_f32 v[24:25], v[16:17], v[22:23]
	v_mov_b32_e32 v7, v22
	v_mov_b32_e32 v21, v24
	v_pk_add_f32 v[26:27], v[20:21], v[66:67] neg_lo:[0,1] neg_hi:[0,1]
	s_nop 0
	v_sub_f32_e32 v16, v20, v26
	v_pk_add_f32 v[6:7], v[6:7], v[26:27] neg_lo:[0,1] neg_hi:[0,1]
	v_sub_f32_e32 v16, v66, v16
	v_add_f32_e32 v6, v6, v16
	v_add_f32_e32 v6, v6, v7
	;; [unrolled: 1-line block ×3, first 2 shown]
	v_cndmask_b32_e32 v6, v6, v70, vcc
	v_add_f32_e32 v6, v3, v6
.LBB499_398:
	s_or_b64 exec, exec, s[2:3]
	v_bfe_u32 v3, v6, 16, 1
	v_add3_u32 v3, v6, v3, s5
	v_lshrrev_b32_e32 v3, 16, v3
	v_cmp_o_f32_e32 vcc, v6, v6
	s_movk_i32 s4, 0x1f8
	s_nop 0
	v_cndmask_b32_e32 v66, v2, v3, vcc
	v_lshlrev_b32_e32 v3, 16, v66
	v_max_f32_e32 v2, v3, v3
	v_min_f32_e32 v6, v2, v82
	v_cmp_u_f32_e32 vcc, v3, v3
	v_max_f32_e32 v2, v2, v82
	s_nop 0
	v_cndmask_b32_e32 v6, v6, v3, vcc
	v_cndmask_b32_e32 v2, v2, v3, vcc
	v_cndmask_b32_e64 v6, v6, v17, s[40:41]
	v_cndmask_b32_e64 v2, v2, v17, s[40:41]
	v_cmp_neq_f32_e32 vcc, v6, v2
	v_cmp_class_f32_e64 s[2:3], v6, s4
	s_or_b64 s[6:7], vcc, s[2:3]
	s_and_saveexec_b64 s[2:3], s[6:7]
	s_cbranch_execz .LBB499_400
; %bb.399:
	v_sub_f32_e32 v3, v6, v2
	s_mov_b32 s5, 0x3fb8aa3b
	v_mul_f32_e32 v6, 0x3fb8aa3b, v3
	v_fma_f32 v7, v3, s5, -v6
	v_rndne_f32_e32 v16, v6
	v_fmamk_f32 v7, v3, 0x32a5705f, v7
	v_sub_f32_e32 v6, v6, v16
	v_add_f32_e32 v6, v6, v7
	v_exp_f32_e32 v6, v6
	v_cvt_i32_f32_e32 v7, v16
	s_mov_b32 s5, 0xc2ce8ed0
	v_cmp_ngt_f32_e32 vcc, s5, v3
	s_mov_b32 s5, 0x42b17218
	v_ldexp_f32 v6, v6, v7
	v_cndmask_b32_e32 v6, 0, v6, vcc
	v_mov_b32_e32 v7, 0x7f800000
	v_cmp_nlt_f32_e32 vcc, s5, v3
	s_mov_b32 s5, 0x3f2aaaab
	s_mov_b32 s6, 0x7f800000
	v_cndmask_b32_e32 v67, v7, v6, vcc
	v_add_f32_e32 v3, 1.0, v67
	v_add_f32_e32 v6, -1.0, v3
	v_sub_f32_e32 v7, v6, v3
	v_add_f32_e32 v7, 1.0, v7
	v_sub_f32_e32 v6, v67, v6
	v_add_f32_e32 v16, v6, v7
	v_frexp_mant_f32_e32 v17, v3
	v_cvt_f64_f32_e32 v[6:7], v3
	v_frexp_exp_i32_f64_e32 v6, v[6:7]
	v_cmp_gt_f32_e32 vcc, s5, v17
	s_mov_b32 s5, 0x3f317218
	s_nop 0
	v_subbrev_co_u32_e32 v24, vcc, 0, v6, vcc
	v_sub_u32_e32 v6, 0, v24
	v_ldexp_f32 v3, v3, v6
	v_ldexp_f32 v6, v16, v6
	v_add_f32_e32 v16, -1.0, v3
	v_add_f32_e32 v7, 1.0, v16
	v_sub_f32_e32 v7, v3, v7
	v_add_f32_e32 v17, v6, v7
	v_add_f32_e32 v7, 1.0, v3
	v_add_f32_e32 v20, -1.0, v7
	v_sub_f32_e32 v3, v3, v20
	v_add_f32_e32 v3, v6, v3
	v_add_f32_e32 v25, v7, v3
	v_rcp_f32_e32 v26, v25
	v_sub_f32_e32 v6, v7, v25
	v_add_f32_e32 v7, v16, v17
	v_add_f32_e32 v3, v3, v6
	v_mul_f32_e32 v68, v7, v26
	v_sub_f32_e32 v6, v16, v7
	v_mul_f32_e32 v16, v25, v68
	v_fma_f32 v20, v68, v25, -v16
	v_fmac_f32_e32 v20, v68, v3
	v_add_f32_e32 v27, v17, v6
	v_add_f32_e32 v6, v16, v20
	v_sub_f32_e32 v17, v7, v6
	v_pk_add_f32 v[22:23], v[6:7], v[16:17] neg_lo:[0,1] neg_hi:[0,1]
	v_mov_b32_e32 v21, v6
	v_pk_add_f32 v[6:7], v[22:23], v[20:21] neg_lo:[0,1] neg_hi:[0,1]
	v_cmp_eq_f32_e32 vcc, s6, v67
	v_add_f32_e32 v7, v27, v7
	v_add_f32_e32 v6, v6, v7
	;; [unrolled: 1-line block ×3, first 2 shown]
	v_mul_f32_e32 v27, v26, v7
	v_mul_f32_e32 v16, v25, v27
	v_fma_f32 v20, v27, v25, -v16
	v_fmac_f32_e32 v20, v27, v3
	v_sub_f32_e32 v3, v17, v7
	v_add_f32_e32 v3, v6, v3
	v_add_f32_e32 v6, v16, v20
	v_sub_f32_e32 v17, v7, v6
	v_pk_add_f32 v[22:23], v[6:7], v[16:17] neg_lo:[0,1] neg_hi:[0,1]
	v_mov_b32_e32 v21, v6
	v_pk_add_f32 v[6:7], v[22:23], v[20:21] neg_lo:[0,1] neg_hi:[0,1]
	v_cvt_f32_i32_e32 v16, v24
	v_add_f32_e32 v3, v3, v7
	v_add_f32_e32 v3, v6, v3
	;; [unrolled: 1-line block ×4, first 2 shown]
	v_sub_f32_e32 v7, v6, v68
	v_mul_f32_e32 v3, v26, v3
	v_sub_f32_e32 v7, v27, v7
	v_add_f32_e32 v3, v7, v3
	v_add_f32_e32 v17, v6, v3
	v_mul_f32_e32 v20, v17, v17
	v_mov_b32_e32 v7, 0x3ecc95a3
	v_fmac_f32_e32 v7, 0x3e9b6dac, v20
	v_sub_f32_e32 v6, v17, v6
	v_fmaak_f32 v7, v20, v7, 0x3f2aaada
	v_sub_f32_e32 v3, v3, v6
	v_ldexp_f32 v21, v17, 1
	v_mul_f32_e32 v17, v17, v20
	v_mov_b32_e32 v6, 0x3f317218
	v_pk_mul_f32 v[6:7], v[16:17], v[6:7]
	v_ldexp_f32 v3, v3, 1
	v_fma_f32 v17, v16, s5, -v6
	v_fmamk_f32 v20, v16, 0xb102e308, v17
	v_pk_add_f32 v[16:17], v[6:7], v[20:21]
	v_mov_b32_e32 v22, v6
	v_sub_f32_e32 v21, v17, v21
	v_sub_f32_e32 v21, v7, v21
	v_add_f32_e32 v23, v3, v21
	v_pk_add_f32 v[6:7], v[16:17], v[6:7] neg_lo:[0,1] neg_hi:[0,1]
	v_pk_add_f32 v[24:25], v[16:17], v[22:23]
	v_mov_b32_e32 v21, v16
	v_mov_b32_e32 v7, v25
	v_pk_add_f32 v[26:27], v[20:21], v[6:7] neg_lo:[0,1] neg_hi:[0,1]
	v_pk_add_f32 v[6:7], v[20:21], v[6:7]
	v_mov_b32_e32 v22, v23
	v_mov_b32_e32 v20, v7
	v_pk_add_f32 v[68:69], v[20:21], v[16:17] neg_lo:[0,1] neg_hi:[0,1]
	v_mov_b32_e32 v6, v25
	v_mov_b32_e32 v3, v68
	v_pk_add_f32 v[70:71], v[24:25], v[2:3] neg_lo:[0,1] neg_hi:[0,1]
	v_mov_b32_e32 v24, v17
	v_mov_b32_e32 v25, v68
	;; [unrolled: 1-line block ×3, first 2 shown]
	v_pk_add_f32 v[6:7], v[6:7], v[24:25] neg_lo:[0,1] neg_hi:[0,1]
	v_mov_b32_e32 v23, v16
	v_pk_add_f32 v[6:7], v[22:23], v[6:7] neg_lo:[0,1] neg_hi:[0,1]
	v_mov_b32_e32 v70, v26
	v_pk_add_f32 v[16:17], v[70:71], v[6:7]
	s_mov_b32 s5, 0x33800000
	v_mov_b32_e32 v22, v17
	v_pk_add_f32 v[22:23], v[16:17], v[22:23]
	v_cmp_lt_f32_e64 s[6:7], |v67|, s5
	v_pk_add_f32 v[20:21], v[20:21], v[22:23]
	v_mov_b32_e32 v7, v22
	v_mov_b32_e32 v17, v20
	v_pk_add_f32 v[24:25], v[16:17], v[26:27] neg_lo:[0,1] neg_hi:[0,1]
	s_or_b64 vcc, vcc, s[6:7]
	v_sub_f32_e32 v3, v16, v24
	v_pk_add_f32 v[6:7], v[6:7], v[24:25] neg_lo:[0,1] neg_hi:[0,1]
	v_sub_f32_e32 v3, v26, v3
	v_add_f32_e32 v3, v6, v3
	v_add_f32_e32 v3, v3, v7
	;; [unrolled: 1-line block ×3, first 2 shown]
	v_cndmask_b32_e32 v3, v3, v67, vcc
	v_add_f32_e32 v3, v2, v3
.LBB499_400:
	s_or_b64 exec, exec, s[2:3]
	v_bfe_u32 v2, v3, 16, 1
	s_movk_i32 s5, 0x7fff
	v_add3_u32 v2, v3, v2, s5
	v_lshrrev_b32_e32 v6, 16, v2
	v_mov_b32_e32 v2, 0x7fc0
	v_cmp_o_f32_e32 vcc, v3, v3
	s_nop 1
	v_cndmask_b32_e32 v67, v2, v6, vcc
	v_lshlrev_b32_e32 v6, 16, v67
	v_max_f32_e32 v3, v6, v6
	v_min_f32_e32 v7, v3, v84
	v_cmp_u_f32_e32 vcc, v6, v6
	v_max_f32_e32 v3, v3, v84
	s_nop 0
	v_cndmask_b32_e32 v7, v7, v6, vcc
	v_cndmask_b32_e32 v3, v3, v6, vcc
	v_cndmask_b32_e64 v7, v7, v80, s[42:43]
	v_cndmask_b32_e64 v3, v3, v80, s[42:43]
	v_cmp_neq_f32_e32 vcc, v7, v3
	v_cmp_class_f32_e64 s[2:3], v7, s4
	s_or_b64 s[6:7], vcc, s[2:3]
	s_and_saveexec_b64 s[2:3], s[6:7]
	s_cbranch_execz .LBB499_402
; %bb.401:
	v_sub_f32_e32 v6, v7, v3
	s_mov_b32 s4, 0x3fb8aa3b
	v_mul_f32_e32 v7, 0x3fb8aa3b, v6
	v_fma_f32 v16, v6, s4, -v7
	v_rndne_f32_e32 v17, v7
	v_fmamk_f32 v16, v6, 0x32a5705f, v16
	v_sub_f32_e32 v7, v7, v17
	v_add_f32_e32 v7, v7, v16
	v_exp_f32_e32 v7, v7
	v_cvt_i32_f32_e32 v16, v17
	s_mov_b32 s4, 0xc2ce8ed0
	v_cmp_ngt_f32_e32 vcc, s4, v6
	s_mov_b32 s4, 0x42b17218
	v_ldexp_f32 v7, v7, v16
	v_cndmask_b32_e32 v7, 0, v7, vcc
	v_mov_b32_e32 v16, 0x7f800000
	v_cmp_nlt_f32_e32 vcc, s4, v6
	s_mov_b32 s4, 0x3f2aaaab
	s_mov_b32 s6, 0x7f800000
	v_cndmask_b32_e32 v80, v16, v7, vcc
	v_add_f32_e32 v16, 1.0, v80
	v_add_f32_e32 v6, -1.0, v16
	v_sub_f32_e32 v7, v6, v16
	v_add_f32_e32 v7, 1.0, v7
	v_sub_f32_e32 v6, v80, v6
	v_add_f32_e32 v17, v6, v7
	v_frexp_mant_f32_e32 v20, v16
	v_cvt_f64_f32_e32 v[6:7], v16
	v_frexp_exp_i32_f64_e32 v6, v[6:7]
	v_cmp_gt_f32_e32 vcc, s4, v20
	s_mov_b32 s4, 0x3f317218
	s_nop 0
	v_subbrev_co_u32_e32 v24, vcc, 0, v6, vcc
	v_sub_u32_e32 v6, 0, v24
	v_ldexp_f32 v7, v16, v6
	v_add_f32_e32 v16, -1.0, v7
	v_add_f32_e32 v20, 1.0, v7
	v_ldexp_f32 v6, v17, v6
	v_add_f32_e32 v17, 1.0, v16
	v_add_f32_e32 v21, -1.0, v20
	v_sub_f32_e32 v17, v7, v17
	v_sub_f32_e32 v7, v7, v21
	v_add_f32_e32 v17, v6, v17
	v_add_f32_e32 v6, v6, v7
	;; [unrolled: 1-line block ×3, first 2 shown]
	v_rcp_f32_e32 v27, v25
	v_sub_f32_e32 v7, v20, v25
	v_add_f32_e32 v26, v6, v7
	v_add_f32_e32 v7, v16, v17
	v_mul_f32_e32 v69, v7, v27
	v_sub_f32_e32 v6, v16, v7
	v_mul_f32_e32 v16, v25, v69
	v_fma_f32 v20, v69, v25, -v16
	v_fmac_f32_e32 v20, v69, v26
	v_add_f32_e32 v68, v17, v6
	v_add_f32_e32 v6, v16, v20
	v_sub_f32_e32 v17, v7, v6
	v_pk_add_f32 v[22:23], v[6:7], v[16:17] neg_lo:[0,1] neg_hi:[0,1]
	v_mov_b32_e32 v21, v6
	v_pk_add_f32 v[6:7], v[22:23], v[20:21] neg_lo:[0,1] neg_hi:[0,1]
	v_cmp_eq_f32_e32 vcc, s6, v80
	v_add_f32_e32 v7, v68, v7
	v_add_f32_e32 v6, v6, v7
	;; [unrolled: 1-line block ×3, first 2 shown]
	v_mul_f32_e32 v68, v27, v7
	v_mul_f32_e32 v16, v25, v68
	v_fma_f32 v20, v68, v25, -v16
	v_fmac_f32_e32 v20, v68, v26
	v_sub_f32_e32 v17, v17, v7
	v_add_f32_e32 v25, v6, v17
	v_add_f32_e32 v6, v16, v20
	v_sub_f32_e32 v17, v7, v6
	v_pk_add_f32 v[22:23], v[6:7], v[16:17] neg_lo:[0,1] neg_hi:[0,1]
	v_mov_b32_e32 v21, v6
	v_pk_add_f32 v[6:7], v[22:23], v[20:21] neg_lo:[0,1] neg_hi:[0,1]
	v_cvt_f32_i32_e32 v16, v24
	v_add_f32_e32 v7, v25, v7
	v_add_f32_e32 v6, v6, v7
	v_add_f32_e32 v6, v17, v6
	v_add_f32_e32 v17, v69, v68
	v_sub_f32_e32 v7, v17, v69
	v_mul_f32_e32 v6, v27, v6
	v_sub_f32_e32 v7, v68, v7
	v_add_f32_e32 v6, v7, v6
	v_add_f32_e32 v20, v17, v6
	v_mul_f32_e32 v22, v20, v20
	v_mov_b32_e32 v7, 0x3ecc95a3
	v_sub_f32_e32 v17, v20, v17
	v_fmac_f32_e32 v7, 0x3e9b6dac, v22
	v_sub_f32_e32 v6, v6, v17
	v_fmaak_f32 v7, v22, v7, 0x3f2aaada
	v_ldexp_f32 v23, v6, 1
	v_mul_f32_e32 v17, v20, v22
	v_mov_b32_e32 v6, 0x3f317218
	v_pk_mul_f32 v[6:7], v[16:17], v[6:7]
	v_ldexp_f32 v21, v20, 1
	v_fma_f32 v17, v16, s4, -v6
	v_fmamk_f32 v20, v16, 0xb102e308, v17
	v_pk_add_f32 v[16:17], v[6:7], v[20:21]
	v_mov_b32_e32 v22, v6
	v_sub_f32_e32 v21, v17, v21
	v_sub_f32_e32 v21, v7, v21
	v_add_f32_e32 v23, v23, v21
	v_pk_add_f32 v[6:7], v[16:17], v[6:7] neg_lo:[0,1] neg_hi:[0,1]
	v_pk_add_f32 v[24:25], v[16:17], v[22:23]
	v_mov_b32_e32 v21, v16
	v_mov_b32_e32 v7, v25
	v_pk_add_f32 v[26:27], v[20:21], v[6:7] neg_lo:[0,1] neg_hi:[0,1]
	v_pk_add_f32 v[6:7], v[20:21], v[6:7]
	v_mov_b32_e32 v22, v23
	v_mov_b32_e32 v20, v7
	v_pk_add_f32 v[68:69], v[20:21], v[16:17] neg_lo:[0,1] neg_hi:[0,1]
	v_mov_b32_e32 v6, v25
	v_mov_b32_e32 v21, v68
	v_pk_add_f32 v[70:71], v[24:25], v[20:21] neg_lo:[0,1] neg_hi:[0,1]
	v_mov_b32_e32 v24, v17
	v_mov_b32_e32 v25, v68
	v_mov_b32_e32 v27, v7
	v_pk_add_f32 v[6:7], v[6:7], v[24:25] neg_lo:[0,1] neg_hi:[0,1]
	v_mov_b32_e32 v23, v16
	v_pk_add_f32 v[6:7], v[22:23], v[6:7] neg_lo:[0,1] neg_hi:[0,1]
	v_mov_b32_e32 v70, v26
	v_pk_add_f32 v[16:17], v[70:71], v[6:7]
	s_mov_b32 s4, 0x33800000
	v_mov_b32_e32 v22, v17
	v_pk_add_f32 v[22:23], v[16:17], v[22:23]
	v_cmp_lt_f32_e64 s[6:7], |v80|, s4
	v_pk_add_f32 v[20:21], v[20:21], v[22:23]
	v_mov_b32_e32 v7, v22
	v_mov_b32_e32 v17, v20
	v_pk_add_f32 v[24:25], v[16:17], v[26:27] neg_lo:[0,1] neg_hi:[0,1]
	s_or_b64 vcc, vcc, s[6:7]
	v_sub_f32_e32 v16, v16, v24
	v_pk_add_f32 v[6:7], v[6:7], v[24:25] neg_lo:[0,1] neg_hi:[0,1]
	v_sub_f32_e32 v16, v26, v16
	v_add_f32_e32 v6, v6, v16
	v_add_f32_e32 v6, v6, v7
	;; [unrolled: 1-line block ×3, first 2 shown]
	v_cndmask_b32_e32 v6, v6, v80, vcc
	v_add_f32_e32 v6, v3, v6
.LBB499_402:
	s_or_b64 exec, exec, s[2:3]
	v_bfe_u32 v3, v6, 16, 1
	v_add3_u32 v3, v6, v3, s5
	v_lshrrev_b32_e32 v3, 16, v3
	v_cmp_o_f32_e32 vcc, v6, v6
	s_movk_i32 s4, 0x1f8
	s_nop 0
	v_cndmask_b32_e32 v68, v2, v3, vcc
	v_lshlrev_b32_e32 v3, 16, v68
	v_max_f32_e32 v2, v3, v3
	v_min_f32_e32 v6, v2, v85
	v_cmp_u_f32_e32 vcc, v3, v3
	v_max_f32_e32 v2, v2, v85
	s_nop 0
	v_cndmask_b32_e32 v6, v6, v3, vcc
	v_cndmask_b32_e32 v2, v2, v3, vcc
	v_cndmask_b32_e64 v6, v6, v18, s[44:45]
	v_cndmask_b32_e64 v2, v2, v18, s[44:45]
	v_cmp_neq_f32_e32 vcc, v6, v2
	v_cmp_class_f32_e64 s[2:3], v6, s4
	s_or_b64 s[6:7], vcc, s[2:3]
	s_and_saveexec_b64 s[2:3], s[6:7]
	s_cbranch_execz .LBB499_404
; %bb.403:
	v_sub_f32_e32 v3, v6, v2
	s_mov_b32 s5, 0x3fb8aa3b
	v_mul_f32_e32 v6, 0x3fb8aa3b, v3
	v_fma_f32 v7, v3, s5, -v6
	v_rndne_f32_e32 v16, v6
	v_fmamk_f32 v7, v3, 0x32a5705f, v7
	v_sub_f32_e32 v6, v6, v16
	v_add_f32_e32 v6, v6, v7
	v_exp_f32_e32 v6, v6
	v_cvt_i32_f32_e32 v7, v16
	s_mov_b32 s5, 0xc2ce8ed0
	v_cmp_ngt_f32_e32 vcc, s5, v3
	s_mov_b32 s5, 0x42b17218
	v_ldexp_f32 v6, v6, v7
	v_cndmask_b32_e32 v6, 0, v6, vcc
	v_mov_b32_e32 v7, 0x7f800000
	v_cmp_nlt_f32_e32 vcc, s5, v3
	s_mov_b32 s5, 0x3f2aaaab
	s_mov_b32 s6, 0x7f800000
	v_cndmask_b32_e32 v69, v7, v6, vcc
	v_add_f32_e32 v3, 1.0, v69
	v_add_f32_e32 v6, -1.0, v3
	v_sub_f32_e32 v7, v6, v3
	v_add_f32_e32 v7, 1.0, v7
	v_sub_f32_e32 v6, v69, v6
	v_add_f32_e32 v16, v6, v7
	v_frexp_mant_f32_e32 v17, v3
	v_cvt_f64_f32_e32 v[6:7], v3
	v_frexp_exp_i32_f64_e32 v6, v[6:7]
	v_cmp_gt_f32_e32 vcc, s5, v17
	s_mov_b32 s5, 0x3f317218
	s_nop 0
	v_subbrev_co_u32_e32 v18, vcc, 0, v6, vcc
	v_sub_u32_e32 v6, 0, v18
	v_ldexp_f32 v3, v3, v6
	v_ldexp_f32 v6, v16, v6
	v_add_f32_e32 v16, -1.0, v3
	v_add_f32_e32 v7, 1.0, v16
	v_sub_f32_e32 v7, v3, v7
	v_add_f32_e32 v17, v6, v7
	v_add_f32_e32 v7, 1.0, v3
	v_add_f32_e32 v20, -1.0, v7
	v_sub_f32_e32 v3, v3, v20
	v_add_f32_e32 v3, v6, v3
	v_add_f32_e32 v24, v7, v3
	v_rcp_f32_e32 v25, v24
	v_sub_f32_e32 v6, v7, v24
	v_add_f32_e32 v7, v16, v17
	v_add_f32_e32 v3, v3, v6
	v_mul_f32_e32 v27, v7, v25
	v_sub_f32_e32 v6, v16, v7
	v_mul_f32_e32 v16, v24, v27
	v_fma_f32 v20, v27, v24, -v16
	v_fmac_f32_e32 v20, v27, v3
	v_add_f32_e32 v26, v17, v6
	v_add_f32_e32 v6, v16, v20
	v_sub_f32_e32 v17, v7, v6
	v_pk_add_f32 v[22:23], v[6:7], v[16:17] neg_lo:[0,1] neg_hi:[0,1]
	v_mov_b32_e32 v21, v6
	v_pk_add_f32 v[6:7], v[22:23], v[20:21] neg_lo:[0,1] neg_hi:[0,1]
	v_cmp_eq_f32_e32 vcc, s6, v69
	v_add_f32_e32 v7, v26, v7
	v_add_f32_e32 v6, v6, v7
	;; [unrolled: 1-line block ×3, first 2 shown]
	v_mul_f32_e32 v26, v25, v7
	v_mul_f32_e32 v16, v24, v26
	v_fma_f32 v20, v26, v24, -v16
	v_fmac_f32_e32 v20, v26, v3
	v_sub_f32_e32 v3, v17, v7
	v_add_f32_e32 v3, v6, v3
	v_add_f32_e32 v6, v16, v20
	v_sub_f32_e32 v17, v7, v6
	v_pk_add_f32 v[22:23], v[6:7], v[16:17] neg_lo:[0,1] neg_hi:[0,1]
	v_mov_b32_e32 v21, v6
	v_pk_add_f32 v[6:7], v[22:23], v[20:21] neg_lo:[0,1] neg_hi:[0,1]
	v_cvt_f32_i32_e32 v16, v18
	v_add_f32_e32 v3, v3, v7
	v_add_f32_e32 v3, v6, v3
	;; [unrolled: 1-line block ×4, first 2 shown]
	v_sub_f32_e32 v7, v6, v27
	v_mul_f32_e32 v3, v25, v3
	v_sub_f32_e32 v7, v26, v7
	v_add_f32_e32 v3, v7, v3
	v_add_f32_e32 v17, v6, v3
	v_mul_f32_e32 v20, v17, v17
	v_mov_b32_e32 v7, 0x3ecc95a3
	v_fmac_f32_e32 v7, 0x3e9b6dac, v20
	v_sub_f32_e32 v6, v17, v6
	v_fmaak_f32 v7, v20, v7, 0x3f2aaada
	v_sub_f32_e32 v3, v3, v6
	v_ldexp_f32 v21, v17, 1
	v_mul_f32_e32 v17, v17, v20
	v_mov_b32_e32 v6, 0x3f317218
	v_pk_mul_f32 v[6:7], v[16:17], v[6:7]
	v_ldexp_f32 v3, v3, 1
	v_fma_f32 v17, v16, s5, -v6
	v_fmamk_f32 v20, v16, 0xb102e308, v17
	v_pk_add_f32 v[16:17], v[6:7], v[20:21]
	v_mov_b32_e32 v22, v6
	v_sub_f32_e32 v18, v17, v21
	v_sub_f32_e32 v18, v7, v18
	v_add_f32_e32 v23, v3, v18
	v_pk_add_f32 v[6:7], v[16:17], v[6:7] neg_lo:[0,1] neg_hi:[0,1]
	v_pk_add_f32 v[24:25], v[16:17], v[22:23]
	v_mov_b32_e32 v21, v16
	v_mov_b32_e32 v7, v25
	v_pk_add_f32 v[26:27], v[20:21], v[6:7] neg_lo:[0,1] neg_hi:[0,1]
	v_pk_add_f32 v[6:7], v[20:21], v[6:7]
	s_mov_b32 s5, 0x33800000
	v_mov_b32_e32 v18, v7
	v_pk_add_f32 v[20:21], v[18:19], v[16:17] neg_lo:[0,1] neg_hi:[0,1]
	v_mov_b32_e32 v6, v25
	v_mov_b32_e32 v3, v20
	v_pk_add_f32 v[70:71], v[24:25], v[2:3] neg_lo:[0,1] neg_hi:[0,1]
	v_mov_b32_e32 v24, v17
	v_mov_b32_e32 v25, v20
	;; [unrolled: 1-line block ×3, first 2 shown]
	v_pk_add_f32 v[6:7], v[6:7], v[24:25] neg_lo:[0,1] neg_hi:[0,1]
	v_mov_b32_e32 v20, v23
	v_mov_b32_e32 v21, v16
	v_pk_add_f32 v[6:7], v[20:21], v[6:7] neg_lo:[0,1] neg_hi:[0,1]
	v_mov_b32_e32 v70, v26
	v_pk_add_f32 v[16:17], v[70:71], v[6:7]
	v_cmp_lt_f32_e64 s[6:7], |v69|, s5
	v_mov_b32_e32 v20, v17
	v_pk_add_f32 v[20:21], v[16:17], v[20:21]
	s_or_b64 vcc, vcc, s[6:7]
	v_pk_add_f32 v[22:23], v[18:19], v[20:21]
	v_mov_b32_e32 v7, v20
	v_mov_b32_e32 v17, v22
	v_pk_add_f32 v[24:25], v[16:17], v[26:27] neg_lo:[0,1] neg_hi:[0,1]
	s_nop 0
	v_sub_f32_e32 v3, v16, v24
	v_pk_add_f32 v[6:7], v[6:7], v[24:25] neg_lo:[0,1] neg_hi:[0,1]
	v_sub_f32_e32 v3, v26, v3
	v_add_f32_e32 v3, v6, v3
	v_add_f32_e32 v3, v3, v7
	;; [unrolled: 1-line block ×3, first 2 shown]
	v_cndmask_b32_e32 v3, v3, v69, vcc
	v_add_f32_e32 v3, v2, v3
.LBB499_404:
	s_or_b64 exec, exec, s[2:3]
	v_bfe_u32 v2, v3, 16, 1
	s_movk_i32 s5, 0x7fff
	v_add3_u32 v2, v3, v2, s5
	v_lshrrev_b32_e32 v6, 16, v2
	v_mov_b32_e32 v2, 0x7fc0
	v_cmp_o_f32_e32 vcc, v3, v3
	s_nop 1
	v_cndmask_b32_e32 v69, v2, v6, vcc
	v_lshlrev_b32_e32 v6, 16, v69
	v_max_f32_e32 v3, v6, v6
	v_min_f32_e32 v7, v3, v86
	v_cmp_u_f32_e32 vcc, v6, v6
	v_max_f32_e32 v3, v3, v86
	s_nop 0
	v_cndmask_b32_e32 v7, v7, v6, vcc
	v_cndmask_b32_e32 v3, v3, v6, vcc
	v_cndmask_b32_e64 v7, v7, v83, s[46:47]
	v_cndmask_b32_e64 v3, v3, v83, s[46:47]
	v_cmp_neq_f32_e32 vcc, v7, v3
	v_cmp_class_f32_e64 s[2:3], v7, s4
	s_or_b64 s[6:7], vcc, s[2:3]
	s_and_saveexec_b64 s[2:3], s[6:7]
	s_cbranch_execz .LBB499_406
; %bb.405:
	v_sub_f32_e32 v6, v7, v3
	s_mov_b32 s4, 0x3fb8aa3b
	v_mul_f32_e32 v7, 0x3fb8aa3b, v6
	v_fma_f32 v16, v6, s4, -v7
	v_rndne_f32_e32 v17, v7
	v_fmamk_f32 v16, v6, 0x32a5705f, v16
	v_sub_f32_e32 v7, v7, v17
	v_add_f32_e32 v7, v7, v16
	v_exp_f32_e32 v7, v7
	v_cvt_i32_f32_e32 v16, v17
	s_mov_b32 s4, 0xc2ce8ed0
	v_cmp_ngt_f32_e32 vcc, s4, v6
	s_mov_b32 s4, 0x42b17218
	v_ldexp_f32 v7, v7, v16
	v_cndmask_b32_e32 v7, 0, v7, vcc
	v_mov_b32_e32 v16, 0x7f800000
	v_cmp_nlt_f32_e32 vcc, s4, v6
	s_mov_b32 s4, 0x3f2aaaab
	s_mov_b32 s6, 0x7f800000
	v_cndmask_b32_e32 v80, v16, v7, vcc
	v_add_f32_e32 v16, 1.0, v80
	v_add_f32_e32 v6, -1.0, v16
	v_sub_f32_e32 v7, v6, v16
	v_add_f32_e32 v7, 1.0, v7
	v_sub_f32_e32 v6, v80, v6
	v_add_f32_e32 v17, v6, v7
	v_frexp_mant_f32_e32 v18, v16
	v_cvt_f64_f32_e32 v[6:7], v16
	v_frexp_exp_i32_f64_e32 v6, v[6:7]
	v_cmp_gt_f32_e32 vcc, s4, v18
	s_mov_b32 s4, 0x3f317218
	s_nop 0
	v_subbrev_co_u32_e32 v18, vcc, 0, v6, vcc
	v_sub_u32_e32 v6, 0, v18
	v_ldexp_f32 v7, v16, v6
	v_add_f32_e32 v16, -1.0, v7
	v_add_f32_e32 v20, 1.0, v7
	v_ldexp_f32 v6, v17, v6
	v_add_f32_e32 v17, 1.0, v16
	v_add_f32_e32 v21, -1.0, v20
	v_sub_f32_e32 v17, v7, v17
	v_sub_f32_e32 v7, v7, v21
	v_add_f32_e32 v17, v6, v17
	v_add_f32_e32 v6, v6, v7
	;; [unrolled: 1-line block ×3, first 2 shown]
	v_rcp_f32_e32 v26, v24
	v_sub_f32_e32 v7, v20, v24
	v_add_f32_e32 v25, v6, v7
	v_add_f32_e32 v7, v16, v17
	v_mul_f32_e32 v70, v7, v26
	v_sub_f32_e32 v6, v16, v7
	v_mul_f32_e32 v16, v24, v70
	v_fma_f32 v20, v70, v24, -v16
	v_fmac_f32_e32 v20, v70, v25
	v_add_f32_e32 v27, v17, v6
	v_add_f32_e32 v6, v16, v20
	v_sub_f32_e32 v17, v7, v6
	v_pk_add_f32 v[22:23], v[6:7], v[16:17] neg_lo:[0,1] neg_hi:[0,1]
	v_mov_b32_e32 v21, v6
	v_pk_add_f32 v[6:7], v[22:23], v[20:21] neg_lo:[0,1] neg_hi:[0,1]
	v_cmp_eq_f32_e32 vcc, s6, v80
	v_add_f32_e32 v7, v27, v7
	v_add_f32_e32 v6, v6, v7
	v_add_f32_e32 v7, v17, v6
	v_mul_f32_e32 v27, v26, v7
	v_mul_f32_e32 v16, v24, v27
	v_fma_f32 v20, v27, v24, -v16
	v_fmac_f32_e32 v20, v27, v25
	v_sub_f32_e32 v17, v17, v7
	v_add_f32_e32 v24, v6, v17
	v_add_f32_e32 v6, v16, v20
	v_sub_f32_e32 v17, v7, v6
	v_pk_add_f32 v[22:23], v[6:7], v[16:17] neg_lo:[0,1] neg_hi:[0,1]
	v_mov_b32_e32 v21, v6
	v_pk_add_f32 v[6:7], v[22:23], v[20:21] neg_lo:[0,1] neg_hi:[0,1]
	v_cvt_f32_i32_e32 v16, v18
	v_add_f32_e32 v7, v24, v7
	v_add_f32_e32 v6, v6, v7
	;; [unrolled: 1-line block ×4, first 2 shown]
	v_sub_f32_e32 v7, v17, v70
	v_mul_f32_e32 v6, v26, v6
	v_sub_f32_e32 v7, v27, v7
	v_add_f32_e32 v6, v7, v6
	v_add_f32_e32 v20, v17, v6
	v_mul_f32_e32 v22, v20, v20
	v_mov_b32_e32 v7, 0x3ecc95a3
	v_sub_f32_e32 v17, v20, v17
	v_fmac_f32_e32 v7, 0x3e9b6dac, v22
	v_sub_f32_e32 v6, v6, v17
	v_fmaak_f32 v7, v22, v7, 0x3f2aaada
	v_ldexp_f32 v18, v6, 1
	v_mul_f32_e32 v17, v20, v22
	v_mov_b32_e32 v6, 0x3f317218
	v_pk_mul_f32 v[6:7], v[16:17], v[6:7]
	v_ldexp_f32 v21, v20, 1
	v_fma_f32 v17, v16, s4, -v6
	v_fmamk_f32 v20, v16, 0xb102e308, v17
	v_pk_add_f32 v[16:17], v[6:7], v[20:21]
	v_mov_b32_e32 v22, v6
	v_sub_f32_e32 v21, v17, v21
	v_sub_f32_e32 v21, v7, v21
	v_add_f32_e32 v23, v18, v21
	v_pk_add_f32 v[6:7], v[16:17], v[6:7] neg_lo:[0,1] neg_hi:[0,1]
	v_pk_add_f32 v[24:25], v[16:17], v[22:23]
	v_mov_b32_e32 v21, v16
	v_mov_b32_e32 v7, v25
	v_pk_add_f32 v[26:27], v[20:21], v[6:7] neg_lo:[0,1] neg_hi:[0,1]
	v_pk_add_f32 v[6:7], v[20:21], v[6:7]
	s_mov_b32 s4, 0x33800000
	v_mov_b32_e32 v18, v7
	v_pk_add_f32 v[20:21], v[18:19], v[16:17] neg_lo:[0,1] neg_hi:[0,1]
	v_mov_b32_e32 v6, v25
	v_mov_b32_e32 v21, v20
	v_pk_add_f32 v[70:71], v[24:25], v[20:21] neg_lo:[0,1] neg_hi:[0,1]
	v_mov_b32_e32 v24, v17
	v_mov_b32_e32 v25, v20
	;; [unrolled: 1-line block ×3, first 2 shown]
	v_pk_add_f32 v[6:7], v[6:7], v[24:25] neg_lo:[0,1] neg_hi:[0,1]
	v_mov_b32_e32 v20, v23
	v_mov_b32_e32 v21, v16
	v_pk_add_f32 v[6:7], v[20:21], v[6:7] neg_lo:[0,1] neg_hi:[0,1]
	v_mov_b32_e32 v70, v26
	v_pk_add_f32 v[16:17], v[70:71], v[6:7]
	v_cmp_lt_f32_e64 s[6:7], |v80|, s4
	v_mov_b32_e32 v20, v17
	v_pk_add_f32 v[20:21], v[16:17], v[20:21]
	s_or_b64 vcc, vcc, s[6:7]
	v_pk_add_f32 v[22:23], v[18:19], v[20:21]
	v_mov_b32_e32 v7, v20
	v_mov_b32_e32 v17, v22
	v_pk_add_f32 v[24:25], v[16:17], v[26:27] neg_lo:[0,1] neg_hi:[0,1]
	s_nop 0
	v_sub_f32_e32 v16, v16, v24
	v_pk_add_f32 v[6:7], v[6:7], v[24:25] neg_lo:[0,1] neg_hi:[0,1]
	v_sub_f32_e32 v16, v26, v16
	v_add_f32_e32 v6, v6, v16
	v_add_f32_e32 v6, v6, v7
	;; [unrolled: 1-line block ×3, first 2 shown]
	v_cndmask_b32_e32 v6, v6, v80, vcc
	v_add_f32_e32 v6, v3, v6
.LBB499_406:
	s_or_b64 exec, exec, s[2:3]
	v_bfe_u32 v3, v6, 16, 1
	v_add3_u32 v3, v6, v3, s5
	v_lshrrev_b32_e32 v3, 16, v3
	v_cmp_o_f32_e32 vcc, v6, v6
	s_movk_i32 s2, 0x1f8
	s_nop 0
	v_cndmask_b32_e32 v70, v2, v3, vcc
	v_lshlrev_b32_e32 v3, 16, v70
	v_max_f32_e32 v2, v3, v3
	v_min_f32_e32 v6, v2, v87
	v_cmp_u_f32_e32 vcc, v3, v3
	v_max_f32_e32 v2, v2, v87
	s_nop 0
	v_cndmask_b32_e32 v6, v6, v3, vcc
	v_cndmask_b32_e32 v2, v2, v3, vcc
	v_cndmask_b32_e64 v6, v6, v19, s[48:49]
	v_cndmask_b32_e64 v2, v2, v19, s[48:49]
	v_cmp_neq_f32_e32 vcc, v6, v2
	v_cmp_class_f32_e64 s[2:3], v6, s2
	s_or_b64 s[4:5], vcc, s[2:3]
	s_and_saveexec_b64 s[2:3], s[4:5]
	s_cbranch_execz .LBB499_408
; %bb.407:
	v_sub_f32_e32 v3, v6, v2
	s_mov_b32 s4, 0x3fb8aa3b
	v_mul_f32_e32 v6, 0x3fb8aa3b, v3
	v_fma_f32 v7, v3, s4, -v6
	v_rndne_f32_e32 v16, v6
	v_fmamk_f32 v7, v3, 0x32a5705f, v7
	v_sub_f32_e32 v6, v6, v16
	v_add_f32_e32 v6, v6, v7
	v_exp_f32_e32 v6, v6
	v_cvt_i32_f32_e32 v7, v16
	s_mov_b32 s4, 0xc2ce8ed0
	v_cmp_ngt_f32_e32 vcc, s4, v3
	s_mov_b32 s4, 0x42b17218
	v_ldexp_f32 v6, v6, v7
	v_cndmask_b32_e32 v6, 0, v6, vcc
	v_mov_b32_e32 v7, 0x7f800000
	v_cmp_nlt_f32_e32 vcc, s4, v3
	s_mov_b32 s4, 0x3f2aaaab
	s_mov_b32 s5, 0x7f800000
	v_cndmask_b32_e32 v71, v7, v6, vcc
	v_add_f32_e32 v3, 1.0, v71
	v_add_f32_e32 v6, -1.0, v3
	v_sub_f32_e32 v7, v6, v3
	v_add_f32_e32 v7, 1.0, v7
	v_sub_f32_e32 v6, v71, v6
	v_add_f32_e32 v16, v6, v7
	v_frexp_mant_f32_e32 v17, v3
	v_cvt_f64_f32_e32 v[6:7], v3
	v_frexp_exp_i32_f64_e32 v6, v[6:7]
	v_cmp_gt_f32_e32 vcc, s4, v17
	s_mov_b32 s4, 0x3f317218
	s_nop 0
	v_subbrev_co_u32_e32 v22, vcc, 0, v6, vcc
	v_sub_u32_e32 v6, 0, v22
	v_ldexp_f32 v3, v3, v6
	v_ldexp_f32 v6, v16, v6
	v_add_f32_e32 v16, -1.0, v3
	v_add_f32_e32 v7, 1.0, v16
	v_sub_f32_e32 v7, v3, v7
	v_add_f32_e32 v17, v6, v7
	v_add_f32_e32 v7, 1.0, v3
	v_add_f32_e32 v18, -1.0, v7
	v_sub_f32_e32 v3, v3, v18
	v_add_f32_e32 v3, v6, v3
	v_add_f32_e32 v23, v7, v3
	v_rcp_f32_e32 v24, v23
	v_sub_f32_e32 v6, v7, v23
	v_add_f32_e32 v7, v16, v17
	v_add_f32_e32 v3, v3, v6
	v_mul_f32_e32 v26, v7, v24
	v_sub_f32_e32 v6, v16, v7
	v_mul_f32_e32 v16, v23, v26
	v_fma_f32 v18, v26, v23, -v16
	v_fmac_f32_e32 v18, v26, v3
	v_add_f32_e32 v25, v17, v6
	v_add_f32_e32 v6, v16, v18
	v_sub_f32_e32 v17, v7, v6
	v_pk_add_f32 v[20:21], v[6:7], v[16:17] neg_lo:[0,1] neg_hi:[0,1]
	v_mov_b32_e32 v19, v6
	v_pk_add_f32 v[6:7], v[20:21], v[18:19] neg_lo:[0,1] neg_hi:[0,1]
	v_cmp_eq_f32_e32 vcc, s5, v71
	v_add_f32_e32 v7, v25, v7
	v_add_f32_e32 v6, v6, v7
	;; [unrolled: 1-line block ×3, first 2 shown]
	v_mul_f32_e32 v25, v24, v7
	v_mul_f32_e32 v16, v23, v25
	v_fma_f32 v18, v25, v23, -v16
	v_fmac_f32_e32 v18, v25, v3
	v_sub_f32_e32 v3, v17, v7
	v_add_f32_e32 v3, v6, v3
	v_add_f32_e32 v6, v16, v18
	v_sub_f32_e32 v17, v7, v6
	v_pk_add_f32 v[20:21], v[6:7], v[16:17] neg_lo:[0,1] neg_hi:[0,1]
	v_mov_b32_e32 v19, v6
	v_pk_add_f32 v[6:7], v[20:21], v[18:19] neg_lo:[0,1] neg_hi:[0,1]
	v_cvt_f32_i32_e32 v16, v22
	v_add_f32_e32 v3, v3, v7
	v_add_f32_e32 v3, v6, v3
	;; [unrolled: 1-line block ×4, first 2 shown]
	v_sub_f32_e32 v7, v6, v26
	v_mul_f32_e32 v3, v24, v3
	v_sub_f32_e32 v7, v25, v7
	v_add_f32_e32 v3, v7, v3
	v_add_f32_e32 v17, v6, v3
	v_mul_f32_e32 v18, v17, v17
	v_mov_b32_e32 v7, 0x3ecc95a3
	v_fmac_f32_e32 v7, 0x3e9b6dac, v18
	v_sub_f32_e32 v6, v17, v6
	v_fmaak_f32 v7, v18, v7, 0x3f2aaada
	v_sub_f32_e32 v3, v3, v6
	v_ldexp_f32 v19, v17, 1
	v_mul_f32_e32 v17, v17, v18
	v_mov_b32_e32 v6, 0x3f317218
	v_pk_mul_f32 v[6:7], v[16:17], v[6:7]
	v_ldexp_f32 v3, v3, 1
	v_fma_f32 v17, v16, s4, -v6
	v_fmamk_f32 v18, v16, 0xb102e308, v17
	v_pk_add_f32 v[16:17], v[6:7], v[18:19]
	v_mov_b32_e32 v20, v6
	v_sub_f32_e32 v19, v17, v19
	v_sub_f32_e32 v19, v7, v19
	v_add_f32_e32 v21, v3, v19
	v_pk_add_f32 v[6:7], v[16:17], v[6:7] neg_lo:[0,1] neg_hi:[0,1]
	v_pk_add_f32 v[22:23], v[16:17], v[20:21]
	v_mov_b32_e32 v19, v16
	v_mov_b32_e32 v7, v23
	v_pk_add_f32 v[24:25], v[18:19], v[6:7] neg_lo:[0,1] neg_hi:[0,1]
	v_pk_add_f32 v[6:7], v[18:19], v[6:7]
	v_mov_b32_e32 v20, v21
	v_mov_b32_e32 v18, v7
	v_pk_add_f32 v[26:27], v[18:19], v[16:17] neg_lo:[0,1] neg_hi:[0,1]
	v_mov_b32_e32 v6, v23
	v_mov_b32_e32 v3, v26
	v_pk_add_f32 v[80:81], v[22:23], v[2:3] neg_lo:[0,1] neg_hi:[0,1]
	v_mov_b32_e32 v22, v17
	v_mov_b32_e32 v23, v26
	;; [unrolled: 1-line block ×3, first 2 shown]
	v_pk_add_f32 v[6:7], v[6:7], v[22:23] neg_lo:[0,1] neg_hi:[0,1]
	v_mov_b32_e32 v21, v16
	v_pk_add_f32 v[6:7], v[20:21], v[6:7] neg_lo:[0,1] neg_hi:[0,1]
	v_mov_b32_e32 v80, v24
	v_pk_add_f32 v[16:17], v[80:81], v[6:7]
	s_mov_b32 s4, 0x33800000
	v_mov_b32_e32 v20, v17
	v_pk_add_f32 v[20:21], v[16:17], v[20:21]
	v_cmp_lt_f32_e64 s[4:5], |v71|, s4
	v_pk_add_f32 v[18:19], v[18:19], v[20:21]
	v_mov_b32_e32 v7, v20
	v_mov_b32_e32 v17, v18
	v_pk_add_f32 v[22:23], v[16:17], v[24:25] neg_lo:[0,1] neg_hi:[0,1]
	s_or_b64 vcc, vcc, s[4:5]
	v_sub_f32_e32 v3, v16, v22
	v_pk_add_f32 v[6:7], v[6:7], v[22:23] neg_lo:[0,1] neg_hi:[0,1]
	v_sub_f32_e32 v3, v24, v3
	v_add_f32_e32 v3, v6, v3
	v_add_f32_e32 v3, v3, v7
	;; [unrolled: 1-line block ×3, first 2 shown]
	v_cndmask_b32_e32 v3, v3, v71, vcc
	v_add_f32_e32 v3, v2, v3
.LBB499_408:
	s_or_b64 exec, exec, s[2:3]
	v_bfe_u32 v2, v3, 16, 1
	s_movk_i32 s2, 0x7fff
	v_add3_u32 v2, v3, v2, s2
	v_lshrrev_b32_e32 v2, 16, v2
	v_mov_b32_e32 v6, 0x7fc0
	v_cmp_o_f32_e32 vcc, v3, v3
	s_movk_i32 s2, 0xff
	s_nop 0
	v_cndmask_b32_e32 v71, v6, v2, vcc
	v_cmp_eq_u32_e32 vcc, s2, v0
	s_and_saveexec_b64 s[2:3], vcc
	s_cbranch_execz .LBB499_410
; %bb.409:
	s_mov_b32 s4, 0x20000
	v_or_b32_sdwa v2, v71, s4 dst_sel:DWORD dst_unused:UNUSED_PAD src0_sel:WORD_0 src1_sel:DWORD
	flat_store_dword v[28:29], v2 offset:256 sc1
.LBB499_410:
	s_or_b64 exec, exec, s[2:3]
.LBB499_411:
	v_lshl_add_u64 v[2:3], v[12:13], 1, v[14:15]
	v_lshl_add_u64 v[2:3], s[58:59], 1, v[2:3]
	s_waitcnt lgkmcnt(0)
	s_barrier
	s_and_saveexec_b64 s[2:3], s[0:1]
	s_xor_b64 s[0:1], exec, s[2:3]
	s_cbranch_execz .LBB499_413
; %bb.412:
	s_mov_b32 s2, 0x5040100
	v_perm_b32 v7, v39, v37, s2
	v_perm_b32 v6, v36, v35, s2
	;; [unrolled: 1-line block ×4, first 2 shown]
	ds_write_b128 v1, v[4:7]
	v_perm_b32 v7, v55, v54, s2
	v_perm_b32 v6, v53, v52, s2
	;; [unrolled: 1-line block ×4, first 2 shown]
	ds_write_b128 v1, v[4:7] offset:16
	v_perm_b32 v7, v71, v70, s2
	v_perm_b32 v6, v69, v68, s2
	;; [unrolled: 1-line block ×4, first 2 shown]
	v_mov_b32_e32 v11, 0
	ds_write_b128 v1, v[4:7] offset:32
	s_waitcnt lgkmcnt(0)
	s_barrier
	ds_read_u16 v4, v10
	ds_read_u16 v5, v10 offset:512
	ds_read_u16 v6, v10 offset:1024
	;; [unrolled: 1-line block ×23, first 2 shown]
	v_lshl_add_u64 v[0:1], v[2:3], 0, v[10:11]
	s_movk_i32 s2, 0x1000
	v_add_co_u32_e32 v2, vcc, s2, v0
	s_waitcnt lgkmcnt(0)
	flat_store_short v[0:1], v4
	flat_store_short v[0:1], v5 offset:512
	flat_store_short v[0:1], v6 offset:1024
	;; [unrolled: 1-line block ×7, first 2 shown]
	v_addc_co_u32_e32 v3, vcc, 0, v1, vcc
	v_add_co_u32_e32 v0, vcc, 0x2000, v0
	flat_store_short v[2:3], v14
	flat_store_short v[2:3], v15 offset:512
	flat_store_short v[2:3], v16 offset:1024
	;; [unrolled: 1-line block ×7, first 2 shown]
	v_addc_co_u32_e32 v1, vcc, 0, v1, vcc
                                        ; implicit-def: $vgpr2_vgpr3_vgpr4_vgpr5
	flat_store_short v[0:1], v22
	flat_store_short v[0:1], v23 offset:512
	flat_store_short v[0:1], v24 offset:1024
	;; [unrolled: 1-line block ×7, first 2 shown]
                                        ; implicit-def: $vgpr6_vgpr7_vgpr8_vgpr9
                                        ; implicit-def: $vgpr0
                                        ; implicit-def: $vgpr30_vgpr31
                                        ; implicit-def: $vgpr1
                                        ; implicit-def: $vgpr11
                                        ; implicit-def: $vgpr32
                                        ; implicit-def: $vgpr33
                                        ; implicit-def: $vgpr34
                                        ; implicit-def: $vgpr35
                                        ; implicit-def: $vgpr36
                                        ; implicit-def: $vgpr37
                                        ; implicit-def: $vgpr39
                                        ; implicit-def: $vgpr38
                                        ; implicit-def: $vgpr50
                                        ; implicit-def: $vgpr49
                                        ; implicit-def: $vgpr51
                                        ; implicit-def: $vgpr52
                                        ; implicit-def: $vgpr53
                                        ; implicit-def: $vgpr54
                                        ; implicit-def: $vgpr55
                                        ; implicit-def: $vgpr64
                                        ; implicit-def: $vgpr65
                                        ; implicit-def: $vgpr66
                                        ; implicit-def: $vgpr67
                                        ; implicit-def: $vgpr68
                                        ; implicit-def: $vgpr69
                                        ; implicit-def: $vgpr70
                                        ; implicit-def: $vgpr71
                                        ; implicit-def: $vgpr2_vgpr3
                                        ; implicit-def: $vgpr48
                                        ; implicit-def: $vgpr10
.LBB499_413:
	s_andn2_saveexec_b64 s[2:3], s[0:1]
	s_cbranch_execz .LBB499_554
; %bb.414:
	s_mov_b32 s0, 0x5040100
	v_perm_b32 v15, v39, v37, s0
	v_perm_b32 v14, v36, v35, s0
	;; [unrolled: 1-line block ×4, first 2 shown]
	ds_write_b128 v1, v[12:15]
	v_perm_b32 v15, v55, v54, s0
	v_perm_b32 v14, v53, v52, s0
	;; [unrolled: 1-line block ×4, first 2 shown]
	ds_write_b128 v1, v[12:15] offset:16
	v_perm_b32 v15, v71, v70, s0
	v_perm_b32 v14, v69, v68, s0
	;; [unrolled: 1-line block ×4, first 2 shown]
	ds_write_b128 v1, v[12:15] offset:32
	s_waitcnt lgkmcnt(0)
	s_barrier
	ds_read_u16 v7, v10
	ds_read_u16 v6, v10 offset:512
	ds_read_u16 v13, v10 offset:1024
	;; [unrolled: 1-line block ×23, first 2 shown]
	v_mov_b32_e32 v11, 0
	v_lshl_add_u64 v[2:3], v[2:3], 0, v[10:11]
	v_cmp_lt_u32_e32 vcc, v0, v30
	s_and_saveexec_b64 s[0:1], vcc
	s_cbranch_execz .LBB499_416
; %bb.415:
	s_waitcnt lgkmcnt(0)
	flat_store_short v[2:3], v7
.LBB499_416:
	s_or_b64 exec, exec, s[0:1]
	v_add_u32_e32 v1, 0x100, v0
	v_cmp_lt_u32_e32 vcc, v1, v30
	s_and_saveexec_b64 s[0:1], vcc
	s_cbranch_execz .LBB499_418
; %bb.417:
	s_waitcnt lgkmcnt(0)
	flat_store_short v[2:3], v6 offset:512
.LBB499_418:
	s_or_b64 exec, exec, s[0:1]
	v_add_u32_e32 v1, 0x200, v0
	v_cmp_lt_u32_e32 vcc, v1, v30
	s_and_saveexec_b64 s[0:1], vcc
	s_cbranch_execz .LBB499_420
; %bb.419:
	s_waitcnt lgkmcnt(0)
	flat_store_short v[2:3], v13 offset:1024
.LBB499_420:
	;; [unrolled: 9-line block ×3, first 2 shown]
	s_or_b64 exec, exec, s[0:1]
	v_or_b32_e32 v1, 0x400, v0
	v_cmp_lt_u32_e32 vcc, v1, v30
	s_and_saveexec_b64 s[0:1], vcc
	s_cbranch_execz .LBB499_424
; %bb.423:
	s_waitcnt lgkmcnt(0)
	flat_store_short v[2:3], v12 offset:2048
.LBB499_424:
	s_or_b64 exec, exec, s[0:1]
	v_add_u32_e32 v1, 0x500, v0
	v_cmp_lt_u32_e32 vcc, v1, v30
	s_and_saveexec_b64 s[0:1], vcc
	s_cbranch_execz .LBB499_426
; %bb.425:
	s_waitcnt lgkmcnt(0)
	flat_store_short v[2:3], v15 offset:2560
.LBB499_426:
	s_or_b64 exec, exec, s[0:1]
	v_add_u32_e32 v1, 0x600, v0
	;; [unrolled: 9-line block ×3, first 2 shown]
	v_cmp_lt_u32_e32 vcc, v1, v30
	s_and_saveexec_b64 s[0:1], vcc
	s_cbranch_execz .LBB499_430
; %bb.429:
	s_waitcnt lgkmcnt(0)
	flat_store_short v[2:3], v21 offset:3584
.LBB499_430:
	s_or_b64 exec, exec, s[0:1]
	v_or_b32_e32 v1, 0x800, v0
	v_cmp_lt_u32_e32 vcc, v1, v30
	s_and_saveexec_b64 s[0:1], vcc
	s_cbranch_execz .LBB499_432
; %bb.431:
	v_add_co_u32_e32 v36, vcc, 0x1000, v2
	s_nop 1
	v_addc_co_u32_e32 v37, vcc, 0, v3, vcc
	s_waitcnt lgkmcnt(0)
	flat_store_short v[36:37], v22
.LBB499_432:
	s_or_b64 exec, exec, s[0:1]
	v_add_u32_e32 v1, 0x900, v0
	v_cmp_lt_u32_e32 vcc, v1, v30
	s_and_saveexec_b64 s[0:1], vcc
	s_cbranch_execz .LBB499_434
; %bb.433:
	v_add_co_u32_e32 v36, vcc, 0x1000, v2
	s_nop 1
	v_addc_co_u32_e32 v37, vcc, 0, v3, vcc
	s_waitcnt lgkmcnt(0)
	flat_store_short v[36:37], v29 offset:512
.LBB499_434:
	s_or_b64 exec, exec, s[0:1]
	v_add_u32_e32 v1, 0xa00, v0
	v_cmp_lt_u32_e32 vcc, v1, v30
	s_and_saveexec_b64 s[0:1], vcc
	s_cbranch_execz .LBB499_436
; %bb.435:
	v_add_co_u32_e32 v36, vcc, 0x1000, v2
	s_nop 1
	v_addc_co_u32_e32 v37, vcc, 0, v3, vcc
	s_waitcnt lgkmcnt(0)
	flat_store_short v[36:37], v26 offset:1024
.LBB499_436:
	;; [unrolled: 12-line block ×3, first 2 shown]
	s_or_b64 exec, exec, s[0:1]
	v_or_b32_e32 v1, 0xc00, v0
	v_cmp_lt_u32_e32 vcc, v1, v30
	s_and_saveexec_b64 s[0:1], vcc
	s_cbranch_execz .LBB499_440
; %bb.439:
	v_add_co_u32_e32 v36, vcc, 0x1000, v2
	s_nop 1
	v_addc_co_u32_e32 v37, vcc, 0, v3, vcc
	s_waitcnt lgkmcnt(0)
	flat_store_short v[36:37], v24 offset:2048
.LBB499_440:
	s_or_b64 exec, exec, s[0:1]
	v_add_u32_e32 v1, 0xd00, v0
	v_cmp_lt_u32_e32 vcc, v1, v30
	s_and_saveexec_b64 s[0:1], vcc
	s_cbranch_execz .LBB499_442
; %bb.441:
	v_add_co_u32_e32 v36, vcc, 0x1000, v2
	s_nop 1
	v_addc_co_u32_e32 v37, vcc, 0, v3, vcc
	s_waitcnt lgkmcnt(0)
	flat_store_short v[36:37], v19 offset:2560
.LBB499_442:
	s_or_b64 exec, exec, s[0:1]
	v_add_u32_e32 v1, 0xe00, v0
	;; [unrolled: 12-line block ×3, first 2 shown]
	v_cmp_lt_u32_e32 vcc, v1, v30
	s_and_saveexec_b64 s[0:1], vcc
	s_cbranch_execz .LBB499_446
; %bb.445:
	v_add_co_u32_e32 v36, vcc, 0x1000, v2
	s_nop 1
	v_addc_co_u32_e32 v37, vcc, 0, v3, vcc
	s_waitcnt lgkmcnt(0)
	flat_store_short v[36:37], v16 offset:3584
.LBB499_446:
	s_or_b64 exec, exec, s[0:1]
	v_or_b32_e32 v1, 0x1000, v0
	v_cmp_lt_u32_e32 vcc, v1, v30
	s_and_saveexec_b64 s[0:1], vcc
	s_cbranch_execz .LBB499_448
; %bb.447:
	v_add_co_u32_e32 v36, vcc, 0x2000, v2
	s_nop 1
	v_addc_co_u32_e32 v37, vcc, 0, v3, vcc
	s_waitcnt lgkmcnt(0)
	flat_store_short v[36:37], v28
.LBB499_448:
	s_or_b64 exec, exec, s[0:1]
	v_add_u32_e32 v1, 0x1100, v0
	v_cmp_lt_u32_e32 vcc, v1, v30
	s_and_saveexec_b64 s[0:1], vcc
	s_cbranch_execz .LBB499_450
; %bb.449:
	v_add_co_u32_e32 v36, vcc, 0x2000, v2
	s_nop 1
	v_addc_co_u32_e32 v37, vcc, 0, v3, vcc
	s_waitcnt lgkmcnt(0)
	flat_store_short v[36:37], v34 offset:512
.LBB499_450:
	s_or_b64 exec, exec, s[0:1]
	v_add_u32_e32 v1, 0x1200, v0
	v_cmp_lt_u32_e32 vcc, v1, v30
	s_and_saveexec_b64 s[0:1], vcc
	s_cbranch_execz .LBB499_452
; %bb.451:
	v_add_co_u32_e32 v36, vcc, 0x2000, v2
	s_nop 1
	v_addc_co_u32_e32 v37, vcc, 0, v3, vcc
	s_waitcnt lgkmcnt(0)
	flat_store_short v[36:37], v32 offset:1024
.LBB499_452:
	;; [unrolled: 12-line block ×3, first 2 shown]
	s_or_b64 exec, exec, s[0:1]
	v_or_b32_e32 v1, 0x1400, v0
	v_cmp_lt_u32_e32 vcc, v1, v30
	s_and_saveexec_b64 s[0:1], vcc
	s_cbranch_execz .LBB499_456
; %bb.455:
	v_add_co_u32_e32 v36, vcc, 0x2000, v2
	s_nop 1
	v_addc_co_u32_e32 v37, vcc, 0, v3, vcc
	s_waitcnt lgkmcnt(0)
	flat_store_short v[36:37], v18 offset:2048
.LBB499_456:
	s_or_b64 exec, exec, s[0:1]
	v_add_u32_e32 v1, 0x1500, v0
	v_cmp_lt_u32_e32 vcc, v1, v30
	s_and_saveexec_b64 s[0:1], vcc
	s_cbranch_execz .LBB499_458
; %bb.457:
	v_add_co_u32_e32 v36, vcc, 0x2000, v2
	s_nop 1
	v_addc_co_u32_e32 v37, vcc, 0, v3, vcc
	s_waitcnt lgkmcnt(0)
	flat_store_short v[36:37], v17 offset:2560
.LBB499_458:
	s_or_b64 exec, exec, s[0:1]
	v_add_u32_e32 v1, 0x1600, v0
	;; [unrolled: 12-line block ×3, first 2 shown]
	v_cmp_lt_u32_e32 vcc, v1, v30
	s_and_saveexec_b64 s[0:1], vcc
	s_cbranch_execz .LBB499_462
; %bb.461:
	v_add_co_u32_e32 v2, vcc, 0x2000, v2
	s_nop 1
	v_addc_co_u32_e32 v3, vcc, 0, v3, vcc
	s_waitcnt lgkmcnt(0)
	flat_store_short v[2:3], v35 offset:3584
.LBB499_462:
	s_or_b64 exec, exec, s[0:1]
	v_cmp_lt_u64_e32 vcc, 1, v[8:9]
	s_and_saveexec_b64 s[4:5], vcc
	s_cbranch_execz .LBB499_553
; %bb.463:
	s_add_u32 s0, 0, 0xaaaa0000
	s_addc_u32 s1, 0, 42
	s_add_i32 s1, s1, 0xaaaaa80
	s_mul_hi_u32 s9, s0, 0xffffffe8
	s_sub_i32 s9, s9, s0
	s_mul_i32 s10, s1, 0xffffffe8
	s_mul_i32 s6, s0, 0xffffffe8
	s_add_i32 s9, s9, s10
	s_mul_hi_u32 s7, s1, s6
	s_mul_i32 s8, s1, s6
	s_mul_i32 s11, s0, s9
	s_mul_hi_u32 s6, s0, s6
	s_mul_hi_u32 s10, s0, s9
	s_add_u32 s6, s6, s11
	s_addc_u32 s10, 0, s10
	s_add_u32 s6, s6, s8
	s_mul_hi_u32 s11, s1, s9
	s_addc_u32 s6, s10, s7
	s_addc_u32 s7, s11, 0
	s_mul_i32 s8, s1, s9
	s_add_u32 s6, s6, s8
	v_mov_b32_e32 v8, s6
	s_addc_u32 s7, 0, s7
	v_add_co_u32_e32 v36, vcc, s0, v8
	s_cmp_lg_u64 vcc, 0
	v_lshl_add_u64 v[2:3], v[30:31], 0, -1
	s_addc_u32 s6, s1, s7
	v_mov_b32_e32 v1, v11
	v_mad_u64_u32 v[8:9], s[0:1], v2, s6, 0
	v_mul_hi_u32 v10, v2, v36
	v_mov_b32_e32 v11, 0
	v_lshl_add_u64 v[8:9], v[10:11], 0, v[8:9]
	v_mad_u64_u32 v[36:37], s[0:1], v3, v36, 0
	v_add_co_u32_e32 v8, vcc, v8, v36
	v_mad_u64_u32 v[30:31], s[0:1], v3, s6, 0
	s_nop 0
	v_addc_co_u32_e32 v10, vcc, v9, v37, vcc
	s_nop 1
	v_addc_co_u32_e32 v31, vcc, 0, v31, vcc
	v_lshl_add_u64 v[8:9], v[10:11], 0, v[30:31]
	v_mad_u64_u32 v[10:11], s[0:1], v8, 24, 0
	v_mov_b32_e32 v30, v11
	v_mad_u64_u32 v[30:31], s[0:1], v9, 24, v[30:31]
	v_sub_co_u32_e32 v36, vcc, v2, v10
	v_cmp_lt_u32_e64 s[0:1], 23, v36
	s_nop 0
	v_subb_co_u32_e32 v37, vcc, v3, v30, vcc
	v_subrev_co_u32_e32 v10, vcc, 24, v36
	v_lshl_add_u64 v[30:31], v[8:9], 0, 1
	s_nop 0
	v_subbrev_co_u32_e32 v11, vcc, 0, v37, vcc
	v_cmp_lt_u32_e32 vcc, 23, v10
	s_nop 1
	v_cndmask_b32_e64 v10, 0, -1, vcc
	v_cmp_eq_u32_e32 vcc, 0, v11
	s_nop 1
	v_cndmask_b32_e32 v38, -1, v10, vcc
	v_lshl_add_u64 v[10:11], v[8:9], 0, 2
	v_cmp_ne_u32_e32 vcc, 0, v38
	s_nop 1
	v_cndmask_b32_e32 v11, v31, v11, vcc
	v_cndmask_b32_e64 v31, 0, -1, s[0:1]
	v_cmp_eq_u32_e64 s[0:1], 0, v37
	v_cndmask_b32_e32 v10, v30, v10, vcc
	s_nop 0
	v_cndmask_b32_e64 v31, -1, v31, s[0:1]
	v_cmp_ne_u32_e64 s[0:1], 0, v31
	s_nop 1
	v_cndmask_b32_e64 v9, v9, v11, s[0:1]
	v_cndmask_b32_e64 v8, v8, v10, s[0:1]
	v_cmp_eq_u64_e32 vcc, v[8:9], v[0:1]
	s_and_b64 exec, exec, vcc
	s_cbranch_execz .LBB499_553
; %bb.464:
	v_mul_hi_u32_u24_e32 v1, 24, v0
	v_sub_co_u32_e32 v0, vcc, v2, v48
	s_mov_b64 s[0:1], 0
	s_nop 0
	v_subb_co_u32_e32 v1, vcc, v3, v1, vcc
	v_cmp_lt_i64_e32 vcc, 11, v[0:1]
	s_mov_b64 s[12:13], 0
	s_mov_b64 s[10:11], 0
	;; [unrolled: 1-line block ×3, first 2 shown]
	s_and_saveexec_b64 s[6:7], vcc
	s_xor_b64 s[6:7], exec, s[6:7]
	s_cbranch_execnz .LBB499_470
; %bb.465:
	s_andn2_saveexec_b64 s[6:7], s[6:7]
	s_cbranch_execnz .LBB499_515
.LBB499_466:
	s_or_b64 exec, exec, s[6:7]
	s_and_saveexec_b64 s[6:7], s[12:13]
	s_cbranch_execnz .LBB499_532
.LBB499_467:
	s_or_b64 exec, exec, s[6:7]
	s_and_saveexec_b64 s[6:7], s[10:11]
	s_cbranch_execnz .LBB499_533
.LBB499_468:
	s_or_b64 exec, exec, s[6:7]
	s_and_saveexec_b64 s[6:7], s[8:9]
	s_xor_b64 s[6:7], exec, s[6:7]
	s_cbranch_execnz .LBB499_534
.LBB499_469:
	s_or_b64 exec, exec, s[6:7]
	s_and_b64 exec, exec, s[0:1]
	s_cbranch_execnz .LBB499_535
	s_branch .LBB499_553
.LBB499_470:
	v_cmp_lt_i64_e32 vcc, 17, v[0:1]
	s_and_saveexec_b64 s[14:15], vcc
	s_xor_b64 s[14:15], exec, s[14:15]
	s_cbranch_execz .LBB499_492
; %bb.471:
	v_cmp_lt_i64_e32 vcc, 20, v[0:1]
                                        ; implicit-def: $vgpr16
	s_and_saveexec_b64 s[16:17], vcc
	s_xor_b64 s[16:17], exec, s[16:17]
	s_cbranch_execz .LBB499_481
; %bb.472:
	v_cmp_lt_i64_e32 vcc, 21, v[0:1]
	s_mov_b64 s[18:19], 0
                                        ; implicit-def: $vgpr16
	s_and_saveexec_b64 s[8:9], vcc
	s_xor_b64 s[8:9], exec, s[8:9]
	s_cbranch_execz .LBB499_478
; %bb.473:
	v_cmp_lt_i64_e32 vcc, 22, v[0:1]
	s_and_saveexec_b64 s[18:19], vcc
	s_xor_b64 s[18:19], exec, s[18:19]
	s_cbranch_execz .LBB499_475
; %bb.474:
	s_waitcnt lgkmcnt(0)
	flat_store_short v[4:5], v35
                                        ; implicit-def: $vgpr33
.LBB499_475:
	s_or_saveexec_b64 s[18:19], s[18:19]
	s_mov_b64 s[20:21], 0
	s_xor_b64 exec, exec, s[18:19]
; %bb.476:
	s_mov_b64 s[20:21], exec
; %bb.477:
	s_or_b64 exec, exec, s[18:19]
	s_and_b64 s[18:19], s[20:21], exec
	s_waitcnt lgkmcnt(0)
	v_mov_b32_e32 v16, v33
                                        ; implicit-def: $vgpr17
.LBB499_478:
	s_andn2_saveexec_b64 s[8:9], s[8:9]
; %bb.479:
	s_mov_b64 s[10:11], exec
                                        ; implicit-def: $vgpr16
; %bb.480:
	s_or_b64 exec, exec, s[8:9]
	s_and_b64 s[8:9], s[18:19], exec
	s_and_b64 s[10:11], s[10:11], exec
                                        ; implicit-def: $vgpr32
                                        ; implicit-def: $vgpr18
                                        ; implicit-def: $vgpr27
.LBB499_481:
	s_andn2_saveexec_b64 s[16:17], s[16:17]
	s_cbranch_execz .LBB499_491
; %bb.482:
	v_cmp_lt_i64_e32 vcc, 18, v[0:1]
	s_mov_b64 s[18:19], 0
	s_and_saveexec_b64 s[12:13], vcc
	s_xor_b64 s[12:13], exec, s[12:13]
	s_cbranch_execz .LBB499_488
; %bb.483:
	v_cmp_lt_i64_e32 vcc, 19, v[0:1]
	s_and_saveexec_b64 s[20:21], vcc
	s_xor_b64 s[20:21], exec, s[20:21]
; %bb.484:
	s_mov_b64 s[18:19], exec
                                        ; implicit-def: $vgpr27
; %bb.485:
	s_andn2_saveexec_b64 s[20:21], s[20:21]
	s_cbranch_execz .LBB499_487
; %bb.486:
	s_waitcnt lgkmcnt(0)
	flat_store_short v[4:5], v27
                                        ; implicit-def: $vgpr18
.LBB499_487:
	s_or_b64 exec, exec, s[20:21]
	s_and_b64 s[18:19], s[18:19], exec
                                        ; implicit-def: $vgpr32
.LBB499_488:
	s_andn2_saveexec_b64 s[12:13], s[12:13]
	s_cbranch_execz .LBB499_490
; %bb.489:
	s_waitcnt lgkmcnt(0)
	flat_store_short v[4:5], v32
                                        ; implicit-def: $vgpr18
.LBB499_490:
	s_or_b64 exec, exec, s[12:13]
	s_and_b64 s[12:13], s[18:19], exec
                                        ; implicit-def: $vgpr16
                                        ; implicit-def: $vgpr17
.LBB499_491:
	s_or_b64 exec, exec, s[16:17]
	s_and_b64 s[8:9], s[8:9], exec
	s_and_b64 s[10:11], s[10:11], exec
	;; [unrolled: 1-line block ×3, first 2 shown]
                                        ; implicit-def: $vgpr24
                                        ; implicit-def: $vgpr19
                                        ; implicit-def: $vgpr20
                                        ; implicit-def: $vgpr28
                                        ; implicit-def: $vgpr34
.LBB499_492:
	s_andn2_saveexec_b64 s[14:15], s[14:15]
	s_cbranch_execz .LBB499_514
; %bb.493:
	v_cmp_lt_i64_e32 vcc, 14, v[0:1]
	s_mov_b64 s[16:17], s[8:9]
	s_and_saveexec_b64 s[18:19], vcc
	s_xor_b64 s[18:19], exec, s[18:19]
	s_cbranch_execz .LBB499_503
; %bb.494:
	v_cmp_lt_i64_e32 vcc, 15, v[0:1]
	s_and_saveexec_b64 s[16:17], vcc
	s_xor_b64 s[16:17], exec, s[16:17]
	s_cbranch_execz .LBB499_500
; %bb.495:
	v_cmp_lt_i64_e32 vcc, 16, v[0:1]
	s_and_saveexec_b64 s[20:21], vcc
	s_xor_b64 s[20:21], exec, s[20:21]
	s_cbranch_execz .LBB499_497
; %bb.496:
	s_waitcnt lgkmcnt(0)
	flat_store_short v[4:5], v34
                                        ; implicit-def: $vgpr28
.LBB499_497:
	s_andn2_saveexec_b64 s[20:21], s[20:21]
	s_cbranch_execz .LBB499_499
; %bb.498:
	s_waitcnt lgkmcnt(0)
	flat_store_short v[4:5], v28
.LBB499_499:
	s_or_b64 exec, exec, s[20:21]
                                        ; implicit-def: $vgpr16
.LBB499_500:
	s_or_saveexec_b64 s[16:17], s[16:17]
	s_mov_b64 s[20:21], s[8:9]
	s_xor_b64 exec, exec, s[16:17]
; %bb.501:
	s_or_b64 s[20:21], s[8:9], exec
; %bb.502:
	s_or_b64 exec, exec, s[16:17]
	s_andn2_b64 s[16:17], s[8:9], exec
	s_and_b64 s[20:21], s[20:21], exec
	s_or_b64 s[16:17], s[16:17], s[20:21]
                                        ; implicit-def: $vgpr24
                                        ; implicit-def: $vgpr19
                                        ; implicit-def: $vgpr20
.LBB499_503:
	s_or_saveexec_b64 s[18:19], s[18:19]
	s_mov_b64 s[20:21], s[10:11]
                                        ; implicit-def: $vgpr17
	s_xor_b64 exec, exec, s[18:19]
	s_cbranch_execz .LBB499_513
; %bb.504:
	v_cmp_lt_i64_e32 vcc, 12, v[0:1]
	s_mov_b64 s[22:23], s[10:11]
	s_mov_b64 s[24:25], s[16:17]
                                        ; implicit-def: $vgpr16
                                        ; implicit-def: $vgpr17
	s_and_saveexec_b64 s[20:21], vcc
	s_xor_b64 s[20:21], exec, s[20:21]
	s_cbranch_execz .LBB499_510
; %bb.505:
	v_cmp_lt_i64_e32 vcc, 13, v[0:1]
	s_mov_b64 s[22:23], s[16:17]
	s_and_saveexec_b64 s[24:25], vcc
	s_xor_b64 s[24:25], exec, s[24:25]
; %bb.506:
	s_or_b64 s[22:23], s[16:17], exec
                                        ; implicit-def: $vgpr19
; %bb.507:
	s_or_saveexec_b64 s[24:25], s[24:25]
	s_mov_b64 s[26:27], s[10:11]
	s_xor_b64 exec, exec, s[24:25]
; %bb.508:
	s_or_b64 s[26:27], s[10:11], exec
                                        ; implicit-def: $vgpr20
; %bb.509:
	s_or_b64 exec, exec, s[24:25]
	s_andn2_b64 s[24:25], s[16:17], exec
	s_and_b64 s[22:23], s[22:23], exec
	s_or_b64 s[24:25], s[24:25], s[22:23]
	s_andn2_b64 s[22:23], s[10:11], exec
	s_and_b64 s[26:27], s[26:27], exec
	s_or_b64 s[22:23], s[22:23], s[26:27]
	s_waitcnt lgkmcnt(0)
	v_mov_b32_e32 v16, v20
	v_mov_b32_e32 v17, v19
                                        ; implicit-def: $vgpr24
.LBB499_510:
	s_andn2_saveexec_b64 s[20:21], s[20:21]
	s_cbranch_execz .LBB499_512
; %bb.511:
	s_or_b64 s[22:23], s[22:23], exec
                                        ; implicit-def: $vgpr16
	s_waitcnt lgkmcnt(0)
	v_mov_b32_e32 v17, v24
.LBB499_512:
	s_or_b64 exec, exec, s[20:21]
	s_andn2_b64 s[16:17], s[16:17], exec
	s_and_b64 s[20:21], s[24:25], exec
	s_or_b64 s[16:17], s[16:17], s[20:21]
	s_andn2_b64 s[20:21], s[10:11], exec
	s_and_b64 s[22:23], s[22:23], exec
	s_or_b64 s[20:21], s[20:21], s[22:23]
.LBB499_513:
	s_or_b64 exec, exec, s[18:19]
	s_andn2_b64 s[8:9], s[8:9], exec
	s_and_b64 s[16:17], s[16:17], exec
	s_or_b64 s[8:9], s[8:9], s[16:17]
	s_andn2_b64 s[10:11], s[10:11], exec
	s_and_b64 s[16:17], s[20:21], exec
	s_or_b64 s[10:11], s[10:11], s[16:17]
                                        ; implicit-def: $vgpr18
.LBB499_514:
	s_or_b64 exec, exec, s[14:15]
	s_and_b64 s[8:9], s[8:9], exec
	s_and_b64 s[10:11], s[10:11], exec
	s_and_b64 s[12:13], s[12:13], exec
                                        ; implicit-def: $vgpr23
                                        ; implicit-def: $vgpr21
                                        ; implicit-def: $vgpr22
                                        ; implicit-def: $vgpr29
                                        ; implicit-def: $vgpr26
                                        ; implicit-def: $vgpr25
	s_andn2_saveexec_b64 s[6:7], s[6:7]
	s_cbranch_execz .LBB499_466
.LBB499_515:
	v_cmp_lt_i64_e32 vcc, 5, v[0:1]
	s_mov_b64 s[16:17], -1
	s_mov_b64 s[14:15], s[12:13]
	s_mov_b64 s[18:19], s[10:11]
	;; [unrolled: 1-line block ×3, first 2 shown]
                                        ; implicit-def: $vgpr16
                                        ; implicit-def: $vgpr17
                                        ; implicit-def: $vgpr18
	s_and_saveexec_b64 s[0:1], vcc
	s_cbranch_execz .LBB499_531
; %bb.516:
	v_cmp_lt_i64_e32 vcc, 8, v[0:1]
	s_mov_b64 s[14:15], s[12:13]
                                        ; implicit-def: $vgpr18
	s_and_saveexec_b64 s[16:17], vcc
	s_xor_b64 s[16:17], exec, s[16:17]
	s_cbranch_execz .LBB499_526
; %bb.517:
	v_cmp_lt_i64_e32 vcc, 9, v[0:1]
	s_and_saveexec_b64 s[14:15], vcc
	s_xor_b64 s[14:15], exec, s[14:15]
	s_cbranch_execz .LBB499_523
; %bb.518:
	v_cmp_lt_i64_e32 vcc, 10, v[0:1]
	s_and_saveexec_b64 s[18:19], vcc
	s_xor_b64 s[18:19], exec, s[18:19]
; %bb.519:
                                        ; implicit-def: $vgpr26
; %bb.520:
	s_andn2_saveexec_b64 s[18:19], s[18:19]
	s_cbranch_execz .LBB499_522
; %bb.521:
	s_waitcnt lgkmcnt(0)
	v_mov_b32_e32 v25, v26
.LBB499_522:
	s_or_b64 exec, exec, s[18:19]
                                        ; implicit-def: $vgpr29
.LBB499_523:
	s_andn2_saveexec_b64 s[14:15], s[14:15]
	s_cbranch_execz .LBB499_525
; %bb.524:
	s_waitcnt lgkmcnt(0)
	v_mov_b32_e32 v25, v29
.LBB499_525:
	s_or_b64 exec, exec, s[14:15]
	s_or_b64 s[14:15], s[12:13], exec
	s_waitcnt lgkmcnt(0)
	v_mov_b32_e32 v18, v25
                                        ; implicit-def: $vgpr23
                                        ; implicit-def: $vgpr21
                                        ; implicit-def: $vgpr22
.LBB499_526:
	s_or_saveexec_b64 s[16:17], s[16:17]
	s_mov_b64 s[18:19], s[10:11]
	s_mov_b64 s[22:23], s[8:9]
                                        ; implicit-def: $vgpr16
                                        ; implicit-def: $vgpr17
	s_xor_b64 exec, exec, s[16:17]
	s_cbranch_execz .LBB499_530
; %bb.527:
	v_cmp_lt_i64_e32 vcc, 6, v[0:1]
	s_mov_b64 s[22:23], -1
	s_mov_b64 s[20:21], s[14:15]
	s_mov_b64 s[18:19], s[10:11]
	s_and_saveexec_b64 s[24:25], vcc
; %bb.528:
	v_cmp_lt_i64_e32 vcc, 7, v[0:1]
	s_andn2_b64 s[20:21], s[14:15], exec
	s_and_b64 s[26:27], vcc, exec
	s_xor_b64 s[22:23], exec, -1
	s_or_b64 s[18:19], s[10:11], exec
	s_or_b64 s[20:21], s[20:21], s[26:27]
                                        ; implicit-def: $vgpr23
; %bb.529:
	s_or_b64 exec, exec, s[24:25]
	s_andn2_b64 s[24:25], s[8:9], exec
	s_and_b64 s[22:23], s[22:23], exec
	s_or_b64 s[22:23], s[24:25], s[22:23]
	s_andn2_b64 s[24:25], s[10:11], exec
	s_and_b64 s[18:19], s[18:19], exec
	s_andn2_b64 s[14:15], s[14:15], exec
	s_and_b64 s[20:21], s[20:21], exec
	s_or_b64 s[18:19], s[24:25], s[18:19]
	s_or_b64 s[14:15], s[14:15], s[20:21]
	s_waitcnt lgkmcnt(0)
	v_mov_b32_e32 v16, v23
	v_mov_b32_e32 v17, v21
	;; [unrolled: 1-line block ×3, first 2 shown]
.LBB499_530:
	s_or_b64 exec, exec, s[16:17]
	s_andn2_b64 s[20:21], s[8:9], exec
	s_and_b64 s[22:23], s[22:23], exec
	s_or_b64 s[20:21], s[20:21], s[22:23]
	s_andn2_b64 s[22:23], s[10:11], exec
	s_and_b64 s[18:19], s[18:19], exec
	s_or_b64 s[18:19], s[22:23], s[18:19]
	s_andn2_b64 s[22:23], s[12:13], exec
	s_and_b64 s[14:15], s[14:15], exec
	s_xor_b64 s[16:17], exec, -1
	s_or_b64 s[14:15], s[22:23], s[14:15]
.LBB499_531:
	s_or_b64 exec, exec, s[0:1]
	s_and_b64 s[0:1], s[16:17], exec
	s_andn2_b64 s[8:9], s[8:9], exec
	s_and_b64 s[16:17], s[20:21], exec
	s_or_b64 s[8:9], s[8:9], s[16:17]
	s_andn2_b64 s[10:11], s[10:11], exec
	s_and_b64 s[16:17], s[18:19], exec
	s_andn2_b64 s[12:13], s[12:13], exec
	s_and_b64 s[14:15], s[14:15], exec
	s_or_b64 s[10:11], s[10:11], s[16:17]
	s_or_b64 s[12:13], s[12:13], s[14:15]
	s_or_b64 exec, exec, s[6:7]
	s_and_saveexec_b64 s[6:7], s[12:13]
	s_cbranch_execz .LBB499_467
.LBB499_532:
	s_andn2_b64 s[10:11], s[10:11], exec
	s_waitcnt lgkmcnt(0)
	flat_store_short v[4:5], v18
                                        ; implicit-def: $vgpr16
                                        ; implicit-def: $vgpr17
	s_or_b64 exec, exec, s[6:7]
	s_and_saveexec_b64 s[6:7], s[10:11]
	s_cbranch_execz .LBB499_468
.LBB499_533:
	s_waitcnt lgkmcnt(0)
	flat_store_short v[4:5], v17
                                        ; implicit-def: $vgpr16
	s_or_b64 exec, exec, s[6:7]
	s_and_saveexec_b64 s[6:7], s[8:9]
	s_xor_b64 s[6:7], exec, s[6:7]
	s_cbranch_execz .LBB499_469
.LBB499_534:
	s_waitcnt lgkmcnt(0)
	flat_store_short v[4:5], v16
	s_or_b64 exec, exec, s[6:7]
	s_and_b64 exec, exec, s[0:1]
	s_cbranch_execz .LBB499_553
.LBB499_535:
	v_cmp_lt_i64_e32 vcc, 2, v[0:1]
	s_and_saveexec_b64 s[0:1], vcc
	s_xor_b64 s[0:1], exec, s[0:1]
	s_cbranch_execz .LBB499_545
; %bb.536:
	v_cmp_lt_i64_e32 vcc, 3, v[0:1]
	s_and_saveexec_b64 s[6:7], vcc
	s_xor_b64 s[6:7], exec, s[6:7]
	s_cbranch_execz .LBB499_542
; %bb.537:
	;; [unrolled: 5-line block ×3, first 2 shown]
	s_waitcnt lgkmcnt(0)
	flat_store_short v[4:5], v15
                                        ; implicit-def: $vgpr4_vgpr5
                                        ; implicit-def: $vgpr12
.LBB499_539:
	s_andn2_saveexec_b64 s[8:9], s[8:9]
	s_cbranch_execz .LBB499_541
; %bb.540:
	s_waitcnt lgkmcnt(0)
	flat_store_short v[4:5], v12
.LBB499_541:
	s_or_b64 exec, exec, s[8:9]
                                        ; implicit-def: $vgpr4_vgpr5
                                        ; implicit-def: $vgpr14
.LBB499_542:
	s_andn2_saveexec_b64 s[6:7], s[6:7]
	s_cbranch_execz .LBB499_544
; %bb.543:
	s_waitcnt lgkmcnt(0)
	flat_store_short v[4:5], v14
.LBB499_544:
	s_or_b64 exec, exec, s[6:7]
                                        ; implicit-def: $vgpr0_vgpr1
                                        ; implicit-def: $vgpr4_vgpr5
                                        ; implicit-def: $vgpr13
                                        ; implicit-def: $vgpr6
                                        ; implicit-def: $vgpr7
.LBB499_545:
	s_andn2_saveexec_b64 s[0:1], s[0:1]
	s_cbranch_execz .LBB499_553
; %bb.546:
	v_cmp_lt_i64_e32 vcc, 1, v[0:1]
	s_and_saveexec_b64 s[0:1], vcc
	s_xor_b64 s[0:1], exec, s[0:1]
	s_cbranch_execz .LBB499_548
; %bb.547:
	s_waitcnt lgkmcnt(0)
	flat_store_short v[4:5], v13
                                        ; implicit-def: $vgpr4_vgpr5
                                        ; implicit-def: $vgpr6
                                        ; implicit-def: $vgpr0_vgpr1
                                        ; implicit-def: $vgpr7
.LBB499_548:
	s_andn2_saveexec_b64 s[0:1], s[0:1]
	s_cbranch_execz .LBB499_553
; %bb.549:
	v_cmp_ne_u64_e32 vcc, 1, v[0:1]
	s_and_saveexec_b64 s[0:1], vcc
	s_xor_b64 s[0:1], exec, s[0:1]
	s_cbranch_execz .LBB499_551
; %bb.550:
	s_waitcnt lgkmcnt(0)
	flat_store_short v[4:5], v7
                                        ; implicit-def: $vgpr4_vgpr5
                                        ; implicit-def: $vgpr6
.LBB499_551:
	s_andn2_saveexec_b64 s[0:1], s[0:1]
	s_cbranch_execz .LBB499_553
; %bb.552:
	s_waitcnt lgkmcnt(0)
	flat_store_short v[4:5], v6
.LBB499_553:
	s_or_b64 exec, exec, s[4:5]
.LBB499_554:
	s_or_b64 exec, exec, s[2:3]
	v_readlane_b32 s30, v40, 0
	v_readlane_b32 s31, v40, 1
	s_or_saveexec_b64 s[0:1], -1
	scratch_load_dword v40, off, s32        ; 4-byte Folded Reload
	s_mov_b64 exec, s[0:1]
	s_waitcnt vmcnt(0) lgkmcnt(0)
	s_setpc_b64 s[30:31]
.Lfunc_end499:
	.size	_ZZZN7rocprim17ROCPRIM_400000_NS6detail9scan_implILNS1_25lookback_scan_determinismE0ELb0ELb0ENS0_14default_configEPKN3c108BFloat16EPS6_S6_ZZZN2at6native31launch_logcumsumexp_cuda_kernelERKNSA_10TensorBaseESE_lENKUlvE_clEvENKUlvE4_clEvEUlS6_S6_E_S6_EEDaPvRmT3_T4_T5_mT6_P12ihipStream_tbENKUlT_T0_E_clISt17integral_constantIbLb1EESU_IbLb0EEEEDaSQ_SR_ENKUlSQ_E_clINS1_13target_configIS4_NS1_20scan_config_selectorIS6_EENS1_11comp_targetILNS1_3genE5ELNS1_11target_archE942ELNS1_3gpuE9ELNS1_3repE0EEELNS0_4arch9wavefront6targetE1EEEEEDaSQ_, .Lfunc_end499-_ZZZN7rocprim17ROCPRIM_400000_NS6detail9scan_implILNS1_25lookback_scan_determinismE0ELb0ELb0ENS0_14default_configEPKN3c108BFloat16EPS6_S6_ZZZN2at6native31launch_logcumsumexp_cuda_kernelERKNSA_10TensorBaseESE_lENKUlvE_clEvENKUlvE4_clEvEUlS6_S6_E_S6_EEDaPvRmT3_T4_T5_mT6_P12ihipStream_tbENKUlT_T0_E_clISt17integral_constantIbLb1EESU_IbLb0EEEEDaSQ_SR_ENKUlSQ_E_clINS1_13target_configIS4_NS1_20scan_config_selectorIS6_EENS1_11comp_targetILNS1_3genE5ELNS1_11target_archE942ELNS1_3gpuE9ELNS1_3repE0EEELNS0_4arch9wavefront6targetE1EEEEEDaSQ_
                                        ; -- End function
	.section	.AMDGPU.csdata,"",@progbits
; Function info:
; codeLenInByte = 120680
; NumSgprs: 80
; NumVgprs: 214
; NumAgprs: 0
; TotalNumVgprs: 214
; ScratchSize: 8
; MemoryBound: 0
	.section	.text._ZN7rocprim17ROCPRIM_400000_NS6detail17trampoline_kernelINS0_14default_configENS1_20scan_config_selectorIN3c108BFloat16EEEZZNS1_9scan_implILNS1_25lookback_scan_determinismE0ELb0ELb0ES3_PKS6_PS6_S6_ZZZN2at6native31launch_logcumsumexp_cuda_kernelERKNSD_10TensorBaseESH_lENKUlvE_clEvENKUlvE4_clEvEUlS6_S6_E_S6_EEDaPvRmT3_T4_T5_mT6_P12ihipStream_tbENKUlT_T0_E_clISt17integral_constantIbLb1EESX_IbLb0EEEEDaST_SU_EUlST_E_NS1_11comp_targetILNS1_3genE5ELNS1_11target_archE942ELNS1_3gpuE9ELNS1_3repE0EEENS1_30default_config_static_selectorELNS0_4arch9wavefront6targetE1EEEvT1_,"axG",@progbits,_ZN7rocprim17ROCPRIM_400000_NS6detail17trampoline_kernelINS0_14default_configENS1_20scan_config_selectorIN3c108BFloat16EEEZZNS1_9scan_implILNS1_25lookback_scan_determinismE0ELb0ELb0ES3_PKS6_PS6_S6_ZZZN2at6native31launch_logcumsumexp_cuda_kernelERKNSD_10TensorBaseESH_lENKUlvE_clEvENKUlvE4_clEvEUlS6_S6_E_S6_EEDaPvRmT3_T4_T5_mT6_P12ihipStream_tbENKUlT_T0_E_clISt17integral_constantIbLb1EESX_IbLb0EEEEDaST_SU_EUlST_E_NS1_11comp_targetILNS1_3genE5ELNS1_11target_archE942ELNS1_3gpuE9ELNS1_3repE0EEENS1_30default_config_static_selectorELNS0_4arch9wavefront6targetE1EEEvT1_,comdat
	.globl	_ZN7rocprim17ROCPRIM_400000_NS6detail17trampoline_kernelINS0_14default_configENS1_20scan_config_selectorIN3c108BFloat16EEEZZNS1_9scan_implILNS1_25lookback_scan_determinismE0ELb0ELb0ES3_PKS6_PS6_S6_ZZZN2at6native31launch_logcumsumexp_cuda_kernelERKNSD_10TensorBaseESH_lENKUlvE_clEvENKUlvE4_clEvEUlS6_S6_E_S6_EEDaPvRmT3_T4_T5_mT6_P12ihipStream_tbENKUlT_T0_E_clISt17integral_constantIbLb1EESX_IbLb0EEEEDaST_SU_EUlST_E_NS1_11comp_targetILNS1_3genE5ELNS1_11target_archE942ELNS1_3gpuE9ELNS1_3repE0EEENS1_30default_config_static_selectorELNS0_4arch9wavefront6targetE1EEEvT1_ ; -- Begin function _ZN7rocprim17ROCPRIM_400000_NS6detail17trampoline_kernelINS0_14default_configENS1_20scan_config_selectorIN3c108BFloat16EEEZZNS1_9scan_implILNS1_25lookback_scan_determinismE0ELb0ELb0ES3_PKS6_PS6_S6_ZZZN2at6native31launch_logcumsumexp_cuda_kernelERKNSD_10TensorBaseESH_lENKUlvE_clEvENKUlvE4_clEvEUlS6_S6_E_S6_EEDaPvRmT3_T4_T5_mT6_P12ihipStream_tbENKUlT_T0_E_clISt17integral_constantIbLb1EESX_IbLb0EEEEDaST_SU_EUlST_E_NS1_11comp_targetILNS1_3genE5ELNS1_11target_archE942ELNS1_3gpuE9ELNS1_3repE0EEENS1_30default_config_static_selectorELNS0_4arch9wavefront6targetE1EEEvT1_
	.p2align	8
	.type	_ZN7rocprim17ROCPRIM_400000_NS6detail17trampoline_kernelINS0_14default_configENS1_20scan_config_selectorIN3c108BFloat16EEEZZNS1_9scan_implILNS1_25lookback_scan_determinismE0ELb0ELb0ES3_PKS6_PS6_S6_ZZZN2at6native31launch_logcumsumexp_cuda_kernelERKNSD_10TensorBaseESH_lENKUlvE_clEvENKUlvE4_clEvEUlS6_S6_E_S6_EEDaPvRmT3_T4_T5_mT6_P12ihipStream_tbENKUlT_T0_E_clISt17integral_constantIbLb1EESX_IbLb0EEEEDaST_SU_EUlST_E_NS1_11comp_targetILNS1_3genE5ELNS1_11target_archE942ELNS1_3gpuE9ELNS1_3repE0EEENS1_30default_config_static_selectorELNS0_4arch9wavefront6targetE1EEEvT1_,@function
_ZN7rocprim17ROCPRIM_400000_NS6detail17trampoline_kernelINS0_14default_configENS1_20scan_config_selectorIN3c108BFloat16EEEZZNS1_9scan_implILNS1_25lookback_scan_determinismE0ELb0ELb0ES3_PKS6_PS6_S6_ZZZN2at6native31launch_logcumsumexp_cuda_kernelERKNSD_10TensorBaseESH_lENKUlvE_clEvENKUlvE4_clEvEUlS6_S6_E_S6_EEDaPvRmT3_T4_T5_mT6_P12ihipStream_tbENKUlT_T0_E_clISt17integral_constantIbLb1EESX_IbLb0EEEEDaST_SU_EUlST_E_NS1_11comp_targetILNS1_3genE5ELNS1_11target_archE942ELNS1_3gpuE9ELNS1_3repE0EEENS1_30default_config_static_selectorELNS0_4arch9wavefront6targetE1EEEvT1_: ; @_ZN7rocprim17ROCPRIM_400000_NS6detail17trampoline_kernelINS0_14default_configENS1_20scan_config_selectorIN3c108BFloat16EEEZZNS1_9scan_implILNS1_25lookback_scan_determinismE0ELb0ELb0ES3_PKS6_PS6_S6_ZZZN2at6native31launch_logcumsumexp_cuda_kernelERKNSD_10TensorBaseESH_lENKUlvE_clEvENKUlvE4_clEvEUlS6_S6_E_S6_EEDaPvRmT3_T4_T5_mT6_P12ihipStream_tbENKUlT_T0_E_clISt17integral_constantIbLb1EESX_IbLb0EEEEDaST_SU_EUlST_E_NS1_11comp_targetILNS1_3genE5ELNS1_11target_archE942ELNS1_3gpuE9ELNS1_3repE0EEENS1_30default_config_static_selectorELNS0_4arch9wavefront6targetE1EEEvT1_
; %bb.0:
	s_load_dwordx8 s[4:11], s[0:1], 0x0
	s_load_dwordx8 s[12:19], s[0:1], 0x20
	s_mov_b64 s[20:21], src_private_base
	v_mov_b32_e32 v31, v0
	v_mov_b32_e32 v0, 0
	s_waitcnt lgkmcnt(0)
	v_mov_b64_e32 v[2:3], s[4:5]
	v_mov_b64_e32 v[4:5], s[6:7]
	scratch_store_dwordx4 off, v[2:5], off
	v_mov_b32_e32 v1, s21
	s_movk_i32 s32, 0x70
	v_mov_b64_e32 v[2:3], s[8:9]
	v_mov_b64_e32 v[4:5], s[10:11]
	s_load_dwordx8 s[4:11], s[0:1], 0x40
	scratch_store_dwordx4 off, v[2:5], off offset:16
	s_nop 1
	v_mov_b64_e32 v[2:3], s[12:13]
	v_mov_b64_e32 v[4:5], s[14:15]
	scratch_store_dwordx4 off, v[2:5], off offset:32
	s_mov_b32 s12, s2
	s_nop 0
	v_mov_b64_e32 v[2:3], s[16:17]
	v_mov_b64_e32 v[4:5], s[18:19]
	scratch_store_dwordx4 off, v[2:5], off offset:48
	s_waitcnt lgkmcnt(0)
	s_nop 0
	v_mov_b64_e32 v[2:3], s[4:5]
	v_mov_b64_e32 v[4:5], s[6:7]
	scratch_store_dwordx4 off, v[2:5], off offset:64
	s_nop 1
	v_mov_b64_e32 v[2:3], s[8:9]
	v_mov_b64_e32 v[4:5], s[10:11]
	s_add_u32 s8, s0, 0x60
	s_addc_u32 s9, s1, 0
	scratch_store_dwordx4 off, v[2:5], off offset:80
	s_getpc_b64 s[0:1]
	s_add_u32 s0, s0, _ZZZN7rocprim17ROCPRIM_400000_NS6detail9scan_implILNS1_25lookback_scan_determinismE0ELb0ELb0ENS0_14default_configEPKN3c108BFloat16EPS6_S6_ZZZN2at6native31launch_logcumsumexp_cuda_kernelERKNSA_10TensorBaseESE_lENKUlvE_clEvENKUlvE4_clEvEUlS6_S6_E_S6_EEDaPvRmT3_T4_T5_mT6_P12ihipStream_tbENKUlT_T0_E_clISt17integral_constantIbLb1EESU_IbLb0EEEEDaSQ_SR_ENKUlSQ_E_clINS1_13target_configIS4_NS1_20scan_config_selectorIS6_EENS1_11comp_targetILNS1_3genE5ELNS1_11target_archE942ELNS1_3gpuE9ELNS1_3repE0EEELNS0_4arch9wavefront6targetE1EEEEEDaSQ_@rel32@lo+4
	s_addc_u32 s1, s1, _ZZZN7rocprim17ROCPRIM_400000_NS6detail9scan_implILNS1_25lookback_scan_determinismE0ELb0ELb0ENS0_14default_configEPKN3c108BFloat16EPS6_S6_ZZZN2at6native31launch_logcumsumexp_cuda_kernelERKNSA_10TensorBaseESE_lENKUlvE_clEvENKUlvE4_clEvEUlS6_S6_E_S6_EEDaPvRmT3_T4_T5_mT6_P12ihipStream_tbENKUlT_T0_E_clISt17integral_constantIbLb1EESU_IbLb0EEEEDaSQ_SR_ENKUlSQ_E_clINS1_13target_configIS4_NS1_20scan_config_selectorIS6_EENS1_11comp_targetILNS1_3genE5ELNS1_11target_archE942ELNS1_3gpuE9ELNS1_3repE0EEELNS0_4arch9wavefront6targetE1EEEEEDaSQ_@rel32@hi+12
	s_swappc_b64 s[30:31], s[0:1]
	s_endpgm
	.section	.rodata,"a",@progbits
	.p2align	6, 0x0
	.amdhsa_kernel _ZN7rocprim17ROCPRIM_400000_NS6detail17trampoline_kernelINS0_14default_configENS1_20scan_config_selectorIN3c108BFloat16EEEZZNS1_9scan_implILNS1_25lookback_scan_determinismE0ELb0ELb0ES3_PKS6_PS6_S6_ZZZN2at6native31launch_logcumsumexp_cuda_kernelERKNSD_10TensorBaseESH_lENKUlvE_clEvENKUlvE4_clEvEUlS6_S6_E_S6_EEDaPvRmT3_T4_T5_mT6_P12ihipStream_tbENKUlT_T0_E_clISt17integral_constantIbLb1EESX_IbLb0EEEEDaST_SU_EUlST_E_NS1_11comp_targetILNS1_3genE5ELNS1_11target_archE942ELNS1_3gpuE9ELNS1_3repE0EEENS1_30default_config_static_selectorELNS0_4arch9wavefront6targetE1EEEvT1_
		.amdhsa_group_segment_fixed_size 12288
		.amdhsa_private_segment_fixed_size 120
		.amdhsa_kernarg_size 352
		.amdhsa_user_sgpr_count 2
		.amdhsa_user_sgpr_dispatch_ptr 0
		.amdhsa_user_sgpr_queue_ptr 0
		.amdhsa_user_sgpr_kernarg_segment_ptr 1
		.amdhsa_user_sgpr_dispatch_id 0
		.amdhsa_user_sgpr_kernarg_preload_length 0
		.amdhsa_user_sgpr_kernarg_preload_offset 0
		.amdhsa_user_sgpr_private_segment_size 0
		.amdhsa_uses_dynamic_stack 0
		.amdhsa_enable_private_segment 1
		.amdhsa_system_sgpr_workgroup_id_x 1
		.amdhsa_system_sgpr_workgroup_id_y 0
		.amdhsa_system_sgpr_workgroup_id_z 0
		.amdhsa_system_sgpr_workgroup_info 0
		.amdhsa_system_vgpr_workitem_id 0
		.amdhsa_next_free_vgpr 214
		.amdhsa_next_free_sgpr 74
		.amdhsa_accum_offset 216
		.amdhsa_reserve_vcc 1
		.amdhsa_float_round_mode_32 0
		.amdhsa_float_round_mode_16_64 0
		.amdhsa_float_denorm_mode_32 3
		.amdhsa_float_denorm_mode_16_64 3
		.amdhsa_dx10_clamp 1
		.amdhsa_ieee_mode 1
		.amdhsa_fp16_overflow 0
		.amdhsa_tg_split 0
		.amdhsa_exception_fp_ieee_invalid_op 0
		.amdhsa_exception_fp_denorm_src 0
		.amdhsa_exception_fp_ieee_div_zero 0
		.amdhsa_exception_fp_ieee_overflow 0
		.amdhsa_exception_fp_ieee_underflow 0
		.amdhsa_exception_fp_ieee_inexact 0
		.amdhsa_exception_int_div_zero 0
	.end_amdhsa_kernel
	.section	.text._ZN7rocprim17ROCPRIM_400000_NS6detail17trampoline_kernelINS0_14default_configENS1_20scan_config_selectorIN3c108BFloat16EEEZZNS1_9scan_implILNS1_25lookback_scan_determinismE0ELb0ELb0ES3_PKS6_PS6_S6_ZZZN2at6native31launch_logcumsumexp_cuda_kernelERKNSD_10TensorBaseESH_lENKUlvE_clEvENKUlvE4_clEvEUlS6_S6_E_S6_EEDaPvRmT3_T4_T5_mT6_P12ihipStream_tbENKUlT_T0_E_clISt17integral_constantIbLb1EESX_IbLb0EEEEDaST_SU_EUlST_E_NS1_11comp_targetILNS1_3genE5ELNS1_11target_archE942ELNS1_3gpuE9ELNS1_3repE0EEENS1_30default_config_static_selectorELNS0_4arch9wavefront6targetE1EEEvT1_,"axG",@progbits,_ZN7rocprim17ROCPRIM_400000_NS6detail17trampoline_kernelINS0_14default_configENS1_20scan_config_selectorIN3c108BFloat16EEEZZNS1_9scan_implILNS1_25lookback_scan_determinismE0ELb0ELb0ES3_PKS6_PS6_S6_ZZZN2at6native31launch_logcumsumexp_cuda_kernelERKNSD_10TensorBaseESH_lENKUlvE_clEvENKUlvE4_clEvEUlS6_S6_E_S6_EEDaPvRmT3_T4_T5_mT6_P12ihipStream_tbENKUlT_T0_E_clISt17integral_constantIbLb1EESX_IbLb0EEEEDaST_SU_EUlST_E_NS1_11comp_targetILNS1_3genE5ELNS1_11target_archE942ELNS1_3gpuE9ELNS1_3repE0EEENS1_30default_config_static_selectorELNS0_4arch9wavefront6targetE1EEEvT1_,comdat
.Lfunc_end500:
	.size	_ZN7rocprim17ROCPRIM_400000_NS6detail17trampoline_kernelINS0_14default_configENS1_20scan_config_selectorIN3c108BFloat16EEEZZNS1_9scan_implILNS1_25lookback_scan_determinismE0ELb0ELb0ES3_PKS6_PS6_S6_ZZZN2at6native31launch_logcumsumexp_cuda_kernelERKNSD_10TensorBaseESH_lENKUlvE_clEvENKUlvE4_clEvEUlS6_S6_E_S6_EEDaPvRmT3_T4_T5_mT6_P12ihipStream_tbENKUlT_T0_E_clISt17integral_constantIbLb1EESX_IbLb0EEEEDaST_SU_EUlST_E_NS1_11comp_targetILNS1_3genE5ELNS1_11target_archE942ELNS1_3gpuE9ELNS1_3repE0EEENS1_30default_config_static_selectorELNS0_4arch9wavefront6targetE1EEEvT1_, .Lfunc_end500-_ZN7rocprim17ROCPRIM_400000_NS6detail17trampoline_kernelINS0_14default_configENS1_20scan_config_selectorIN3c108BFloat16EEEZZNS1_9scan_implILNS1_25lookback_scan_determinismE0ELb0ELb0ES3_PKS6_PS6_S6_ZZZN2at6native31launch_logcumsumexp_cuda_kernelERKNSD_10TensorBaseESH_lENKUlvE_clEvENKUlvE4_clEvEUlS6_S6_E_S6_EEDaPvRmT3_T4_T5_mT6_P12ihipStream_tbENKUlT_T0_E_clISt17integral_constantIbLb1EESX_IbLb0EEEEDaST_SU_EUlST_E_NS1_11comp_targetILNS1_3genE5ELNS1_11target_archE942ELNS1_3gpuE9ELNS1_3repE0EEENS1_30default_config_static_selectorELNS0_4arch9wavefront6targetE1EEEvT1_
                                        ; -- End function
	.section	.AMDGPU.csdata,"",@progbits
; Kernel info:
; codeLenInByte = 208
; NumSgprs: 80
; NumVgprs: 214
; NumAgprs: 0
; TotalNumVgprs: 214
; ScratchSize: 120
; MemoryBound: 0
; FloatMode: 240
; IeeeMode: 1
; LDSByteSize: 12288 bytes/workgroup (compile time only)
; SGPRBlocks: 9
; VGPRBlocks: 26
; NumSGPRsForWavesPerEU: 80
; NumVGPRsForWavesPerEU: 214
; AccumOffset: 216
; Occupancy: 2
; WaveLimiterHint : 1
; COMPUTE_PGM_RSRC2:SCRATCH_EN: 1
; COMPUTE_PGM_RSRC2:USER_SGPR: 2
; COMPUTE_PGM_RSRC2:TRAP_HANDLER: 0
; COMPUTE_PGM_RSRC2:TGID_X_EN: 1
; COMPUTE_PGM_RSRC2:TGID_Y_EN: 0
; COMPUTE_PGM_RSRC2:TGID_Z_EN: 0
; COMPUTE_PGM_RSRC2:TIDIG_COMP_CNT: 0
; COMPUTE_PGM_RSRC3_GFX90A:ACCUM_OFFSET: 53
; COMPUTE_PGM_RSRC3_GFX90A:TG_SPLIT: 0
	.section	.text._ZN7rocprim17ROCPRIM_400000_NS6detail17trampoline_kernelINS0_14default_configENS1_20scan_config_selectorIN3c108BFloat16EEEZZNS1_9scan_implILNS1_25lookback_scan_determinismE0ELb0ELb0ES3_PKS6_PS6_S6_ZZZN2at6native31launch_logcumsumexp_cuda_kernelERKNSD_10TensorBaseESH_lENKUlvE_clEvENKUlvE4_clEvEUlS6_S6_E_S6_EEDaPvRmT3_T4_T5_mT6_P12ihipStream_tbENKUlT_T0_E_clISt17integral_constantIbLb1EESX_IbLb0EEEEDaST_SU_EUlST_E_NS1_11comp_targetILNS1_3genE4ELNS1_11target_archE910ELNS1_3gpuE8ELNS1_3repE0EEENS1_30default_config_static_selectorELNS0_4arch9wavefront6targetE1EEEvT1_,"axG",@progbits,_ZN7rocprim17ROCPRIM_400000_NS6detail17trampoline_kernelINS0_14default_configENS1_20scan_config_selectorIN3c108BFloat16EEEZZNS1_9scan_implILNS1_25lookback_scan_determinismE0ELb0ELb0ES3_PKS6_PS6_S6_ZZZN2at6native31launch_logcumsumexp_cuda_kernelERKNSD_10TensorBaseESH_lENKUlvE_clEvENKUlvE4_clEvEUlS6_S6_E_S6_EEDaPvRmT3_T4_T5_mT6_P12ihipStream_tbENKUlT_T0_E_clISt17integral_constantIbLb1EESX_IbLb0EEEEDaST_SU_EUlST_E_NS1_11comp_targetILNS1_3genE4ELNS1_11target_archE910ELNS1_3gpuE8ELNS1_3repE0EEENS1_30default_config_static_selectorELNS0_4arch9wavefront6targetE1EEEvT1_,comdat
	.globl	_ZN7rocprim17ROCPRIM_400000_NS6detail17trampoline_kernelINS0_14default_configENS1_20scan_config_selectorIN3c108BFloat16EEEZZNS1_9scan_implILNS1_25lookback_scan_determinismE0ELb0ELb0ES3_PKS6_PS6_S6_ZZZN2at6native31launch_logcumsumexp_cuda_kernelERKNSD_10TensorBaseESH_lENKUlvE_clEvENKUlvE4_clEvEUlS6_S6_E_S6_EEDaPvRmT3_T4_T5_mT6_P12ihipStream_tbENKUlT_T0_E_clISt17integral_constantIbLb1EESX_IbLb0EEEEDaST_SU_EUlST_E_NS1_11comp_targetILNS1_3genE4ELNS1_11target_archE910ELNS1_3gpuE8ELNS1_3repE0EEENS1_30default_config_static_selectorELNS0_4arch9wavefront6targetE1EEEvT1_ ; -- Begin function _ZN7rocprim17ROCPRIM_400000_NS6detail17trampoline_kernelINS0_14default_configENS1_20scan_config_selectorIN3c108BFloat16EEEZZNS1_9scan_implILNS1_25lookback_scan_determinismE0ELb0ELb0ES3_PKS6_PS6_S6_ZZZN2at6native31launch_logcumsumexp_cuda_kernelERKNSD_10TensorBaseESH_lENKUlvE_clEvENKUlvE4_clEvEUlS6_S6_E_S6_EEDaPvRmT3_T4_T5_mT6_P12ihipStream_tbENKUlT_T0_E_clISt17integral_constantIbLb1EESX_IbLb0EEEEDaST_SU_EUlST_E_NS1_11comp_targetILNS1_3genE4ELNS1_11target_archE910ELNS1_3gpuE8ELNS1_3repE0EEENS1_30default_config_static_selectorELNS0_4arch9wavefront6targetE1EEEvT1_
	.p2align	8
	.type	_ZN7rocprim17ROCPRIM_400000_NS6detail17trampoline_kernelINS0_14default_configENS1_20scan_config_selectorIN3c108BFloat16EEEZZNS1_9scan_implILNS1_25lookback_scan_determinismE0ELb0ELb0ES3_PKS6_PS6_S6_ZZZN2at6native31launch_logcumsumexp_cuda_kernelERKNSD_10TensorBaseESH_lENKUlvE_clEvENKUlvE4_clEvEUlS6_S6_E_S6_EEDaPvRmT3_T4_T5_mT6_P12ihipStream_tbENKUlT_T0_E_clISt17integral_constantIbLb1EESX_IbLb0EEEEDaST_SU_EUlST_E_NS1_11comp_targetILNS1_3genE4ELNS1_11target_archE910ELNS1_3gpuE8ELNS1_3repE0EEENS1_30default_config_static_selectorELNS0_4arch9wavefront6targetE1EEEvT1_,@function
_ZN7rocprim17ROCPRIM_400000_NS6detail17trampoline_kernelINS0_14default_configENS1_20scan_config_selectorIN3c108BFloat16EEEZZNS1_9scan_implILNS1_25lookback_scan_determinismE0ELb0ELb0ES3_PKS6_PS6_S6_ZZZN2at6native31launch_logcumsumexp_cuda_kernelERKNSD_10TensorBaseESH_lENKUlvE_clEvENKUlvE4_clEvEUlS6_S6_E_S6_EEDaPvRmT3_T4_T5_mT6_P12ihipStream_tbENKUlT_T0_E_clISt17integral_constantIbLb1EESX_IbLb0EEEEDaST_SU_EUlST_E_NS1_11comp_targetILNS1_3genE4ELNS1_11target_archE910ELNS1_3gpuE8ELNS1_3repE0EEENS1_30default_config_static_selectorELNS0_4arch9wavefront6targetE1EEEvT1_: ; @_ZN7rocprim17ROCPRIM_400000_NS6detail17trampoline_kernelINS0_14default_configENS1_20scan_config_selectorIN3c108BFloat16EEEZZNS1_9scan_implILNS1_25lookback_scan_determinismE0ELb0ELb0ES3_PKS6_PS6_S6_ZZZN2at6native31launch_logcumsumexp_cuda_kernelERKNSD_10TensorBaseESH_lENKUlvE_clEvENKUlvE4_clEvEUlS6_S6_E_S6_EEDaPvRmT3_T4_T5_mT6_P12ihipStream_tbENKUlT_T0_E_clISt17integral_constantIbLb1EESX_IbLb0EEEEDaST_SU_EUlST_E_NS1_11comp_targetILNS1_3genE4ELNS1_11target_archE910ELNS1_3gpuE8ELNS1_3repE0EEENS1_30default_config_static_selectorELNS0_4arch9wavefront6targetE1EEEvT1_
; %bb.0:
	.section	.rodata,"a",@progbits
	.p2align	6, 0x0
	.amdhsa_kernel _ZN7rocprim17ROCPRIM_400000_NS6detail17trampoline_kernelINS0_14default_configENS1_20scan_config_selectorIN3c108BFloat16EEEZZNS1_9scan_implILNS1_25lookback_scan_determinismE0ELb0ELb0ES3_PKS6_PS6_S6_ZZZN2at6native31launch_logcumsumexp_cuda_kernelERKNSD_10TensorBaseESH_lENKUlvE_clEvENKUlvE4_clEvEUlS6_S6_E_S6_EEDaPvRmT3_T4_T5_mT6_P12ihipStream_tbENKUlT_T0_E_clISt17integral_constantIbLb1EESX_IbLb0EEEEDaST_SU_EUlST_E_NS1_11comp_targetILNS1_3genE4ELNS1_11target_archE910ELNS1_3gpuE8ELNS1_3repE0EEENS1_30default_config_static_selectorELNS0_4arch9wavefront6targetE1EEEvT1_
		.amdhsa_group_segment_fixed_size 0
		.amdhsa_private_segment_fixed_size 0
		.amdhsa_kernarg_size 96
		.amdhsa_user_sgpr_count 2
		.amdhsa_user_sgpr_dispatch_ptr 0
		.amdhsa_user_sgpr_queue_ptr 0
		.amdhsa_user_sgpr_kernarg_segment_ptr 1
		.amdhsa_user_sgpr_dispatch_id 0
		.amdhsa_user_sgpr_kernarg_preload_length 0
		.amdhsa_user_sgpr_kernarg_preload_offset 0
		.amdhsa_user_sgpr_private_segment_size 0
		.amdhsa_uses_dynamic_stack 0
		.amdhsa_enable_private_segment 0
		.amdhsa_system_sgpr_workgroup_id_x 1
		.amdhsa_system_sgpr_workgroup_id_y 0
		.amdhsa_system_sgpr_workgroup_id_z 0
		.amdhsa_system_sgpr_workgroup_info 0
		.amdhsa_system_vgpr_workitem_id 0
		.amdhsa_next_free_vgpr 1
		.amdhsa_next_free_sgpr 0
		.amdhsa_accum_offset 4
		.amdhsa_reserve_vcc 0
		.amdhsa_float_round_mode_32 0
		.amdhsa_float_round_mode_16_64 0
		.amdhsa_float_denorm_mode_32 3
		.amdhsa_float_denorm_mode_16_64 3
		.amdhsa_dx10_clamp 1
		.amdhsa_ieee_mode 1
		.amdhsa_fp16_overflow 0
		.amdhsa_tg_split 0
		.amdhsa_exception_fp_ieee_invalid_op 0
		.amdhsa_exception_fp_denorm_src 0
		.amdhsa_exception_fp_ieee_div_zero 0
		.amdhsa_exception_fp_ieee_overflow 0
		.amdhsa_exception_fp_ieee_underflow 0
		.amdhsa_exception_fp_ieee_inexact 0
		.amdhsa_exception_int_div_zero 0
	.end_amdhsa_kernel
	.section	.text._ZN7rocprim17ROCPRIM_400000_NS6detail17trampoline_kernelINS0_14default_configENS1_20scan_config_selectorIN3c108BFloat16EEEZZNS1_9scan_implILNS1_25lookback_scan_determinismE0ELb0ELb0ES3_PKS6_PS6_S6_ZZZN2at6native31launch_logcumsumexp_cuda_kernelERKNSD_10TensorBaseESH_lENKUlvE_clEvENKUlvE4_clEvEUlS6_S6_E_S6_EEDaPvRmT3_T4_T5_mT6_P12ihipStream_tbENKUlT_T0_E_clISt17integral_constantIbLb1EESX_IbLb0EEEEDaST_SU_EUlST_E_NS1_11comp_targetILNS1_3genE4ELNS1_11target_archE910ELNS1_3gpuE8ELNS1_3repE0EEENS1_30default_config_static_selectorELNS0_4arch9wavefront6targetE1EEEvT1_,"axG",@progbits,_ZN7rocprim17ROCPRIM_400000_NS6detail17trampoline_kernelINS0_14default_configENS1_20scan_config_selectorIN3c108BFloat16EEEZZNS1_9scan_implILNS1_25lookback_scan_determinismE0ELb0ELb0ES3_PKS6_PS6_S6_ZZZN2at6native31launch_logcumsumexp_cuda_kernelERKNSD_10TensorBaseESH_lENKUlvE_clEvENKUlvE4_clEvEUlS6_S6_E_S6_EEDaPvRmT3_T4_T5_mT6_P12ihipStream_tbENKUlT_T0_E_clISt17integral_constantIbLb1EESX_IbLb0EEEEDaST_SU_EUlST_E_NS1_11comp_targetILNS1_3genE4ELNS1_11target_archE910ELNS1_3gpuE8ELNS1_3repE0EEENS1_30default_config_static_selectorELNS0_4arch9wavefront6targetE1EEEvT1_,comdat
.Lfunc_end501:
	.size	_ZN7rocprim17ROCPRIM_400000_NS6detail17trampoline_kernelINS0_14default_configENS1_20scan_config_selectorIN3c108BFloat16EEEZZNS1_9scan_implILNS1_25lookback_scan_determinismE0ELb0ELb0ES3_PKS6_PS6_S6_ZZZN2at6native31launch_logcumsumexp_cuda_kernelERKNSD_10TensorBaseESH_lENKUlvE_clEvENKUlvE4_clEvEUlS6_S6_E_S6_EEDaPvRmT3_T4_T5_mT6_P12ihipStream_tbENKUlT_T0_E_clISt17integral_constantIbLb1EESX_IbLb0EEEEDaST_SU_EUlST_E_NS1_11comp_targetILNS1_3genE4ELNS1_11target_archE910ELNS1_3gpuE8ELNS1_3repE0EEENS1_30default_config_static_selectorELNS0_4arch9wavefront6targetE1EEEvT1_, .Lfunc_end501-_ZN7rocprim17ROCPRIM_400000_NS6detail17trampoline_kernelINS0_14default_configENS1_20scan_config_selectorIN3c108BFloat16EEEZZNS1_9scan_implILNS1_25lookback_scan_determinismE0ELb0ELb0ES3_PKS6_PS6_S6_ZZZN2at6native31launch_logcumsumexp_cuda_kernelERKNSD_10TensorBaseESH_lENKUlvE_clEvENKUlvE4_clEvEUlS6_S6_E_S6_EEDaPvRmT3_T4_T5_mT6_P12ihipStream_tbENKUlT_T0_E_clISt17integral_constantIbLb1EESX_IbLb0EEEEDaST_SU_EUlST_E_NS1_11comp_targetILNS1_3genE4ELNS1_11target_archE910ELNS1_3gpuE8ELNS1_3repE0EEENS1_30default_config_static_selectorELNS0_4arch9wavefront6targetE1EEEvT1_
                                        ; -- End function
	.section	.AMDGPU.csdata,"",@progbits
; Kernel info:
; codeLenInByte = 0
; NumSgprs: 6
; NumVgprs: 0
; NumAgprs: 0
; TotalNumVgprs: 0
; ScratchSize: 0
; MemoryBound: 0
; FloatMode: 240
; IeeeMode: 1
; LDSByteSize: 0 bytes/workgroup (compile time only)
; SGPRBlocks: 0
; VGPRBlocks: 0
; NumSGPRsForWavesPerEU: 6
; NumVGPRsForWavesPerEU: 1
; AccumOffset: 4
; Occupancy: 8
; WaveLimiterHint : 0
; COMPUTE_PGM_RSRC2:SCRATCH_EN: 0
; COMPUTE_PGM_RSRC2:USER_SGPR: 2
; COMPUTE_PGM_RSRC2:TRAP_HANDLER: 0
; COMPUTE_PGM_RSRC2:TGID_X_EN: 1
; COMPUTE_PGM_RSRC2:TGID_Y_EN: 0
; COMPUTE_PGM_RSRC2:TGID_Z_EN: 0
; COMPUTE_PGM_RSRC2:TIDIG_COMP_CNT: 0
; COMPUTE_PGM_RSRC3_GFX90A:ACCUM_OFFSET: 0
; COMPUTE_PGM_RSRC3_GFX90A:TG_SPLIT: 0
	.section	.text._ZN7rocprim17ROCPRIM_400000_NS6detail17trampoline_kernelINS0_14default_configENS1_20scan_config_selectorIN3c108BFloat16EEEZZNS1_9scan_implILNS1_25lookback_scan_determinismE0ELb0ELb0ES3_PKS6_PS6_S6_ZZZN2at6native31launch_logcumsumexp_cuda_kernelERKNSD_10TensorBaseESH_lENKUlvE_clEvENKUlvE4_clEvEUlS6_S6_E_S6_EEDaPvRmT3_T4_T5_mT6_P12ihipStream_tbENKUlT_T0_E_clISt17integral_constantIbLb1EESX_IbLb0EEEEDaST_SU_EUlST_E_NS1_11comp_targetILNS1_3genE3ELNS1_11target_archE908ELNS1_3gpuE7ELNS1_3repE0EEENS1_30default_config_static_selectorELNS0_4arch9wavefront6targetE1EEEvT1_,"axG",@progbits,_ZN7rocprim17ROCPRIM_400000_NS6detail17trampoline_kernelINS0_14default_configENS1_20scan_config_selectorIN3c108BFloat16EEEZZNS1_9scan_implILNS1_25lookback_scan_determinismE0ELb0ELb0ES3_PKS6_PS6_S6_ZZZN2at6native31launch_logcumsumexp_cuda_kernelERKNSD_10TensorBaseESH_lENKUlvE_clEvENKUlvE4_clEvEUlS6_S6_E_S6_EEDaPvRmT3_T4_T5_mT6_P12ihipStream_tbENKUlT_T0_E_clISt17integral_constantIbLb1EESX_IbLb0EEEEDaST_SU_EUlST_E_NS1_11comp_targetILNS1_3genE3ELNS1_11target_archE908ELNS1_3gpuE7ELNS1_3repE0EEENS1_30default_config_static_selectorELNS0_4arch9wavefront6targetE1EEEvT1_,comdat
	.globl	_ZN7rocprim17ROCPRIM_400000_NS6detail17trampoline_kernelINS0_14default_configENS1_20scan_config_selectorIN3c108BFloat16EEEZZNS1_9scan_implILNS1_25lookback_scan_determinismE0ELb0ELb0ES3_PKS6_PS6_S6_ZZZN2at6native31launch_logcumsumexp_cuda_kernelERKNSD_10TensorBaseESH_lENKUlvE_clEvENKUlvE4_clEvEUlS6_S6_E_S6_EEDaPvRmT3_T4_T5_mT6_P12ihipStream_tbENKUlT_T0_E_clISt17integral_constantIbLb1EESX_IbLb0EEEEDaST_SU_EUlST_E_NS1_11comp_targetILNS1_3genE3ELNS1_11target_archE908ELNS1_3gpuE7ELNS1_3repE0EEENS1_30default_config_static_selectorELNS0_4arch9wavefront6targetE1EEEvT1_ ; -- Begin function _ZN7rocprim17ROCPRIM_400000_NS6detail17trampoline_kernelINS0_14default_configENS1_20scan_config_selectorIN3c108BFloat16EEEZZNS1_9scan_implILNS1_25lookback_scan_determinismE0ELb0ELb0ES3_PKS6_PS6_S6_ZZZN2at6native31launch_logcumsumexp_cuda_kernelERKNSD_10TensorBaseESH_lENKUlvE_clEvENKUlvE4_clEvEUlS6_S6_E_S6_EEDaPvRmT3_T4_T5_mT6_P12ihipStream_tbENKUlT_T0_E_clISt17integral_constantIbLb1EESX_IbLb0EEEEDaST_SU_EUlST_E_NS1_11comp_targetILNS1_3genE3ELNS1_11target_archE908ELNS1_3gpuE7ELNS1_3repE0EEENS1_30default_config_static_selectorELNS0_4arch9wavefront6targetE1EEEvT1_
	.p2align	8
	.type	_ZN7rocprim17ROCPRIM_400000_NS6detail17trampoline_kernelINS0_14default_configENS1_20scan_config_selectorIN3c108BFloat16EEEZZNS1_9scan_implILNS1_25lookback_scan_determinismE0ELb0ELb0ES3_PKS6_PS6_S6_ZZZN2at6native31launch_logcumsumexp_cuda_kernelERKNSD_10TensorBaseESH_lENKUlvE_clEvENKUlvE4_clEvEUlS6_S6_E_S6_EEDaPvRmT3_T4_T5_mT6_P12ihipStream_tbENKUlT_T0_E_clISt17integral_constantIbLb1EESX_IbLb0EEEEDaST_SU_EUlST_E_NS1_11comp_targetILNS1_3genE3ELNS1_11target_archE908ELNS1_3gpuE7ELNS1_3repE0EEENS1_30default_config_static_selectorELNS0_4arch9wavefront6targetE1EEEvT1_,@function
_ZN7rocprim17ROCPRIM_400000_NS6detail17trampoline_kernelINS0_14default_configENS1_20scan_config_selectorIN3c108BFloat16EEEZZNS1_9scan_implILNS1_25lookback_scan_determinismE0ELb0ELb0ES3_PKS6_PS6_S6_ZZZN2at6native31launch_logcumsumexp_cuda_kernelERKNSD_10TensorBaseESH_lENKUlvE_clEvENKUlvE4_clEvEUlS6_S6_E_S6_EEDaPvRmT3_T4_T5_mT6_P12ihipStream_tbENKUlT_T0_E_clISt17integral_constantIbLb1EESX_IbLb0EEEEDaST_SU_EUlST_E_NS1_11comp_targetILNS1_3genE3ELNS1_11target_archE908ELNS1_3gpuE7ELNS1_3repE0EEENS1_30default_config_static_selectorELNS0_4arch9wavefront6targetE1EEEvT1_: ; @_ZN7rocprim17ROCPRIM_400000_NS6detail17trampoline_kernelINS0_14default_configENS1_20scan_config_selectorIN3c108BFloat16EEEZZNS1_9scan_implILNS1_25lookback_scan_determinismE0ELb0ELb0ES3_PKS6_PS6_S6_ZZZN2at6native31launch_logcumsumexp_cuda_kernelERKNSD_10TensorBaseESH_lENKUlvE_clEvENKUlvE4_clEvEUlS6_S6_E_S6_EEDaPvRmT3_T4_T5_mT6_P12ihipStream_tbENKUlT_T0_E_clISt17integral_constantIbLb1EESX_IbLb0EEEEDaST_SU_EUlST_E_NS1_11comp_targetILNS1_3genE3ELNS1_11target_archE908ELNS1_3gpuE7ELNS1_3repE0EEENS1_30default_config_static_selectorELNS0_4arch9wavefront6targetE1EEEvT1_
; %bb.0:
	.section	.rodata,"a",@progbits
	.p2align	6, 0x0
	.amdhsa_kernel _ZN7rocprim17ROCPRIM_400000_NS6detail17trampoline_kernelINS0_14default_configENS1_20scan_config_selectorIN3c108BFloat16EEEZZNS1_9scan_implILNS1_25lookback_scan_determinismE0ELb0ELb0ES3_PKS6_PS6_S6_ZZZN2at6native31launch_logcumsumexp_cuda_kernelERKNSD_10TensorBaseESH_lENKUlvE_clEvENKUlvE4_clEvEUlS6_S6_E_S6_EEDaPvRmT3_T4_T5_mT6_P12ihipStream_tbENKUlT_T0_E_clISt17integral_constantIbLb1EESX_IbLb0EEEEDaST_SU_EUlST_E_NS1_11comp_targetILNS1_3genE3ELNS1_11target_archE908ELNS1_3gpuE7ELNS1_3repE0EEENS1_30default_config_static_selectorELNS0_4arch9wavefront6targetE1EEEvT1_
		.amdhsa_group_segment_fixed_size 0
		.amdhsa_private_segment_fixed_size 0
		.amdhsa_kernarg_size 96
		.amdhsa_user_sgpr_count 2
		.amdhsa_user_sgpr_dispatch_ptr 0
		.amdhsa_user_sgpr_queue_ptr 0
		.amdhsa_user_sgpr_kernarg_segment_ptr 1
		.amdhsa_user_sgpr_dispatch_id 0
		.amdhsa_user_sgpr_kernarg_preload_length 0
		.amdhsa_user_sgpr_kernarg_preload_offset 0
		.amdhsa_user_sgpr_private_segment_size 0
		.amdhsa_uses_dynamic_stack 0
		.amdhsa_enable_private_segment 0
		.amdhsa_system_sgpr_workgroup_id_x 1
		.amdhsa_system_sgpr_workgroup_id_y 0
		.amdhsa_system_sgpr_workgroup_id_z 0
		.amdhsa_system_sgpr_workgroup_info 0
		.amdhsa_system_vgpr_workitem_id 0
		.amdhsa_next_free_vgpr 1
		.amdhsa_next_free_sgpr 0
		.amdhsa_accum_offset 4
		.amdhsa_reserve_vcc 0
		.amdhsa_float_round_mode_32 0
		.amdhsa_float_round_mode_16_64 0
		.amdhsa_float_denorm_mode_32 3
		.amdhsa_float_denorm_mode_16_64 3
		.amdhsa_dx10_clamp 1
		.amdhsa_ieee_mode 1
		.amdhsa_fp16_overflow 0
		.amdhsa_tg_split 0
		.amdhsa_exception_fp_ieee_invalid_op 0
		.amdhsa_exception_fp_denorm_src 0
		.amdhsa_exception_fp_ieee_div_zero 0
		.amdhsa_exception_fp_ieee_overflow 0
		.amdhsa_exception_fp_ieee_underflow 0
		.amdhsa_exception_fp_ieee_inexact 0
		.amdhsa_exception_int_div_zero 0
	.end_amdhsa_kernel
	.section	.text._ZN7rocprim17ROCPRIM_400000_NS6detail17trampoline_kernelINS0_14default_configENS1_20scan_config_selectorIN3c108BFloat16EEEZZNS1_9scan_implILNS1_25lookback_scan_determinismE0ELb0ELb0ES3_PKS6_PS6_S6_ZZZN2at6native31launch_logcumsumexp_cuda_kernelERKNSD_10TensorBaseESH_lENKUlvE_clEvENKUlvE4_clEvEUlS6_S6_E_S6_EEDaPvRmT3_T4_T5_mT6_P12ihipStream_tbENKUlT_T0_E_clISt17integral_constantIbLb1EESX_IbLb0EEEEDaST_SU_EUlST_E_NS1_11comp_targetILNS1_3genE3ELNS1_11target_archE908ELNS1_3gpuE7ELNS1_3repE0EEENS1_30default_config_static_selectorELNS0_4arch9wavefront6targetE1EEEvT1_,"axG",@progbits,_ZN7rocprim17ROCPRIM_400000_NS6detail17trampoline_kernelINS0_14default_configENS1_20scan_config_selectorIN3c108BFloat16EEEZZNS1_9scan_implILNS1_25lookback_scan_determinismE0ELb0ELb0ES3_PKS6_PS6_S6_ZZZN2at6native31launch_logcumsumexp_cuda_kernelERKNSD_10TensorBaseESH_lENKUlvE_clEvENKUlvE4_clEvEUlS6_S6_E_S6_EEDaPvRmT3_T4_T5_mT6_P12ihipStream_tbENKUlT_T0_E_clISt17integral_constantIbLb1EESX_IbLb0EEEEDaST_SU_EUlST_E_NS1_11comp_targetILNS1_3genE3ELNS1_11target_archE908ELNS1_3gpuE7ELNS1_3repE0EEENS1_30default_config_static_selectorELNS0_4arch9wavefront6targetE1EEEvT1_,comdat
.Lfunc_end502:
	.size	_ZN7rocprim17ROCPRIM_400000_NS6detail17trampoline_kernelINS0_14default_configENS1_20scan_config_selectorIN3c108BFloat16EEEZZNS1_9scan_implILNS1_25lookback_scan_determinismE0ELb0ELb0ES3_PKS6_PS6_S6_ZZZN2at6native31launch_logcumsumexp_cuda_kernelERKNSD_10TensorBaseESH_lENKUlvE_clEvENKUlvE4_clEvEUlS6_S6_E_S6_EEDaPvRmT3_T4_T5_mT6_P12ihipStream_tbENKUlT_T0_E_clISt17integral_constantIbLb1EESX_IbLb0EEEEDaST_SU_EUlST_E_NS1_11comp_targetILNS1_3genE3ELNS1_11target_archE908ELNS1_3gpuE7ELNS1_3repE0EEENS1_30default_config_static_selectorELNS0_4arch9wavefront6targetE1EEEvT1_, .Lfunc_end502-_ZN7rocprim17ROCPRIM_400000_NS6detail17trampoline_kernelINS0_14default_configENS1_20scan_config_selectorIN3c108BFloat16EEEZZNS1_9scan_implILNS1_25lookback_scan_determinismE0ELb0ELb0ES3_PKS6_PS6_S6_ZZZN2at6native31launch_logcumsumexp_cuda_kernelERKNSD_10TensorBaseESH_lENKUlvE_clEvENKUlvE4_clEvEUlS6_S6_E_S6_EEDaPvRmT3_T4_T5_mT6_P12ihipStream_tbENKUlT_T0_E_clISt17integral_constantIbLb1EESX_IbLb0EEEEDaST_SU_EUlST_E_NS1_11comp_targetILNS1_3genE3ELNS1_11target_archE908ELNS1_3gpuE7ELNS1_3repE0EEENS1_30default_config_static_selectorELNS0_4arch9wavefront6targetE1EEEvT1_
                                        ; -- End function
	.section	.AMDGPU.csdata,"",@progbits
; Kernel info:
; codeLenInByte = 0
; NumSgprs: 6
; NumVgprs: 0
; NumAgprs: 0
; TotalNumVgprs: 0
; ScratchSize: 0
; MemoryBound: 0
; FloatMode: 240
; IeeeMode: 1
; LDSByteSize: 0 bytes/workgroup (compile time only)
; SGPRBlocks: 0
; VGPRBlocks: 0
; NumSGPRsForWavesPerEU: 6
; NumVGPRsForWavesPerEU: 1
; AccumOffset: 4
; Occupancy: 8
; WaveLimiterHint : 0
; COMPUTE_PGM_RSRC2:SCRATCH_EN: 0
; COMPUTE_PGM_RSRC2:USER_SGPR: 2
; COMPUTE_PGM_RSRC2:TRAP_HANDLER: 0
; COMPUTE_PGM_RSRC2:TGID_X_EN: 1
; COMPUTE_PGM_RSRC2:TGID_Y_EN: 0
; COMPUTE_PGM_RSRC2:TGID_Z_EN: 0
; COMPUTE_PGM_RSRC2:TIDIG_COMP_CNT: 0
; COMPUTE_PGM_RSRC3_GFX90A:ACCUM_OFFSET: 0
; COMPUTE_PGM_RSRC3_GFX90A:TG_SPLIT: 0
	.section	.text._ZN7rocprim17ROCPRIM_400000_NS6detail17trampoline_kernelINS0_14default_configENS1_20scan_config_selectorIN3c108BFloat16EEEZZNS1_9scan_implILNS1_25lookback_scan_determinismE0ELb0ELb0ES3_PKS6_PS6_S6_ZZZN2at6native31launch_logcumsumexp_cuda_kernelERKNSD_10TensorBaseESH_lENKUlvE_clEvENKUlvE4_clEvEUlS6_S6_E_S6_EEDaPvRmT3_T4_T5_mT6_P12ihipStream_tbENKUlT_T0_E_clISt17integral_constantIbLb1EESX_IbLb0EEEEDaST_SU_EUlST_E_NS1_11comp_targetILNS1_3genE2ELNS1_11target_archE906ELNS1_3gpuE6ELNS1_3repE0EEENS1_30default_config_static_selectorELNS0_4arch9wavefront6targetE1EEEvT1_,"axG",@progbits,_ZN7rocprim17ROCPRIM_400000_NS6detail17trampoline_kernelINS0_14default_configENS1_20scan_config_selectorIN3c108BFloat16EEEZZNS1_9scan_implILNS1_25lookback_scan_determinismE0ELb0ELb0ES3_PKS6_PS6_S6_ZZZN2at6native31launch_logcumsumexp_cuda_kernelERKNSD_10TensorBaseESH_lENKUlvE_clEvENKUlvE4_clEvEUlS6_S6_E_S6_EEDaPvRmT3_T4_T5_mT6_P12ihipStream_tbENKUlT_T0_E_clISt17integral_constantIbLb1EESX_IbLb0EEEEDaST_SU_EUlST_E_NS1_11comp_targetILNS1_3genE2ELNS1_11target_archE906ELNS1_3gpuE6ELNS1_3repE0EEENS1_30default_config_static_selectorELNS0_4arch9wavefront6targetE1EEEvT1_,comdat
	.globl	_ZN7rocprim17ROCPRIM_400000_NS6detail17trampoline_kernelINS0_14default_configENS1_20scan_config_selectorIN3c108BFloat16EEEZZNS1_9scan_implILNS1_25lookback_scan_determinismE0ELb0ELb0ES3_PKS6_PS6_S6_ZZZN2at6native31launch_logcumsumexp_cuda_kernelERKNSD_10TensorBaseESH_lENKUlvE_clEvENKUlvE4_clEvEUlS6_S6_E_S6_EEDaPvRmT3_T4_T5_mT6_P12ihipStream_tbENKUlT_T0_E_clISt17integral_constantIbLb1EESX_IbLb0EEEEDaST_SU_EUlST_E_NS1_11comp_targetILNS1_3genE2ELNS1_11target_archE906ELNS1_3gpuE6ELNS1_3repE0EEENS1_30default_config_static_selectorELNS0_4arch9wavefront6targetE1EEEvT1_ ; -- Begin function _ZN7rocprim17ROCPRIM_400000_NS6detail17trampoline_kernelINS0_14default_configENS1_20scan_config_selectorIN3c108BFloat16EEEZZNS1_9scan_implILNS1_25lookback_scan_determinismE0ELb0ELb0ES3_PKS6_PS6_S6_ZZZN2at6native31launch_logcumsumexp_cuda_kernelERKNSD_10TensorBaseESH_lENKUlvE_clEvENKUlvE4_clEvEUlS6_S6_E_S6_EEDaPvRmT3_T4_T5_mT6_P12ihipStream_tbENKUlT_T0_E_clISt17integral_constantIbLb1EESX_IbLb0EEEEDaST_SU_EUlST_E_NS1_11comp_targetILNS1_3genE2ELNS1_11target_archE906ELNS1_3gpuE6ELNS1_3repE0EEENS1_30default_config_static_selectorELNS0_4arch9wavefront6targetE1EEEvT1_
	.p2align	8
	.type	_ZN7rocprim17ROCPRIM_400000_NS6detail17trampoline_kernelINS0_14default_configENS1_20scan_config_selectorIN3c108BFloat16EEEZZNS1_9scan_implILNS1_25lookback_scan_determinismE0ELb0ELb0ES3_PKS6_PS6_S6_ZZZN2at6native31launch_logcumsumexp_cuda_kernelERKNSD_10TensorBaseESH_lENKUlvE_clEvENKUlvE4_clEvEUlS6_S6_E_S6_EEDaPvRmT3_T4_T5_mT6_P12ihipStream_tbENKUlT_T0_E_clISt17integral_constantIbLb1EESX_IbLb0EEEEDaST_SU_EUlST_E_NS1_11comp_targetILNS1_3genE2ELNS1_11target_archE906ELNS1_3gpuE6ELNS1_3repE0EEENS1_30default_config_static_selectorELNS0_4arch9wavefront6targetE1EEEvT1_,@function
_ZN7rocprim17ROCPRIM_400000_NS6detail17trampoline_kernelINS0_14default_configENS1_20scan_config_selectorIN3c108BFloat16EEEZZNS1_9scan_implILNS1_25lookback_scan_determinismE0ELb0ELb0ES3_PKS6_PS6_S6_ZZZN2at6native31launch_logcumsumexp_cuda_kernelERKNSD_10TensorBaseESH_lENKUlvE_clEvENKUlvE4_clEvEUlS6_S6_E_S6_EEDaPvRmT3_T4_T5_mT6_P12ihipStream_tbENKUlT_T0_E_clISt17integral_constantIbLb1EESX_IbLb0EEEEDaST_SU_EUlST_E_NS1_11comp_targetILNS1_3genE2ELNS1_11target_archE906ELNS1_3gpuE6ELNS1_3repE0EEENS1_30default_config_static_selectorELNS0_4arch9wavefront6targetE1EEEvT1_: ; @_ZN7rocprim17ROCPRIM_400000_NS6detail17trampoline_kernelINS0_14default_configENS1_20scan_config_selectorIN3c108BFloat16EEEZZNS1_9scan_implILNS1_25lookback_scan_determinismE0ELb0ELb0ES3_PKS6_PS6_S6_ZZZN2at6native31launch_logcumsumexp_cuda_kernelERKNSD_10TensorBaseESH_lENKUlvE_clEvENKUlvE4_clEvEUlS6_S6_E_S6_EEDaPvRmT3_T4_T5_mT6_P12ihipStream_tbENKUlT_T0_E_clISt17integral_constantIbLb1EESX_IbLb0EEEEDaST_SU_EUlST_E_NS1_11comp_targetILNS1_3genE2ELNS1_11target_archE906ELNS1_3gpuE6ELNS1_3repE0EEENS1_30default_config_static_selectorELNS0_4arch9wavefront6targetE1EEEvT1_
; %bb.0:
	.section	.rodata,"a",@progbits
	.p2align	6, 0x0
	.amdhsa_kernel _ZN7rocprim17ROCPRIM_400000_NS6detail17trampoline_kernelINS0_14default_configENS1_20scan_config_selectorIN3c108BFloat16EEEZZNS1_9scan_implILNS1_25lookback_scan_determinismE0ELb0ELb0ES3_PKS6_PS6_S6_ZZZN2at6native31launch_logcumsumexp_cuda_kernelERKNSD_10TensorBaseESH_lENKUlvE_clEvENKUlvE4_clEvEUlS6_S6_E_S6_EEDaPvRmT3_T4_T5_mT6_P12ihipStream_tbENKUlT_T0_E_clISt17integral_constantIbLb1EESX_IbLb0EEEEDaST_SU_EUlST_E_NS1_11comp_targetILNS1_3genE2ELNS1_11target_archE906ELNS1_3gpuE6ELNS1_3repE0EEENS1_30default_config_static_selectorELNS0_4arch9wavefront6targetE1EEEvT1_
		.amdhsa_group_segment_fixed_size 0
		.amdhsa_private_segment_fixed_size 0
		.amdhsa_kernarg_size 96
		.amdhsa_user_sgpr_count 2
		.amdhsa_user_sgpr_dispatch_ptr 0
		.amdhsa_user_sgpr_queue_ptr 0
		.amdhsa_user_sgpr_kernarg_segment_ptr 1
		.amdhsa_user_sgpr_dispatch_id 0
		.amdhsa_user_sgpr_kernarg_preload_length 0
		.amdhsa_user_sgpr_kernarg_preload_offset 0
		.amdhsa_user_sgpr_private_segment_size 0
		.amdhsa_uses_dynamic_stack 0
		.amdhsa_enable_private_segment 0
		.amdhsa_system_sgpr_workgroup_id_x 1
		.amdhsa_system_sgpr_workgroup_id_y 0
		.amdhsa_system_sgpr_workgroup_id_z 0
		.amdhsa_system_sgpr_workgroup_info 0
		.amdhsa_system_vgpr_workitem_id 0
		.amdhsa_next_free_vgpr 1
		.amdhsa_next_free_sgpr 0
		.amdhsa_accum_offset 4
		.amdhsa_reserve_vcc 0
		.amdhsa_float_round_mode_32 0
		.amdhsa_float_round_mode_16_64 0
		.amdhsa_float_denorm_mode_32 3
		.amdhsa_float_denorm_mode_16_64 3
		.amdhsa_dx10_clamp 1
		.amdhsa_ieee_mode 1
		.amdhsa_fp16_overflow 0
		.amdhsa_tg_split 0
		.amdhsa_exception_fp_ieee_invalid_op 0
		.amdhsa_exception_fp_denorm_src 0
		.amdhsa_exception_fp_ieee_div_zero 0
		.amdhsa_exception_fp_ieee_overflow 0
		.amdhsa_exception_fp_ieee_underflow 0
		.amdhsa_exception_fp_ieee_inexact 0
		.amdhsa_exception_int_div_zero 0
	.end_amdhsa_kernel
	.section	.text._ZN7rocprim17ROCPRIM_400000_NS6detail17trampoline_kernelINS0_14default_configENS1_20scan_config_selectorIN3c108BFloat16EEEZZNS1_9scan_implILNS1_25lookback_scan_determinismE0ELb0ELb0ES3_PKS6_PS6_S6_ZZZN2at6native31launch_logcumsumexp_cuda_kernelERKNSD_10TensorBaseESH_lENKUlvE_clEvENKUlvE4_clEvEUlS6_S6_E_S6_EEDaPvRmT3_T4_T5_mT6_P12ihipStream_tbENKUlT_T0_E_clISt17integral_constantIbLb1EESX_IbLb0EEEEDaST_SU_EUlST_E_NS1_11comp_targetILNS1_3genE2ELNS1_11target_archE906ELNS1_3gpuE6ELNS1_3repE0EEENS1_30default_config_static_selectorELNS0_4arch9wavefront6targetE1EEEvT1_,"axG",@progbits,_ZN7rocprim17ROCPRIM_400000_NS6detail17trampoline_kernelINS0_14default_configENS1_20scan_config_selectorIN3c108BFloat16EEEZZNS1_9scan_implILNS1_25lookback_scan_determinismE0ELb0ELb0ES3_PKS6_PS6_S6_ZZZN2at6native31launch_logcumsumexp_cuda_kernelERKNSD_10TensorBaseESH_lENKUlvE_clEvENKUlvE4_clEvEUlS6_S6_E_S6_EEDaPvRmT3_T4_T5_mT6_P12ihipStream_tbENKUlT_T0_E_clISt17integral_constantIbLb1EESX_IbLb0EEEEDaST_SU_EUlST_E_NS1_11comp_targetILNS1_3genE2ELNS1_11target_archE906ELNS1_3gpuE6ELNS1_3repE0EEENS1_30default_config_static_selectorELNS0_4arch9wavefront6targetE1EEEvT1_,comdat
.Lfunc_end503:
	.size	_ZN7rocprim17ROCPRIM_400000_NS6detail17trampoline_kernelINS0_14default_configENS1_20scan_config_selectorIN3c108BFloat16EEEZZNS1_9scan_implILNS1_25lookback_scan_determinismE0ELb0ELb0ES3_PKS6_PS6_S6_ZZZN2at6native31launch_logcumsumexp_cuda_kernelERKNSD_10TensorBaseESH_lENKUlvE_clEvENKUlvE4_clEvEUlS6_S6_E_S6_EEDaPvRmT3_T4_T5_mT6_P12ihipStream_tbENKUlT_T0_E_clISt17integral_constantIbLb1EESX_IbLb0EEEEDaST_SU_EUlST_E_NS1_11comp_targetILNS1_3genE2ELNS1_11target_archE906ELNS1_3gpuE6ELNS1_3repE0EEENS1_30default_config_static_selectorELNS0_4arch9wavefront6targetE1EEEvT1_, .Lfunc_end503-_ZN7rocprim17ROCPRIM_400000_NS6detail17trampoline_kernelINS0_14default_configENS1_20scan_config_selectorIN3c108BFloat16EEEZZNS1_9scan_implILNS1_25lookback_scan_determinismE0ELb0ELb0ES3_PKS6_PS6_S6_ZZZN2at6native31launch_logcumsumexp_cuda_kernelERKNSD_10TensorBaseESH_lENKUlvE_clEvENKUlvE4_clEvEUlS6_S6_E_S6_EEDaPvRmT3_T4_T5_mT6_P12ihipStream_tbENKUlT_T0_E_clISt17integral_constantIbLb1EESX_IbLb0EEEEDaST_SU_EUlST_E_NS1_11comp_targetILNS1_3genE2ELNS1_11target_archE906ELNS1_3gpuE6ELNS1_3repE0EEENS1_30default_config_static_selectorELNS0_4arch9wavefront6targetE1EEEvT1_
                                        ; -- End function
	.section	.AMDGPU.csdata,"",@progbits
; Kernel info:
; codeLenInByte = 0
; NumSgprs: 6
; NumVgprs: 0
; NumAgprs: 0
; TotalNumVgprs: 0
; ScratchSize: 0
; MemoryBound: 0
; FloatMode: 240
; IeeeMode: 1
; LDSByteSize: 0 bytes/workgroup (compile time only)
; SGPRBlocks: 0
; VGPRBlocks: 0
; NumSGPRsForWavesPerEU: 6
; NumVGPRsForWavesPerEU: 1
; AccumOffset: 4
; Occupancy: 8
; WaveLimiterHint : 0
; COMPUTE_PGM_RSRC2:SCRATCH_EN: 0
; COMPUTE_PGM_RSRC2:USER_SGPR: 2
; COMPUTE_PGM_RSRC2:TRAP_HANDLER: 0
; COMPUTE_PGM_RSRC2:TGID_X_EN: 1
; COMPUTE_PGM_RSRC2:TGID_Y_EN: 0
; COMPUTE_PGM_RSRC2:TGID_Z_EN: 0
; COMPUTE_PGM_RSRC2:TIDIG_COMP_CNT: 0
; COMPUTE_PGM_RSRC3_GFX90A:ACCUM_OFFSET: 0
; COMPUTE_PGM_RSRC3_GFX90A:TG_SPLIT: 0
	.section	.text._ZN7rocprim17ROCPRIM_400000_NS6detail17trampoline_kernelINS0_14default_configENS1_20scan_config_selectorIN3c108BFloat16EEEZZNS1_9scan_implILNS1_25lookback_scan_determinismE0ELb0ELb0ES3_PKS6_PS6_S6_ZZZN2at6native31launch_logcumsumexp_cuda_kernelERKNSD_10TensorBaseESH_lENKUlvE_clEvENKUlvE4_clEvEUlS6_S6_E_S6_EEDaPvRmT3_T4_T5_mT6_P12ihipStream_tbENKUlT_T0_E_clISt17integral_constantIbLb1EESX_IbLb0EEEEDaST_SU_EUlST_E_NS1_11comp_targetILNS1_3genE10ELNS1_11target_archE1201ELNS1_3gpuE5ELNS1_3repE0EEENS1_30default_config_static_selectorELNS0_4arch9wavefront6targetE1EEEvT1_,"axG",@progbits,_ZN7rocprim17ROCPRIM_400000_NS6detail17trampoline_kernelINS0_14default_configENS1_20scan_config_selectorIN3c108BFloat16EEEZZNS1_9scan_implILNS1_25lookback_scan_determinismE0ELb0ELb0ES3_PKS6_PS6_S6_ZZZN2at6native31launch_logcumsumexp_cuda_kernelERKNSD_10TensorBaseESH_lENKUlvE_clEvENKUlvE4_clEvEUlS6_S6_E_S6_EEDaPvRmT3_T4_T5_mT6_P12ihipStream_tbENKUlT_T0_E_clISt17integral_constantIbLb1EESX_IbLb0EEEEDaST_SU_EUlST_E_NS1_11comp_targetILNS1_3genE10ELNS1_11target_archE1201ELNS1_3gpuE5ELNS1_3repE0EEENS1_30default_config_static_selectorELNS0_4arch9wavefront6targetE1EEEvT1_,comdat
	.globl	_ZN7rocprim17ROCPRIM_400000_NS6detail17trampoline_kernelINS0_14default_configENS1_20scan_config_selectorIN3c108BFloat16EEEZZNS1_9scan_implILNS1_25lookback_scan_determinismE0ELb0ELb0ES3_PKS6_PS6_S6_ZZZN2at6native31launch_logcumsumexp_cuda_kernelERKNSD_10TensorBaseESH_lENKUlvE_clEvENKUlvE4_clEvEUlS6_S6_E_S6_EEDaPvRmT3_T4_T5_mT6_P12ihipStream_tbENKUlT_T0_E_clISt17integral_constantIbLb1EESX_IbLb0EEEEDaST_SU_EUlST_E_NS1_11comp_targetILNS1_3genE10ELNS1_11target_archE1201ELNS1_3gpuE5ELNS1_3repE0EEENS1_30default_config_static_selectorELNS0_4arch9wavefront6targetE1EEEvT1_ ; -- Begin function _ZN7rocprim17ROCPRIM_400000_NS6detail17trampoline_kernelINS0_14default_configENS1_20scan_config_selectorIN3c108BFloat16EEEZZNS1_9scan_implILNS1_25lookback_scan_determinismE0ELb0ELb0ES3_PKS6_PS6_S6_ZZZN2at6native31launch_logcumsumexp_cuda_kernelERKNSD_10TensorBaseESH_lENKUlvE_clEvENKUlvE4_clEvEUlS6_S6_E_S6_EEDaPvRmT3_T4_T5_mT6_P12ihipStream_tbENKUlT_T0_E_clISt17integral_constantIbLb1EESX_IbLb0EEEEDaST_SU_EUlST_E_NS1_11comp_targetILNS1_3genE10ELNS1_11target_archE1201ELNS1_3gpuE5ELNS1_3repE0EEENS1_30default_config_static_selectorELNS0_4arch9wavefront6targetE1EEEvT1_
	.p2align	8
	.type	_ZN7rocprim17ROCPRIM_400000_NS6detail17trampoline_kernelINS0_14default_configENS1_20scan_config_selectorIN3c108BFloat16EEEZZNS1_9scan_implILNS1_25lookback_scan_determinismE0ELb0ELb0ES3_PKS6_PS6_S6_ZZZN2at6native31launch_logcumsumexp_cuda_kernelERKNSD_10TensorBaseESH_lENKUlvE_clEvENKUlvE4_clEvEUlS6_S6_E_S6_EEDaPvRmT3_T4_T5_mT6_P12ihipStream_tbENKUlT_T0_E_clISt17integral_constantIbLb1EESX_IbLb0EEEEDaST_SU_EUlST_E_NS1_11comp_targetILNS1_3genE10ELNS1_11target_archE1201ELNS1_3gpuE5ELNS1_3repE0EEENS1_30default_config_static_selectorELNS0_4arch9wavefront6targetE1EEEvT1_,@function
_ZN7rocprim17ROCPRIM_400000_NS6detail17trampoline_kernelINS0_14default_configENS1_20scan_config_selectorIN3c108BFloat16EEEZZNS1_9scan_implILNS1_25lookback_scan_determinismE0ELb0ELb0ES3_PKS6_PS6_S6_ZZZN2at6native31launch_logcumsumexp_cuda_kernelERKNSD_10TensorBaseESH_lENKUlvE_clEvENKUlvE4_clEvEUlS6_S6_E_S6_EEDaPvRmT3_T4_T5_mT6_P12ihipStream_tbENKUlT_T0_E_clISt17integral_constantIbLb1EESX_IbLb0EEEEDaST_SU_EUlST_E_NS1_11comp_targetILNS1_3genE10ELNS1_11target_archE1201ELNS1_3gpuE5ELNS1_3repE0EEENS1_30default_config_static_selectorELNS0_4arch9wavefront6targetE1EEEvT1_: ; @_ZN7rocprim17ROCPRIM_400000_NS6detail17trampoline_kernelINS0_14default_configENS1_20scan_config_selectorIN3c108BFloat16EEEZZNS1_9scan_implILNS1_25lookback_scan_determinismE0ELb0ELb0ES3_PKS6_PS6_S6_ZZZN2at6native31launch_logcumsumexp_cuda_kernelERKNSD_10TensorBaseESH_lENKUlvE_clEvENKUlvE4_clEvEUlS6_S6_E_S6_EEDaPvRmT3_T4_T5_mT6_P12ihipStream_tbENKUlT_T0_E_clISt17integral_constantIbLb1EESX_IbLb0EEEEDaST_SU_EUlST_E_NS1_11comp_targetILNS1_3genE10ELNS1_11target_archE1201ELNS1_3gpuE5ELNS1_3repE0EEENS1_30default_config_static_selectorELNS0_4arch9wavefront6targetE1EEEvT1_
; %bb.0:
	.section	.rodata,"a",@progbits
	.p2align	6, 0x0
	.amdhsa_kernel _ZN7rocprim17ROCPRIM_400000_NS6detail17trampoline_kernelINS0_14default_configENS1_20scan_config_selectorIN3c108BFloat16EEEZZNS1_9scan_implILNS1_25lookback_scan_determinismE0ELb0ELb0ES3_PKS6_PS6_S6_ZZZN2at6native31launch_logcumsumexp_cuda_kernelERKNSD_10TensorBaseESH_lENKUlvE_clEvENKUlvE4_clEvEUlS6_S6_E_S6_EEDaPvRmT3_T4_T5_mT6_P12ihipStream_tbENKUlT_T0_E_clISt17integral_constantIbLb1EESX_IbLb0EEEEDaST_SU_EUlST_E_NS1_11comp_targetILNS1_3genE10ELNS1_11target_archE1201ELNS1_3gpuE5ELNS1_3repE0EEENS1_30default_config_static_selectorELNS0_4arch9wavefront6targetE1EEEvT1_
		.amdhsa_group_segment_fixed_size 0
		.amdhsa_private_segment_fixed_size 0
		.amdhsa_kernarg_size 96
		.amdhsa_user_sgpr_count 2
		.amdhsa_user_sgpr_dispatch_ptr 0
		.amdhsa_user_sgpr_queue_ptr 0
		.amdhsa_user_sgpr_kernarg_segment_ptr 1
		.amdhsa_user_sgpr_dispatch_id 0
		.amdhsa_user_sgpr_kernarg_preload_length 0
		.amdhsa_user_sgpr_kernarg_preload_offset 0
		.amdhsa_user_sgpr_private_segment_size 0
		.amdhsa_uses_dynamic_stack 0
		.amdhsa_enable_private_segment 0
		.amdhsa_system_sgpr_workgroup_id_x 1
		.amdhsa_system_sgpr_workgroup_id_y 0
		.amdhsa_system_sgpr_workgroup_id_z 0
		.amdhsa_system_sgpr_workgroup_info 0
		.amdhsa_system_vgpr_workitem_id 0
		.amdhsa_next_free_vgpr 1
		.amdhsa_next_free_sgpr 0
		.amdhsa_accum_offset 4
		.amdhsa_reserve_vcc 0
		.amdhsa_float_round_mode_32 0
		.amdhsa_float_round_mode_16_64 0
		.amdhsa_float_denorm_mode_32 3
		.amdhsa_float_denorm_mode_16_64 3
		.amdhsa_dx10_clamp 1
		.amdhsa_ieee_mode 1
		.amdhsa_fp16_overflow 0
		.amdhsa_tg_split 0
		.amdhsa_exception_fp_ieee_invalid_op 0
		.amdhsa_exception_fp_denorm_src 0
		.amdhsa_exception_fp_ieee_div_zero 0
		.amdhsa_exception_fp_ieee_overflow 0
		.amdhsa_exception_fp_ieee_underflow 0
		.amdhsa_exception_fp_ieee_inexact 0
		.amdhsa_exception_int_div_zero 0
	.end_amdhsa_kernel
	.section	.text._ZN7rocprim17ROCPRIM_400000_NS6detail17trampoline_kernelINS0_14default_configENS1_20scan_config_selectorIN3c108BFloat16EEEZZNS1_9scan_implILNS1_25lookback_scan_determinismE0ELb0ELb0ES3_PKS6_PS6_S6_ZZZN2at6native31launch_logcumsumexp_cuda_kernelERKNSD_10TensorBaseESH_lENKUlvE_clEvENKUlvE4_clEvEUlS6_S6_E_S6_EEDaPvRmT3_T4_T5_mT6_P12ihipStream_tbENKUlT_T0_E_clISt17integral_constantIbLb1EESX_IbLb0EEEEDaST_SU_EUlST_E_NS1_11comp_targetILNS1_3genE10ELNS1_11target_archE1201ELNS1_3gpuE5ELNS1_3repE0EEENS1_30default_config_static_selectorELNS0_4arch9wavefront6targetE1EEEvT1_,"axG",@progbits,_ZN7rocprim17ROCPRIM_400000_NS6detail17trampoline_kernelINS0_14default_configENS1_20scan_config_selectorIN3c108BFloat16EEEZZNS1_9scan_implILNS1_25lookback_scan_determinismE0ELb0ELb0ES3_PKS6_PS6_S6_ZZZN2at6native31launch_logcumsumexp_cuda_kernelERKNSD_10TensorBaseESH_lENKUlvE_clEvENKUlvE4_clEvEUlS6_S6_E_S6_EEDaPvRmT3_T4_T5_mT6_P12ihipStream_tbENKUlT_T0_E_clISt17integral_constantIbLb1EESX_IbLb0EEEEDaST_SU_EUlST_E_NS1_11comp_targetILNS1_3genE10ELNS1_11target_archE1201ELNS1_3gpuE5ELNS1_3repE0EEENS1_30default_config_static_selectorELNS0_4arch9wavefront6targetE1EEEvT1_,comdat
.Lfunc_end504:
	.size	_ZN7rocprim17ROCPRIM_400000_NS6detail17trampoline_kernelINS0_14default_configENS1_20scan_config_selectorIN3c108BFloat16EEEZZNS1_9scan_implILNS1_25lookback_scan_determinismE0ELb0ELb0ES3_PKS6_PS6_S6_ZZZN2at6native31launch_logcumsumexp_cuda_kernelERKNSD_10TensorBaseESH_lENKUlvE_clEvENKUlvE4_clEvEUlS6_S6_E_S6_EEDaPvRmT3_T4_T5_mT6_P12ihipStream_tbENKUlT_T0_E_clISt17integral_constantIbLb1EESX_IbLb0EEEEDaST_SU_EUlST_E_NS1_11comp_targetILNS1_3genE10ELNS1_11target_archE1201ELNS1_3gpuE5ELNS1_3repE0EEENS1_30default_config_static_selectorELNS0_4arch9wavefront6targetE1EEEvT1_, .Lfunc_end504-_ZN7rocprim17ROCPRIM_400000_NS6detail17trampoline_kernelINS0_14default_configENS1_20scan_config_selectorIN3c108BFloat16EEEZZNS1_9scan_implILNS1_25lookback_scan_determinismE0ELb0ELb0ES3_PKS6_PS6_S6_ZZZN2at6native31launch_logcumsumexp_cuda_kernelERKNSD_10TensorBaseESH_lENKUlvE_clEvENKUlvE4_clEvEUlS6_S6_E_S6_EEDaPvRmT3_T4_T5_mT6_P12ihipStream_tbENKUlT_T0_E_clISt17integral_constantIbLb1EESX_IbLb0EEEEDaST_SU_EUlST_E_NS1_11comp_targetILNS1_3genE10ELNS1_11target_archE1201ELNS1_3gpuE5ELNS1_3repE0EEENS1_30default_config_static_selectorELNS0_4arch9wavefront6targetE1EEEvT1_
                                        ; -- End function
	.section	.AMDGPU.csdata,"",@progbits
; Kernel info:
; codeLenInByte = 0
; NumSgprs: 6
; NumVgprs: 0
; NumAgprs: 0
; TotalNumVgprs: 0
; ScratchSize: 0
; MemoryBound: 0
; FloatMode: 240
; IeeeMode: 1
; LDSByteSize: 0 bytes/workgroup (compile time only)
; SGPRBlocks: 0
; VGPRBlocks: 0
; NumSGPRsForWavesPerEU: 6
; NumVGPRsForWavesPerEU: 1
; AccumOffset: 4
; Occupancy: 8
; WaveLimiterHint : 0
; COMPUTE_PGM_RSRC2:SCRATCH_EN: 0
; COMPUTE_PGM_RSRC2:USER_SGPR: 2
; COMPUTE_PGM_RSRC2:TRAP_HANDLER: 0
; COMPUTE_PGM_RSRC2:TGID_X_EN: 1
; COMPUTE_PGM_RSRC2:TGID_Y_EN: 0
; COMPUTE_PGM_RSRC2:TGID_Z_EN: 0
; COMPUTE_PGM_RSRC2:TIDIG_COMP_CNT: 0
; COMPUTE_PGM_RSRC3_GFX90A:ACCUM_OFFSET: 0
; COMPUTE_PGM_RSRC3_GFX90A:TG_SPLIT: 0
	.section	.text._ZN7rocprim17ROCPRIM_400000_NS6detail17trampoline_kernelINS0_14default_configENS1_20scan_config_selectorIN3c108BFloat16EEEZZNS1_9scan_implILNS1_25lookback_scan_determinismE0ELb0ELb0ES3_PKS6_PS6_S6_ZZZN2at6native31launch_logcumsumexp_cuda_kernelERKNSD_10TensorBaseESH_lENKUlvE_clEvENKUlvE4_clEvEUlS6_S6_E_S6_EEDaPvRmT3_T4_T5_mT6_P12ihipStream_tbENKUlT_T0_E_clISt17integral_constantIbLb1EESX_IbLb0EEEEDaST_SU_EUlST_E_NS1_11comp_targetILNS1_3genE10ELNS1_11target_archE1200ELNS1_3gpuE4ELNS1_3repE0EEENS1_30default_config_static_selectorELNS0_4arch9wavefront6targetE1EEEvT1_,"axG",@progbits,_ZN7rocprim17ROCPRIM_400000_NS6detail17trampoline_kernelINS0_14default_configENS1_20scan_config_selectorIN3c108BFloat16EEEZZNS1_9scan_implILNS1_25lookback_scan_determinismE0ELb0ELb0ES3_PKS6_PS6_S6_ZZZN2at6native31launch_logcumsumexp_cuda_kernelERKNSD_10TensorBaseESH_lENKUlvE_clEvENKUlvE4_clEvEUlS6_S6_E_S6_EEDaPvRmT3_T4_T5_mT6_P12ihipStream_tbENKUlT_T0_E_clISt17integral_constantIbLb1EESX_IbLb0EEEEDaST_SU_EUlST_E_NS1_11comp_targetILNS1_3genE10ELNS1_11target_archE1200ELNS1_3gpuE4ELNS1_3repE0EEENS1_30default_config_static_selectorELNS0_4arch9wavefront6targetE1EEEvT1_,comdat
	.globl	_ZN7rocprim17ROCPRIM_400000_NS6detail17trampoline_kernelINS0_14default_configENS1_20scan_config_selectorIN3c108BFloat16EEEZZNS1_9scan_implILNS1_25lookback_scan_determinismE0ELb0ELb0ES3_PKS6_PS6_S6_ZZZN2at6native31launch_logcumsumexp_cuda_kernelERKNSD_10TensorBaseESH_lENKUlvE_clEvENKUlvE4_clEvEUlS6_S6_E_S6_EEDaPvRmT3_T4_T5_mT6_P12ihipStream_tbENKUlT_T0_E_clISt17integral_constantIbLb1EESX_IbLb0EEEEDaST_SU_EUlST_E_NS1_11comp_targetILNS1_3genE10ELNS1_11target_archE1200ELNS1_3gpuE4ELNS1_3repE0EEENS1_30default_config_static_selectorELNS0_4arch9wavefront6targetE1EEEvT1_ ; -- Begin function _ZN7rocprim17ROCPRIM_400000_NS6detail17trampoline_kernelINS0_14default_configENS1_20scan_config_selectorIN3c108BFloat16EEEZZNS1_9scan_implILNS1_25lookback_scan_determinismE0ELb0ELb0ES3_PKS6_PS6_S6_ZZZN2at6native31launch_logcumsumexp_cuda_kernelERKNSD_10TensorBaseESH_lENKUlvE_clEvENKUlvE4_clEvEUlS6_S6_E_S6_EEDaPvRmT3_T4_T5_mT6_P12ihipStream_tbENKUlT_T0_E_clISt17integral_constantIbLb1EESX_IbLb0EEEEDaST_SU_EUlST_E_NS1_11comp_targetILNS1_3genE10ELNS1_11target_archE1200ELNS1_3gpuE4ELNS1_3repE0EEENS1_30default_config_static_selectorELNS0_4arch9wavefront6targetE1EEEvT1_
	.p2align	8
	.type	_ZN7rocprim17ROCPRIM_400000_NS6detail17trampoline_kernelINS0_14default_configENS1_20scan_config_selectorIN3c108BFloat16EEEZZNS1_9scan_implILNS1_25lookback_scan_determinismE0ELb0ELb0ES3_PKS6_PS6_S6_ZZZN2at6native31launch_logcumsumexp_cuda_kernelERKNSD_10TensorBaseESH_lENKUlvE_clEvENKUlvE4_clEvEUlS6_S6_E_S6_EEDaPvRmT3_T4_T5_mT6_P12ihipStream_tbENKUlT_T0_E_clISt17integral_constantIbLb1EESX_IbLb0EEEEDaST_SU_EUlST_E_NS1_11comp_targetILNS1_3genE10ELNS1_11target_archE1200ELNS1_3gpuE4ELNS1_3repE0EEENS1_30default_config_static_selectorELNS0_4arch9wavefront6targetE1EEEvT1_,@function
_ZN7rocprim17ROCPRIM_400000_NS6detail17trampoline_kernelINS0_14default_configENS1_20scan_config_selectorIN3c108BFloat16EEEZZNS1_9scan_implILNS1_25lookback_scan_determinismE0ELb0ELb0ES3_PKS6_PS6_S6_ZZZN2at6native31launch_logcumsumexp_cuda_kernelERKNSD_10TensorBaseESH_lENKUlvE_clEvENKUlvE4_clEvEUlS6_S6_E_S6_EEDaPvRmT3_T4_T5_mT6_P12ihipStream_tbENKUlT_T0_E_clISt17integral_constantIbLb1EESX_IbLb0EEEEDaST_SU_EUlST_E_NS1_11comp_targetILNS1_3genE10ELNS1_11target_archE1200ELNS1_3gpuE4ELNS1_3repE0EEENS1_30default_config_static_selectorELNS0_4arch9wavefront6targetE1EEEvT1_: ; @_ZN7rocprim17ROCPRIM_400000_NS6detail17trampoline_kernelINS0_14default_configENS1_20scan_config_selectorIN3c108BFloat16EEEZZNS1_9scan_implILNS1_25lookback_scan_determinismE0ELb0ELb0ES3_PKS6_PS6_S6_ZZZN2at6native31launch_logcumsumexp_cuda_kernelERKNSD_10TensorBaseESH_lENKUlvE_clEvENKUlvE4_clEvEUlS6_S6_E_S6_EEDaPvRmT3_T4_T5_mT6_P12ihipStream_tbENKUlT_T0_E_clISt17integral_constantIbLb1EESX_IbLb0EEEEDaST_SU_EUlST_E_NS1_11comp_targetILNS1_3genE10ELNS1_11target_archE1200ELNS1_3gpuE4ELNS1_3repE0EEENS1_30default_config_static_selectorELNS0_4arch9wavefront6targetE1EEEvT1_
; %bb.0:
	.section	.rodata,"a",@progbits
	.p2align	6, 0x0
	.amdhsa_kernel _ZN7rocprim17ROCPRIM_400000_NS6detail17trampoline_kernelINS0_14default_configENS1_20scan_config_selectorIN3c108BFloat16EEEZZNS1_9scan_implILNS1_25lookback_scan_determinismE0ELb0ELb0ES3_PKS6_PS6_S6_ZZZN2at6native31launch_logcumsumexp_cuda_kernelERKNSD_10TensorBaseESH_lENKUlvE_clEvENKUlvE4_clEvEUlS6_S6_E_S6_EEDaPvRmT3_T4_T5_mT6_P12ihipStream_tbENKUlT_T0_E_clISt17integral_constantIbLb1EESX_IbLb0EEEEDaST_SU_EUlST_E_NS1_11comp_targetILNS1_3genE10ELNS1_11target_archE1200ELNS1_3gpuE4ELNS1_3repE0EEENS1_30default_config_static_selectorELNS0_4arch9wavefront6targetE1EEEvT1_
		.amdhsa_group_segment_fixed_size 0
		.amdhsa_private_segment_fixed_size 0
		.amdhsa_kernarg_size 96
		.amdhsa_user_sgpr_count 2
		.amdhsa_user_sgpr_dispatch_ptr 0
		.amdhsa_user_sgpr_queue_ptr 0
		.amdhsa_user_sgpr_kernarg_segment_ptr 1
		.amdhsa_user_sgpr_dispatch_id 0
		.amdhsa_user_sgpr_kernarg_preload_length 0
		.amdhsa_user_sgpr_kernarg_preload_offset 0
		.amdhsa_user_sgpr_private_segment_size 0
		.amdhsa_uses_dynamic_stack 0
		.amdhsa_enable_private_segment 0
		.amdhsa_system_sgpr_workgroup_id_x 1
		.amdhsa_system_sgpr_workgroup_id_y 0
		.amdhsa_system_sgpr_workgroup_id_z 0
		.amdhsa_system_sgpr_workgroup_info 0
		.amdhsa_system_vgpr_workitem_id 0
		.amdhsa_next_free_vgpr 1
		.amdhsa_next_free_sgpr 0
		.amdhsa_accum_offset 4
		.amdhsa_reserve_vcc 0
		.amdhsa_float_round_mode_32 0
		.amdhsa_float_round_mode_16_64 0
		.amdhsa_float_denorm_mode_32 3
		.amdhsa_float_denorm_mode_16_64 3
		.amdhsa_dx10_clamp 1
		.amdhsa_ieee_mode 1
		.amdhsa_fp16_overflow 0
		.amdhsa_tg_split 0
		.amdhsa_exception_fp_ieee_invalid_op 0
		.amdhsa_exception_fp_denorm_src 0
		.amdhsa_exception_fp_ieee_div_zero 0
		.amdhsa_exception_fp_ieee_overflow 0
		.amdhsa_exception_fp_ieee_underflow 0
		.amdhsa_exception_fp_ieee_inexact 0
		.amdhsa_exception_int_div_zero 0
	.end_amdhsa_kernel
	.section	.text._ZN7rocprim17ROCPRIM_400000_NS6detail17trampoline_kernelINS0_14default_configENS1_20scan_config_selectorIN3c108BFloat16EEEZZNS1_9scan_implILNS1_25lookback_scan_determinismE0ELb0ELb0ES3_PKS6_PS6_S6_ZZZN2at6native31launch_logcumsumexp_cuda_kernelERKNSD_10TensorBaseESH_lENKUlvE_clEvENKUlvE4_clEvEUlS6_S6_E_S6_EEDaPvRmT3_T4_T5_mT6_P12ihipStream_tbENKUlT_T0_E_clISt17integral_constantIbLb1EESX_IbLb0EEEEDaST_SU_EUlST_E_NS1_11comp_targetILNS1_3genE10ELNS1_11target_archE1200ELNS1_3gpuE4ELNS1_3repE0EEENS1_30default_config_static_selectorELNS0_4arch9wavefront6targetE1EEEvT1_,"axG",@progbits,_ZN7rocprim17ROCPRIM_400000_NS6detail17trampoline_kernelINS0_14default_configENS1_20scan_config_selectorIN3c108BFloat16EEEZZNS1_9scan_implILNS1_25lookback_scan_determinismE0ELb0ELb0ES3_PKS6_PS6_S6_ZZZN2at6native31launch_logcumsumexp_cuda_kernelERKNSD_10TensorBaseESH_lENKUlvE_clEvENKUlvE4_clEvEUlS6_S6_E_S6_EEDaPvRmT3_T4_T5_mT6_P12ihipStream_tbENKUlT_T0_E_clISt17integral_constantIbLb1EESX_IbLb0EEEEDaST_SU_EUlST_E_NS1_11comp_targetILNS1_3genE10ELNS1_11target_archE1200ELNS1_3gpuE4ELNS1_3repE0EEENS1_30default_config_static_selectorELNS0_4arch9wavefront6targetE1EEEvT1_,comdat
.Lfunc_end505:
	.size	_ZN7rocprim17ROCPRIM_400000_NS6detail17trampoline_kernelINS0_14default_configENS1_20scan_config_selectorIN3c108BFloat16EEEZZNS1_9scan_implILNS1_25lookback_scan_determinismE0ELb0ELb0ES3_PKS6_PS6_S6_ZZZN2at6native31launch_logcumsumexp_cuda_kernelERKNSD_10TensorBaseESH_lENKUlvE_clEvENKUlvE4_clEvEUlS6_S6_E_S6_EEDaPvRmT3_T4_T5_mT6_P12ihipStream_tbENKUlT_T0_E_clISt17integral_constantIbLb1EESX_IbLb0EEEEDaST_SU_EUlST_E_NS1_11comp_targetILNS1_3genE10ELNS1_11target_archE1200ELNS1_3gpuE4ELNS1_3repE0EEENS1_30default_config_static_selectorELNS0_4arch9wavefront6targetE1EEEvT1_, .Lfunc_end505-_ZN7rocprim17ROCPRIM_400000_NS6detail17trampoline_kernelINS0_14default_configENS1_20scan_config_selectorIN3c108BFloat16EEEZZNS1_9scan_implILNS1_25lookback_scan_determinismE0ELb0ELb0ES3_PKS6_PS6_S6_ZZZN2at6native31launch_logcumsumexp_cuda_kernelERKNSD_10TensorBaseESH_lENKUlvE_clEvENKUlvE4_clEvEUlS6_S6_E_S6_EEDaPvRmT3_T4_T5_mT6_P12ihipStream_tbENKUlT_T0_E_clISt17integral_constantIbLb1EESX_IbLb0EEEEDaST_SU_EUlST_E_NS1_11comp_targetILNS1_3genE10ELNS1_11target_archE1200ELNS1_3gpuE4ELNS1_3repE0EEENS1_30default_config_static_selectorELNS0_4arch9wavefront6targetE1EEEvT1_
                                        ; -- End function
	.section	.AMDGPU.csdata,"",@progbits
; Kernel info:
; codeLenInByte = 0
; NumSgprs: 6
; NumVgprs: 0
; NumAgprs: 0
; TotalNumVgprs: 0
; ScratchSize: 0
; MemoryBound: 0
; FloatMode: 240
; IeeeMode: 1
; LDSByteSize: 0 bytes/workgroup (compile time only)
; SGPRBlocks: 0
; VGPRBlocks: 0
; NumSGPRsForWavesPerEU: 6
; NumVGPRsForWavesPerEU: 1
; AccumOffset: 4
; Occupancy: 8
; WaveLimiterHint : 0
; COMPUTE_PGM_RSRC2:SCRATCH_EN: 0
; COMPUTE_PGM_RSRC2:USER_SGPR: 2
; COMPUTE_PGM_RSRC2:TRAP_HANDLER: 0
; COMPUTE_PGM_RSRC2:TGID_X_EN: 1
; COMPUTE_PGM_RSRC2:TGID_Y_EN: 0
; COMPUTE_PGM_RSRC2:TGID_Z_EN: 0
; COMPUTE_PGM_RSRC2:TIDIG_COMP_CNT: 0
; COMPUTE_PGM_RSRC3_GFX90A:ACCUM_OFFSET: 0
; COMPUTE_PGM_RSRC3_GFX90A:TG_SPLIT: 0
	.section	.text._ZN7rocprim17ROCPRIM_400000_NS6detail17trampoline_kernelINS0_14default_configENS1_20scan_config_selectorIN3c108BFloat16EEEZZNS1_9scan_implILNS1_25lookback_scan_determinismE0ELb0ELb0ES3_PKS6_PS6_S6_ZZZN2at6native31launch_logcumsumexp_cuda_kernelERKNSD_10TensorBaseESH_lENKUlvE_clEvENKUlvE4_clEvEUlS6_S6_E_S6_EEDaPvRmT3_T4_T5_mT6_P12ihipStream_tbENKUlT_T0_E_clISt17integral_constantIbLb1EESX_IbLb0EEEEDaST_SU_EUlST_E_NS1_11comp_targetILNS1_3genE9ELNS1_11target_archE1100ELNS1_3gpuE3ELNS1_3repE0EEENS1_30default_config_static_selectorELNS0_4arch9wavefront6targetE1EEEvT1_,"axG",@progbits,_ZN7rocprim17ROCPRIM_400000_NS6detail17trampoline_kernelINS0_14default_configENS1_20scan_config_selectorIN3c108BFloat16EEEZZNS1_9scan_implILNS1_25lookback_scan_determinismE0ELb0ELb0ES3_PKS6_PS6_S6_ZZZN2at6native31launch_logcumsumexp_cuda_kernelERKNSD_10TensorBaseESH_lENKUlvE_clEvENKUlvE4_clEvEUlS6_S6_E_S6_EEDaPvRmT3_T4_T5_mT6_P12ihipStream_tbENKUlT_T0_E_clISt17integral_constantIbLb1EESX_IbLb0EEEEDaST_SU_EUlST_E_NS1_11comp_targetILNS1_3genE9ELNS1_11target_archE1100ELNS1_3gpuE3ELNS1_3repE0EEENS1_30default_config_static_selectorELNS0_4arch9wavefront6targetE1EEEvT1_,comdat
	.globl	_ZN7rocprim17ROCPRIM_400000_NS6detail17trampoline_kernelINS0_14default_configENS1_20scan_config_selectorIN3c108BFloat16EEEZZNS1_9scan_implILNS1_25lookback_scan_determinismE0ELb0ELb0ES3_PKS6_PS6_S6_ZZZN2at6native31launch_logcumsumexp_cuda_kernelERKNSD_10TensorBaseESH_lENKUlvE_clEvENKUlvE4_clEvEUlS6_S6_E_S6_EEDaPvRmT3_T4_T5_mT6_P12ihipStream_tbENKUlT_T0_E_clISt17integral_constantIbLb1EESX_IbLb0EEEEDaST_SU_EUlST_E_NS1_11comp_targetILNS1_3genE9ELNS1_11target_archE1100ELNS1_3gpuE3ELNS1_3repE0EEENS1_30default_config_static_selectorELNS0_4arch9wavefront6targetE1EEEvT1_ ; -- Begin function _ZN7rocprim17ROCPRIM_400000_NS6detail17trampoline_kernelINS0_14default_configENS1_20scan_config_selectorIN3c108BFloat16EEEZZNS1_9scan_implILNS1_25lookback_scan_determinismE0ELb0ELb0ES3_PKS6_PS6_S6_ZZZN2at6native31launch_logcumsumexp_cuda_kernelERKNSD_10TensorBaseESH_lENKUlvE_clEvENKUlvE4_clEvEUlS6_S6_E_S6_EEDaPvRmT3_T4_T5_mT6_P12ihipStream_tbENKUlT_T0_E_clISt17integral_constantIbLb1EESX_IbLb0EEEEDaST_SU_EUlST_E_NS1_11comp_targetILNS1_3genE9ELNS1_11target_archE1100ELNS1_3gpuE3ELNS1_3repE0EEENS1_30default_config_static_selectorELNS0_4arch9wavefront6targetE1EEEvT1_
	.p2align	8
	.type	_ZN7rocprim17ROCPRIM_400000_NS6detail17trampoline_kernelINS0_14default_configENS1_20scan_config_selectorIN3c108BFloat16EEEZZNS1_9scan_implILNS1_25lookback_scan_determinismE0ELb0ELb0ES3_PKS6_PS6_S6_ZZZN2at6native31launch_logcumsumexp_cuda_kernelERKNSD_10TensorBaseESH_lENKUlvE_clEvENKUlvE4_clEvEUlS6_S6_E_S6_EEDaPvRmT3_T4_T5_mT6_P12ihipStream_tbENKUlT_T0_E_clISt17integral_constantIbLb1EESX_IbLb0EEEEDaST_SU_EUlST_E_NS1_11comp_targetILNS1_3genE9ELNS1_11target_archE1100ELNS1_3gpuE3ELNS1_3repE0EEENS1_30default_config_static_selectorELNS0_4arch9wavefront6targetE1EEEvT1_,@function
_ZN7rocprim17ROCPRIM_400000_NS6detail17trampoline_kernelINS0_14default_configENS1_20scan_config_selectorIN3c108BFloat16EEEZZNS1_9scan_implILNS1_25lookback_scan_determinismE0ELb0ELb0ES3_PKS6_PS6_S6_ZZZN2at6native31launch_logcumsumexp_cuda_kernelERKNSD_10TensorBaseESH_lENKUlvE_clEvENKUlvE4_clEvEUlS6_S6_E_S6_EEDaPvRmT3_T4_T5_mT6_P12ihipStream_tbENKUlT_T0_E_clISt17integral_constantIbLb1EESX_IbLb0EEEEDaST_SU_EUlST_E_NS1_11comp_targetILNS1_3genE9ELNS1_11target_archE1100ELNS1_3gpuE3ELNS1_3repE0EEENS1_30default_config_static_selectorELNS0_4arch9wavefront6targetE1EEEvT1_: ; @_ZN7rocprim17ROCPRIM_400000_NS6detail17trampoline_kernelINS0_14default_configENS1_20scan_config_selectorIN3c108BFloat16EEEZZNS1_9scan_implILNS1_25lookback_scan_determinismE0ELb0ELb0ES3_PKS6_PS6_S6_ZZZN2at6native31launch_logcumsumexp_cuda_kernelERKNSD_10TensorBaseESH_lENKUlvE_clEvENKUlvE4_clEvEUlS6_S6_E_S6_EEDaPvRmT3_T4_T5_mT6_P12ihipStream_tbENKUlT_T0_E_clISt17integral_constantIbLb1EESX_IbLb0EEEEDaST_SU_EUlST_E_NS1_11comp_targetILNS1_3genE9ELNS1_11target_archE1100ELNS1_3gpuE3ELNS1_3repE0EEENS1_30default_config_static_selectorELNS0_4arch9wavefront6targetE1EEEvT1_
; %bb.0:
	.section	.rodata,"a",@progbits
	.p2align	6, 0x0
	.amdhsa_kernel _ZN7rocprim17ROCPRIM_400000_NS6detail17trampoline_kernelINS0_14default_configENS1_20scan_config_selectorIN3c108BFloat16EEEZZNS1_9scan_implILNS1_25lookback_scan_determinismE0ELb0ELb0ES3_PKS6_PS6_S6_ZZZN2at6native31launch_logcumsumexp_cuda_kernelERKNSD_10TensorBaseESH_lENKUlvE_clEvENKUlvE4_clEvEUlS6_S6_E_S6_EEDaPvRmT3_T4_T5_mT6_P12ihipStream_tbENKUlT_T0_E_clISt17integral_constantIbLb1EESX_IbLb0EEEEDaST_SU_EUlST_E_NS1_11comp_targetILNS1_3genE9ELNS1_11target_archE1100ELNS1_3gpuE3ELNS1_3repE0EEENS1_30default_config_static_selectorELNS0_4arch9wavefront6targetE1EEEvT1_
		.amdhsa_group_segment_fixed_size 0
		.amdhsa_private_segment_fixed_size 0
		.amdhsa_kernarg_size 96
		.amdhsa_user_sgpr_count 2
		.amdhsa_user_sgpr_dispatch_ptr 0
		.amdhsa_user_sgpr_queue_ptr 0
		.amdhsa_user_sgpr_kernarg_segment_ptr 1
		.amdhsa_user_sgpr_dispatch_id 0
		.amdhsa_user_sgpr_kernarg_preload_length 0
		.amdhsa_user_sgpr_kernarg_preload_offset 0
		.amdhsa_user_sgpr_private_segment_size 0
		.amdhsa_uses_dynamic_stack 0
		.amdhsa_enable_private_segment 0
		.amdhsa_system_sgpr_workgroup_id_x 1
		.amdhsa_system_sgpr_workgroup_id_y 0
		.amdhsa_system_sgpr_workgroup_id_z 0
		.amdhsa_system_sgpr_workgroup_info 0
		.amdhsa_system_vgpr_workitem_id 0
		.amdhsa_next_free_vgpr 1
		.amdhsa_next_free_sgpr 0
		.amdhsa_accum_offset 4
		.amdhsa_reserve_vcc 0
		.amdhsa_float_round_mode_32 0
		.amdhsa_float_round_mode_16_64 0
		.amdhsa_float_denorm_mode_32 3
		.amdhsa_float_denorm_mode_16_64 3
		.amdhsa_dx10_clamp 1
		.amdhsa_ieee_mode 1
		.amdhsa_fp16_overflow 0
		.amdhsa_tg_split 0
		.amdhsa_exception_fp_ieee_invalid_op 0
		.amdhsa_exception_fp_denorm_src 0
		.amdhsa_exception_fp_ieee_div_zero 0
		.amdhsa_exception_fp_ieee_overflow 0
		.amdhsa_exception_fp_ieee_underflow 0
		.amdhsa_exception_fp_ieee_inexact 0
		.amdhsa_exception_int_div_zero 0
	.end_amdhsa_kernel
	.section	.text._ZN7rocprim17ROCPRIM_400000_NS6detail17trampoline_kernelINS0_14default_configENS1_20scan_config_selectorIN3c108BFloat16EEEZZNS1_9scan_implILNS1_25lookback_scan_determinismE0ELb0ELb0ES3_PKS6_PS6_S6_ZZZN2at6native31launch_logcumsumexp_cuda_kernelERKNSD_10TensorBaseESH_lENKUlvE_clEvENKUlvE4_clEvEUlS6_S6_E_S6_EEDaPvRmT3_T4_T5_mT6_P12ihipStream_tbENKUlT_T0_E_clISt17integral_constantIbLb1EESX_IbLb0EEEEDaST_SU_EUlST_E_NS1_11comp_targetILNS1_3genE9ELNS1_11target_archE1100ELNS1_3gpuE3ELNS1_3repE0EEENS1_30default_config_static_selectorELNS0_4arch9wavefront6targetE1EEEvT1_,"axG",@progbits,_ZN7rocprim17ROCPRIM_400000_NS6detail17trampoline_kernelINS0_14default_configENS1_20scan_config_selectorIN3c108BFloat16EEEZZNS1_9scan_implILNS1_25lookback_scan_determinismE0ELb0ELb0ES3_PKS6_PS6_S6_ZZZN2at6native31launch_logcumsumexp_cuda_kernelERKNSD_10TensorBaseESH_lENKUlvE_clEvENKUlvE4_clEvEUlS6_S6_E_S6_EEDaPvRmT3_T4_T5_mT6_P12ihipStream_tbENKUlT_T0_E_clISt17integral_constantIbLb1EESX_IbLb0EEEEDaST_SU_EUlST_E_NS1_11comp_targetILNS1_3genE9ELNS1_11target_archE1100ELNS1_3gpuE3ELNS1_3repE0EEENS1_30default_config_static_selectorELNS0_4arch9wavefront6targetE1EEEvT1_,comdat
.Lfunc_end506:
	.size	_ZN7rocprim17ROCPRIM_400000_NS6detail17trampoline_kernelINS0_14default_configENS1_20scan_config_selectorIN3c108BFloat16EEEZZNS1_9scan_implILNS1_25lookback_scan_determinismE0ELb0ELb0ES3_PKS6_PS6_S6_ZZZN2at6native31launch_logcumsumexp_cuda_kernelERKNSD_10TensorBaseESH_lENKUlvE_clEvENKUlvE4_clEvEUlS6_S6_E_S6_EEDaPvRmT3_T4_T5_mT6_P12ihipStream_tbENKUlT_T0_E_clISt17integral_constantIbLb1EESX_IbLb0EEEEDaST_SU_EUlST_E_NS1_11comp_targetILNS1_3genE9ELNS1_11target_archE1100ELNS1_3gpuE3ELNS1_3repE0EEENS1_30default_config_static_selectorELNS0_4arch9wavefront6targetE1EEEvT1_, .Lfunc_end506-_ZN7rocprim17ROCPRIM_400000_NS6detail17trampoline_kernelINS0_14default_configENS1_20scan_config_selectorIN3c108BFloat16EEEZZNS1_9scan_implILNS1_25lookback_scan_determinismE0ELb0ELb0ES3_PKS6_PS6_S6_ZZZN2at6native31launch_logcumsumexp_cuda_kernelERKNSD_10TensorBaseESH_lENKUlvE_clEvENKUlvE4_clEvEUlS6_S6_E_S6_EEDaPvRmT3_T4_T5_mT6_P12ihipStream_tbENKUlT_T0_E_clISt17integral_constantIbLb1EESX_IbLb0EEEEDaST_SU_EUlST_E_NS1_11comp_targetILNS1_3genE9ELNS1_11target_archE1100ELNS1_3gpuE3ELNS1_3repE0EEENS1_30default_config_static_selectorELNS0_4arch9wavefront6targetE1EEEvT1_
                                        ; -- End function
	.section	.AMDGPU.csdata,"",@progbits
; Kernel info:
; codeLenInByte = 0
; NumSgprs: 6
; NumVgprs: 0
; NumAgprs: 0
; TotalNumVgprs: 0
; ScratchSize: 0
; MemoryBound: 0
; FloatMode: 240
; IeeeMode: 1
; LDSByteSize: 0 bytes/workgroup (compile time only)
; SGPRBlocks: 0
; VGPRBlocks: 0
; NumSGPRsForWavesPerEU: 6
; NumVGPRsForWavesPerEU: 1
; AccumOffset: 4
; Occupancy: 8
; WaveLimiterHint : 0
; COMPUTE_PGM_RSRC2:SCRATCH_EN: 0
; COMPUTE_PGM_RSRC2:USER_SGPR: 2
; COMPUTE_PGM_RSRC2:TRAP_HANDLER: 0
; COMPUTE_PGM_RSRC2:TGID_X_EN: 1
; COMPUTE_PGM_RSRC2:TGID_Y_EN: 0
; COMPUTE_PGM_RSRC2:TGID_Z_EN: 0
; COMPUTE_PGM_RSRC2:TIDIG_COMP_CNT: 0
; COMPUTE_PGM_RSRC3_GFX90A:ACCUM_OFFSET: 0
; COMPUTE_PGM_RSRC3_GFX90A:TG_SPLIT: 0
	.section	.text._ZN7rocprim17ROCPRIM_400000_NS6detail17trampoline_kernelINS0_14default_configENS1_20scan_config_selectorIN3c108BFloat16EEEZZNS1_9scan_implILNS1_25lookback_scan_determinismE0ELb0ELb0ES3_PKS6_PS6_S6_ZZZN2at6native31launch_logcumsumexp_cuda_kernelERKNSD_10TensorBaseESH_lENKUlvE_clEvENKUlvE4_clEvEUlS6_S6_E_S6_EEDaPvRmT3_T4_T5_mT6_P12ihipStream_tbENKUlT_T0_E_clISt17integral_constantIbLb1EESX_IbLb0EEEEDaST_SU_EUlST_E_NS1_11comp_targetILNS1_3genE8ELNS1_11target_archE1030ELNS1_3gpuE2ELNS1_3repE0EEENS1_30default_config_static_selectorELNS0_4arch9wavefront6targetE1EEEvT1_,"axG",@progbits,_ZN7rocprim17ROCPRIM_400000_NS6detail17trampoline_kernelINS0_14default_configENS1_20scan_config_selectorIN3c108BFloat16EEEZZNS1_9scan_implILNS1_25lookback_scan_determinismE0ELb0ELb0ES3_PKS6_PS6_S6_ZZZN2at6native31launch_logcumsumexp_cuda_kernelERKNSD_10TensorBaseESH_lENKUlvE_clEvENKUlvE4_clEvEUlS6_S6_E_S6_EEDaPvRmT3_T4_T5_mT6_P12ihipStream_tbENKUlT_T0_E_clISt17integral_constantIbLb1EESX_IbLb0EEEEDaST_SU_EUlST_E_NS1_11comp_targetILNS1_3genE8ELNS1_11target_archE1030ELNS1_3gpuE2ELNS1_3repE0EEENS1_30default_config_static_selectorELNS0_4arch9wavefront6targetE1EEEvT1_,comdat
	.globl	_ZN7rocprim17ROCPRIM_400000_NS6detail17trampoline_kernelINS0_14default_configENS1_20scan_config_selectorIN3c108BFloat16EEEZZNS1_9scan_implILNS1_25lookback_scan_determinismE0ELb0ELb0ES3_PKS6_PS6_S6_ZZZN2at6native31launch_logcumsumexp_cuda_kernelERKNSD_10TensorBaseESH_lENKUlvE_clEvENKUlvE4_clEvEUlS6_S6_E_S6_EEDaPvRmT3_T4_T5_mT6_P12ihipStream_tbENKUlT_T0_E_clISt17integral_constantIbLb1EESX_IbLb0EEEEDaST_SU_EUlST_E_NS1_11comp_targetILNS1_3genE8ELNS1_11target_archE1030ELNS1_3gpuE2ELNS1_3repE0EEENS1_30default_config_static_selectorELNS0_4arch9wavefront6targetE1EEEvT1_ ; -- Begin function _ZN7rocprim17ROCPRIM_400000_NS6detail17trampoline_kernelINS0_14default_configENS1_20scan_config_selectorIN3c108BFloat16EEEZZNS1_9scan_implILNS1_25lookback_scan_determinismE0ELb0ELb0ES3_PKS6_PS6_S6_ZZZN2at6native31launch_logcumsumexp_cuda_kernelERKNSD_10TensorBaseESH_lENKUlvE_clEvENKUlvE4_clEvEUlS6_S6_E_S6_EEDaPvRmT3_T4_T5_mT6_P12ihipStream_tbENKUlT_T0_E_clISt17integral_constantIbLb1EESX_IbLb0EEEEDaST_SU_EUlST_E_NS1_11comp_targetILNS1_3genE8ELNS1_11target_archE1030ELNS1_3gpuE2ELNS1_3repE0EEENS1_30default_config_static_selectorELNS0_4arch9wavefront6targetE1EEEvT1_
	.p2align	8
	.type	_ZN7rocprim17ROCPRIM_400000_NS6detail17trampoline_kernelINS0_14default_configENS1_20scan_config_selectorIN3c108BFloat16EEEZZNS1_9scan_implILNS1_25lookback_scan_determinismE0ELb0ELb0ES3_PKS6_PS6_S6_ZZZN2at6native31launch_logcumsumexp_cuda_kernelERKNSD_10TensorBaseESH_lENKUlvE_clEvENKUlvE4_clEvEUlS6_S6_E_S6_EEDaPvRmT3_T4_T5_mT6_P12ihipStream_tbENKUlT_T0_E_clISt17integral_constantIbLb1EESX_IbLb0EEEEDaST_SU_EUlST_E_NS1_11comp_targetILNS1_3genE8ELNS1_11target_archE1030ELNS1_3gpuE2ELNS1_3repE0EEENS1_30default_config_static_selectorELNS0_4arch9wavefront6targetE1EEEvT1_,@function
_ZN7rocprim17ROCPRIM_400000_NS6detail17trampoline_kernelINS0_14default_configENS1_20scan_config_selectorIN3c108BFloat16EEEZZNS1_9scan_implILNS1_25lookback_scan_determinismE0ELb0ELb0ES3_PKS6_PS6_S6_ZZZN2at6native31launch_logcumsumexp_cuda_kernelERKNSD_10TensorBaseESH_lENKUlvE_clEvENKUlvE4_clEvEUlS6_S6_E_S6_EEDaPvRmT3_T4_T5_mT6_P12ihipStream_tbENKUlT_T0_E_clISt17integral_constantIbLb1EESX_IbLb0EEEEDaST_SU_EUlST_E_NS1_11comp_targetILNS1_3genE8ELNS1_11target_archE1030ELNS1_3gpuE2ELNS1_3repE0EEENS1_30default_config_static_selectorELNS0_4arch9wavefront6targetE1EEEvT1_: ; @_ZN7rocprim17ROCPRIM_400000_NS6detail17trampoline_kernelINS0_14default_configENS1_20scan_config_selectorIN3c108BFloat16EEEZZNS1_9scan_implILNS1_25lookback_scan_determinismE0ELb0ELb0ES3_PKS6_PS6_S6_ZZZN2at6native31launch_logcumsumexp_cuda_kernelERKNSD_10TensorBaseESH_lENKUlvE_clEvENKUlvE4_clEvEUlS6_S6_E_S6_EEDaPvRmT3_T4_T5_mT6_P12ihipStream_tbENKUlT_T0_E_clISt17integral_constantIbLb1EESX_IbLb0EEEEDaST_SU_EUlST_E_NS1_11comp_targetILNS1_3genE8ELNS1_11target_archE1030ELNS1_3gpuE2ELNS1_3repE0EEENS1_30default_config_static_selectorELNS0_4arch9wavefront6targetE1EEEvT1_
; %bb.0:
	.section	.rodata,"a",@progbits
	.p2align	6, 0x0
	.amdhsa_kernel _ZN7rocprim17ROCPRIM_400000_NS6detail17trampoline_kernelINS0_14default_configENS1_20scan_config_selectorIN3c108BFloat16EEEZZNS1_9scan_implILNS1_25lookback_scan_determinismE0ELb0ELb0ES3_PKS6_PS6_S6_ZZZN2at6native31launch_logcumsumexp_cuda_kernelERKNSD_10TensorBaseESH_lENKUlvE_clEvENKUlvE4_clEvEUlS6_S6_E_S6_EEDaPvRmT3_T4_T5_mT6_P12ihipStream_tbENKUlT_T0_E_clISt17integral_constantIbLb1EESX_IbLb0EEEEDaST_SU_EUlST_E_NS1_11comp_targetILNS1_3genE8ELNS1_11target_archE1030ELNS1_3gpuE2ELNS1_3repE0EEENS1_30default_config_static_selectorELNS0_4arch9wavefront6targetE1EEEvT1_
		.amdhsa_group_segment_fixed_size 0
		.amdhsa_private_segment_fixed_size 0
		.amdhsa_kernarg_size 96
		.amdhsa_user_sgpr_count 2
		.amdhsa_user_sgpr_dispatch_ptr 0
		.amdhsa_user_sgpr_queue_ptr 0
		.amdhsa_user_sgpr_kernarg_segment_ptr 1
		.amdhsa_user_sgpr_dispatch_id 0
		.amdhsa_user_sgpr_kernarg_preload_length 0
		.amdhsa_user_sgpr_kernarg_preload_offset 0
		.amdhsa_user_sgpr_private_segment_size 0
		.amdhsa_uses_dynamic_stack 0
		.amdhsa_enable_private_segment 0
		.amdhsa_system_sgpr_workgroup_id_x 1
		.amdhsa_system_sgpr_workgroup_id_y 0
		.amdhsa_system_sgpr_workgroup_id_z 0
		.amdhsa_system_sgpr_workgroup_info 0
		.amdhsa_system_vgpr_workitem_id 0
		.amdhsa_next_free_vgpr 1
		.amdhsa_next_free_sgpr 0
		.amdhsa_accum_offset 4
		.amdhsa_reserve_vcc 0
		.amdhsa_float_round_mode_32 0
		.amdhsa_float_round_mode_16_64 0
		.amdhsa_float_denorm_mode_32 3
		.amdhsa_float_denorm_mode_16_64 3
		.amdhsa_dx10_clamp 1
		.amdhsa_ieee_mode 1
		.amdhsa_fp16_overflow 0
		.amdhsa_tg_split 0
		.amdhsa_exception_fp_ieee_invalid_op 0
		.amdhsa_exception_fp_denorm_src 0
		.amdhsa_exception_fp_ieee_div_zero 0
		.amdhsa_exception_fp_ieee_overflow 0
		.amdhsa_exception_fp_ieee_underflow 0
		.amdhsa_exception_fp_ieee_inexact 0
		.amdhsa_exception_int_div_zero 0
	.end_amdhsa_kernel
	.section	.text._ZN7rocprim17ROCPRIM_400000_NS6detail17trampoline_kernelINS0_14default_configENS1_20scan_config_selectorIN3c108BFloat16EEEZZNS1_9scan_implILNS1_25lookback_scan_determinismE0ELb0ELb0ES3_PKS6_PS6_S6_ZZZN2at6native31launch_logcumsumexp_cuda_kernelERKNSD_10TensorBaseESH_lENKUlvE_clEvENKUlvE4_clEvEUlS6_S6_E_S6_EEDaPvRmT3_T4_T5_mT6_P12ihipStream_tbENKUlT_T0_E_clISt17integral_constantIbLb1EESX_IbLb0EEEEDaST_SU_EUlST_E_NS1_11comp_targetILNS1_3genE8ELNS1_11target_archE1030ELNS1_3gpuE2ELNS1_3repE0EEENS1_30default_config_static_selectorELNS0_4arch9wavefront6targetE1EEEvT1_,"axG",@progbits,_ZN7rocprim17ROCPRIM_400000_NS6detail17trampoline_kernelINS0_14default_configENS1_20scan_config_selectorIN3c108BFloat16EEEZZNS1_9scan_implILNS1_25lookback_scan_determinismE0ELb0ELb0ES3_PKS6_PS6_S6_ZZZN2at6native31launch_logcumsumexp_cuda_kernelERKNSD_10TensorBaseESH_lENKUlvE_clEvENKUlvE4_clEvEUlS6_S6_E_S6_EEDaPvRmT3_T4_T5_mT6_P12ihipStream_tbENKUlT_T0_E_clISt17integral_constantIbLb1EESX_IbLb0EEEEDaST_SU_EUlST_E_NS1_11comp_targetILNS1_3genE8ELNS1_11target_archE1030ELNS1_3gpuE2ELNS1_3repE0EEENS1_30default_config_static_selectorELNS0_4arch9wavefront6targetE1EEEvT1_,comdat
.Lfunc_end507:
	.size	_ZN7rocprim17ROCPRIM_400000_NS6detail17trampoline_kernelINS0_14default_configENS1_20scan_config_selectorIN3c108BFloat16EEEZZNS1_9scan_implILNS1_25lookback_scan_determinismE0ELb0ELb0ES3_PKS6_PS6_S6_ZZZN2at6native31launch_logcumsumexp_cuda_kernelERKNSD_10TensorBaseESH_lENKUlvE_clEvENKUlvE4_clEvEUlS6_S6_E_S6_EEDaPvRmT3_T4_T5_mT6_P12ihipStream_tbENKUlT_T0_E_clISt17integral_constantIbLb1EESX_IbLb0EEEEDaST_SU_EUlST_E_NS1_11comp_targetILNS1_3genE8ELNS1_11target_archE1030ELNS1_3gpuE2ELNS1_3repE0EEENS1_30default_config_static_selectorELNS0_4arch9wavefront6targetE1EEEvT1_, .Lfunc_end507-_ZN7rocprim17ROCPRIM_400000_NS6detail17trampoline_kernelINS0_14default_configENS1_20scan_config_selectorIN3c108BFloat16EEEZZNS1_9scan_implILNS1_25lookback_scan_determinismE0ELb0ELb0ES3_PKS6_PS6_S6_ZZZN2at6native31launch_logcumsumexp_cuda_kernelERKNSD_10TensorBaseESH_lENKUlvE_clEvENKUlvE4_clEvEUlS6_S6_E_S6_EEDaPvRmT3_T4_T5_mT6_P12ihipStream_tbENKUlT_T0_E_clISt17integral_constantIbLb1EESX_IbLb0EEEEDaST_SU_EUlST_E_NS1_11comp_targetILNS1_3genE8ELNS1_11target_archE1030ELNS1_3gpuE2ELNS1_3repE0EEENS1_30default_config_static_selectorELNS0_4arch9wavefront6targetE1EEEvT1_
                                        ; -- End function
	.section	.AMDGPU.csdata,"",@progbits
; Kernel info:
; codeLenInByte = 0
; NumSgprs: 6
; NumVgprs: 0
; NumAgprs: 0
; TotalNumVgprs: 0
; ScratchSize: 0
; MemoryBound: 0
; FloatMode: 240
; IeeeMode: 1
; LDSByteSize: 0 bytes/workgroup (compile time only)
; SGPRBlocks: 0
; VGPRBlocks: 0
; NumSGPRsForWavesPerEU: 6
; NumVGPRsForWavesPerEU: 1
; AccumOffset: 4
; Occupancy: 8
; WaveLimiterHint : 0
; COMPUTE_PGM_RSRC2:SCRATCH_EN: 0
; COMPUTE_PGM_RSRC2:USER_SGPR: 2
; COMPUTE_PGM_RSRC2:TRAP_HANDLER: 0
; COMPUTE_PGM_RSRC2:TGID_X_EN: 1
; COMPUTE_PGM_RSRC2:TGID_Y_EN: 0
; COMPUTE_PGM_RSRC2:TGID_Z_EN: 0
; COMPUTE_PGM_RSRC2:TIDIG_COMP_CNT: 0
; COMPUTE_PGM_RSRC3_GFX90A:ACCUM_OFFSET: 0
; COMPUTE_PGM_RSRC3_GFX90A:TG_SPLIT: 0
	.section	.text._ZN7rocprim17ROCPRIM_400000_NS6detail17trampoline_kernelINS0_14default_configENS1_20scan_config_selectorIN3c108BFloat16EEEZZNS1_9scan_implILNS1_25lookback_scan_determinismE0ELb0ELb0ES3_PKS6_PS6_S6_ZZZN2at6native31launch_logcumsumexp_cuda_kernelERKNSD_10TensorBaseESH_lENKUlvE_clEvENKUlvE4_clEvEUlS6_S6_E_S6_EEDaPvRmT3_T4_T5_mT6_P12ihipStream_tbENKUlT_T0_E_clISt17integral_constantIbLb1EESX_IbLb0EEEEDaST_SU_EUlST_E0_NS1_11comp_targetILNS1_3genE0ELNS1_11target_archE4294967295ELNS1_3gpuE0ELNS1_3repE0EEENS1_30default_config_static_selectorELNS0_4arch9wavefront6targetE1EEEvT1_,"axG",@progbits,_ZN7rocprim17ROCPRIM_400000_NS6detail17trampoline_kernelINS0_14default_configENS1_20scan_config_selectorIN3c108BFloat16EEEZZNS1_9scan_implILNS1_25lookback_scan_determinismE0ELb0ELb0ES3_PKS6_PS6_S6_ZZZN2at6native31launch_logcumsumexp_cuda_kernelERKNSD_10TensorBaseESH_lENKUlvE_clEvENKUlvE4_clEvEUlS6_S6_E_S6_EEDaPvRmT3_T4_T5_mT6_P12ihipStream_tbENKUlT_T0_E_clISt17integral_constantIbLb1EESX_IbLb0EEEEDaST_SU_EUlST_E0_NS1_11comp_targetILNS1_3genE0ELNS1_11target_archE4294967295ELNS1_3gpuE0ELNS1_3repE0EEENS1_30default_config_static_selectorELNS0_4arch9wavefront6targetE1EEEvT1_,comdat
	.globl	_ZN7rocprim17ROCPRIM_400000_NS6detail17trampoline_kernelINS0_14default_configENS1_20scan_config_selectorIN3c108BFloat16EEEZZNS1_9scan_implILNS1_25lookback_scan_determinismE0ELb0ELb0ES3_PKS6_PS6_S6_ZZZN2at6native31launch_logcumsumexp_cuda_kernelERKNSD_10TensorBaseESH_lENKUlvE_clEvENKUlvE4_clEvEUlS6_S6_E_S6_EEDaPvRmT3_T4_T5_mT6_P12ihipStream_tbENKUlT_T0_E_clISt17integral_constantIbLb1EESX_IbLb0EEEEDaST_SU_EUlST_E0_NS1_11comp_targetILNS1_3genE0ELNS1_11target_archE4294967295ELNS1_3gpuE0ELNS1_3repE0EEENS1_30default_config_static_selectorELNS0_4arch9wavefront6targetE1EEEvT1_ ; -- Begin function _ZN7rocprim17ROCPRIM_400000_NS6detail17trampoline_kernelINS0_14default_configENS1_20scan_config_selectorIN3c108BFloat16EEEZZNS1_9scan_implILNS1_25lookback_scan_determinismE0ELb0ELb0ES3_PKS6_PS6_S6_ZZZN2at6native31launch_logcumsumexp_cuda_kernelERKNSD_10TensorBaseESH_lENKUlvE_clEvENKUlvE4_clEvEUlS6_S6_E_S6_EEDaPvRmT3_T4_T5_mT6_P12ihipStream_tbENKUlT_T0_E_clISt17integral_constantIbLb1EESX_IbLb0EEEEDaST_SU_EUlST_E0_NS1_11comp_targetILNS1_3genE0ELNS1_11target_archE4294967295ELNS1_3gpuE0ELNS1_3repE0EEENS1_30default_config_static_selectorELNS0_4arch9wavefront6targetE1EEEvT1_
	.p2align	8
	.type	_ZN7rocprim17ROCPRIM_400000_NS6detail17trampoline_kernelINS0_14default_configENS1_20scan_config_selectorIN3c108BFloat16EEEZZNS1_9scan_implILNS1_25lookback_scan_determinismE0ELb0ELb0ES3_PKS6_PS6_S6_ZZZN2at6native31launch_logcumsumexp_cuda_kernelERKNSD_10TensorBaseESH_lENKUlvE_clEvENKUlvE4_clEvEUlS6_S6_E_S6_EEDaPvRmT3_T4_T5_mT6_P12ihipStream_tbENKUlT_T0_E_clISt17integral_constantIbLb1EESX_IbLb0EEEEDaST_SU_EUlST_E0_NS1_11comp_targetILNS1_3genE0ELNS1_11target_archE4294967295ELNS1_3gpuE0ELNS1_3repE0EEENS1_30default_config_static_selectorELNS0_4arch9wavefront6targetE1EEEvT1_,@function
_ZN7rocprim17ROCPRIM_400000_NS6detail17trampoline_kernelINS0_14default_configENS1_20scan_config_selectorIN3c108BFloat16EEEZZNS1_9scan_implILNS1_25lookback_scan_determinismE0ELb0ELb0ES3_PKS6_PS6_S6_ZZZN2at6native31launch_logcumsumexp_cuda_kernelERKNSD_10TensorBaseESH_lENKUlvE_clEvENKUlvE4_clEvEUlS6_S6_E_S6_EEDaPvRmT3_T4_T5_mT6_P12ihipStream_tbENKUlT_T0_E_clISt17integral_constantIbLb1EESX_IbLb0EEEEDaST_SU_EUlST_E0_NS1_11comp_targetILNS1_3genE0ELNS1_11target_archE4294967295ELNS1_3gpuE0ELNS1_3repE0EEENS1_30default_config_static_selectorELNS0_4arch9wavefront6targetE1EEEvT1_: ; @_ZN7rocprim17ROCPRIM_400000_NS6detail17trampoline_kernelINS0_14default_configENS1_20scan_config_selectorIN3c108BFloat16EEEZZNS1_9scan_implILNS1_25lookback_scan_determinismE0ELb0ELb0ES3_PKS6_PS6_S6_ZZZN2at6native31launch_logcumsumexp_cuda_kernelERKNSD_10TensorBaseESH_lENKUlvE_clEvENKUlvE4_clEvEUlS6_S6_E_S6_EEDaPvRmT3_T4_T5_mT6_P12ihipStream_tbENKUlT_T0_E_clISt17integral_constantIbLb1EESX_IbLb0EEEEDaST_SU_EUlST_E0_NS1_11comp_targetILNS1_3genE0ELNS1_11target_archE4294967295ELNS1_3gpuE0ELNS1_3repE0EEENS1_30default_config_static_selectorELNS0_4arch9wavefront6targetE1EEEvT1_
; %bb.0:
	.section	.rodata,"a",@progbits
	.p2align	6, 0x0
	.amdhsa_kernel _ZN7rocprim17ROCPRIM_400000_NS6detail17trampoline_kernelINS0_14default_configENS1_20scan_config_selectorIN3c108BFloat16EEEZZNS1_9scan_implILNS1_25lookback_scan_determinismE0ELb0ELb0ES3_PKS6_PS6_S6_ZZZN2at6native31launch_logcumsumexp_cuda_kernelERKNSD_10TensorBaseESH_lENKUlvE_clEvENKUlvE4_clEvEUlS6_S6_E_S6_EEDaPvRmT3_T4_T5_mT6_P12ihipStream_tbENKUlT_T0_E_clISt17integral_constantIbLb1EESX_IbLb0EEEEDaST_SU_EUlST_E0_NS1_11comp_targetILNS1_3genE0ELNS1_11target_archE4294967295ELNS1_3gpuE0ELNS1_3repE0EEENS1_30default_config_static_selectorELNS0_4arch9wavefront6targetE1EEEvT1_
		.amdhsa_group_segment_fixed_size 0
		.amdhsa_private_segment_fixed_size 0
		.amdhsa_kernarg_size 32
		.amdhsa_user_sgpr_count 2
		.amdhsa_user_sgpr_dispatch_ptr 0
		.amdhsa_user_sgpr_queue_ptr 0
		.amdhsa_user_sgpr_kernarg_segment_ptr 1
		.amdhsa_user_sgpr_dispatch_id 0
		.amdhsa_user_sgpr_kernarg_preload_length 0
		.amdhsa_user_sgpr_kernarg_preload_offset 0
		.amdhsa_user_sgpr_private_segment_size 0
		.amdhsa_uses_dynamic_stack 0
		.amdhsa_enable_private_segment 0
		.amdhsa_system_sgpr_workgroup_id_x 1
		.amdhsa_system_sgpr_workgroup_id_y 0
		.amdhsa_system_sgpr_workgroup_id_z 0
		.amdhsa_system_sgpr_workgroup_info 0
		.amdhsa_system_vgpr_workitem_id 0
		.amdhsa_next_free_vgpr 1
		.amdhsa_next_free_sgpr 0
		.amdhsa_accum_offset 4
		.amdhsa_reserve_vcc 0
		.amdhsa_float_round_mode_32 0
		.amdhsa_float_round_mode_16_64 0
		.amdhsa_float_denorm_mode_32 3
		.amdhsa_float_denorm_mode_16_64 3
		.amdhsa_dx10_clamp 1
		.amdhsa_ieee_mode 1
		.amdhsa_fp16_overflow 0
		.amdhsa_tg_split 0
		.amdhsa_exception_fp_ieee_invalid_op 0
		.amdhsa_exception_fp_denorm_src 0
		.amdhsa_exception_fp_ieee_div_zero 0
		.amdhsa_exception_fp_ieee_overflow 0
		.amdhsa_exception_fp_ieee_underflow 0
		.amdhsa_exception_fp_ieee_inexact 0
		.amdhsa_exception_int_div_zero 0
	.end_amdhsa_kernel
	.section	.text._ZN7rocprim17ROCPRIM_400000_NS6detail17trampoline_kernelINS0_14default_configENS1_20scan_config_selectorIN3c108BFloat16EEEZZNS1_9scan_implILNS1_25lookback_scan_determinismE0ELb0ELb0ES3_PKS6_PS6_S6_ZZZN2at6native31launch_logcumsumexp_cuda_kernelERKNSD_10TensorBaseESH_lENKUlvE_clEvENKUlvE4_clEvEUlS6_S6_E_S6_EEDaPvRmT3_T4_T5_mT6_P12ihipStream_tbENKUlT_T0_E_clISt17integral_constantIbLb1EESX_IbLb0EEEEDaST_SU_EUlST_E0_NS1_11comp_targetILNS1_3genE0ELNS1_11target_archE4294967295ELNS1_3gpuE0ELNS1_3repE0EEENS1_30default_config_static_selectorELNS0_4arch9wavefront6targetE1EEEvT1_,"axG",@progbits,_ZN7rocprim17ROCPRIM_400000_NS6detail17trampoline_kernelINS0_14default_configENS1_20scan_config_selectorIN3c108BFloat16EEEZZNS1_9scan_implILNS1_25lookback_scan_determinismE0ELb0ELb0ES3_PKS6_PS6_S6_ZZZN2at6native31launch_logcumsumexp_cuda_kernelERKNSD_10TensorBaseESH_lENKUlvE_clEvENKUlvE4_clEvEUlS6_S6_E_S6_EEDaPvRmT3_T4_T5_mT6_P12ihipStream_tbENKUlT_T0_E_clISt17integral_constantIbLb1EESX_IbLb0EEEEDaST_SU_EUlST_E0_NS1_11comp_targetILNS1_3genE0ELNS1_11target_archE4294967295ELNS1_3gpuE0ELNS1_3repE0EEENS1_30default_config_static_selectorELNS0_4arch9wavefront6targetE1EEEvT1_,comdat
.Lfunc_end508:
	.size	_ZN7rocprim17ROCPRIM_400000_NS6detail17trampoline_kernelINS0_14default_configENS1_20scan_config_selectorIN3c108BFloat16EEEZZNS1_9scan_implILNS1_25lookback_scan_determinismE0ELb0ELb0ES3_PKS6_PS6_S6_ZZZN2at6native31launch_logcumsumexp_cuda_kernelERKNSD_10TensorBaseESH_lENKUlvE_clEvENKUlvE4_clEvEUlS6_S6_E_S6_EEDaPvRmT3_T4_T5_mT6_P12ihipStream_tbENKUlT_T0_E_clISt17integral_constantIbLb1EESX_IbLb0EEEEDaST_SU_EUlST_E0_NS1_11comp_targetILNS1_3genE0ELNS1_11target_archE4294967295ELNS1_3gpuE0ELNS1_3repE0EEENS1_30default_config_static_selectorELNS0_4arch9wavefront6targetE1EEEvT1_, .Lfunc_end508-_ZN7rocprim17ROCPRIM_400000_NS6detail17trampoline_kernelINS0_14default_configENS1_20scan_config_selectorIN3c108BFloat16EEEZZNS1_9scan_implILNS1_25lookback_scan_determinismE0ELb0ELb0ES3_PKS6_PS6_S6_ZZZN2at6native31launch_logcumsumexp_cuda_kernelERKNSD_10TensorBaseESH_lENKUlvE_clEvENKUlvE4_clEvEUlS6_S6_E_S6_EEDaPvRmT3_T4_T5_mT6_P12ihipStream_tbENKUlT_T0_E_clISt17integral_constantIbLb1EESX_IbLb0EEEEDaST_SU_EUlST_E0_NS1_11comp_targetILNS1_3genE0ELNS1_11target_archE4294967295ELNS1_3gpuE0ELNS1_3repE0EEENS1_30default_config_static_selectorELNS0_4arch9wavefront6targetE1EEEvT1_
                                        ; -- End function
	.section	.AMDGPU.csdata,"",@progbits
; Kernel info:
; codeLenInByte = 0
; NumSgprs: 6
; NumVgprs: 0
; NumAgprs: 0
; TotalNumVgprs: 0
; ScratchSize: 0
; MemoryBound: 0
; FloatMode: 240
; IeeeMode: 1
; LDSByteSize: 0 bytes/workgroup (compile time only)
; SGPRBlocks: 0
; VGPRBlocks: 0
; NumSGPRsForWavesPerEU: 6
; NumVGPRsForWavesPerEU: 1
; AccumOffset: 4
; Occupancy: 8
; WaveLimiterHint : 0
; COMPUTE_PGM_RSRC2:SCRATCH_EN: 0
; COMPUTE_PGM_RSRC2:USER_SGPR: 2
; COMPUTE_PGM_RSRC2:TRAP_HANDLER: 0
; COMPUTE_PGM_RSRC2:TGID_X_EN: 1
; COMPUTE_PGM_RSRC2:TGID_Y_EN: 0
; COMPUTE_PGM_RSRC2:TGID_Z_EN: 0
; COMPUTE_PGM_RSRC2:TIDIG_COMP_CNT: 0
; COMPUTE_PGM_RSRC3_GFX90A:ACCUM_OFFSET: 0
; COMPUTE_PGM_RSRC3_GFX90A:TG_SPLIT: 0
	.section	.text._ZN7rocprim17ROCPRIM_400000_NS6detail17trampoline_kernelINS0_14default_configENS1_20scan_config_selectorIN3c108BFloat16EEEZZNS1_9scan_implILNS1_25lookback_scan_determinismE0ELb0ELb0ES3_PKS6_PS6_S6_ZZZN2at6native31launch_logcumsumexp_cuda_kernelERKNSD_10TensorBaseESH_lENKUlvE_clEvENKUlvE4_clEvEUlS6_S6_E_S6_EEDaPvRmT3_T4_T5_mT6_P12ihipStream_tbENKUlT_T0_E_clISt17integral_constantIbLb1EESX_IbLb0EEEEDaST_SU_EUlST_E0_NS1_11comp_targetILNS1_3genE5ELNS1_11target_archE942ELNS1_3gpuE9ELNS1_3repE0EEENS1_30default_config_static_selectorELNS0_4arch9wavefront6targetE1EEEvT1_,"axG",@progbits,_ZN7rocprim17ROCPRIM_400000_NS6detail17trampoline_kernelINS0_14default_configENS1_20scan_config_selectorIN3c108BFloat16EEEZZNS1_9scan_implILNS1_25lookback_scan_determinismE0ELb0ELb0ES3_PKS6_PS6_S6_ZZZN2at6native31launch_logcumsumexp_cuda_kernelERKNSD_10TensorBaseESH_lENKUlvE_clEvENKUlvE4_clEvEUlS6_S6_E_S6_EEDaPvRmT3_T4_T5_mT6_P12ihipStream_tbENKUlT_T0_E_clISt17integral_constantIbLb1EESX_IbLb0EEEEDaST_SU_EUlST_E0_NS1_11comp_targetILNS1_3genE5ELNS1_11target_archE942ELNS1_3gpuE9ELNS1_3repE0EEENS1_30default_config_static_selectorELNS0_4arch9wavefront6targetE1EEEvT1_,comdat
	.globl	_ZN7rocprim17ROCPRIM_400000_NS6detail17trampoline_kernelINS0_14default_configENS1_20scan_config_selectorIN3c108BFloat16EEEZZNS1_9scan_implILNS1_25lookback_scan_determinismE0ELb0ELb0ES3_PKS6_PS6_S6_ZZZN2at6native31launch_logcumsumexp_cuda_kernelERKNSD_10TensorBaseESH_lENKUlvE_clEvENKUlvE4_clEvEUlS6_S6_E_S6_EEDaPvRmT3_T4_T5_mT6_P12ihipStream_tbENKUlT_T0_E_clISt17integral_constantIbLb1EESX_IbLb0EEEEDaST_SU_EUlST_E0_NS1_11comp_targetILNS1_3genE5ELNS1_11target_archE942ELNS1_3gpuE9ELNS1_3repE0EEENS1_30default_config_static_selectorELNS0_4arch9wavefront6targetE1EEEvT1_ ; -- Begin function _ZN7rocprim17ROCPRIM_400000_NS6detail17trampoline_kernelINS0_14default_configENS1_20scan_config_selectorIN3c108BFloat16EEEZZNS1_9scan_implILNS1_25lookback_scan_determinismE0ELb0ELb0ES3_PKS6_PS6_S6_ZZZN2at6native31launch_logcumsumexp_cuda_kernelERKNSD_10TensorBaseESH_lENKUlvE_clEvENKUlvE4_clEvEUlS6_S6_E_S6_EEDaPvRmT3_T4_T5_mT6_P12ihipStream_tbENKUlT_T0_E_clISt17integral_constantIbLb1EESX_IbLb0EEEEDaST_SU_EUlST_E0_NS1_11comp_targetILNS1_3genE5ELNS1_11target_archE942ELNS1_3gpuE9ELNS1_3repE0EEENS1_30default_config_static_selectorELNS0_4arch9wavefront6targetE1EEEvT1_
	.p2align	8
	.type	_ZN7rocprim17ROCPRIM_400000_NS6detail17trampoline_kernelINS0_14default_configENS1_20scan_config_selectorIN3c108BFloat16EEEZZNS1_9scan_implILNS1_25lookback_scan_determinismE0ELb0ELb0ES3_PKS6_PS6_S6_ZZZN2at6native31launch_logcumsumexp_cuda_kernelERKNSD_10TensorBaseESH_lENKUlvE_clEvENKUlvE4_clEvEUlS6_S6_E_S6_EEDaPvRmT3_T4_T5_mT6_P12ihipStream_tbENKUlT_T0_E_clISt17integral_constantIbLb1EESX_IbLb0EEEEDaST_SU_EUlST_E0_NS1_11comp_targetILNS1_3genE5ELNS1_11target_archE942ELNS1_3gpuE9ELNS1_3repE0EEENS1_30default_config_static_selectorELNS0_4arch9wavefront6targetE1EEEvT1_,@function
_ZN7rocprim17ROCPRIM_400000_NS6detail17trampoline_kernelINS0_14default_configENS1_20scan_config_selectorIN3c108BFloat16EEEZZNS1_9scan_implILNS1_25lookback_scan_determinismE0ELb0ELb0ES3_PKS6_PS6_S6_ZZZN2at6native31launch_logcumsumexp_cuda_kernelERKNSD_10TensorBaseESH_lENKUlvE_clEvENKUlvE4_clEvEUlS6_S6_E_S6_EEDaPvRmT3_T4_T5_mT6_P12ihipStream_tbENKUlT_T0_E_clISt17integral_constantIbLb1EESX_IbLb0EEEEDaST_SU_EUlST_E0_NS1_11comp_targetILNS1_3genE5ELNS1_11target_archE942ELNS1_3gpuE9ELNS1_3repE0EEENS1_30default_config_static_selectorELNS0_4arch9wavefront6targetE1EEEvT1_: ; @_ZN7rocprim17ROCPRIM_400000_NS6detail17trampoline_kernelINS0_14default_configENS1_20scan_config_selectorIN3c108BFloat16EEEZZNS1_9scan_implILNS1_25lookback_scan_determinismE0ELb0ELb0ES3_PKS6_PS6_S6_ZZZN2at6native31launch_logcumsumexp_cuda_kernelERKNSD_10TensorBaseESH_lENKUlvE_clEvENKUlvE4_clEvEUlS6_S6_E_S6_EEDaPvRmT3_T4_T5_mT6_P12ihipStream_tbENKUlT_T0_E_clISt17integral_constantIbLb1EESX_IbLb0EEEEDaST_SU_EUlST_E0_NS1_11comp_targetILNS1_3genE5ELNS1_11target_archE942ELNS1_3gpuE9ELNS1_3repE0EEENS1_30default_config_static_selectorELNS0_4arch9wavefront6targetE1EEEvT1_
; %bb.0:
	s_load_dwordx4 s[48:51], s[0:1], 0x0
	v_mov_b32_e32 v1, 0
	v_lshlrev_b32_e32 v14, 1, v0
	s_waitcnt lgkmcnt(0)
	global_load_ushort v1, v1, s[48:49]
	v_cmp_gt_u32_e64 s[4:5], s50, v0
	s_waitcnt vmcnt(0)
	v_mov_b32_e32 v2, v1
	s_mov_b64 s[2:3], exec
                                        ; implicit-def: $vgpr77 : SGPR spill to VGPR lane
	v_writelane_b32 v77, s4, 0
	s_nop 1
	v_writelane_b32 v77, s5, 1
	s_and_b64 s[4:5], s[2:3], s[4:5]
	s_mov_b64 exec, s[4:5]
	s_cbranch_execz .LBB509_2
; %bb.1:
	global_load_ushort v2, v14, s[48:49]
.LBB509_2:
	s_or_b64 exec, exec, s[2:3]
	v_or_b32_e32 v3, 0x100, v0
	v_cmp_gt_u32_e64 s[4:5], s50, v3
	v_mov_b32_e32 v3, v1
	s_mov_b64 s[2:3], exec
	v_writelane_b32 v77, s4, 2
	s_nop 1
	v_writelane_b32 v77, s5, 3
	s_and_b64 s[4:5], s[2:3], s[4:5]
	s_mov_b64 exec, s[4:5]
	s_cbranch_execz .LBB509_4
; %bb.3:
	global_load_ushort v3, v14, s[48:49] offset:512
.LBB509_4:
	s_or_b64 exec, exec, s[2:3]
	v_or_b32_e32 v4, 0x200, v0
	v_cmp_gt_u32_e64 s[2:3], s50, v4
	v_mov_b32_e32 v4, v1
	s_nop 0
	v_writelane_b32 v77, s2, 4
	s_nop 1
	v_writelane_b32 v77, s3, 5
	s_and_saveexec_b64 s[4:5], s[2:3]
	s_cbranch_execz .LBB509_6
; %bb.5:
	global_load_ushort v4, v14, s[48:49] offset:1024
.LBB509_6:
	s_or_b64 exec, exec, s[4:5]
	v_or_b32_e32 v5, 0x300, v0
	v_cmp_gt_u32_e64 s[4:5], s50, v5
	v_mov_b32_e32 v5, v1
	s_and_saveexec_b64 s[6:7], s[4:5]
	s_cbranch_execz .LBB509_8
; %bb.7:
	global_load_ushort v5, v14, s[48:49] offset:1536
.LBB509_8:
	s_or_b64 exec, exec, s[6:7]
	v_or_b32_e32 v6, 0x400, v0
	v_cmp_gt_u32_e64 s[6:7], s50, v6
	v_mov_b32_e32 v6, v1
	;; [unrolled: 9-line block ×6, first 2 shown]
	s_and_saveexec_b64 s[16:17], s[14:15]
	s_cbranch_execz .LBB509_18
; %bb.17:
	v_lshlrev_b32_e32 v10, 1, v11
	global_load_ushort v10, v10, s[48:49]
.LBB509_18:
	s_or_b64 exec, exec, s[16:17]
	v_or_b32_e32 v12, 0x900, v0
	v_cmp_gt_u32_e64 s[16:17], s50, v12
	v_mov_b32_e32 v11, v1
	s_and_saveexec_b64 s[18:19], s[16:17]
	s_cbranch_execz .LBB509_20
; %bb.19:
	v_lshlrev_b32_e32 v11, 1, v12
	global_load_ushort v11, v11, s[48:49]
.LBB509_20:
	s_or_b64 exec, exec, s[18:19]
	v_or_b32_e32 v13, 0xa00, v0
	v_cmp_gt_u32_e64 s[18:19], s50, v13
	v_mov_b32_e32 v12, v1
	;; [unrolled: 10-line block ×14, first 2 shown]
	s_and_saveexec_b64 s[46:47], s[44:45]
	s_cbranch_execz .LBB509_46
; %bb.45:
	v_lshlrev_b32_e32 v25, 1, v26
	global_load_ushort v25, v25, s[48:49]
.LBB509_46:
	s_or_b64 exec, exec, s[46:47]
	v_or_b32_e32 v26, 0x1700, v0
	v_cmp_gt_u32_e64 s[46:47], s50, v26
	s_and_saveexec_b64 s[50:51], s[46:47]
	s_cbranch_execz .LBB509_48
; %bb.47:
	v_lshlrev_b32_e32 v1, 1, v26
	global_load_ushort v1, v1, s[48:49]
.LBB509_48:
	s_or_b64 exec, exec, s[50:51]
	s_waitcnt vmcnt(0)
	ds_write_b16 v14, v2
	ds_write_b16 v14, v3 offset:512
	ds_write_b16 v14, v4 offset:1024
	;; [unrolled: 1-line block ×23, first 2 shown]
	v_mad_u32_u24 v1, v0, 46, v14
	s_waitcnt lgkmcnt(0)
	s_barrier
	ds_read_b128 v[2:5], v1
	ds_read_b128 v[10:13], v1 offset:16
	ds_read_b128 v[6:9], v1 offset:32
	s_movk_i32 s33, 0x1f8
	s_waitcnt lgkmcnt(0)
	v_lshlrev_b32_e32 v49, 16, v2
	v_and_b32_e32 v1, 0xffff0000, v2
	v_max_f32_e32 v24, v1, v1
	v_max_f32_e32 v51, v49, v49
	v_min_f32_e32 v50, v51, v24
	v_cmp_u_f32_e64 s[94:95], v49, v49
	v_cmp_u_f32_e64 s[48:49], v1, v1
	v_max_f32_e32 v52, v51, v24
	v_cndmask_b32_e64 v15, v50, v49, s[94:95]
	v_cndmask_b32_e64 v16, v15, v1, s[48:49]
	;; [unrolled: 1-line block ×4, first 2 shown]
	v_cmp_neq_f32_e64 s[50:51], v16, v15
	v_cmp_class_f32_e64 s[52:53], v16, s33
	s_or_b64 s[50:51], s[50:51], s[52:53]
	v_mov_b32_e32 v17, v49
	s_barrier
	s_and_saveexec_b64 s[52:53], s[50:51]
	s_cbranch_execz .LBB509_50
; %bb.49:
	v_sub_f32_e32 v16, v16, v15
	s_mov_b32 s2, 0x3fb8aa3b
	v_mul_f32_e32 v17, 0x3fb8aa3b, v16
	v_fma_f32 v18, v16, s2, -v17
	v_rndne_f32_e32 v19, v17
	v_fmamk_f32 v18, v16, 0x32a5705f, v18
	v_sub_f32_e32 v17, v17, v19
	v_add_f32_e32 v17, v17, v18
	v_exp_f32_e32 v17, v17
	v_cvt_i32_f32_e32 v18, v19
	s_mov_b32 s2, 0xc2ce8ed0
	v_cmp_ngt_f32_e64 s[50:51], s2, v16
	s_mov_b32 s2, 0x42b17218
	v_ldexp_f32 v17, v17, v18
	v_cndmask_b32_e64 v17, 0, v17, s[50:51]
	v_mov_b32_e32 v18, 0x7f800000
	v_cmp_nlt_f32_e64 s[50:51], s2, v16
	s_mov_b32 s2, 0x3f2aaaab
	s_mov_b32 s3, 0x7f800000
	v_cndmask_b32_e64 v25, v18, v17, s[50:51]
	v_add_f32_e32 v18, 1.0, v25
	v_add_f32_e32 v16, -1.0, v18
	v_sub_f32_e32 v17, v16, v18
	v_add_f32_e32 v17, 1.0, v17
	v_sub_f32_e32 v16, v25, v16
	v_add_f32_e32 v19, v16, v17
	v_frexp_mant_f32_e32 v20, v18
	v_cvt_f64_f32_e32 v[16:17], v18
	v_frexp_exp_i32_f64_e32 v16, v[16:17]
	v_cmp_gt_f32_e64 s[50:51], s2, v20
	s_mov_b32 s2, 0x3f317218
	s_nop 0
	v_subbrev_co_u32_e64 v26, s[50:51], 0, v16, s[50:51]
	v_sub_u32_e32 v16, 0, v26
	v_ldexp_f32 v17, v18, v16
	v_add_f32_e32 v18, -1.0, v17
	v_add_f32_e32 v20, 1.0, v17
	v_ldexp_f32 v16, v19, v16
	v_add_f32_e32 v19, 1.0, v18
	v_add_f32_e32 v21, -1.0, v20
	v_sub_f32_e32 v19, v17, v19
	v_sub_f32_e32 v17, v17, v21
	v_add_f32_e32 v19, v16, v19
	v_add_f32_e32 v16, v16, v17
	;; [unrolled: 1-line block ×3, first 2 shown]
	v_rcp_f32_e32 v29, v27
	v_sub_f32_e32 v17, v20, v27
	v_add_f32_e32 v28, v16, v17
	v_add_f32_e32 v17, v18, v19
	v_mul_f32_e32 v31, v17, v29
	v_sub_f32_e32 v16, v18, v17
	v_mul_f32_e32 v18, v27, v31
	v_fma_f32 v20, v31, v27, -v18
	v_fmac_f32_e32 v20, v31, v28
	v_add_f32_e32 v30, v19, v16
	v_add_f32_e32 v16, v18, v20
	v_sub_f32_e32 v19, v17, v16
	v_pk_add_f32 v[22:23], v[16:17], v[18:19] neg_lo:[0,1] neg_hi:[0,1]
	v_mov_b32_e32 v21, v16
	v_pk_add_f32 v[16:17], v[22:23], v[20:21] neg_lo:[0,1] neg_hi:[0,1]
	v_cmp_eq_f32_e64 s[50:51], s3, v25
	v_add_f32_e32 v17, v30, v17
	v_add_f32_e32 v16, v16, v17
	;; [unrolled: 1-line block ×3, first 2 shown]
	v_mul_f32_e32 v30, v29, v17
	v_mul_f32_e32 v18, v27, v30
	v_fma_f32 v20, v30, v27, -v18
	v_fmac_f32_e32 v20, v30, v28
	v_sub_f32_e32 v19, v19, v17
	v_add_f32_e32 v27, v16, v19
	v_add_f32_e32 v16, v18, v20
	v_sub_f32_e32 v19, v17, v16
	v_pk_add_f32 v[22:23], v[16:17], v[18:19] neg_lo:[0,1] neg_hi:[0,1]
	v_mov_b32_e32 v21, v16
	v_pk_add_f32 v[16:17], v[22:23], v[20:21] neg_lo:[0,1] neg_hi:[0,1]
	v_cvt_f32_i32_e32 v18, v26
	v_add_f32_e32 v17, v27, v17
	v_add_f32_e32 v16, v16, v17
	;; [unrolled: 1-line block ×4, first 2 shown]
	v_sub_f32_e32 v17, v19, v31
	v_mul_f32_e32 v16, v29, v16
	v_sub_f32_e32 v17, v30, v17
	v_add_f32_e32 v16, v17, v16
	v_add_f32_e32 v20, v19, v16
	v_mul_f32_e32 v22, v20, v20
	v_mov_b32_e32 v17, 0x3ecc95a3
	v_sub_f32_e32 v19, v20, v19
	v_fmac_f32_e32 v17, 0x3e9b6dac, v22
	v_sub_f32_e32 v16, v16, v19
	v_fmaak_f32 v17, v22, v17, 0x3f2aaada
	v_ldexp_f32 v23, v16, 1
	v_mul_f32_e32 v19, v20, v22
	v_mov_b32_e32 v16, 0x3f317218
	v_pk_mul_f32 v[16:17], v[18:19], v[16:17]
	v_ldexp_f32 v21, v20, 1
	v_fma_f32 v19, v18, s2, -v16
	v_fmamk_f32 v20, v18, 0xb102e308, v19
	v_pk_add_f32 v[18:19], v[16:17], v[20:21]
	v_mov_b32_e32 v22, v16
	v_sub_f32_e32 v21, v19, v21
	v_sub_f32_e32 v21, v17, v21
	v_add_f32_e32 v23, v23, v21
	v_pk_add_f32 v[16:17], v[18:19], v[16:17] neg_lo:[0,1] neg_hi:[0,1]
	v_pk_add_f32 v[26:27], v[18:19], v[22:23]
	v_mov_b32_e32 v21, v18
	v_mov_b32_e32 v17, v27
	v_pk_add_f32 v[28:29], v[20:21], v[16:17] neg_lo:[0,1] neg_hi:[0,1]
	v_pk_add_f32 v[16:17], v[20:21], v[16:17]
	v_mov_b32_e32 v22, v23
	v_mov_b32_e32 v20, v17
	v_pk_add_f32 v[30:31], v[20:21], v[18:19] neg_lo:[0,1] neg_hi:[0,1]
	v_mov_b32_e32 v16, v27
	v_mov_b32_e32 v21, v30
	v_pk_add_f32 v[32:33], v[26:27], v[20:21] neg_lo:[0,1] neg_hi:[0,1]
	v_mov_b32_e32 v26, v19
	v_mov_b32_e32 v27, v30
	;; [unrolled: 1-line block ×3, first 2 shown]
	v_pk_add_f32 v[16:17], v[16:17], v[26:27] neg_lo:[0,1] neg_hi:[0,1]
	v_mov_b32_e32 v23, v18
	v_pk_add_f32 v[16:17], v[22:23], v[16:17] neg_lo:[0,1] neg_hi:[0,1]
	v_mov_b32_e32 v32, v28
	v_pk_add_f32 v[18:19], v[32:33], v[16:17]
	s_mov_b32 s2, 0x33800000
	v_mov_b32_e32 v22, v19
	v_pk_add_f32 v[22:23], v[18:19], v[22:23]
	v_cmp_lt_f32_e64 s[54:55], |v25|, s2
	v_pk_add_f32 v[20:21], v[20:21], v[22:23]
	v_mov_b32_e32 v17, v22
	v_mov_b32_e32 v19, v20
	v_pk_add_f32 v[26:27], v[18:19], v[28:29] neg_lo:[0,1] neg_hi:[0,1]
	s_or_b64 s[50:51], s[50:51], s[54:55]
	v_sub_f32_e32 v18, v18, v26
	v_pk_add_f32 v[16:17], v[16:17], v[26:27] neg_lo:[0,1] neg_hi:[0,1]
	v_sub_f32_e32 v18, v28, v18
	v_add_f32_e32 v16, v16, v18
	v_add_f32_e32 v16, v16, v17
	;; [unrolled: 1-line block ×3, first 2 shown]
	v_cndmask_b32_e64 v16, v16, v25, s[50:51]
	v_add_f32_e32 v17, v15, v16
.LBB509_50:
	s_or_b64 exec, exec, s[52:53]
	v_bfe_u32 v15, v17, 16, 1
	s_movk_i32 s56, 0x7fff
	v_add3_u32 v15, v17, v15, s56
	v_and_b32_e32 v15, 0xffff0000, v15
	v_mov_b32_e32 v16, 0x7fc00000
	v_cmp_o_f32_e64 s[50:51], v17, v17
	s_nop 1
	v_cndmask_b32_e64 v19, v16, v15, s[50:51]
	v_lshlrev_b32_e32 v15, 16, v3
	v_max_f32_e32 v18, v19, v19
	v_max_f32_e32 v17, v15, v15
	v_min_f32_e32 v20, v18, v17
	v_cmp_u_f32_e64 s[52:53], v19, v19
	v_max_f32_e32 v18, v18, v17
	v_cmp_u_f32_e64 s[50:51], v15, v15
	v_cndmask_b32_e64 v20, v20, v19, s[52:53]
	v_cndmask_b32_e64 v18, v18, v19, s[52:53]
	;; [unrolled: 1-line block ×4, first 2 shown]
	v_cmp_neq_f32_e64 s[52:53], v20, v18
	v_cmp_class_f32_e64 s[54:55], v20, s33
	s_or_b64 s[52:53], s[52:53], s[54:55]
	s_and_saveexec_b64 s[54:55], s[52:53]
	s_cbranch_execz .LBB509_52
; %bb.51:
	v_sub_f32_e32 v19, v20, v18
	s_mov_b32 s2, 0x3fb8aa3b
	v_mul_f32_e32 v20, 0x3fb8aa3b, v19
	v_fma_f32 v21, v19, s2, -v20
	v_rndne_f32_e32 v22, v20
	v_fmamk_f32 v21, v19, 0x32a5705f, v21
	v_sub_f32_e32 v20, v20, v22
	v_add_f32_e32 v20, v20, v21
	v_exp_f32_e32 v20, v20
	v_cvt_i32_f32_e32 v21, v22
	s_mov_b32 s2, 0xc2ce8ed0
	v_cmp_ngt_f32_e64 s[52:53], s2, v19
	s_mov_b32 s2, 0x42b17218
	v_ldexp_f32 v20, v20, v21
	v_cndmask_b32_e64 v20, 0, v20, s[52:53]
	v_mov_b32_e32 v21, 0x7f800000
	v_cmp_nlt_f32_e64 s[52:53], s2, v19
	s_mov_b32 s2, 0x3f2aaaab
	s_mov_b32 s3, 0x7f800000
	v_cndmask_b32_e64 v25, v21, v20, s[52:53]
	v_add_f32_e32 v19, 1.0, v25
	v_add_f32_e32 v20, -1.0, v19
	v_sub_f32_e32 v21, v20, v19
	v_add_f32_e32 v21, 1.0, v21
	v_sub_f32_e32 v20, v25, v20
	v_add_f32_e32 v22, v20, v21
	v_frexp_mant_f32_e32 v23, v19
	v_cvt_f64_f32_e32 v[20:21], v19
	v_frexp_exp_i32_f64_e32 v20, v[20:21]
	v_cmp_gt_f32_e64 s[52:53], s2, v23
	s_mov_b32 s2, 0x3f317218
	s_nop 0
	v_subbrev_co_u32_e64 v30, s[52:53], 0, v20, s[52:53]
	v_sub_u32_e32 v20, 0, v30
	v_ldexp_f32 v19, v19, v20
	v_ldexp_f32 v20, v22, v20
	v_add_f32_e32 v22, -1.0, v19
	v_add_f32_e32 v21, 1.0, v22
	v_sub_f32_e32 v21, v19, v21
	v_add_f32_e32 v23, v20, v21
	v_add_f32_e32 v21, 1.0, v19
	v_add_f32_e32 v26, -1.0, v21
	v_sub_f32_e32 v19, v19, v26
	v_add_f32_e32 v19, v20, v19
	v_add_f32_e32 v31, v21, v19
	v_rcp_f32_e32 v32, v31
	v_sub_f32_e32 v20, v21, v31
	v_add_f32_e32 v21, v22, v23
	v_add_f32_e32 v19, v19, v20
	v_mul_f32_e32 v34, v21, v32
	v_sub_f32_e32 v20, v22, v21
	v_mul_f32_e32 v22, v31, v34
	v_fma_f32 v26, v34, v31, -v22
	v_fmac_f32_e32 v26, v34, v19
	v_add_f32_e32 v33, v23, v20
	v_add_f32_e32 v20, v22, v26
	v_sub_f32_e32 v23, v21, v20
	v_pk_add_f32 v[28:29], v[20:21], v[22:23] neg_lo:[0,1] neg_hi:[0,1]
	v_mov_b32_e32 v27, v20
	v_pk_add_f32 v[20:21], v[28:29], v[26:27] neg_lo:[0,1] neg_hi:[0,1]
	v_cmp_eq_f32_e64 s[52:53], s3, v25
	v_add_f32_e32 v21, v33, v21
	v_add_f32_e32 v20, v20, v21
	;; [unrolled: 1-line block ×3, first 2 shown]
	v_mul_f32_e32 v33, v32, v21
	v_mul_f32_e32 v22, v31, v33
	v_fma_f32 v26, v33, v31, -v22
	v_fmac_f32_e32 v26, v33, v19
	v_sub_f32_e32 v19, v23, v21
	v_add_f32_e32 v19, v20, v19
	v_add_f32_e32 v20, v22, v26
	v_sub_f32_e32 v23, v21, v20
	v_pk_add_f32 v[28:29], v[20:21], v[22:23] neg_lo:[0,1] neg_hi:[0,1]
	v_mov_b32_e32 v27, v20
	v_pk_add_f32 v[20:21], v[28:29], v[26:27] neg_lo:[0,1] neg_hi:[0,1]
	v_cvt_f32_i32_e32 v22, v30
	v_add_f32_e32 v19, v19, v21
	v_add_f32_e32 v19, v20, v19
	v_add_f32_e32 v20, v34, v33
	v_add_f32_e32 v19, v23, v19
	v_sub_f32_e32 v21, v20, v34
	v_mul_f32_e32 v19, v32, v19
	v_sub_f32_e32 v21, v33, v21
	v_add_f32_e32 v19, v21, v19
	v_add_f32_e32 v23, v20, v19
	v_mul_f32_e32 v26, v23, v23
	v_mov_b32_e32 v21, 0x3ecc95a3
	v_fmac_f32_e32 v21, 0x3e9b6dac, v26
	v_sub_f32_e32 v20, v23, v20
	v_fmaak_f32 v21, v26, v21, 0x3f2aaada
	v_sub_f32_e32 v19, v19, v20
	v_ldexp_f32 v27, v23, 1
	v_mul_f32_e32 v23, v23, v26
	v_mov_b32_e32 v20, 0x3f317218
	v_pk_mul_f32 v[20:21], v[22:23], v[20:21]
	v_ldexp_f32 v19, v19, 1
	v_fma_f32 v23, v22, s2, -v20
	v_fmamk_f32 v26, v22, 0xb102e308, v23
	v_pk_add_f32 v[22:23], v[20:21], v[26:27]
	v_mov_b32_e32 v28, v20
	v_sub_f32_e32 v27, v23, v27
	v_sub_f32_e32 v27, v21, v27
	v_add_f32_e32 v29, v19, v27
	v_pk_add_f32 v[20:21], v[22:23], v[20:21] neg_lo:[0,1] neg_hi:[0,1]
	v_pk_add_f32 v[30:31], v[22:23], v[28:29]
	v_mov_b32_e32 v27, v22
	v_mov_b32_e32 v21, v31
	v_pk_add_f32 v[32:33], v[26:27], v[20:21] neg_lo:[0,1] neg_hi:[0,1]
	v_pk_add_f32 v[20:21], v[26:27], v[20:21]
	v_mov_b32_e32 v28, v29
	v_mov_b32_e32 v26, v21
	v_pk_add_f32 v[34:35], v[26:27], v[22:23] neg_lo:[0,1] neg_hi:[0,1]
	v_mov_b32_e32 v20, v31
	v_mov_b32_e32 v19, v34
	v_pk_add_f32 v[36:37], v[30:31], v[18:19] neg_lo:[0,1] neg_hi:[0,1]
	v_mov_b32_e32 v30, v23
	v_mov_b32_e32 v31, v34
	;; [unrolled: 1-line block ×3, first 2 shown]
	v_pk_add_f32 v[20:21], v[20:21], v[30:31] neg_lo:[0,1] neg_hi:[0,1]
	v_mov_b32_e32 v29, v22
	v_pk_add_f32 v[20:21], v[28:29], v[20:21] neg_lo:[0,1] neg_hi:[0,1]
	v_mov_b32_e32 v36, v32
	v_pk_add_f32 v[22:23], v[36:37], v[20:21]
	s_mov_b32 s2, 0x33800000
	v_mov_b32_e32 v28, v23
	v_pk_add_f32 v[28:29], v[22:23], v[28:29]
	v_cmp_lt_f32_e64 s[58:59], |v25|, s2
	v_pk_add_f32 v[26:27], v[26:27], v[28:29]
	v_mov_b32_e32 v21, v28
	v_mov_b32_e32 v23, v26
	v_pk_add_f32 v[30:31], v[22:23], v[32:33] neg_lo:[0,1] neg_hi:[0,1]
	s_or_b64 s[52:53], s[52:53], s[58:59]
	v_sub_f32_e32 v19, v22, v30
	v_pk_add_f32 v[20:21], v[20:21], v[30:31] neg_lo:[0,1] neg_hi:[0,1]
	v_sub_f32_e32 v19, v32, v19
	v_add_f32_e32 v19, v20, v19
	v_add_f32_e32 v19, v19, v21
	;; [unrolled: 1-line block ×3, first 2 shown]
	v_cndmask_b32_e64 v19, v19, v25, s[52:53]
	v_add_f32_e32 v19, v18, v19
.LBB509_52:
	s_or_b64 exec, exec, s[54:55]
	v_bfe_u32 v18, v19, 16, 1
	v_add3_u32 v18, v19, v18, s56
	v_and_b32_e32 v18, 0xffff0000, v18
	v_cmp_o_f32_e64 s[52:53], v19, v19
	v_and_b32_e32 v3, 0xffff0000, v3
	s_nop 0
	v_cndmask_b32_e64 v20, v16, v18, s[52:53]
	v_max_f32_e32 v16, v20, v20
	v_max_f32_e32 v18, v3, v3
	v_min_f32_e32 v19, v16, v18
	v_cmp_u_f32_e64 s[54:55], v20, v20
	v_max_f32_e32 v16, v16, v18
	v_cmp_u_f32_e64 s[52:53], v3, v3
	v_cndmask_b32_e64 v19, v19, v20, s[54:55]
	v_cndmask_b32_e64 v16, v16, v20, s[54:55]
	;; [unrolled: 1-line block ×4, first 2 shown]
	v_cmp_neq_f32_e64 s[54:55], v19, v16
	v_cmp_class_f32_e64 s[56:57], v19, s33
	s_or_b64 s[54:55], s[54:55], s[56:57]
	s_and_saveexec_b64 s[56:57], s[54:55]
	s_cbranch_execz .LBB509_54
; %bb.53:
	v_sub_f32_e32 v19, v19, v16
	s_mov_b32 s2, 0x3fb8aa3b
	v_mul_f32_e32 v20, 0x3fb8aa3b, v19
	v_fma_f32 v21, v19, s2, -v20
	v_rndne_f32_e32 v22, v20
	v_fmamk_f32 v21, v19, 0x32a5705f, v21
	v_sub_f32_e32 v20, v20, v22
	v_add_f32_e32 v20, v20, v21
	v_exp_f32_e32 v20, v20
	v_cvt_i32_f32_e32 v21, v22
	s_mov_b32 s2, 0xc2ce8ed0
	v_cmp_ngt_f32_e64 s[54:55], s2, v19
	s_mov_b32 s2, 0x42b17218
	v_ldexp_f32 v20, v20, v21
	v_cndmask_b32_e64 v20, 0, v20, s[54:55]
	v_mov_b32_e32 v21, 0x7f800000
	v_cmp_nlt_f32_e64 s[54:55], s2, v19
	s_mov_b32 s2, 0x3f2aaaab
	s_mov_b32 s3, 0x7f800000
	v_cndmask_b32_e64 v25, v21, v20, s[54:55]
	v_add_f32_e32 v19, 1.0, v25
	v_add_f32_e32 v20, -1.0, v19
	v_sub_f32_e32 v21, v20, v19
	v_add_f32_e32 v21, 1.0, v21
	v_sub_f32_e32 v20, v25, v20
	v_add_f32_e32 v22, v20, v21
	v_frexp_mant_f32_e32 v23, v19
	v_cvt_f64_f32_e32 v[20:21], v19
	v_frexp_exp_i32_f64_e32 v20, v[20:21]
	v_cmp_gt_f32_e64 s[54:55], s2, v23
	s_mov_b32 s2, 0x3f317218
	s_nop 0
	v_subbrev_co_u32_e64 v30, s[54:55], 0, v20, s[54:55]
	v_sub_u32_e32 v20, 0, v30
	v_ldexp_f32 v19, v19, v20
	v_ldexp_f32 v20, v22, v20
	v_add_f32_e32 v22, -1.0, v19
	v_add_f32_e32 v21, 1.0, v22
	v_sub_f32_e32 v21, v19, v21
	v_add_f32_e32 v23, v20, v21
	v_add_f32_e32 v21, 1.0, v19
	v_add_f32_e32 v26, -1.0, v21
	v_sub_f32_e32 v19, v19, v26
	v_add_f32_e32 v19, v20, v19
	v_add_f32_e32 v31, v21, v19
	v_rcp_f32_e32 v32, v31
	v_sub_f32_e32 v20, v21, v31
	v_add_f32_e32 v21, v22, v23
	v_add_f32_e32 v19, v19, v20
	v_mul_f32_e32 v34, v21, v32
	v_sub_f32_e32 v20, v22, v21
	v_mul_f32_e32 v22, v31, v34
	v_fma_f32 v26, v34, v31, -v22
	v_fmac_f32_e32 v26, v34, v19
	v_add_f32_e32 v33, v23, v20
	v_add_f32_e32 v20, v22, v26
	v_sub_f32_e32 v23, v21, v20
	v_pk_add_f32 v[28:29], v[20:21], v[22:23] neg_lo:[0,1] neg_hi:[0,1]
	v_mov_b32_e32 v27, v20
	v_pk_add_f32 v[20:21], v[28:29], v[26:27] neg_lo:[0,1] neg_hi:[0,1]
	v_cmp_eq_f32_e64 s[54:55], s3, v25
	v_add_f32_e32 v21, v33, v21
	v_add_f32_e32 v20, v20, v21
	;; [unrolled: 1-line block ×3, first 2 shown]
	v_mul_f32_e32 v33, v32, v21
	v_mul_f32_e32 v22, v31, v33
	v_fma_f32 v26, v33, v31, -v22
	v_fmac_f32_e32 v26, v33, v19
	v_sub_f32_e32 v19, v23, v21
	v_add_f32_e32 v19, v20, v19
	v_add_f32_e32 v20, v22, v26
	v_sub_f32_e32 v23, v21, v20
	v_pk_add_f32 v[28:29], v[20:21], v[22:23] neg_lo:[0,1] neg_hi:[0,1]
	v_mov_b32_e32 v27, v20
	v_pk_add_f32 v[20:21], v[28:29], v[26:27] neg_lo:[0,1] neg_hi:[0,1]
	v_cvt_f32_i32_e32 v22, v30
	v_add_f32_e32 v19, v19, v21
	v_add_f32_e32 v19, v20, v19
	;; [unrolled: 1-line block ×4, first 2 shown]
	v_sub_f32_e32 v21, v20, v34
	v_mul_f32_e32 v19, v32, v19
	v_sub_f32_e32 v21, v33, v21
	v_add_f32_e32 v19, v21, v19
	v_add_f32_e32 v23, v20, v19
	v_mul_f32_e32 v26, v23, v23
	v_mov_b32_e32 v21, 0x3ecc95a3
	v_fmac_f32_e32 v21, 0x3e9b6dac, v26
	v_sub_f32_e32 v20, v23, v20
	v_fmaak_f32 v21, v26, v21, 0x3f2aaada
	v_sub_f32_e32 v19, v19, v20
	v_ldexp_f32 v27, v23, 1
	v_mul_f32_e32 v23, v23, v26
	v_mov_b32_e32 v20, 0x3f317218
	v_pk_mul_f32 v[20:21], v[22:23], v[20:21]
	v_ldexp_f32 v19, v19, 1
	v_fma_f32 v23, v22, s2, -v20
	v_fmamk_f32 v26, v22, 0xb102e308, v23
	v_pk_add_f32 v[22:23], v[20:21], v[26:27]
	v_mov_b32_e32 v28, v20
	v_sub_f32_e32 v27, v23, v27
	v_sub_f32_e32 v27, v21, v27
	v_add_f32_e32 v29, v19, v27
	v_pk_add_f32 v[20:21], v[22:23], v[20:21] neg_lo:[0,1] neg_hi:[0,1]
	v_pk_add_f32 v[30:31], v[22:23], v[28:29]
	v_mov_b32_e32 v27, v22
	v_mov_b32_e32 v21, v31
	v_pk_add_f32 v[32:33], v[26:27], v[20:21] neg_lo:[0,1] neg_hi:[0,1]
	v_pk_add_f32 v[20:21], v[26:27], v[20:21]
	v_mov_b32_e32 v28, v29
	v_mov_b32_e32 v26, v21
	v_pk_add_f32 v[34:35], v[26:27], v[22:23] neg_lo:[0,1] neg_hi:[0,1]
	v_mov_b32_e32 v20, v31
	v_mov_b32_e32 v19, v34
	v_pk_add_f32 v[36:37], v[30:31], v[18:19] neg_lo:[0,1] neg_hi:[0,1]
	v_mov_b32_e32 v30, v23
	v_mov_b32_e32 v31, v34
	;; [unrolled: 1-line block ×3, first 2 shown]
	v_pk_add_f32 v[20:21], v[20:21], v[30:31] neg_lo:[0,1] neg_hi:[0,1]
	v_mov_b32_e32 v29, v22
	v_pk_add_f32 v[20:21], v[28:29], v[20:21] neg_lo:[0,1] neg_hi:[0,1]
	v_mov_b32_e32 v36, v32
	v_pk_add_f32 v[22:23], v[36:37], v[20:21]
	s_mov_b32 s2, 0x33800000
	v_mov_b32_e32 v28, v23
	v_pk_add_f32 v[28:29], v[22:23], v[28:29]
	v_cmp_lt_f32_e64 s[58:59], |v25|, s2
	v_pk_add_f32 v[26:27], v[26:27], v[28:29]
	v_mov_b32_e32 v21, v28
	v_mov_b32_e32 v23, v26
	v_pk_add_f32 v[30:31], v[22:23], v[32:33] neg_lo:[0,1] neg_hi:[0,1]
	s_or_b64 s[54:55], s[54:55], s[58:59]
	v_sub_f32_e32 v19, v22, v30
	v_pk_add_f32 v[20:21], v[20:21], v[30:31] neg_lo:[0,1] neg_hi:[0,1]
	v_sub_f32_e32 v19, v32, v19
	v_add_f32_e32 v19, v20, v19
	v_add_f32_e32 v19, v19, v21
	;; [unrolled: 1-line block ×3, first 2 shown]
	v_cndmask_b32_e64 v19, v19, v25, s[54:55]
	v_add_f32_e32 v20, v16, v19
.LBB509_54:
	s_or_b64 exec, exec, s[56:57]
	v_bfe_u32 v16, v20, 16, 1
	s_movk_i32 s60, 0x7fff
	v_add3_u32 v16, v20, v16, s60
	v_and_b32_e32 v16, 0xffff0000, v16
	v_mov_b32_e32 v19, 0x7fc00000
	v_cmp_o_f32_e64 s[54:55], v20, v20
	s_nop 1
	v_cndmask_b32_e64 v22, v19, v16, s[54:55]
	v_lshlrev_b32_e32 v16, 16, v4
	v_max_f32_e32 v21, v22, v22
	v_max_f32_e32 v20, v16, v16
	v_min_f32_e32 v23, v21, v20
	v_cmp_u_f32_e64 s[56:57], v22, v22
	v_max_f32_e32 v21, v21, v20
	v_cmp_u_f32_e64 s[54:55], v16, v16
	v_cndmask_b32_e64 v23, v23, v22, s[56:57]
	v_cndmask_b32_e64 v21, v21, v22, s[56:57]
	;; [unrolled: 1-line block ×4, first 2 shown]
	v_cmp_neq_f32_e64 s[56:57], v23, v21
	v_cmp_class_f32_e64 s[58:59], v23, s33
	s_or_b64 s[56:57], s[56:57], s[58:59]
	s_and_saveexec_b64 s[58:59], s[56:57]
	s_cbranch_execz .LBB509_56
; %bb.55:
	v_sub_f32_e32 v22, v23, v21
	s_mov_b32 s2, 0x3fb8aa3b
	v_mul_f32_e32 v23, 0x3fb8aa3b, v22
	v_fma_f32 v25, v22, s2, -v23
	v_rndne_f32_e32 v26, v23
	v_fmamk_f32 v25, v22, 0x32a5705f, v25
	v_sub_f32_e32 v23, v23, v26
	v_add_f32_e32 v23, v23, v25
	v_exp_f32_e32 v23, v23
	v_cvt_i32_f32_e32 v25, v26
	s_mov_b32 s2, 0xc2ce8ed0
	v_cmp_ngt_f32_e64 s[56:57], s2, v22
	s_mov_b32 s2, 0x42b17218
	v_ldexp_f32 v23, v23, v25
	v_cndmask_b32_e64 v23, 0, v23, s[56:57]
	v_mov_b32_e32 v25, 0x7f800000
	v_cmp_nlt_f32_e64 s[56:57], s2, v22
	s_mov_b32 s2, 0x3f2aaaab
	s_mov_b32 s3, 0x7f800000
	v_cndmask_b32_e64 v40, v25, v23, s[56:57]
	v_add_f32_e32 v25, 1.0, v40
	v_add_f32_e32 v22, -1.0, v25
	v_sub_f32_e32 v23, v22, v25
	v_add_f32_e32 v23, 1.0, v23
	v_sub_f32_e32 v22, v40, v22
	v_add_f32_e32 v26, v22, v23
	v_frexp_mant_f32_e32 v27, v25
	v_cvt_f64_f32_e32 v[22:23], v25
	v_frexp_exp_i32_f64_e32 v22, v[22:23]
	v_cmp_gt_f32_e64 s[56:57], s2, v27
	s_mov_b32 s2, 0x3f317218
	s_nop 0
	v_subbrev_co_u32_e64 v32, s[56:57], 0, v22, s[56:57]
	v_sub_u32_e32 v22, 0, v32
	v_ldexp_f32 v23, v25, v22
	v_add_f32_e32 v25, -1.0, v23
	v_add_f32_e32 v27, 1.0, v23
	v_ldexp_f32 v22, v26, v22
	v_add_f32_e32 v26, 1.0, v25
	v_add_f32_e32 v28, -1.0, v27
	v_sub_f32_e32 v26, v23, v26
	v_sub_f32_e32 v23, v23, v28
	v_add_f32_e32 v26, v22, v26
	v_add_f32_e32 v22, v22, v23
	;; [unrolled: 1-line block ×3, first 2 shown]
	v_rcp_f32_e32 v35, v33
	v_sub_f32_e32 v23, v27, v33
	v_add_f32_e32 v34, v22, v23
	v_add_f32_e32 v23, v25, v26
	v_sub_f32_e32 v22, v25, v23
	v_mul_f32_e32 v36, v23, v35
	v_add_f32_e32 v25, v26, v22
	v_mul_f32_e32 v26, v33, v36
	v_fma_f32 v28, v36, v33, -v26
	v_fmac_f32_e32 v28, v36, v34
	v_add_f32_e32 v22, v26, v28
	v_sub_f32_e32 v27, v23, v22
	v_pk_add_f32 v[30:31], v[22:23], v[26:27] neg_lo:[0,1] neg_hi:[0,1]
	v_mov_b32_e32 v29, v22
	v_pk_add_f32 v[22:23], v[30:31], v[28:29] neg_lo:[0,1] neg_hi:[0,1]
	v_cmp_eq_f32_e64 s[56:57], s3, v40
	v_add_f32_e32 v23, v25, v23
	v_add_f32_e32 v22, v22, v23
	;; [unrolled: 1-line block ×3, first 2 shown]
	v_mul_f32_e32 v25, v35, v23
	v_mul_f32_e32 v26, v33, v25
	v_fma_f32 v28, v25, v33, -v26
	v_fmac_f32_e32 v28, v25, v34
	v_sub_f32_e32 v27, v27, v23
	v_add_f32_e32 v33, v22, v27
	v_add_f32_e32 v22, v26, v28
	v_sub_f32_e32 v27, v23, v22
	v_pk_add_f32 v[30:31], v[22:23], v[26:27] neg_lo:[0,1] neg_hi:[0,1]
	v_mov_b32_e32 v29, v22
	v_pk_add_f32 v[22:23], v[30:31], v[28:29] neg_lo:[0,1] neg_hi:[0,1]
	v_cvt_f32_i32_e32 v26, v32
	v_add_f32_e32 v23, v33, v23
	v_add_f32_e32 v22, v22, v23
	v_add_f32_e32 v22, v27, v22
	v_add_f32_e32 v27, v36, v25
	v_sub_f32_e32 v23, v27, v36
	v_mul_f32_e32 v22, v35, v22
	v_sub_f32_e32 v23, v25, v23
	v_add_f32_e32 v22, v23, v22
	v_add_f32_e32 v25, v27, v22
	v_mul_f32_e32 v28, v25, v25
	v_mov_b32_e32 v23, 0x3ecc95a3
	v_sub_f32_e32 v27, v25, v27
	v_fmac_f32_e32 v23, 0x3e9b6dac, v28
	v_sub_f32_e32 v22, v22, v27
	v_fmaak_f32 v23, v28, v23, 0x3f2aaada
	v_ldexp_f32 v30, v22, 1
	v_mul_f32_e32 v27, v25, v28
	v_mov_b32_e32 v22, 0x3f317218
	v_pk_mul_f32 v[22:23], v[26:27], v[22:23]
	v_ldexp_f32 v29, v25, 1
	v_fma_f32 v25, v26, s2, -v22
	v_fmamk_f32 v28, v26, 0xb102e308, v25
	v_pk_add_f32 v[26:27], v[22:23], v[28:29]
	s_mov_b32 s2, 0x33800000
	v_sub_f32_e32 v25, v27, v29
	v_sub_f32_e32 v25, v23, v25
	v_add_f32_e32 v31, v30, v25
	v_mov_b32_e32 v30, v22
	v_pk_add_f32 v[22:23], v[26:27], v[22:23] neg_lo:[0,1] neg_hi:[0,1]
	v_pk_add_f32 v[32:33], v[26:27], v[30:31]
	v_mov_b32_e32 v29, v26
	v_mov_b32_e32 v23, v33
	v_pk_add_f32 v[34:35], v[28:29], v[22:23] neg_lo:[0,1] neg_hi:[0,1]
	v_pk_add_f32 v[22:23], v[28:29], v[22:23]
	v_mov_b32_e32 v30, v31
	v_mov_b32_e32 v28, v23
	v_pk_add_f32 v[36:37], v[28:29], v[26:27] neg_lo:[0,1] neg_hi:[0,1]
	v_mov_b32_e32 v22, v33
	v_mov_b32_e32 v25, v36
	v_pk_add_f32 v[38:39], v[32:33], v[24:25] neg_lo:[0,1] neg_hi:[0,1]
	v_mov_b32_e32 v32, v27
	v_mov_b32_e32 v33, v36
	;; [unrolled: 1-line block ×3, first 2 shown]
	v_pk_add_f32 v[22:23], v[22:23], v[32:33] neg_lo:[0,1] neg_hi:[0,1]
	v_mov_b32_e32 v31, v26
	v_pk_add_f32 v[22:23], v[30:31], v[22:23] neg_lo:[0,1] neg_hi:[0,1]
	v_mov_b32_e32 v38, v34
	v_pk_add_f32 v[26:27], v[38:39], v[22:23]
	v_cmp_lt_f32_e64 s[62:63], |v40|, s2
	v_mov_b32_e32 v30, v27
	v_pk_add_f32 v[30:31], v[26:27], v[30:31]
	s_or_b64 s[56:57], s[56:57], s[62:63]
	v_pk_add_f32 v[28:29], v[28:29], v[30:31]
	v_mov_b32_e32 v23, v30
	v_mov_b32_e32 v27, v28
	v_pk_add_f32 v[32:33], v[26:27], v[34:35] neg_lo:[0,1] neg_hi:[0,1]
	s_nop 0
	v_sub_f32_e32 v25, v26, v32
	v_pk_add_f32 v[22:23], v[22:23], v[32:33] neg_lo:[0,1] neg_hi:[0,1]
	v_sub_f32_e32 v25, v34, v25
	v_add_f32_e32 v22, v22, v25
	v_add_f32_e32 v22, v22, v23
	v_add_f32_e32 v22, v28, v22
	v_cndmask_b32_e64 v22, v22, v40, s[56:57]
	v_add_f32_e32 v22, v21, v22
.LBB509_56:
	s_or_b64 exec, exec, s[58:59]
	v_bfe_u32 v21, v22, 16, 1
	v_add3_u32 v21, v22, v21, s60
	v_and_b32_e32 v21, 0xffff0000, v21
	v_cmp_o_f32_e64 s[56:57], v22, v22
	v_and_b32_e32 v4, 0xffff0000, v4
	s_nop 0
	v_cndmask_b32_e64 v23, v19, v21, s[56:57]
	v_max_f32_e32 v19, v23, v23
	v_max_f32_e32 v21, v4, v4
	v_min_f32_e32 v22, v19, v21
	v_cmp_u_f32_e64 s[58:59], v23, v23
	v_max_f32_e32 v19, v19, v21
	v_cmp_u_f32_e64 s[56:57], v4, v4
	v_cndmask_b32_e64 v22, v22, v23, s[58:59]
	v_cndmask_b32_e64 v19, v19, v23, s[58:59]
	;; [unrolled: 1-line block ×4, first 2 shown]
	v_cmp_neq_f32_e64 s[58:59], v22, v19
	v_cmp_class_f32_e64 s[60:61], v22, s33
	s_or_b64 s[58:59], s[58:59], s[60:61]
	s_and_saveexec_b64 s[60:61], s[58:59]
	s_cbranch_execz .LBB509_58
; %bb.57:
	v_sub_f32_e32 v22, v22, v19
	s_mov_b32 s2, 0x3fb8aa3b
	v_mul_f32_e32 v23, 0x3fb8aa3b, v22
	v_fma_f32 v25, v22, s2, -v23
	v_rndne_f32_e32 v26, v23
	v_fmamk_f32 v25, v22, 0x32a5705f, v25
	v_sub_f32_e32 v23, v23, v26
	v_add_f32_e32 v23, v23, v25
	v_exp_f32_e32 v23, v23
	v_cvt_i32_f32_e32 v25, v26
	s_mov_b32 s2, 0xc2ce8ed0
	v_cmp_ngt_f32_e64 s[58:59], s2, v22
	s_mov_b32 s2, 0x42b17218
	v_ldexp_f32 v23, v23, v25
	v_cndmask_b32_e64 v23, 0, v23, s[58:59]
	v_mov_b32_e32 v25, 0x7f800000
	v_cmp_nlt_f32_e64 s[58:59], s2, v22
	s_mov_b32 s2, 0x3f2aaaab
	s_mov_b32 s3, 0x7f800000
	v_cndmask_b32_e64 v40, v25, v23, s[58:59]
	v_add_f32_e32 v25, 1.0, v40
	v_add_f32_e32 v22, -1.0, v25
	v_sub_f32_e32 v23, v22, v25
	v_add_f32_e32 v23, 1.0, v23
	v_sub_f32_e32 v22, v40, v22
	v_add_f32_e32 v26, v22, v23
	v_frexp_mant_f32_e32 v27, v25
	v_cvt_f64_f32_e32 v[22:23], v25
	v_frexp_exp_i32_f64_e32 v22, v[22:23]
	v_cmp_gt_f32_e64 s[58:59], s2, v27
	s_mov_b32 s2, 0x3f317218
	s_nop 0
	v_subbrev_co_u32_e64 v32, s[58:59], 0, v22, s[58:59]
	v_sub_u32_e32 v22, 0, v32
	v_ldexp_f32 v23, v25, v22
	v_add_f32_e32 v25, -1.0, v23
	v_add_f32_e32 v27, 1.0, v23
	v_ldexp_f32 v22, v26, v22
	v_add_f32_e32 v26, 1.0, v25
	v_add_f32_e32 v28, -1.0, v27
	v_sub_f32_e32 v26, v23, v26
	v_sub_f32_e32 v23, v23, v28
	v_add_f32_e32 v26, v22, v26
	v_add_f32_e32 v22, v22, v23
	;; [unrolled: 1-line block ×3, first 2 shown]
	v_rcp_f32_e32 v35, v33
	v_sub_f32_e32 v23, v27, v33
	v_add_f32_e32 v34, v22, v23
	v_add_f32_e32 v23, v25, v26
	v_sub_f32_e32 v22, v25, v23
	v_mul_f32_e32 v36, v23, v35
	v_add_f32_e32 v25, v26, v22
	v_mul_f32_e32 v26, v33, v36
	v_fma_f32 v28, v36, v33, -v26
	v_fmac_f32_e32 v28, v36, v34
	v_add_f32_e32 v22, v26, v28
	v_sub_f32_e32 v27, v23, v22
	v_pk_add_f32 v[30:31], v[22:23], v[26:27] neg_lo:[0,1] neg_hi:[0,1]
	v_mov_b32_e32 v29, v22
	v_pk_add_f32 v[22:23], v[30:31], v[28:29] neg_lo:[0,1] neg_hi:[0,1]
	v_cmp_eq_f32_e64 s[58:59], s3, v40
	v_add_f32_e32 v23, v25, v23
	v_add_f32_e32 v22, v22, v23
	;; [unrolled: 1-line block ×3, first 2 shown]
	v_mul_f32_e32 v25, v35, v23
	v_mul_f32_e32 v26, v33, v25
	v_fma_f32 v28, v25, v33, -v26
	v_fmac_f32_e32 v28, v25, v34
	v_sub_f32_e32 v27, v27, v23
	v_add_f32_e32 v33, v22, v27
	v_add_f32_e32 v22, v26, v28
	v_sub_f32_e32 v27, v23, v22
	v_pk_add_f32 v[30:31], v[22:23], v[26:27] neg_lo:[0,1] neg_hi:[0,1]
	v_mov_b32_e32 v29, v22
	v_pk_add_f32 v[22:23], v[30:31], v[28:29] neg_lo:[0,1] neg_hi:[0,1]
	v_cvt_f32_i32_e32 v26, v32
	v_add_f32_e32 v23, v33, v23
	v_add_f32_e32 v22, v22, v23
	;; [unrolled: 1-line block ×4, first 2 shown]
	v_sub_f32_e32 v23, v27, v36
	v_mul_f32_e32 v22, v35, v22
	v_sub_f32_e32 v23, v25, v23
	v_add_f32_e32 v22, v23, v22
	v_add_f32_e32 v25, v27, v22
	v_mul_f32_e32 v28, v25, v25
	v_mov_b32_e32 v23, 0x3ecc95a3
	v_sub_f32_e32 v27, v25, v27
	v_fmac_f32_e32 v23, 0x3e9b6dac, v28
	v_sub_f32_e32 v22, v22, v27
	v_fmaak_f32 v23, v28, v23, 0x3f2aaada
	v_ldexp_f32 v30, v22, 1
	v_mul_f32_e32 v27, v25, v28
	v_mov_b32_e32 v22, 0x3f317218
	v_pk_mul_f32 v[22:23], v[26:27], v[22:23]
	v_ldexp_f32 v29, v25, 1
	v_fma_f32 v25, v26, s2, -v22
	v_fmamk_f32 v28, v26, 0xb102e308, v25
	v_pk_add_f32 v[26:27], v[22:23], v[28:29]
	s_mov_b32 s2, 0x33800000
	v_sub_f32_e32 v25, v27, v29
	v_sub_f32_e32 v25, v23, v25
	v_add_f32_e32 v31, v30, v25
	v_mov_b32_e32 v30, v22
	v_pk_add_f32 v[22:23], v[26:27], v[22:23] neg_lo:[0,1] neg_hi:[0,1]
	v_pk_add_f32 v[32:33], v[26:27], v[30:31]
	v_mov_b32_e32 v29, v26
	v_mov_b32_e32 v23, v33
	v_pk_add_f32 v[34:35], v[28:29], v[22:23] neg_lo:[0,1] neg_hi:[0,1]
	v_pk_add_f32 v[22:23], v[28:29], v[22:23]
	v_mov_b32_e32 v30, v31
	v_mov_b32_e32 v28, v23
	v_pk_add_f32 v[36:37], v[28:29], v[26:27] neg_lo:[0,1] neg_hi:[0,1]
	v_mov_b32_e32 v22, v33
	v_mov_b32_e32 v25, v36
	v_pk_add_f32 v[38:39], v[32:33], v[24:25] neg_lo:[0,1] neg_hi:[0,1]
	v_mov_b32_e32 v32, v27
	v_mov_b32_e32 v33, v36
	;; [unrolled: 1-line block ×3, first 2 shown]
	v_pk_add_f32 v[22:23], v[22:23], v[32:33] neg_lo:[0,1] neg_hi:[0,1]
	v_mov_b32_e32 v31, v26
	v_pk_add_f32 v[22:23], v[30:31], v[22:23] neg_lo:[0,1] neg_hi:[0,1]
	v_mov_b32_e32 v38, v34
	v_pk_add_f32 v[26:27], v[38:39], v[22:23]
	v_cmp_lt_f32_e64 s[62:63], |v40|, s2
	v_mov_b32_e32 v30, v27
	v_pk_add_f32 v[30:31], v[26:27], v[30:31]
	s_or_b64 s[58:59], s[58:59], s[62:63]
	v_pk_add_f32 v[28:29], v[28:29], v[30:31]
	v_mov_b32_e32 v23, v30
	v_mov_b32_e32 v27, v28
	v_pk_add_f32 v[32:33], v[26:27], v[34:35] neg_lo:[0,1] neg_hi:[0,1]
	s_nop 0
	v_sub_f32_e32 v25, v26, v32
	v_pk_add_f32 v[22:23], v[22:23], v[32:33] neg_lo:[0,1] neg_hi:[0,1]
	v_sub_f32_e32 v25, v34, v25
	v_add_f32_e32 v22, v22, v25
	v_add_f32_e32 v22, v22, v23
	;; [unrolled: 1-line block ×3, first 2 shown]
	v_cndmask_b32_e64 v22, v22, v40, s[58:59]
	v_add_f32_e32 v23, v19, v22
.LBB509_58:
	s_or_b64 exec, exec, s[60:61]
	v_bfe_u32 v19, v23, 16, 1
	s_movk_i32 s64, 0x7fff
	v_add3_u32 v19, v23, v19, s64
	v_and_b32_e32 v19, 0xffff0000, v19
	v_mov_b32_e32 v22, 0x7fc00000
	v_cmp_o_f32_e64 s[58:59], v23, v23
	s_nop 1
	v_cndmask_b32_e64 v26, v22, v19, s[58:59]
	v_lshlrev_b32_e32 v19, 16, v5
	v_max_f32_e32 v25, v26, v26
	v_max_f32_e32 v23, v19, v19
	v_min_f32_e32 v27, v25, v23
	v_cmp_u_f32_e64 s[60:61], v26, v26
	v_max_f32_e32 v25, v25, v23
	v_cmp_u_f32_e64 s[58:59], v19, v19
	v_cndmask_b32_e64 v27, v27, v26, s[60:61]
	v_cndmask_b32_e64 v25, v25, v26, s[60:61]
	;; [unrolled: 1-line block ×4, first 2 shown]
	v_cmp_neq_f32_e64 s[60:61], v27, v25
	v_cmp_class_f32_e64 s[62:63], v27, s33
	s_or_b64 s[60:61], s[60:61], s[62:63]
	s_and_saveexec_b64 s[62:63], s[60:61]
	s_cbranch_execz .LBB509_60
; %bb.59:
	v_sub_f32_e32 v26, v27, v25
	s_mov_b32 s2, 0x3fb8aa3b
	v_mul_f32_e32 v27, 0x3fb8aa3b, v26
	v_fma_f32 v28, v26, s2, -v27
	v_rndne_f32_e32 v29, v27
	v_fmamk_f32 v28, v26, 0x32a5705f, v28
	v_sub_f32_e32 v27, v27, v29
	v_add_f32_e32 v27, v27, v28
	v_exp_f32_e32 v27, v27
	v_cvt_i32_f32_e32 v28, v29
	s_mov_b32 s2, 0xc2ce8ed0
	v_cmp_ngt_f32_e64 s[60:61], s2, v26
	s_mov_b32 s2, 0x42b17218
	v_ldexp_f32 v27, v27, v28
	v_cndmask_b32_e64 v27, 0, v27, s[60:61]
	v_mov_b32_e32 v28, 0x7f800000
	v_cmp_nlt_f32_e64 s[60:61], s2, v26
	s_mov_b32 s2, 0x3f2aaaab
	s_mov_b32 s3, 0x7f800000
	v_cndmask_b32_e64 v42, v28, v27, s[60:61]
	v_add_f32_e32 v28, 1.0, v42
	v_add_f32_e32 v26, -1.0, v28
	v_sub_f32_e32 v27, v26, v28
	v_add_f32_e32 v27, 1.0, v27
	v_sub_f32_e32 v26, v42, v26
	v_add_f32_e32 v29, v26, v27
	v_frexp_mant_f32_e32 v30, v28
	v_cvt_f64_f32_e32 v[26:27], v28
	v_frexp_exp_i32_f64_e32 v26, v[26:27]
	v_cmp_gt_f32_e64 s[60:61], s2, v30
	s_mov_b32 s2, 0x3f317218
	s_nop 0
	v_subbrev_co_u32_e64 v34, s[60:61], 0, v26, s[60:61]
	v_sub_u32_e32 v26, 0, v34
	v_ldexp_f32 v27, v28, v26
	v_add_f32_e32 v28, -1.0, v27
	v_add_f32_e32 v30, 1.0, v27
	v_ldexp_f32 v26, v29, v26
	v_add_f32_e32 v29, 1.0, v28
	v_add_f32_e32 v31, -1.0, v30
	v_sub_f32_e32 v29, v27, v29
	v_sub_f32_e32 v27, v27, v31
	v_add_f32_e32 v29, v26, v29
	v_add_f32_e32 v26, v26, v27
	;; [unrolled: 1-line block ×3, first 2 shown]
	v_rcp_f32_e32 v37, v35
	v_sub_f32_e32 v27, v30, v35
	v_add_f32_e32 v36, v26, v27
	v_add_f32_e32 v27, v28, v29
	v_mul_f32_e32 v39, v27, v37
	v_sub_f32_e32 v26, v28, v27
	v_mul_f32_e32 v28, v35, v39
	v_fma_f32 v30, v39, v35, -v28
	v_fmac_f32_e32 v30, v39, v36
	v_add_f32_e32 v38, v29, v26
	v_add_f32_e32 v26, v28, v30
	v_sub_f32_e32 v29, v27, v26
	v_pk_add_f32 v[32:33], v[26:27], v[28:29] neg_lo:[0,1] neg_hi:[0,1]
	v_mov_b32_e32 v31, v26
	v_pk_add_f32 v[26:27], v[32:33], v[30:31] neg_lo:[0,1] neg_hi:[0,1]
	v_cmp_eq_f32_e64 s[60:61], s3, v42
	v_add_f32_e32 v27, v38, v27
	v_add_f32_e32 v26, v26, v27
	;; [unrolled: 1-line block ×3, first 2 shown]
	v_mul_f32_e32 v38, v37, v27
	v_mul_f32_e32 v28, v35, v38
	v_fma_f32 v30, v38, v35, -v28
	v_fmac_f32_e32 v30, v38, v36
	v_sub_f32_e32 v29, v29, v27
	v_add_f32_e32 v35, v26, v29
	v_add_f32_e32 v26, v28, v30
	v_sub_f32_e32 v29, v27, v26
	v_pk_add_f32 v[32:33], v[26:27], v[28:29] neg_lo:[0,1] neg_hi:[0,1]
	v_mov_b32_e32 v31, v26
	v_pk_add_f32 v[26:27], v[32:33], v[30:31] neg_lo:[0,1] neg_hi:[0,1]
	v_cvt_f32_i32_e32 v28, v34
	v_add_f32_e32 v27, v35, v27
	v_add_f32_e32 v26, v26, v27
	;; [unrolled: 1-line block ×4, first 2 shown]
	v_sub_f32_e32 v27, v29, v39
	v_mul_f32_e32 v26, v37, v26
	v_sub_f32_e32 v27, v38, v27
	v_add_f32_e32 v26, v27, v26
	v_add_f32_e32 v30, v29, v26
	v_mul_f32_e32 v32, v30, v30
	v_mov_b32_e32 v27, 0x3ecc95a3
	v_sub_f32_e32 v29, v30, v29
	v_fmac_f32_e32 v27, 0x3e9b6dac, v32
	v_sub_f32_e32 v26, v26, v29
	v_fmaak_f32 v27, v32, v27, 0x3f2aaada
	v_ldexp_f32 v33, v26, 1
	v_mul_f32_e32 v29, v30, v32
	v_mov_b32_e32 v26, 0x3f317218
	v_pk_mul_f32 v[26:27], v[28:29], v[26:27]
	v_ldexp_f32 v31, v30, 1
	v_fma_f32 v29, v28, s2, -v26
	v_fmamk_f32 v30, v28, 0xb102e308, v29
	v_pk_add_f32 v[28:29], v[26:27], v[30:31]
	v_mov_b32_e32 v32, v26
	v_sub_f32_e32 v31, v29, v31
	v_sub_f32_e32 v31, v27, v31
	v_add_f32_e32 v33, v33, v31
	v_pk_add_f32 v[26:27], v[28:29], v[26:27] neg_lo:[0,1] neg_hi:[0,1]
	v_pk_add_f32 v[34:35], v[28:29], v[32:33]
	v_mov_b32_e32 v31, v28
	v_mov_b32_e32 v27, v35
	v_pk_add_f32 v[36:37], v[30:31], v[26:27] neg_lo:[0,1] neg_hi:[0,1]
	v_pk_add_f32 v[26:27], v[30:31], v[26:27]
	v_mov_b32_e32 v32, v33
	v_mov_b32_e32 v30, v27
	v_pk_add_f32 v[38:39], v[30:31], v[28:29] neg_lo:[0,1] neg_hi:[0,1]
	v_mov_b32_e32 v26, v35
	v_mov_b32_e32 v31, v38
	v_pk_add_f32 v[40:41], v[34:35], v[30:31] neg_lo:[0,1] neg_hi:[0,1]
	v_mov_b32_e32 v34, v29
	v_mov_b32_e32 v35, v38
	;; [unrolled: 1-line block ×3, first 2 shown]
	v_pk_add_f32 v[26:27], v[26:27], v[34:35] neg_lo:[0,1] neg_hi:[0,1]
	v_mov_b32_e32 v33, v28
	v_pk_add_f32 v[26:27], v[32:33], v[26:27] neg_lo:[0,1] neg_hi:[0,1]
	v_mov_b32_e32 v40, v36
	v_pk_add_f32 v[28:29], v[40:41], v[26:27]
	s_mov_b32 s2, 0x33800000
	v_mov_b32_e32 v32, v29
	v_pk_add_f32 v[32:33], v[28:29], v[32:33]
	v_cmp_lt_f32_e64 s[66:67], |v42|, s2
	v_pk_add_f32 v[30:31], v[30:31], v[32:33]
	v_mov_b32_e32 v27, v32
	v_mov_b32_e32 v29, v30
	v_pk_add_f32 v[34:35], v[28:29], v[36:37] neg_lo:[0,1] neg_hi:[0,1]
	s_or_b64 s[60:61], s[60:61], s[66:67]
	v_sub_f32_e32 v28, v28, v34
	v_pk_add_f32 v[26:27], v[26:27], v[34:35] neg_lo:[0,1] neg_hi:[0,1]
	v_sub_f32_e32 v28, v36, v28
	v_add_f32_e32 v26, v26, v28
	v_add_f32_e32 v26, v26, v27
	;; [unrolled: 1-line block ×3, first 2 shown]
	v_cndmask_b32_e64 v26, v26, v42, s[60:61]
	v_add_f32_e32 v26, v25, v26
.LBB509_60:
	s_or_b64 exec, exec, s[62:63]
	v_bfe_u32 v25, v26, 16, 1
	v_add3_u32 v25, v26, v25, s64
	v_and_b32_e32 v25, 0xffff0000, v25
	v_cmp_o_f32_e64 s[60:61], v26, v26
	v_and_b32_e32 v5, 0xffff0000, v5
	s_nop 0
	v_cndmask_b32_e64 v27, v22, v25, s[60:61]
	v_max_f32_e32 v22, v27, v27
	v_max_f32_e32 v25, v5, v5
	v_min_f32_e32 v26, v22, v25
	v_cmp_u_f32_e64 s[62:63], v27, v27
	v_max_f32_e32 v22, v22, v25
	v_cmp_u_f32_e64 s[60:61], v5, v5
	v_cndmask_b32_e64 v26, v26, v27, s[62:63]
	v_cndmask_b32_e64 v22, v22, v27, s[62:63]
	;; [unrolled: 1-line block ×4, first 2 shown]
	v_cmp_neq_f32_e64 s[62:63], v26, v22
	v_cmp_class_f32_e64 s[64:65], v26, s33
	s_or_b64 s[62:63], s[62:63], s[64:65]
	s_and_saveexec_b64 s[64:65], s[62:63]
	s_cbranch_execz .LBB509_62
; %bb.61:
	v_sub_f32_e32 v26, v26, v22
	s_mov_b32 s2, 0x3fb8aa3b
	v_mul_f32_e32 v27, 0x3fb8aa3b, v26
	v_fma_f32 v28, v26, s2, -v27
	v_rndne_f32_e32 v29, v27
	v_fmamk_f32 v28, v26, 0x32a5705f, v28
	v_sub_f32_e32 v27, v27, v29
	v_add_f32_e32 v27, v27, v28
	v_exp_f32_e32 v27, v27
	v_cvt_i32_f32_e32 v28, v29
	s_mov_b32 s2, 0xc2ce8ed0
	v_cmp_ngt_f32_e64 s[62:63], s2, v26
	s_mov_b32 s2, 0x42b17218
	v_ldexp_f32 v27, v27, v28
	v_cndmask_b32_e64 v27, 0, v27, s[62:63]
	v_mov_b32_e32 v28, 0x7f800000
	v_cmp_nlt_f32_e64 s[62:63], s2, v26
	s_mov_b32 s2, 0x3f2aaaab
	s_mov_b32 s3, 0x7f800000
	v_cndmask_b32_e64 v42, v28, v27, s[62:63]
	v_add_f32_e32 v28, 1.0, v42
	v_add_f32_e32 v26, -1.0, v28
	v_sub_f32_e32 v27, v26, v28
	v_add_f32_e32 v27, 1.0, v27
	v_sub_f32_e32 v26, v42, v26
	v_add_f32_e32 v29, v26, v27
	v_frexp_mant_f32_e32 v30, v28
	v_cvt_f64_f32_e32 v[26:27], v28
	v_frexp_exp_i32_f64_e32 v26, v[26:27]
	v_cmp_gt_f32_e64 s[62:63], s2, v30
	s_mov_b32 s2, 0x3f317218
	s_nop 0
	v_subbrev_co_u32_e64 v34, s[62:63], 0, v26, s[62:63]
	v_sub_u32_e32 v26, 0, v34
	v_ldexp_f32 v27, v28, v26
	v_add_f32_e32 v28, -1.0, v27
	v_add_f32_e32 v30, 1.0, v27
	v_ldexp_f32 v26, v29, v26
	v_add_f32_e32 v29, 1.0, v28
	v_add_f32_e32 v31, -1.0, v30
	v_sub_f32_e32 v29, v27, v29
	v_sub_f32_e32 v27, v27, v31
	v_add_f32_e32 v29, v26, v29
	v_add_f32_e32 v26, v26, v27
	;; [unrolled: 1-line block ×3, first 2 shown]
	v_rcp_f32_e32 v37, v35
	v_sub_f32_e32 v27, v30, v35
	v_add_f32_e32 v36, v26, v27
	v_add_f32_e32 v27, v28, v29
	v_mul_f32_e32 v39, v27, v37
	v_sub_f32_e32 v26, v28, v27
	v_mul_f32_e32 v28, v35, v39
	v_fma_f32 v30, v39, v35, -v28
	v_fmac_f32_e32 v30, v39, v36
	v_add_f32_e32 v38, v29, v26
	v_add_f32_e32 v26, v28, v30
	v_sub_f32_e32 v29, v27, v26
	v_pk_add_f32 v[32:33], v[26:27], v[28:29] neg_lo:[0,1] neg_hi:[0,1]
	v_mov_b32_e32 v31, v26
	v_pk_add_f32 v[26:27], v[32:33], v[30:31] neg_lo:[0,1] neg_hi:[0,1]
	v_cmp_eq_f32_e64 s[62:63], s3, v42
	v_add_f32_e32 v27, v38, v27
	v_add_f32_e32 v26, v26, v27
	;; [unrolled: 1-line block ×3, first 2 shown]
	v_mul_f32_e32 v38, v37, v27
	v_mul_f32_e32 v28, v35, v38
	v_fma_f32 v30, v38, v35, -v28
	v_fmac_f32_e32 v30, v38, v36
	v_sub_f32_e32 v29, v29, v27
	v_add_f32_e32 v35, v26, v29
	v_add_f32_e32 v26, v28, v30
	v_sub_f32_e32 v29, v27, v26
	v_pk_add_f32 v[32:33], v[26:27], v[28:29] neg_lo:[0,1] neg_hi:[0,1]
	v_mov_b32_e32 v31, v26
	v_pk_add_f32 v[26:27], v[32:33], v[30:31] neg_lo:[0,1] neg_hi:[0,1]
	v_cvt_f32_i32_e32 v28, v34
	v_add_f32_e32 v27, v35, v27
	v_add_f32_e32 v26, v26, v27
	;; [unrolled: 1-line block ×4, first 2 shown]
	v_sub_f32_e32 v27, v29, v39
	v_mul_f32_e32 v26, v37, v26
	v_sub_f32_e32 v27, v38, v27
	v_add_f32_e32 v26, v27, v26
	v_add_f32_e32 v30, v29, v26
	v_mul_f32_e32 v32, v30, v30
	v_mov_b32_e32 v27, 0x3ecc95a3
	v_sub_f32_e32 v29, v30, v29
	v_fmac_f32_e32 v27, 0x3e9b6dac, v32
	v_sub_f32_e32 v26, v26, v29
	v_fmaak_f32 v27, v32, v27, 0x3f2aaada
	v_ldexp_f32 v33, v26, 1
	v_mul_f32_e32 v29, v30, v32
	v_mov_b32_e32 v26, 0x3f317218
	v_pk_mul_f32 v[26:27], v[28:29], v[26:27]
	v_ldexp_f32 v31, v30, 1
	v_fma_f32 v29, v28, s2, -v26
	v_fmamk_f32 v30, v28, 0xb102e308, v29
	v_pk_add_f32 v[28:29], v[26:27], v[30:31]
	v_mov_b32_e32 v32, v26
	v_sub_f32_e32 v31, v29, v31
	v_sub_f32_e32 v31, v27, v31
	v_add_f32_e32 v33, v33, v31
	v_pk_add_f32 v[26:27], v[28:29], v[26:27] neg_lo:[0,1] neg_hi:[0,1]
	v_pk_add_f32 v[34:35], v[28:29], v[32:33]
	v_mov_b32_e32 v31, v28
	v_mov_b32_e32 v27, v35
	v_pk_add_f32 v[36:37], v[30:31], v[26:27] neg_lo:[0,1] neg_hi:[0,1]
	v_pk_add_f32 v[26:27], v[30:31], v[26:27]
	v_mov_b32_e32 v32, v33
	v_mov_b32_e32 v30, v27
	v_pk_add_f32 v[38:39], v[30:31], v[28:29] neg_lo:[0,1] neg_hi:[0,1]
	v_mov_b32_e32 v26, v35
	v_mov_b32_e32 v31, v38
	v_pk_add_f32 v[40:41], v[34:35], v[30:31] neg_lo:[0,1] neg_hi:[0,1]
	v_mov_b32_e32 v34, v29
	v_mov_b32_e32 v35, v38
	;; [unrolled: 1-line block ×3, first 2 shown]
	v_pk_add_f32 v[26:27], v[26:27], v[34:35] neg_lo:[0,1] neg_hi:[0,1]
	v_mov_b32_e32 v33, v28
	v_pk_add_f32 v[26:27], v[32:33], v[26:27] neg_lo:[0,1] neg_hi:[0,1]
	v_mov_b32_e32 v40, v36
	v_pk_add_f32 v[28:29], v[40:41], v[26:27]
	s_mov_b32 s2, 0x33800000
	v_mov_b32_e32 v32, v29
	v_pk_add_f32 v[32:33], v[28:29], v[32:33]
	v_cmp_lt_f32_e64 s[66:67], |v42|, s2
	v_pk_add_f32 v[30:31], v[30:31], v[32:33]
	v_mov_b32_e32 v27, v32
	v_mov_b32_e32 v29, v30
	v_pk_add_f32 v[34:35], v[28:29], v[36:37] neg_lo:[0,1] neg_hi:[0,1]
	s_or_b64 s[62:63], s[62:63], s[66:67]
	v_sub_f32_e32 v28, v28, v34
	v_pk_add_f32 v[26:27], v[26:27], v[34:35] neg_lo:[0,1] neg_hi:[0,1]
	v_sub_f32_e32 v28, v36, v28
	v_add_f32_e32 v26, v26, v28
	v_add_f32_e32 v26, v26, v27
	;; [unrolled: 1-line block ×3, first 2 shown]
	v_cndmask_b32_e64 v26, v26, v42, s[62:63]
	v_add_f32_e32 v27, v22, v26
.LBB509_62:
	s_or_b64 exec, exec, s[64:65]
	v_bfe_u32 v22, v27, 16, 1
	s_movk_i32 s68, 0x7fff
	v_add3_u32 v22, v27, v22, s68
	v_and_b32_e32 v22, 0xffff0000, v22
	v_mov_b32_e32 v26, 0x7fc00000
	v_cmp_o_f32_e64 s[62:63], v27, v27
	s_nop 1
	v_cndmask_b32_e64 v29, v26, v22, s[62:63]
	v_lshlrev_b32_e32 v22, 16, v10
	v_max_f32_e32 v28, v29, v29
	v_max_f32_e32 v27, v22, v22
	v_min_f32_e32 v30, v28, v27
	v_cmp_u_f32_e64 s[64:65], v29, v29
	v_max_f32_e32 v28, v28, v27
	v_cmp_u_f32_e64 s[62:63], v22, v22
	v_cndmask_b32_e64 v30, v30, v29, s[64:65]
	v_cndmask_b32_e64 v28, v28, v29, s[64:65]
	;; [unrolled: 1-line block ×4, first 2 shown]
	v_cmp_neq_f32_e64 s[64:65], v30, v28
	v_cmp_class_f32_e64 s[66:67], v30, s33
	s_or_b64 s[64:65], s[64:65], s[66:67]
	s_and_saveexec_b64 s[66:67], s[64:65]
	s_cbranch_execz .LBB509_64
; %bb.63:
	v_sub_f32_e32 v29, v30, v28
	s_mov_b32 s2, 0x3fb8aa3b
	v_mul_f32_e32 v30, 0x3fb8aa3b, v29
	v_fma_f32 v31, v29, s2, -v30
	v_rndne_f32_e32 v32, v30
	v_fmamk_f32 v31, v29, 0x32a5705f, v31
	v_sub_f32_e32 v30, v30, v32
	v_add_f32_e32 v30, v30, v31
	v_exp_f32_e32 v30, v30
	v_cvt_i32_f32_e32 v31, v32
	s_mov_b32 s2, 0xc2ce8ed0
	v_cmp_ngt_f32_e64 s[64:65], s2, v29
	s_mov_b32 s2, 0x42b17218
	v_ldexp_f32 v30, v30, v31
	v_cndmask_b32_e64 v30, 0, v30, s[64:65]
	v_mov_b32_e32 v31, 0x7f800000
	v_cmp_nlt_f32_e64 s[64:65], s2, v29
	s_mov_b32 s2, 0x3f2aaaab
	s_mov_b32 s3, 0x7f800000
	v_cndmask_b32_e64 v46, v31, v30, s[64:65]
	v_add_f32_e32 v29, 1.0, v46
	v_add_f32_e32 v30, -1.0, v29
	v_sub_f32_e32 v31, v30, v29
	v_add_f32_e32 v31, 1.0, v31
	v_sub_f32_e32 v30, v46, v30
	v_add_f32_e32 v32, v30, v31
	v_frexp_mant_f32_e32 v33, v29
	v_cvt_f64_f32_e32 v[30:31], v29
	v_frexp_exp_i32_f64_e32 v30, v[30:31]
	v_cmp_gt_f32_e64 s[64:65], s2, v33
	s_mov_b32 s2, 0x3f317218
	s_nop 0
	v_subbrev_co_u32_e64 v38, s[64:65], 0, v30, s[64:65]
	v_sub_u32_e32 v30, 0, v38
	v_ldexp_f32 v29, v29, v30
	v_ldexp_f32 v30, v32, v30
	v_add_f32_e32 v32, -1.0, v29
	v_add_f32_e32 v31, 1.0, v32
	v_sub_f32_e32 v31, v29, v31
	v_add_f32_e32 v33, v30, v31
	v_add_f32_e32 v31, 1.0, v29
	v_add_f32_e32 v34, -1.0, v31
	v_sub_f32_e32 v29, v29, v34
	v_add_f32_e32 v29, v30, v29
	v_add_f32_e32 v39, v31, v29
	v_rcp_f32_e32 v40, v39
	v_sub_f32_e32 v30, v31, v39
	v_add_f32_e32 v31, v32, v33
	v_add_f32_e32 v29, v29, v30
	v_mul_f32_e32 v42, v31, v40
	v_sub_f32_e32 v30, v32, v31
	v_mul_f32_e32 v32, v39, v42
	v_fma_f32 v34, v42, v39, -v32
	v_fmac_f32_e32 v34, v42, v29
	v_add_f32_e32 v41, v33, v30
	v_add_f32_e32 v30, v32, v34
	v_sub_f32_e32 v33, v31, v30
	v_pk_add_f32 v[36:37], v[30:31], v[32:33] neg_lo:[0,1] neg_hi:[0,1]
	v_mov_b32_e32 v35, v30
	v_pk_add_f32 v[30:31], v[36:37], v[34:35] neg_lo:[0,1] neg_hi:[0,1]
	v_cmp_eq_f32_e64 s[64:65], s3, v46
	v_add_f32_e32 v31, v41, v31
	v_add_f32_e32 v30, v30, v31
	v_add_f32_e32 v31, v33, v30
	v_mul_f32_e32 v41, v40, v31
	v_mul_f32_e32 v32, v39, v41
	v_fma_f32 v34, v41, v39, -v32
	v_fmac_f32_e32 v34, v41, v29
	v_sub_f32_e32 v29, v33, v31
	v_add_f32_e32 v29, v30, v29
	v_add_f32_e32 v30, v32, v34
	v_sub_f32_e32 v33, v31, v30
	v_pk_add_f32 v[36:37], v[30:31], v[32:33] neg_lo:[0,1] neg_hi:[0,1]
	v_mov_b32_e32 v35, v30
	v_pk_add_f32 v[30:31], v[36:37], v[34:35] neg_lo:[0,1] neg_hi:[0,1]
	v_cvt_f32_i32_e32 v32, v38
	v_add_f32_e32 v29, v29, v31
	v_add_f32_e32 v29, v30, v29
	;; [unrolled: 1-line block ×4, first 2 shown]
	v_sub_f32_e32 v31, v30, v42
	v_mul_f32_e32 v29, v40, v29
	v_sub_f32_e32 v31, v41, v31
	v_add_f32_e32 v29, v31, v29
	v_add_f32_e32 v33, v30, v29
	v_mul_f32_e32 v34, v33, v33
	v_mov_b32_e32 v31, 0x3ecc95a3
	v_fmac_f32_e32 v31, 0x3e9b6dac, v34
	v_sub_f32_e32 v30, v33, v30
	v_fmaak_f32 v31, v34, v31, 0x3f2aaada
	v_sub_f32_e32 v29, v29, v30
	v_ldexp_f32 v35, v33, 1
	v_mul_f32_e32 v33, v33, v34
	v_mov_b32_e32 v30, 0x3f317218
	v_pk_mul_f32 v[30:31], v[32:33], v[30:31]
	v_ldexp_f32 v29, v29, 1
	v_fma_f32 v33, v32, s2, -v30
	v_fmamk_f32 v34, v32, 0xb102e308, v33
	v_pk_add_f32 v[32:33], v[30:31], v[34:35]
	v_mov_b32_e32 v36, v30
	v_sub_f32_e32 v35, v33, v35
	v_sub_f32_e32 v35, v31, v35
	v_add_f32_e32 v37, v29, v35
	v_pk_add_f32 v[30:31], v[32:33], v[30:31] neg_lo:[0,1] neg_hi:[0,1]
	v_pk_add_f32 v[38:39], v[32:33], v[36:37]
	v_mov_b32_e32 v35, v32
	v_mov_b32_e32 v31, v39
	v_pk_add_f32 v[40:41], v[34:35], v[30:31] neg_lo:[0,1] neg_hi:[0,1]
	v_pk_add_f32 v[30:31], v[34:35], v[30:31]
	v_mov_b32_e32 v36, v37
	v_mov_b32_e32 v34, v31
	v_pk_add_f32 v[42:43], v[34:35], v[32:33] neg_lo:[0,1] neg_hi:[0,1]
	v_mov_b32_e32 v30, v39
	v_mov_b32_e32 v29, v42
	v_pk_add_f32 v[44:45], v[38:39], v[28:29] neg_lo:[0,1] neg_hi:[0,1]
	v_mov_b32_e32 v38, v33
	v_mov_b32_e32 v39, v42
	v_mov_b32_e32 v41, v31
	v_pk_add_f32 v[30:31], v[30:31], v[38:39] neg_lo:[0,1] neg_hi:[0,1]
	v_mov_b32_e32 v37, v32
	v_pk_add_f32 v[30:31], v[36:37], v[30:31] neg_lo:[0,1] neg_hi:[0,1]
	v_mov_b32_e32 v44, v40
	v_pk_add_f32 v[32:33], v[44:45], v[30:31]
	s_mov_b32 s2, 0x33800000
	v_mov_b32_e32 v36, v33
	v_pk_add_f32 v[36:37], v[32:33], v[36:37]
	v_cmp_lt_f32_e64 s[70:71], |v46|, s2
	v_pk_add_f32 v[34:35], v[34:35], v[36:37]
	v_mov_b32_e32 v31, v36
	v_mov_b32_e32 v33, v34
	v_pk_add_f32 v[38:39], v[32:33], v[40:41] neg_lo:[0,1] neg_hi:[0,1]
	s_or_b64 s[64:65], s[64:65], s[70:71]
	v_sub_f32_e32 v29, v32, v38
	v_pk_add_f32 v[30:31], v[30:31], v[38:39] neg_lo:[0,1] neg_hi:[0,1]
	v_sub_f32_e32 v29, v40, v29
	v_add_f32_e32 v29, v30, v29
	v_add_f32_e32 v29, v29, v31
	;; [unrolled: 1-line block ×3, first 2 shown]
	v_cndmask_b32_e64 v29, v29, v46, s[64:65]
	v_add_f32_e32 v29, v28, v29
.LBB509_64:
	s_or_b64 exec, exec, s[66:67]
	v_bfe_u32 v28, v29, 16, 1
	v_add3_u32 v28, v29, v28, s68
	v_and_b32_e32 v28, 0xffff0000, v28
	v_cmp_o_f32_e64 s[64:65], v29, v29
	v_and_b32_e32 v10, 0xffff0000, v10
	s_nop 0
	v_cndmask_b32_e64 v30, v26, v28, s[64:65]
	v_max_f32_e32 v26, v30, v30
	v_max_f32_e32 v28, v10, v10
	v_min_f32_e32 v29, v26, v28
	v_cmp_u_f32_e64 s[66:67], v30, v30
	v_max_f32_e32 v26, v26, v28
	v_cmp_u_f32_e64 s[64:65], v10, v10
	v_cndmask_b32_e64 v29, v29, v30, s[66:67]
	v_cndmask_b32_e64 v26, v26, v30, s[66:67]
	;; [unrolled: 1-line block ×4, first 2 shown]
	v_cmp_neq_f32_e64 s[66:67], v29, v26
	v_cmp_class_f32_e64 s[68:69], v29, s33
	s_or_b64 s[66:67], s[66:67], s[68:69]
	s_and_saveexec_b64 s[68:69], s[66:67]
	s_cbranch_execz .LBB509_66
; %bb.65:
	v_sub_f32_e32 v29, v29, v26
	s_mov_b32 s2, 0x3fb8aa3b
	v_mul_f32_e32 v30, 0x3fb8aa3b, v29
	v_fma_f32 v31, v29, s2, -v30
	v_rndne_f32_e32 v32, v30
	v_fmamk_f32 v31, v29, 0x32a5705f, v31
	v_sub_f32_e32 v30, v30, v32
	v_add_f32_e32 v30, v30, v31
	v_exp_f32_e32 v30, v30
	v_cvt_i32_f32_e32 v31, v32
	s_mov_b32 s2, 0xc2ce8ed0
	v_cmp_ngt_f32_e64 s[66:67], s2, v29
	s_mov_b32 s2, 0x42b17218
	v_ldexp_f32 v30, v30, v31
	v_cndmask_b32_e64 v30, 0, v30, s[66:67]
	v_mov_b32_e32 v31, 0x7f800000
	v_cmp_nlt_f32_e64 s[66:67], s2, v29
	s_mov_b32 s2, 0x3f2aaaab
	s_mov_b32 s3, 0x7f800000
	v_cndmask_b32_e64 v46, v31, v30, s[66:67]
	v_add_f32_e32 v29, 1.0, v46
	v_add_f32_e32 v30, -1.0, v29
	v_sub_f32_e32 v31, v30, v29
	v_add_f32_e32 v31, 1.0, v31
	v_sub_f32_e32 v30, v46, v30
	v_add_f32_e32 v32, v30, v31
	v_frexp_mant_f32_e32 v33, v29
	v_cvt_f64_f32_e32 v[30:31], v29
	v_frexp_exp_i32_f64_e32 v30, v[30:31]
	v_cmp_gt_f32_e64 s[66:67], s2, v33
	s_mov_b32 s2, 0x3f317218
	s_nop 0
	v_subbrev_co_u32_e64 v38, s[66:67], 0, v30, s[66:67]
	v_sub_u32_e32 v30, 0, v38
	v_ldexp_f32 v29, v29, v30
	v_ldexp_f32 v30, v32, v30
	v_add_f32_e32 v32, -1.0, v29
	v_add_f32_e32 v31, 1.0, v32
	v_sub_f32_e32 v31, v29, v31
	v_add_f32_e32 v33, v30, v31
	v_add_f32_e32 v31, 1.0, v29
	v_add_f32_e32 v34, -1.0, v31
	v_sub_f32_e32 v29, v29, v34
	v_add_f32_e32 v29, v30, v29
	v_add_f32_e32 v39, v31, v29
	v_rcp_f32_e32 v40, v39
	v_sub_f32_e32 v30, v31, v39
	v_add_f32_e32 v31, v32, v33
	v_add_f32_e32 v29, v29, v30
	v_mul_f32_e32 v42, v31, v40
	v_sub_f32_e32 v30, v32, v31
	v_mul_f32_e32 v32, v39, v42
	v_fma_f32 v34, v42, v39, -v32
	v_fmac_f32_e32 v34, v42, v29
	v_add_f32_e32 v41, v33, v30
	v_add_f32_e32 v30, v32, v34
	v_sub_f32_e32 v33, v31, v30
	v_pk_add_f32 v[36:37], v[30:31], v[32:33] neg_lo:[0,1] neg_hi:[0,1]
	v_mov_b32_e32 v35, v30
	v_pk_add_f32 v[30:31], v[36:37], v[34:35] neg_lo:[0,1] neg_hi:[0,1]
	v_cmp_eq_f32_e64 s[66:67], s3, v46
	v_add_f32_e32 v31, v41, v31
	v_add_f32_e32 v30, v30, v31
	;; [unrolled: 1-line block ×3, first 2 shown]
	v_mul_f32_e32 v41, v40, v31
	v_mul_f32_e32 v32, v39, v41
	v_fma_f32 v34, v41, v39, -v32
	v_fmac_f32_e32 v34, v41, v29
	v_sub_f32_e32 v29, v33, v31
	v_add_f32_e32 v29, v30, v29
	v_add_f32_e32 v30, v32, v34
	v_sub_f32_e32 v33, v31, v30
	v_pk_add_f32 v[36:37], v[30:31], v[32:33] neg_lo:[0,1] neg_hi:[0,1]
	v_mov_b32_e32 v35, v30
	v_pk_add_f32 v[30:31], v[36:37], v[34:35] neg_lo:[0,1] neg_hi:[0,1]
	v_cvt_f32_i32_e32 v32, v38
	v_add_f32_e32 v29, v29, v31
	v_add_f32_e32 v29, v30, v29
	;; [unrolled: 1-line block ×4, first 2 shown]
	v_sub_f32_e32 v31, v30, v42
	v_mul_f32_e32 v29, v40, v29
	v_sub_f32_e32 v31, v41, v31
	v_add_f32_e32 v29, v31, v29
	v_add_f32_e32 v33, v30, v29
	v_mul_f32_e32 v34, v33, v33
	v_mov_b32_e32 v31, 0x3ecc95a3
	v_fmac_f32_e32 v31, 0x3e9b6dac, v34
	v_sub_f32_e32 v30, v33, v30
	v_fmaak_f32 v31, v34, v31, 0x3f2aaada
	v_sub_f32_e32 v29, v29, v30
	v_ldexp_f32 v35, v33, 1
	v_mul_f32_e32 v33, v33, v34
	v_mov_b32_e32 v30, 0x3f317218
	v_pk_mul_f32 v[30:31], v[32:33], v[30:31]
	v_ldexp_f32 v29, v29, 1
	v_fma_f32 v33, v32, s2, -v30
	v_fmamk_f32 v34, v32, 0xb102e308, v33
	v_pk_add_f32 v[32:33], v[30:31], v[34:35]
	v_mov_b32_e32 v36, v30
	v_sub_f32_e32 v35, v33, v35
	v_sub_f32_e32 v35, v31, v35
	v_add_f32_e32 v37, v29, v35
	v_pk_add_f32 v[30:31], v[32:33], v[30:31] neg_lo:[0,1] neg_hi:[0,1]
	v_pk_add_f32 v[38:39], v[32:33], v[36:37]
	v_mov_b32_e32 v35, v32
	v_mov_b32_e32 v31, v39
	v_pk_add_f32 v[40:41], v[34:35], v[30:31] neg_lo:[0,1] neg_hi:[0,1]
	v_pk_add_f32 v[30:31], v[34:35], v[30:31]
	v_mov_b32_e32 v36, v37
	v_mov_b32_e32 v34, v31
	v_pk_add_f32 v[42:43], v[34:35], v[32:33] neg_lo:[0,1] neg_hi:[0,1]
	v_mov_b32_e32 v30, v39
	v_mov_b32_e32 v29, v42
	v_pk_add_f32 v[44:45], v[38:39], v[28:29] neg_lo:[0,1] neg_hi:[0,1]
	v_mov_b32_e32 v38, v33
	v_mov_b32_e32 v39, v42
	;; [unrolled: 1-line block ×3, first 2 shown]
	v_pk_add_f32 v[30:31], v[30:31], v[38:39] neg_lo:[0,1] neg_hi:[0,1]
	v_mov_b32_e32 v37, v32
	v_pk_add_f32 v[30:31], v[36:37], v[30:31] neg_lo:[0,1] neg_hi:[0,1]
	v_mov_b32_e32 v44, v40
	v_pk_add_f32 v[32:33], v[44:45], v[30:31]
	s_mov_b32 s2, 0x33800000
	v_mov_b32_e32 v36, v33
	v_pk_add_f32 v[36:37], v[32:33], v[36:37]
	v_cmp_lt_f32_e64 s[70:71], |v46|, s2
	v_pk_add_f32 v[34:35], v[34:35], v[36:37]
	v_mov_b32_e32 v31, v36
	v_mov_b32_e32 v33, v34
	v_pk_add_f32 v[38:39], v[32:33], v[40:41] neg_lo:[0,1] neg_hi:[0,1]
	s_or_b64 s[66:67], s[66:67], s[70:71]
	v_sub_f32_e32 v29, v32, v38
	v_pk_add_f32 v[30:31], v[30:31], v[38:39] neg_lo:[0,1] neg_hi:[0,1]
	v_sub_f32_e32 v29, v40, v29
	v_add_f32_e32 v29, v30, v29
	v_add_f32_e32 v29, v29, v31
	;; [unrolled: 1-line block ×3, first 2 shown]
	v_cndmask_b32_e64 v29, v29, v46, s[66:67]
	v_add_f32_e32 v30, v26, v29
.LBB509_66:
	s_or_b64 exec, exec, s[68:69]
	v_bfe_u32 v26, v30, 16, 1
	s_movk_i32 s72, 0x7fff
	v_add3_u32 v26, v30, v26, s72
	v_and_b32_e32 v26, 0xffff0000, v26
	v_mov_b32_e32 v29, 0x7fc00000
	v_cmp_o_f32_e64 s[66:67], v30, v30
	s_nop 1
	v_cndmask_b32_e64 v32, v29, v26, s[66:67]
	v_lshlrev_b32_e32 v26, 16, v11
	v_max_f32_e32 v31, v32, v32
	v_max_f32_e32 v30, v26, v26
	v_min_f32_e32 v33, v31, v30
	v_cmp_u_f32_e64 s[68:69], v32, v32
	v_max_f32_e32 v31, v31, v30
	v_cmp_u_f32_e64 s[66:67], v26, v26
	v_cndmask_b32_e64 v33, v33, v32, s[68:69]
	v_cndmask_b32_e64 v31, v31, v32, s[68:69]
	;; [unrolled: 1-line block ×4, first 2 shown]
	v_cmp_neq_f32_e64 s[68:69], v33, v31
	v_cmp_class_f32_e64 s[70:71], v33, s33
	s_or_b64 s[68:69], s[68:69], s[70:71]
	s_and_saveexec_b64 s[70:71], s[68:69]
	s_cbranch_execz .LBB509_68
; %bb.67:
	v_sub_f32_e32 v32, v33, v31
	s_mov_b32 s2, 0x3fb8aa3b
	v_mul_f32_e32 v33, 0x3fb8aa3b, v32
	v_fma_f32 v34, v32, s2, -v33
	v_rndne_f32_e32 v35, v33
	v_fmamk_f32 v34, v32, 0x32a5705f, v34
	v_sub_f32_e32 v33, v33, v35
	v_add_f32_e32 v33, v33, v34
	v_exp_f32_e32 v33, v33
	v_cvt_i32_f32_e32 v34, v35
	s_mov_b32 s2, 0xc2ce8ed0
	v_cmp_ngt_f32_e64 s[68:69], s2, v32
	s_mov_b32 s2, 0x42b17218
	v_ldexp_f32 v33, v33, v34
	v_cndmask_b32_e64 v33, 0, v33, s[68:69]
	v_mov_b32_e32 v34, 0x7f800000
	v_cmp_nlt_f32_e64 s[68:69], s2, v32
	s_mov_b32 s2, 0x3f2aaaab
	s_mov_b32 s3, 0x7f800000
	v_cndmask_b32_e64 v48, v34, v33, s[68:69]
	v_add_f32_e32 v34, 1.0, v48
	v_add_f32_e32 v32, -1.0, v34
	v_sub_f32_e32 v33, v32, v34
	v_add_f32_e32 v33, 1.0, v33
	v_sub_f32_e32 v32, v48, v32
	v_add_f32_e32 v35, v32, v33
	v_frexp_mant_f32_e32 v36, v34
	v_cvt_f64_f32_e32 v[32:33], v34
	v_frexp_exp_i32_f64_e32 v32, v[32:33]
	v_cmp_gt_f32_e64 s[68:69], s2, v36
	s_mov_b32 s2, 0x3f317218
	s_nop 0
	v_subbrev_co_u32_e64 v40, s[68:69], 0, v32, s[68:69]
	v_sub_u32_e32 v32, 0, v40
	v_ldexp_f32 v33, v34, v32
	v_add_f32_e32 v34, -1.0, v33
	v_add_f32_e32 v36, 1.0, v33
	v_ldexp_f32 v32, v35, v32
	v_add_f32_e32 v35, 1.0, v34
	v_add_f32_e32 v37, -1.0, v36
	v_sub_f32_e32 v35, v33, v35
	v_sub_f32_e32 v33, v33, v37
	v_add_f32_e32 v35, v32, v35
	v_add_f32_e32 v32, v32, v33
	;; [unrolled: 1-line block ×3, first 2 shown]
	v_rcp_f32_e32 v43, v41
	v_sub_f32_e32 v33, v36, v41
	v_add_f32_e32 v42, v32, v33
	v_add_f32_e32 v33, v34, v35
	v_mul_f32_e32 v45, v33, v43
	v_sub_f32_e32 v32, v34, v33
	v_mul_f32_e32 v34, v41, v45
	v_fma_f32 v36, v45, v41, -v34
	v_fmac_f32_e32 v36, v45, v42
	v_add_f32_e32 v44, v35, v32
	v_add_f32_e32 v32, v34, v36
	v_sub_f32_e32 v35, v33, v32
	v_pk_add_f32 v[38:39], v[32:33], v[34:35] neg_lo:[0,1] neg_hi:[0,1]
	v_mov_b32_e32 v37, v32
	v_pk_add_f32 v[32:33], v[38:39], v[36:37] neg_lo:[0,1] neg_hi:[0,1]
	v_cmp_eq_f32_e64 s[68:69], s3, v48
	v_add_f32_e32 v33, v44, v33
	v_add_f32_e32 v32, v32, v33
	;; [unrolled: 1-line block ×3, first 2 shown]
	v_mul_f32_e32 v44, v43, v33
	v_mul_f32_e32 v34, v41, v44
	v_fma_f32 v36, v44, v41, -v34
	v_fmac_f32_e32 v36, v44, v42
	v_sub_f32_e32 v35, v35, v33
	v_add_f32_e32 v41, v32, v35
	v_add_f32_e32 v32, v34, v36
	v_sub_f32_e32 v35, v33, v32
	v_pk_add_f32 v[38:39], v[32:33], v[34:35] neg_lo:[0,1] neg_hi:[0,1]
	v_mov_b32_e32 v37, v32
	v_pk_add_f32 v[32:33], v[38:39], v[36:37] neg_lo:[0,1] neg_hi:[0,1]
	v_cvt_f32_i32_e32 v34, v40
	v_add_f32_e32 v33, v41, v33
	v_add_f32_e32 v32, v32, v33
	;; [unrolled: 1-line block ×4, first 2 shown]
	v_sub_f32_e32 v33, v35, v45
	v_mul_f32_e32 v32, v43, v32
	v_sub_f32_e32 v33, v44, v33
	v_add_f32_e32 v32, v33, v32
	v_add_f32_e32 v36, v35, v32
	v_mul_f32_e32 v38, v36, v36
	v_mov_b32_e32 v33, 0x3ecc95a3
	v_sub_f32_e32 v35, v36, v35
	v_fmac_f32_e32 v33, 0x3e9b6dac, v38
	v_sub_f32_e32 v32, v32, v35
	v_fmaak_f32 v33, v38, v33, 0x3f2aaada
	v_ldexp_f32 v39, v32, 1
	v_mul_f32_e32 v35, v36, v38
	v_mov_b32_e32 v32, 0x3f317218
	v_pk_mul_f32 v[32:33], v[34:35], v[32:33]
	v_ldexp_f32 v37, v36, 1
	v_fma_f32 v35, v34, s2, -v32
	v_fmamk_f32 v36, v34, 0xb102e308, v35
	v_pk_add_f32 v[34:35], v[32:33], v[36:37]
	v_mov_b32_e32 v38, v32
	v_sub_f32_e32 v37, v35, v37
	v_sub_f32_e32 v37, v33, v37
	v_add_f32_e32 v39, v39, v37
	v_pk_add_f32 v[32:33], v[34:35], v[32:33] neg_lo:[0,1] neg_hi:[0,1]
	v_pk_add_f32 v[40:41], v[34:35], v[38:39]
	v_mov_b32_e32 v37, v34
	v_mov_b32_e32 v33, v41
	v_pk_add_f32 v[42:43], v[36:37], v[32:33] neg_lo:[0,1] neg_hi:[0,1]
	v_pk_add_f32 v[32:33], v[36:37], v[32:33]
	v_mov_b32_e32 v38, v39
	v_mov_b32_e32 v36, v33
	v_pk_add_f32 v[44:45], v[36:37], v[34:35] neg_lo:[0,1] neg_hi:[0,1]
	v_mov_b32_e32 v32, v41
	v_mov_b32_e32 v37, v44
	v_pk_add_f32 v[46:47], v[40:41], v[36:37] neg_lo:[0,1] neg_hi:[0,1]
	v_mov_b32_e32 v40, v35
	v_mov_b32_e32 v41, v44
	;; [unrolled: 1-line block ×3, first 2 shown]
	v_pk_add_f32 v[32:33], v[32:33], v[40:41] neg_lo:[0,1] neg_hi:[0,1]
	v_mov_b32_e32 v39, v34
	v_pk_add_f32 v[32:33], v[38:39], v[32:33] neg_lo:[0,1] neg_hi:[0,1]
	v_mov_b32_e32 v46, v42
	v_pk_add_f32 v[34:35], v[46:47], v[32:33]
	s_mov_b32 s2, 0x33800000
	v_mov_b32_e32 v38, v35
	v_pk_add_f32 v[38:39], v[34:35], v[38:39]
	v_cmp_lt_f32_e64 s[74:75], |v48|, s2
	v_pk_add_f32 v[36:37], v[36:37], v[38:39]
	v_mov_b32_e32 v33, v38
	v_mov_b32_e32 v35, v36
	v_pk_add_f32 v[40:41], v[34:35], v[42:43] neg_lo:[0,1] neg_hi:[0,1]
	s_or_b64 s[68:69], s[68:69], s[74:75]
	v_sub_f32_e32 v34, v34, v40
	v_pk_add_f32 v[32:33], v[32:33], v[40:41] neg_lo:[0,1] neg_hi:[0,1]
	v_sub_f32_e32 v34, v42, v34
	v_add_f32_e32 v32, v32, v34
	v_add_f32_e32 v32, v32, v33
	;; [unrolled: 1-line block ×3, first 2 shown]
	v_cndmask_b32_e64 v32, v32, v48, s[68:69]
	v_add_f32_e32 v32, v31, v32
.LBB509_68:
	s_or_b64 exec, exec, s[70:71]
	v_bfe_u32 v31, v32, 16, 1
	v_add3_u32 v31, v32, v31, s72
	v_and_b32_e32 v31, 0xffff0000, v31
	v_cmp_o_f32_e64 s[68:69], v32, v32
	v_and_b32_e32 v11, 0xffff0000, v11
	s_nop 0
	v_cndmask_b32_e64 v33, v29, v31, s[68:69]
	v_max_f32_e32 v29, v33, v33
	v_max_f32_e32 v31, v11, v11
	v_min_f32_e32 v32, v29, v31
	v_cmp_u_f32_e64 s[70:71], v33, v33
	v_max_f32_e32 v29, v29, v31
	v_cmp_u_f32_e64 s[68:69], v11, v11
	v_cndmask_b32_e64 v32, v32, v33, s[70:71]
	v_cndmask_b32_e64 v29, v29, v33, s[70:71]
	;; [unrolled: 1-line block ×4, first 2 shown]
	v_cmp_neq_f32_e64 s[70:71], v32, v29
	v_cmp_class_f32_e64 s[72:73], v32, s33
	s_or_b64 s[70:71], s[70:71], s[72:73]
	s_and_saveexec_b64 s[72:73], s[70:71]
	s_cbranch_execz .LBB509_70
; %bb.69:
	v_sub_f32_e32 v32, v32, v29
	s_mov_b32 s2, 0x3fb8aa3b
	v_mul_f32_e32 v33, 0x3fb8aa3b, v32
	v_fma_f32 v34, v32, s2, -v33
	v_rndne_f32_e32 v35, v33
	v_fmamk_f32 v34, v32, 0x32a5705f, v34
	v_sub_f32_e32 v33, v33, v35
	v_add_f32_e32 v33, v33, v34
	v_exp_f32_e32 v33, v33
	v_cvt_i32_f32_e32 v34, v35
	s_mov_b32 s2, 0xc2ce8ed0
	v_cmp_ngt_f32_e64 s[70:71], s2, v32
	s_mov_b32 s2, 0x42b17218
	v_ldexp_f32 v33, v33, v34
	v_cndmask_b32_e64 v33, 0, v33, s[70:71]
	v_mov_b32_e32 v34, 0x7f800000
	v_cmp_nlt_f32_e64 s[70:71], s2, v32
	s_mov_b32 s2, 0x3f2aaaab
	s_mov_b32 s3, 0x7f800000
	v_cndmask_b32_e64 v48, v34, v33, s[70:71]
	v_add_f32_e32 v34, 1.0, v48
	v_add_f32_e32 v32, -1.0, v34
	v_sub_f32_e32 v33, v32, v34
	v_add_f32_e32 v33, 1.0, v33
	v_sub_f32_e32 v32, v48, v32
	v_add_f32_e32 v35, v32, v33
	v_frexp_mant_f32_e32 v36, v34
	v_cvt_f64_f32_e32 v[32:33], v34
	v_frexp_exp_i32_f64_e32 v32, v[32:33]
	v_cmp_gt_f32_e64 s[70:71], s2, v36
	s_mov_b32 s2, 0x3f317218
	s_nop 0
	v_subbrev_co_u32_e64 v40, s[70:71], 0, v32, s[70:71]
	v_sub_u32_e32 v32, 0, v40
	v_ldexp_f32 v33, v34, v32
	v_add_f32_e32 v34, -1.0, v33
	v_add_f32_e32 v36, 1.0, v33
	v_ldexp_f32 v32, v35, v32
	v_add_f32_e32 v35, 1.0, v34
	v_add_f32_e32 v37, -1.0, v36
	v_sub_f32_e32 v35, v33, v35
	v_sub_f32_e32 v33, v33, v37
	v_add_f32_e32 v35, v32, v35
	v_add_f32_e32 v32, v32, v33
	;; [unrolled: 1-line block ×3, first 2 shown]
	v_rcp_f32_e32 v43, v41
	v_sub_f32_e32 v33, v36, v41
	v_add_f32_e32 v42, v32, v33
	v_add_f32_e32 v33, v34, v35
	v_mul_f32_e32 v45, v33, v43
	v_sub_f32_e32 v32, v34, v33
	v_mul_f32_e32 v34, v41, v45
	v_fma_f32 v36, v45, v41, -v34
	v_fmac_f32_e32 v36, v45, v42
	v_add_f32_e32 v44, v35, v32
	v_add_f32_e32 v32, v34, v36
	v_sub_f32_e32 v35, v33, v32
	v_pk_add_f32 v[38:39], v[32:33], v[34:35] neg_lo:[0,1] neg_hi:[0,1]
	v_mov_b32_e32 v37, v32
	v_pk_add_f32 v[32:33], v[38:39], v[36:37] neg_lo:[0,1] neg_hi:[0,1]
	v_cmp_eq_f32_e64 s[70:71], s3, v48
	v_add_f32_e32 v33, v44, v33
	v_add_f32_e32 v32, v32, v33
	;; [unrolled: 1-line block ×3, first 2 shown]
	v_mul_f32_e32 v44, v43, v33
	v_mul_f32_e32 v34, v41, v44
	v_fma_f32 v36, v44, v41, -v34
	v_fmac_f32_e32 v36, v44, v42
	v_sub_f32_e32 v35, v35, v33
	v_add_f32_e32 v41, v32, v35
	v_add_f32_e32 v32, v34, v36
	v_sub_f32_e32 v35, v33, v32
	v_pk_add_f32 v[38:39], v[32:33], v[34:35] neg_lo:[0,1] neg_hi:[0,1]
	v_mov_b32_e32 v37, v32
	v_pk_add_f32 v[32:33], v[38:39], v[36:37] neg_lo:[0,1] neg_hi:[0,1]
	v_cvt_f32_i32_e32 v34, v40
	v_add_f32_e32 v33, v41, v33
	v_add_f32_e32 v32, v32, v33
	;; [unrolled: 1-line block ×4, first 2 shown]
	v_sub_f32_e32 v33, v35, v45
	v_mul_f32_e32 v32, v43, v32
	v_sub_f32_e32 v33, v44, v33
	v_add_f32_e32 v32, v33, v32
	v_add_f32_e32 v36, v35, v32
	v_mul_f32_e32 v38, v36, v36
	v_mov_b32_e32 v33, 0x3ecc95a3
	v_sub_f32_e32 v35, v36, v35
	v_fmac_f32_e32 v33, 0x3e9b6dac, v38
	v_sub_f32_e32 v32, v32, v35
	v_fmaak_f32 v33, v38, v33, 0x3f2aaada
	v_ldexp_f32 v39, v32, 1
	v_mul_f32_e32 v35, v36, v38
	v_mov_b32_e32 v32, 0x3f317218
	v_pk_mul_f32 v[32:33], v[34:35], v[32:33]
	v_ldexp_f32 v37, v36, 1
	v_fma_f32 v35, v34, s2, -v32
	v_fmamk_f32 v36, v34, 0xb102e308, v35
	v_pk_add_f32 v[34:35], v[32:33], v[36:37]
	v_mov_b32_e32 v38, v32
	v_sub_f32_e32 v37, v35, v37
	v_sub_f32_e32 v37, v33, v37
	v_add_f32_e32 v39, v39, v37
	v_pk_add_f32 v[32:33], v[34:35], v[32:33] neg_lo:[0,1] neg_hi:[0,1]
	v_pk_add_f32 v[40:41], v[34:35], v[38:39]
	v_mov_b32_e32 v37, v34
	v_mov_b32_e32 v33, v41
	v_pk_add_f32 v[42:43], v[36:37], v[32:33] neg_lo:[0,1] neg_hi:[0,1]
	v_pk_add_f32 v[32:33], v[36:37], v[32:33]
	v_mov_b32_e32 v38, v39
	v_mov_b32_e32 v36, v33
	v_pk_add_f32 v[44:45], v[36:37], v[34:35] neg_lo:[0,1] neg_hi:[0,1]
	v_mov_b32_e32 v32, v41
	v_mov_b32_e32 v37, v44
	v_pk_add_f32 v[46:47], v[40:41], v[36:37] neg_lo:[0,1] neg_hi:[0,1]
	v_mov_b32_e32 v40, v35
	v_mov_b32_e32 v41, v44
	;; [unrolled: 1-line block ×3, first 2 shown]
	v_pk_add_f32 v[32:33], v[32:33], v[40:41] neg_lo:[0,1] neg_hi:[0,1]
	v_mov_b32_e32 v39, v34
	v_pk_add_f32 v[32:33], v[38:39], v[32:33] neg_lo:[0,1] neg_hi:[0,1]
	v_mov_b32_e32 v46, v42
	v_pk_add_f32 v[34:35], v[46:47], v[32:33]
	s_mov_b32 s2, 0x33800000
	v_mov_b32_e32 v38, v35
	v_pk_add_f32 v[38:39], v[34:35], v[38:39]
	v_cmp_lt_f32_e64 s[74:75], |v48|, s2
	v_pk_add_f32 v[36:37], v[36:37], v[38:39]
	v_mov_b32_e32 v33, v38
	v_mov_b32_e32 v35, v36
	v_pk_add_f32 v[40:41], v[34:35], v[42:43] neg_lo:[0,1] neg_hi:[0,1]
	s_or_b64 s[70:71], s[70:71], s[74:75]
	v_sub_f32_e32 v34, v34, v40
	v_pk_add_f32 v[32:33], v[32:33], v[40:41] neg_lo:[0,1] neg_hi:[0,1]
	v_sub_f32_e32 v34, v42, v34
	v_add_f32_e32 v32, v32, v34
	v_add_f32_e32 v32, v32, v33
	;; [unrolled: 1-line block ×3, first 2 shown]
	v_cndmask_b32_e64 v32, v32, v48, s[70:71]
	v_add_f32_e32 v33, v29, v32
.LBB509_70:
	s_or_b64 exec, exec, s[72:73]
	v_bfe_u32 v29, v33, 16, 1
	s_movk_i32 s76, 0x7fff
	v_add3_u32 v29, v33, v29, s76
	v_and_b32_e32 v29, 0xffff0000, v29
	v_mov_b32_e32 v32, 0x7fc00000
	v_cmp_o_f32_e64 s[70:71], v33, v33
	s_nop 1
	v_cndmask_b32_e64 v35, v32, v29, s[70:71]
	v_lshlrev_b32_e32 v29, 16, v12
	v_max_f32_e32 v34, v35, v35
	v_max_f32_e32 v33, v29, v29
	v_min_f32_e32 v36, v34, v33
	v_cmp_u_f32_e64 s[72:73], v35, v35
	v_max_f32_e32 v34, v34, v33
	v_cmp_u_f32_e64 s[70:71], v29, v29
	v_cndmask_b32_e64 v36, v36, v35, s[72:73]
	v_cndmask_b32_e64 v34, v34, v35, s[72:73]
	;; [unrolled: 1-line block ×4, first 2 shown]
	v_cmp_neq_f32_e64 s[72:73], v36, v34
	v_cmp_class_f32_e64 s[74:75], v36, s33
	s_or_b64 s[72:73], s[72:73], s[74:75]
	s_and_saveexec_b64 s[74:75], s[72:73]
	s_cbranch_execz .LBB509_72
; %bb.71:
	v_sub_f32_e32 v35, v36, v34
	s_mov_b32 s2, 0x3fb8aa3b
	v_mul_f32_e32 v36, 0x3fb8aa3b, v35
	v_fma_f32 v37, v35, s2, -v36
	v_rndne_f32_e32 v38, v36
	v_fmamk_f32 v37, v35, 0x32a5705f, v37
	v_sub_f32_e32 v36, v36, v38
	v_add_f32_e32 v36, v36, v37
	v_exp_f32_e32 v36, v36
	v_cvt_i32_f32_e32 v37, v38
	s_mov_b32 s2, 0xc2ce8ed0
	v_cmp_ngt_f32_e64 s[72:73], s2, v35
	s_mov_b32 s2, 0x42b17218
	v_ldexp_f32 v36, v36, v37
	v_cndmask_b32_e64 v36, 0, v36, s[72:73]
	v_mov_b32_e32 v37, 0x7f800000
	v_cmp_nlt_f32_e64 s[72:73], s2, v35
	s_mov_b32 s2, 0x3f2aaaab
	s_mov_b32 s3, 0x7f800000
	v_cndmask_b32_e64 v48, v37, v36, s[72:73]
	v_add_f32_e32 v35, 1.0, v48
	v_add_f32_e32 v36, -1.0, v35
	v_sub_f32_e32 v37, v36, v35
	v_add_f32_e32 v37, 1.0, v37
	v_sub_f32_e32 v36, v48, v36
	v_add_f32_e32 v38, v36, v37
	v_frexp_mant_f32_e32 v39, v35
	v_cvt_f64_f32_e32 v[36:37], v35
	v_frexp_exp_i32_f64_e32 v36, v[36:37]
	v_cmp_gt_f32_e64 s[72:73], s2, v39
	s_mov_b32 s2, 0x3f317218
	s_nop 0
	v_subbrev_co_u32_e64 v44, s[72:73], 0, v36, s[72:73]
	v_sub_u32_e32 v36, 0, v44
	v_ldexp_f32 v35, v35, v36
	v_ldexp_f32 v36, v38, v36
	v_add_f32_e32 v38, -1.0, v35
	v_add_f32_e32 v37, 1.0, v38
	v_sub_f32_e32 v37, v35, v37
	v_add_f32_e32 v39, v36, v37
	v_add_f32_e32 v37, 1.0, v35
	v_add_f32_e32 v40, -1.0, v37
	v_sub_f32_e32 v35, v35, v40
	v_add_f32_e32 v35, v36, v35
	v_add_f32_e32 v45, v37, v35
	v_rcp_f32_e32 v46, v45
	v_sub_f32_e32 v36, v37, v45
	v_add_f32_e32 v37, v38, v39
	v_add_f32_e32 v35, v35, v36
	v_mul_f32_e32 v53, v37, v46
	v_sub_f32_e32 v36, v38, v37
	v_mul_f32_e32 v38, v45, v53
	v_fma_f32 v40, v53, v45, -v38
	v_fmac_f32_e32 v40, v53, v35
	v_add_f32_e32 v47, v39, v36
	v_add_f32_e32 v36, v38, v40
	v_sub_f32_e32 v39, v37, v36
	v_pk_add_f32 v[42:43], v[36:37], v[38:39] neg_lo:[0,1] neg_hi:[0,1]
	v_mov_b32_e32 v41, v36
	v_pk_add_f32 v[36:37], v[42:43], v[40:41] neg_lo:[0,1] neg_hi:[0,1]
	v_cmp_eq_f32_e64 s[72:73], s3, v48
	v_add_f32_e32 v37, v47, v37
	v_add_f32_e32 v36, v36, v37
	;; [unrolled: 1-line block ×3, first 2 shown]
	v_mul_f32_e32 v47, v46, v37
	v_mul_f32_e32 v38, v45, v47
	v_fma_f32 v40, v47, v45, -v38
	v_fmac_f32_e32 v40, v47, v35
	v_sub_f32_e32 v35, v39, v37
	v_add_f32_e32 v35, v36, v35
	v_add_f32_e32 v36, v38, v40
	v_sub_f32_e32 v39, v37, v36
	v_pk_add_f32 v[42:43], v[36:37], v[38:39] neg_lo:[0,1] neg_hi:[0,1]
	v_mov_b32_e32 v41, v36
	v_pk_add_f32 v[36:37], v[42:43], v[40:41] neg_lo:[0,1] neg_hi:[0,1]
	v_cvt_f32_i32_e32 v38, v44
	v_add_f32_e32 v35, v35, v37
	v_add_f32_e32 v35, v36, v35
	;; [unrolled: 1-line block ×4, first 2 shown]
	v_sub_f32_e32 v37, v36, v53
	v_mul_f32_e32 v35, v46, v35
	v_sub_f32_e32 v37, v47, v37
	v_add_f32_e32 v35, v37, v35
	v_add_f32_e32 v39, v36, v35
	v_mul_f32_e32 v40, v39, v39
	v_mov_b32_e32 v37, 0x3ecc95a3
	v_fmac_f32_e32 v37, 0x3e9b6dac, v40
	v_sub_f32_e32 v36, v39, v36
	v_fmaak_f32 v37, v40, v37, 0x3f2aaada
	v_sub_f32_e32 v35, v35, v36
	v_ldexp_f32 v41, v39, 1
	v_mul_f32_e32 v39, v39, v40
	v_mov_b32_e32 v36, 0x3f317218
	v_pk_mul_f32 v[36:37], v[38:39], v[36:37]
	v_ldexp_f32 v35, v35, 1
	v_fma_f32 v39, v38, s2, -v36
	v_fmamk_f32 v40, v38, 0xb102e308, v39
	v_pk_add_f32 v[38:39], v[36:37], v[40:41]
	v_mov_b32_e32 v42, v36
	v_sub_f32_e32 v41, v39, v41
	v_sub_f32_e32 v41, v37, v41
	v_add_f32_e32 v43, v35, v41
	v_pk_add_f32 v[36:37], v[38:39], v[36:37] neg_lo:[0,1] neg_hi:[0,1]
	v_pk_add_f32 v[44:45], v[38:39], v[42:43]
	v_mov_b32_e32 v41, v38
	v_mov_b32_e32 v37, v45
	v_pk_add_f32 v[46:47], v[40:41], v[36:37] neg_lo:[0,1] neg_hi:[0,1]
	v_pk_add_f32 v[36:37], v[40:41], v[36:37]
	v_mov_b32_e32 v42, v43
	v_mov_b32_e32 v40, v37
	v_pk_add_f32 v[54:55], v[40:41], v[38:39] neg_lo:[0,1] neg_hi:[0,1]
	v_mov_b32_e32 v36, v45
	v_mov_b32_e32 v35, v54
	v_pk_add_f32 v[56:57], v[44:45], v[34:35] neg_lo:[0,1] neg_hi:[0,1]
	v_mov_b32_e32 v44, v39
	v_mov_b32_e32 v45, v54
	;; [unrolled: 1-line block ×3, first 2 shown]
	v_pk_add_f32 v[36:37], v[36:37], v[44:45] neg_lo:[0,1] neg_hi:[0,1]
	v_mov_b32_e32 v43, v38
	v_pk_add_f32 v[36:37], v[42:43], v[36:37] neg_lo:[0,1] neg_hi:[0,1]
	v_mov_b32_e32 v56, v46
	v_pk_add_f32 v[38:39], v[56:57], v[36:37]
	s_mov_b32 s2, 0x33800000
	v_mov_b32_e32 v42, v39
	v_pk_add_f32 v[42:43], v[38:39], v[42:43]
	v_cmp_lt_f32_e64 s[78:79], |v48|, s2
	v_pk_add_f32 v[40:41], v[40:41], v[42:43]
	v_mov_b32_e32 v37, v42
	v_mov_b32_e32 v39, v40
	v_pk_add_f32 v[44:45], v[38:39], v[46:47] neg_lo:[0,1] neg_hi:[0,1]
	s_or_b64 s[72:73], s[72:73], s[78:79]
	v_sub_f32_e32 v35, v38, v44
	v_pk_add_f32 v[36:37], v[36:37], v[44:45] neg_lo:[0,1] neg_hi:[0,1]
	v_sub_f32_e32 v35, v46, v35
	v_add_f32_e32 v35, v36, v35
	v_add_f32_e32 v35, v35, v37
	v_add_f32_e32 v35, v40, v35
	v_cndmask_b32_e64 v35, v35, v48, s[72:73]
	v_add_f32_e32 v35, v34, v35
.LBB509_72:
	s_or_b64 exec, exec, s[74:75]
	v_bfe_u32 v34, v35, 16, 1
	v_add3_u32 v34, v35, v34, s76
	v_and_b32_e32 v34, 0xffff0000, v34
	v_cmp_o_f32_e64 s[72:73], v35, v35
	v_and_b32_e32 v12, 0xffff0000, v12
	s_nop 0
	v_cndmask_b32_e64 v36, v32, v34, s[72:73]
	v_max_f32_e32 v32, v36, v36
	v_max_f32_e32 v34, v12, v12
	v_min_f32_e32 v35, v32, v34
	v_cmp_u_f32_e64 s[74:75], v36, v36
	v_max_f32_e32 v32, v32, v34
	v_cmp_u_f32_e64 s[72:73], v12, v12
	v_cndmask_b32_e64 v35, v35, v36, s[74:75]
	v_cndmask_b32_e64 v32, v32, v36, s[74:75]
	;; [unrolled: 1-line block ×4, first 2 shown]
	v_cmp_neq_f32_e64 s[74:75], v35, v32
	v_cmp_class_f32_e64 s[76:77], v35, s33
	s_or_b64 s[74:75], s[74:75], s[76:77]
	s_and_saveexec_b64 s[76:77], s[74:75]
	s_cbranch_execz .LBB509_74
; %bb.73:
	v_sub_f32_e32 v35, v35, v32
	s_mov_b32 s2, 0x3fb8aa3b
	v_mul_f32_e32 v36, 0x3fb8aa3b, v35
	v_fma_f32 v37, v35, s2, -v36
	v_rndne_f32_e32 v38, v36
	v_fmamk_f32 v37, v35, 0x32a5705f, v37
	v_sub_f32_e32 v36, v36, v38
	v_add_f32_e32 v36, v36, v37
	v_exp_f32_e32 v36, v36
	v_cvt_i32_f32_e32 v37, v38
	s_mov_b32 s2, 0xc2ce8ed0
	v_cmp_ngt_f32_e64 s[74:75], s2, v35
	s_mov_b32 s2, 0x42b17218
	v_ldexp_f32 v36, v36, v37
	v_cndmask_b32_e64 v36, 0, v36, s[74:75]
	v_mov_b32_e32 v37, 0x7f800000
	v_cmp_nlt_f32_e64 s[74:75], s2, v35
	s_mov_b32 s2, 0x3f2aaaab
	s_mov_b32 s3, 0x7f800000
	v_cndmask_b32_e64 v48, v37, v36, s[74:75]
	v_add_f32_e32 v35, 1.0, v48
	v_add_f32_e32 v36, -1.0, v35
	v_sub_f32_e32 v37, v36, v35
	v_add_f32_e32 v37, 1.0, v37
	v_sub_f32_e32 v36, v48, v36
	v_add_f32_e32 v38, v36, v37
	v_frexp_mant_f32_e32 v39, v35
	v_cvt_f64_f32_e32 v[36:37], v35
	v_frexp_exp_i32_f64_e32 v36, v[36:37]
	v_cmp_gt_f32_e64 s[74:75], s2, v39
	s_mov_b32 s2, 0x3f317218
	s_nop 0
	v_subbrev_co_u32_e64 v44, s[74:75], 0, v36, s[74:75]
	v_sub_u32_e32 v36, 0, v44
	v_ldexp_f32 v35, v35, v36
	v_ldexp_f32 v36, v38, v36
	v_add_f32_e32 v38, -1.0, v35
	v_add_f32_e32 v37, 1.0, v38
	v_sub_f32_e32 v37, v35, v37
	v_add_f32_e32 v39, v36, v37
	v_add_f32_e32 v37, 1.0, v35
	v_add_f32_e32 v40, -1.0, v37
	v_sub_f32_e32 v35, v35, v40
	v_add_f32_e32 v35, v36, v35
	v_add_f32_e32 v45, v37, v35
	v_rcp_f32_e32 v46, v45
	v_sub_f32_e32 v36, v37, v45
	v_add_f32_e32 v37, v38, v39
	v_add_f32_e32 v35, v35, v36
	v_mul_f32_e32 v53, v37, v46
	v_sub_f32_e32 v36, v38, v37
	v_mul_f32_e32 v38, v45, v53
	v_fma_f32 v40, v53, v45, -v38
	v_fmac_f32_e32 v40, v53, v35
	v_add_f32_e32 v47, v39, v36
	v_add_f32_e32 v36, v38, v40
	v_sub_f32_e32 v39, v37, v36
	v_pk_add_f32 v[42:43], v[36:37], v[38:39] neg_lo:[0,1] neg_hi:[0,1]
	v_mov_b32_e32 v41, v36
	v_pk_add_f32 v[36:37], v[42:43], v[40:41] neg_lo:[0,1] neg_hi:[0,1]
	v_cmp_eq_f32_e64 s[74:75], s3, v48
	v_add_f32_e32 v37, v47, v37
	v_add_f32_e32 v36, v36, v37
	;; [unrolled: 1-line block ×3, first 2 shown]
	v_mul_f32_e32 v47, v46, v37
	v_mul_f32_e32 v38, v45, v47
	v_fma_f32 v40, v47, v45, -v38
	v_fmac_f32_e32 v40, v47, v35
	v_sub_f32_e32 v35, v39, v37
	v_add_f32_e32 v35, v36, v35
	v_add_f32_e32 v36, v38, v40
	v_sub_f32_e32 v39, v37, v36
	v_pk_add_f32 v[42:43], v[36:37], v[38:39] neg_lo:[0,1] neg_hi:[0,1]
	v_mov_b32_e32 v41, v36
	v_pk_add_f32 v[36:37], v[42:43], v[40:41] neg_lo:[0,1] neg_hi:[0,1]
	v_cvt_f32_i32_e32 v38, v44
	v_add_f32_e32 v35, v35, v37
	v_add_f32_e32 v35, v36, v35
	v_add_f32_e32 v36, v53, v47
	v_add_f32_e32 v35, v39, v35
	v_sub_f32_e32 v37, v36, v53
	v_mul_f32_e32 v35, v46, v35
	v_sub_f32_e32 v37, v47, v37
	v_add_f32_e32 v35, v37, v35
	v_add_f32_e32 v39, v36, v35
	v_mul_f32_e32 v40, v39, v39
	v_mov_b32_e32 v37, 0x3ecc95a3
	v_fmac_f32_e32 v37, 0x3e9b6dac, v40
	v_sub_f32_e32 v36, v39, v36
	v_fmaak_f32 v37, v40, v37, 0x3f2aaada
	v_sub_f32_e32 v35, v35, v36
	v_ldexp_f32 v41, v39, 1
	v_mul_f32_e32 v39, v39, v40
	v_mov_b32_e32 v36, 0x3f317218
	v_pk_mul_f32 v[36:37], v[38:39], v[36:37]
	v_ldexp_f32 v35, v35, 1
	v_fma_f32 v39, v38, s2, -v36
	v_fmamk_f32 v40, v38, 0xb102e308, v39
	v_pk_add_f32 v[38:39], v[36:37], v[40:41]
	v_mov_b32_e32 v42, v36
	v_sub_f32_e32 v41, v39, v41
	v_sub_f32_e32 v41, v37, v41
	v_add_f32_e32 v43, v35, v41
	v_pk_add_f32 v[36:37], v[38:39], v[36:37] neg_lo:[0,1] neg_hi:[0,1]
	v_pk_add_f32 v[44:45], v[38:39], v[42:43]
	v_mov_b32_e32 v41, v38
	v_mov_b32_e32 v37, v45
	v_pk_add_f32 v[46:47], v[40:41], v[36:37] neg_lo:[0,1] neg_hi:[0,1]
	v_pk_add_f32 v[36:37], v[40:41], v[36:37]
	v_mov_b32_e32 v42, v43
	v_mov_b32_e32 v40, v37
	v_pk_add_f32 v[54:55], v[40:41], v[38:39] neg_lo:[0,1] neg_hi:[0,1]
	v_mov_b32_e32 v36, v45
	v_mov_b32_e32 v35, v54
	v_pk_add_f32 v[56:57], v[44:45], v[34:35] neg_lo:[0,1] neg_hi:[0,1]
	v_mov_b32_e32 v44, v39
	v_mov_b32_e32 v45, v54
	;; [unrolled: 1-line block ×3, first 2 shown]
	v_pk_add_f32 v[36:37], v[36:37], v[44:45] neg_lo:[0,1] neg_hi:[0,1]
	v_mov_b32_e32 v43, v38
	v_pk_add_f32 v[36:37], v[42:43], v[36:37] neg_lo:[0,1] neg_hi:[0,1]
	v_mov_b32_e32 v56, v46
	v_pk_add_f32 v[38:39], v[56:57], v[36:37]
	s_mov_b32 s2, 0x33800000
	v_mov_b32_e32 v42, v39
	v_pk_add_f32 v[42:43], v[38:39], v[42:43]
	v_cmp_lt_f32_e64 s[78:79], |v48|, s2
	v_pk_add_f32 v[40:41], v[40:41], v[42:43]
	v_mov_b32_e32 v37, v42
	v_mov_b32_e32 v39, v40
	v_pk_add_f32 v[44:45], v[38:39], v[46:47] neg_lo:[0,1] neg_hi:[0,1]
	s_or_b64 s[74:75], s[74:75], s[78:79]
	v_sub_f32_e32 v35, v38, v44
	v_pk_add_f32 v[36:37], v[36:37], v[44:45] neg_lo:[0,1] neg_hi:[0,1]
	v_sub_f32_e32 v35, v46, v35
	v_add_f32_e32 v35, v36, v35
	v_add_f32_e32 v35, v35, v37
	;; [unrolled: 1-line block ×3, first 2 shown]
	v_cndmask_b32_e64 v35, v35, v48, s[74:75]
	v_add_f32_e32 v36, v32, v35
.LBB509_74:
	s_or_b64 exec, exec, s[76:77]
	v_bfe_u32 v32, v36, 16, 1
	s_movk_i32 s80, 0x7fff
	v_add3_u32 v32, v36, v32, s80
	v_and_b32_e32 v32, 0xffff0000, v32
	v_mov_b32_e32 v35, 0x7fc00000
	v_cmp_o_f32_e64 s[74:75], v36, v36
	s_nop 1
	v_cndmask_b32_e64 v38, v35, v32, s[74:75]
	v_lshlrev_b32_e32 v32, 16, v13
	v_max_f32_e32 v37, v38, v38
	v_max_f32_e32 v36, v32, v32
	v_min_f32_e32 v39, v37, v36
	v_cmp_u_f32_e64 s[76:77], v38, v38
	v_max_f32_e32 v37, v37, v36
	v_cmp_u_f32_e64 s[74:75], v32, v32
	v_cndmask_b32_e64 v39, v39, v38, s[76:77]
	v_cndmask_b32_e64 v37, v37, v38, s[76:77]
	;; [unrolled: 1-line block ×4, first 2 shown]
	v_cmp_neq_f32_e64 s[76:77], v39, v37
	v_cmp_class_f32_e64 s[78:79], v39, s33
	s_or_b64 s[76:77], s[76:77], s[78:79]
	s_and_saveexec_b64 s[78:79], s[76:77]
	s_cbranch_execz .LBB509_76
; %bb.75:
	v_sub_f32_e32 v38, v39, v37
	s_mov_b32 s2, 0x3fb8aa3b
	v_mul_f32_e32 v39, 0x3fb8aa3b, v38
	v_fma_f32 v40, v38, s2, -v39
	v_rndne_f32_e32 v41, v39
	v_fmamk_f32 v40, v38, 0x32a5705f, v40
	v_sub_f32_e32 v39, v39, v41
	v_add_f32_e32 v39, v39, v40
	v_exp_f32_e32 v39, v39
	v_cvt_i32_f32_e32 v40, v41
	s_mov_b32 s2, 0xc2ce8ed0
	v_cmp_ngt_f32_e64 s[76:77], s2, v38
	s_mov_b32 s2, 0x42b17218
	v_ldexp_f32 v39, v39, v40
	v_cndmask_b32_e64 v39, 0, v39, s[76:77]
	v_mov_b32_e32 v40, 0x7f800000
	v_cmp_nlt_f32_e64 s[76:77], s2, v38
	s_mov_b32 s2, 0x3f2aaaab
	s_mov_b32 s3, 0x7f800000
	v_cndmask_b32_e64 v48, v40, v39, s[76:77]
	v_add_f32_e32 v40, 1.0, v48
	v_add_f32_e32 v38, -1.0, v40
	v_sub_f32_e32 v39, v38, v40
	v_add_f32_e32 v39, 1.0, v39
	v_sub_f32_e32 v38, v48, v38
	v_add_f32_e32 v41, v38, v39
	v_frexp_mant_f32_e32 v42, v40
	v_cvt_f64_f32_e32 v[38:39], v40
	v_frexp_exp_i32_f64_e32 v38, v[38:39]
	v_cmp_gt_f32_e64 s[76:77], s2, v42
	s_mov_b32 s2, 0x3f317218
	s_nop 0
	v_subbrev_co_u32_e64 v46, s[76:77], 0, v38, s[76:77]
	v_sub_u32_e32 v38, 0, v46
	v_ldexp_f32 v39, v40, v38
	v_add_f32_e32 v40, -1.0, v39
	v_add_f32_e32 v42, 1.0, v39
	v_ldexp_f32 v38, v41, v38
	v_add_f32_e32 v41, 1.0, v40
	v_add_f32_e32 v43, -1.0, v42
	v_sub_f32_e32 v41, v39, v41
	v_sub_f32_e32 v39, v39, v43
	v_add_f32_e32 v41, v38, v41
	v_add_f32_e32 v38, v38, v39
	;; [unrolled: 1-line block ×3, first 2 shown]
	v_rcp_f32_e32 v54, v47
	v_sub_f32_e32 v39, v42, v47
	v_add_f32_e32 v53, v38, v39
	v_add_f32_e32 v39, v40, v41
	v_mul_f32_e32 v56, v39, v54
	v_sub_f32_e32 v38, v40, v39
	v_mul_f32_e32 v40, v47, v56
	v_fma_f32 v42, v56, v47, -v40
	v_fmac_f32_e32 v42, v56, v53
	v_add_f32_e32 v55, v41, v38
	v_add_f32_e32 v38, v40, v42
	v_sub_f32_e32 v41, v39, v38
	v_pk_add_f32 v[44:45], v[38:39], v[40:41] neg_lo:[0,1] neg_hi:[0,1]
	v_mov_b32_e32 v43, v38
	v_pk_add_f32 v[38:39], v[44:45], v[42:43] neg_lo:[0,1] neg_hi:[0,1]
	v_cmp_eq_f32_e64 s[76:77], s3, v48
	v_add_f32_e32 v39, v55, v39
	v_add_f32_e32 v38, v38, v39
	;; [unrolled: 1-line block ×3, first 2 shown]
	v_mul_f32_e32 v55, v54, v39
	v_mul_f32_e32 v40, v47, v55
	v_fma_f32 v42, v55, v47, -v40
	v_fmac_f32_e32 v42, v55, v53
	v_sub_f32_e32 v41, v41, v39
	v_add_f32_e32 v47, v38, v41
	v_add_f32_e32 v38, v40, v42
	v_sub_f32_e32 v41, v39, v38
	v_pk_add_f32 v[44:45], v[38:39], v[40:41] neg_lo:[0,1] neg_hi:[0,1]
	v_mov_b32_e32 v43, v38
	v_pk_add_f32 v[38:39], v[44:45], v[42:43] neg_lo:[0,1] neg_hi:[0,1]
	v_cvt_f32_i32_e32 v40, v46
	v_add_f32_e32 v39, v47, v39
	v_add_f32_e32 v38, v38, v39
	;; [unrolled: 1-line block ×4, first 2 shown]
	v_sub_f32_e32 v39, v41, v56
	v_mul_f32_e32 v38, v54, v38
	v_sub_f32_e32 v39, v55, v39
	v_add_f32_e32 v38, v39, v38
	v_add_f32_e32 v42, v41, v38
	v_mul_f32_e32 v44, v42, v42
	v_mov_b32_e32 v39, 0x3ecc95a3
	v_sub_f32_e32 v41, v42, v41
	v_fmac_f32_e32 v39, 0x3e9b6dac, v44
	v_sub_f32_e32 v38, v38, v41
	v_fmaak_f32 v39, v44, v39, 0x3f2aaada
	v_ldexp_f32 v45, v38, 1
	v_mul_f32_e32 v41, v42, v44
	v_mov_b32_e32 v38, 0x3f317218
	v_pk_mul_f32 v[38:39], v[40:41], v[38:39]
	v_ldexp_f32 v43, v42, 1
	v_fma_f32 v41, v40, s2, -v38
	v_fmamk_f32 v42, v40, 0xb102e308, v41
	v_pk_add_f32 v[40:41], v[38:39], v[42:43]
	v_mov_b32_e32 v44, v38
	v_sub_f32_e32 v43, v41, v43
	v_sub_f32_e32 v43, v39, v43
	v_add_f32_e32 v45, v45, v43
	v_pk_add_f32 v[38:39], v[40:41], v[38:39] neg_lo:[0,1] neg_hi:[0,1]
	v_pk_add_f32 v[46:47], v[40:41], v[44:45]
	v_mov_b32_e32 v43, v40
	v_mov_b32_e32 v39, v47
	v_pk_add_f32 v[54:55], v[42:43], v[38:39] neg_lo:[0,1] neg_hi:[0,1]
	v_pk_add_f32 v[38:39], v[42:43], v[38:39]
	v_mov_b32_e32 v44, v45
	v_mov_b32_e32 v42, v39
	v_pk_add_f32 v[56:57], v[42:43], v[40:41] neg_lo:[0,1] neg_hi:[0,1]
	v_mov_b32_e32 v38, v47
	v_mov_b32_e32 v43, v56
	v_pk_add_f32 v[58:59], v[46:47], v[42:43] neg_lo:[0,1] neg_hi:[0,1]
	v_mov_b32_e32 v46, v41
	v_mov_b32_e32 v47, v56
	;; [unrolled: 1-line block ×3, first 2 shown]
	v_pk_add_f32 v[38:39], v[38:39], v[46:47] neg_lo:[0,1] neg_hi:[0,1]
	v_mov_b32_e32 v45, v40
	v_pk_add_f32 v[38:39], v[44:45], v[38:39] neg_lo:[0,1] neg_hi:[0,1]
	v_mov_b32_e32 v58, v54
	v_pk_add_f32 v[40:41], v[58:59], v[38:39]
	s_mov_b32 s2, 0x33800000
	v_mov_b32_e32 v44, v41
	v_pk_add_f32 v[44:45], v[40:41], v[44:45]
	v_cmp_lt_f32_e64 s[82:83], |v48|, s2
	v_pk_add_f32 v[42:43], v[42:43], v[44:45]
	v_mov_b32_e32 v39, v44
	v_mov_b32_e32 v41, v42
	v_pk_add_f32 v[46:47], v[40:41], v[54:55] neg_lo:[0,1] neg_hi:[0,1]
	s_or_b64 s[76:77], s[76:77], s[82:83]
	v_sub_f32_e32 v40, v40, v46
	v_pk_add_f32 v[38:39], v[38:39], v[46:47] neg_lo:[0,1] neg_hi:[0,1]
	v_sub_f32_e32 v40, v54, v40
	v_add_f32_e32 v38, v38, v40
	v_add_f32_e32 v38, v38, v39
	;; [unrolled: 1-line block ×3, first 2 shown]
	v_cndmask_b32_e64 v38, v38, v48, s[76:77]
	v_add_f32_e32 v38, v37, v38
.LBB509_76:
	s_or_b64 exec, exec, s[78:79]
	v_bfe_u32 v37, v38, 16, 1
	v_add3_u32 v37, v38, v37, s80
	v_and_b32_e32 v37, 0xffff0000, v37
	v_cmp_o_f32_e64 s[76:77], v38, v38
	v_and_b32_e32 v13, 0xffff0000, v13
	s_nop 0
	v_cndmask_b32_e64 v39, v35, v37, s[76:77]
	v_max_f32_e32 v35, v39, v39
	v_max_f32_e32 v37, v13, v13
	v_min_f32_e32 v38, v35, v37
	v_cmp_u_f32_e64 s[78:79], v39, v39
	v_max_f32_e32 v35, v35, v37
	v_cmp_u_f32_e64 s[76:77], v13, v13
	v_cndmask_b32_e64 v38, v38, v39, s[78:79]
	v_cndmask_b32_e64 v35, v35, v39, s[78:79]
	;; [unrolled: 1-line block ×4, first 2 shown]
	v_cmp_neq_f32_e64 s[78:79], v38, v35
	v_cmp_class_f32_e64 s[80:81], v38, s33
	s_or_b64 s[78:79], s[78:79], s[80:81]
	s_and_saveexec_b64 s[80:81], s[78:79]
	s_cbranch_execz .LBB509_78
; %bb.77:
	v_sub_f32_e32 v38, v38, v35
	s_mov_b32 s2, 0x3fb8aa3b
	v_mul_f32_e32 v39, 0x3fb8aa3b, v38
	v_fma_f32 v40, v38, s2, -v39
	v_rndne_f32_e32 v41, v39
	v_fmamk_f32 v40, v38, 0x32a5705f, v40
	v_sub_f32_e32 v39, v39, v41
	v_add_f32_e32 v39, v39, v40
	v_exp_f32_e32 v39, v39
	v_cvt_i32_f32_e32 v40, v41
	s_mov_b32 s2, 0xc2ce8ed0
	v_cmp_ngt_f32_e64 s[78:79], s2, v38
	s_mov_b32 s2, 0x42b17218
	v_ldexp_f32 v39, v39, v40
	v_cndmask_b32_e64 v39, 0, v39, s[78:79]
	v_mov_b32_e32 v40, 0x7f800000
	v_cmp_nlt_f32_e64 s[78:79], s2, v38
	s_mov_b32 s2, 0x3f2aaaab
	s_mov_b32 s3, 0x7f800000
	v_cndmask_b32_e64 v48, v40, v39, s[78:79]
	v_add_f32_e32 v40, 1.0, v48
	v_add_f32_e32 v38, -1.0, v40
	v_sub_f32_e32 v39, v38, v40
	v_add_f32_e32 v39, 1.0, v39
	v_sub_f32_e32 v38, v48, v38
	v_add_f32_e32 v41, v38, v39
	v_frexp_mant_f32_e32 v42, v40
	v_cvt_f64_f32_e32 v[38:39], v40
	v_frexp_exp_i32_f64_e32 v38, v[38:39]
	v_cmp_gt_f32_e64 s[78:79], s2, v42
	s_mov_b32 s2, 0x3f317218
	s_nop 0
	v_subbrev_co_u32_e64 v46, s[78:79], 0, v38, s[78:79]
	v_sub_u32_e32 v38, 0, v46
	v_ldexp_f32 v39, v40, v38
	v_add_f32_e32 v40, -1.0, v39
	v_add_f32_e32 v42, 1.0, v39
	v_ldexp_f32 v38, v41, v38
	v_add_f32_e32 v41, 1.0, v40
	v_add_f32_e32 v43, -1.0, v42
	v_sub_f32_e32 v41, v39, v41
	v_sub_f32_e32 v39, v39, v43
	v_add_f32_e32 v41, v38, v41
	v_add_f32_e32 v38, v38, v39
	;; [unrolled: 1-line block ×3, first 2 shown]
	v_rcp_f32_e32 v54, v47
	v_sub_f32_e32 v39, v42, v47
	v_add_f32_e32 v53, v38, v39
	v_add_f32_e32 v39, v40, v41
	v_mul_f32_e32 v56, v39, v54
	v_sub_f32_e32 v38, v40, v39
	v_mul_f32_e32 v40, v47, v56
	v_fma_f32 v42, v56, v47, -v40
	v_fmac_f32_e32 v42, v56, v53
	v_add_f32_e32 v55, v41, v38
	v_add_f32_e32 v38, v40, v42
	v_sub_f32_e32 v41, v39, v38
	v_pk_add_f32 v[44:45], v[38:39], v[40:41] neg_lo:[0,1] neg_hi:[0,1]
	v_mov_b32_e32 v43, v38
	v_pk_add_f32 v[38:39], v[44:45], v[42:43] neg_lo:[0,1] neg_hi:[0,1]
	v_cmp_eq_f32_e64 s[78:79], s3, v48
	v_add_f32_e32 v39, v55, v39
	v_add_f32_e32 v38, v38, v39
	;; [unrolled: 1-line block ×3, first 2 shown]
	v_mul_f32_e32 v55, v54, v39
	v_mul_f32_e32 v40, v47, v55
	v_fma_f32 v42, v55, v47, -v40
	v_fmac_f32_e32 v42, v55, v53
	v_sub_f32_e32 v41, v41, v39
	v_add_f32_e32 v47, v38, v41
	v_add_f32_e32 v38, v40, v42
	v_sub_f32_e32 v41, v39, v38
	v_pk_add_f32 v[44:45], v[38:39], v[40:41] neg_lo:[0,1] neg_hi:[0,1]
	v_mov_b32_e32 v43, v38
	v_pk_add_f32 v[38:39], v[44:45], v[42:43] neg_lo:[0,1] neg_hi:[0,1]
	v_cvt_f32_i32_e32 v40, v46
	v_add_f32_e32 v39, v47, v39
	v_add_f32_e32 v38, v38, v39
	;; [unrolled: 1-line block ×4, first 2 shown]
	v_sub_f32_e32 v39, v41, v56
	v_mul_f32_e32 v38, v54, v38
	v_sub_f32_e32 v39, v55, v39
	v_add_f32_e32 v38, v39, v38
	v_add_f32_e32 v42, v41, v38
	v_mul_f32_e32 v44, v42, v42
	v_mov_b32_e32 v39, 0x3ecc95a3
	v_sub_f32_e32 v41, v42, v41
	v_fmac_f32_e32 v39, 0x3e9b6dac, v44
	v_sub_f32_e32 v38, v38, v41
	v_fmaak_f32 v39, v44, v39, 0x3f2aaada
	v_ldexp_f32 v45, v38, 1
	v_mul_f32_e32 v41, v42, v44
	v_mov_b32_e32 v38, 0x3f317218
	v_pk_mul_f32 v[38:39], v[40:41], v[38:39]
	v_ldexp_f32 v43, v42, 1
	v_fma_f32 v41, v40, s2, -v38
	v_fmamk_f32 v42, v40, 0xb102e308, v41
	v_pk_add_f32 v[40:41], v[38:39], v[42:43]
	v_mov_b32_e32 v44, v38
	v_sub_f32_e32 v43, v41, v43
	v_sub_f32_e32 v43, v39, v43
	v_add_f32_e32 v45, v45, v43
	v_pk_add_f32 v[38:39], v[40:41], v[38:39] neg_lo:[0,1] neg_hi:[0,1]
	v_pk_add_f32 v[46:47], v[40:41], v[44:45]
	v_mov_b32_e32 v43, v40
	v_mov_b32_e32 v39, v47
	v_pk_add_f32 v[54:55], v[42:43], v[38:39] neg_lo:[0,1] neg_hi:[0,1]
	v_pk_add_f32 v[38:39], v[42:43], v[38:39]
	v_mov_b32_e32 v44, v45
	v_mov_b32_e32 v42, v39
	v_pk_add_f32 v[56:57], v[42:43], v[40:41] neg_lo:[0,1] neg_hi:[0,1]
	v_mov_b32_e32 v38, v47
	v_mov_b32_e32 v43, v56
	v_pk_add_f32 v[58:59], v[46:47], v[42:43] neg_lo:[0,1] neg_hi:[0,1]
	v_mov_b32_e32 v46, v41
	v_mov_b32_e32 v47, v56
	;; [unrolled: 1-line block ×3, first 2 shown]
	v_pk_add_f32 v[38:39], v[38:39], v[46:47] neg_lo:[0,1] neg_hi:[0,1]
	v_mov_b32_e32 v45, v40
	v_pk_add_f32 v[38:39], v[44:45], v[38:39] neg_lo:[0,1] neg_hi:[0,1]
	v_mov_b32_e32 v58, v54
	v_pk_add_f32 v[40:41], v[58:59], v[38:39]
	s_mov_b32 s2, 0x33800000
	v_mov_b32_e32 v44, v41
	v_pk_add_f32 v[44:45], v[40:41], v[44:45]
	v_cmp_lt_f32_e64 s[82:83], |v48|, s2
	v_pk_add_f32 v[42:43], v[42:43], v[44:45]
	v_mov_b32_e32 v39, v44
	v_mov_b32_e32 v41, v42
	v_pk_add_f32 v[46:47], v[40:41], v[54:55] neg_lo:[0,1] neg_hi:[0,1]
	s_or_b64 s[78:79], s[78:79], s[82:83]
	v_sub_f32_e32 v40, v40, v46
	v_pk_add_f32 v[38:39], v[38:39], v[46:47] neg_lo:[0,1] neg_hi:[0,1]
	v_sub_f32_e32 v40, v54, v40
	v_add_f32_e32 v38, v38, v40
	v_add_f32_e32 v38, v38, v39
	v_add_f32_e32 v38, v42, v38
	v_cndmask_b32_e64 v38, v38, v48, s[78:79]
	v_add_f32_e32 v39, v35, v38
.LBB509_78:
	s_or_b64 exec, exec, s[80:81]
	v_bfe_u32 v35, v39, 16, 1
	s_movk_i32 s84, 0x7fff
	v_add3_u32 v35, v39, v35, s84
	v_and_b32_e32 v35, 0xffff0000, v35
	v_mov_b32_e32 v38, 0x7fc00000
	v_cmp_o_f32_e64 s[78:79], v39, v39
	s_nop 1
	v_cndmask_b32_e64 v41, v38, v35, s[78:79]
	v_lshlrev_b32_e32 v35, 16, v6
	v_max_f32_e32 v40, v41, v41
	v_max_f32_e32 v39, v35, v35
	v_min_f32_e32 v42, v40, v39
	v_cmp_u_f32_e64 s[80:81], v41, v41
	v_max_f32_e32 v40, v40, v39
	v_cmp_u_f32_e64 s[78:79], v35, v35
	v_cndmask_b32_e64 v42, v42, v41, s[80:81]
	v_cndmask_b32_e64 v40, v40, v41, s[80:81]
	;; [unrolled: 1-line block ×4, first 2 shown]
	v_cmp_neq_f32_e64 s[80:81], v42, v40
	v_cmp_class_f32_e64 s[82:83], v42, s33
	s_or_b64 s[80:81], s[80:81], s[82:83]
	s_and_saveexec_b64 s[82:83], s[80:81]
	s_cbranch_execz .LBB509_80
; %bb.79:
	v_sub_f32_e32 v41, v42, v40
	s_mov_b32 s2, 0x3fb8aa3b
	v_mul_f32_e32 v42, 0x3fb8aa3b, v41
	v_fma_f32 v43, v41, s2, -v42
	v_rndne_f32_e32 v44, v42
	v_fmamk_f32 v43, v41, 0x32a5705f, v43
	v_sub_f32_e32 v42, v42, v44
	v_add_f32_e32 v42, v42, v43
	v_exp_f32_e32 v42, v42
	v_cvt_i32_f32_e32 v43, v44
	s_mov_b32 s2, 0xc2ce8ed0
	v_cmp_ngt_f32_e64 s[80:81], s2, v41
	s_mov_b32 s2, 0x42b17218
	v_ldexp_f32 v42, v42, v43
	v_cndmask_b32_e64 v42, 0, v42, s[80:81]
	v_mov_b32_e32 v43, 0x7f800000
	v_cmp_nlt_f32_e64 s[80:81], s2, v41
	s_mov_b32 s2, 0x3f2aaaab
	s_mov_b32 s3, 0x7f800000
	v_cndmask_b32_e64 v53, v43, v42, s[80:81]
	v_add_f32_e32 v41, 1.0, v53
	v_add_f32_e32 v42, -1.0, v41
	v_sub_f32_e32 v43, v42, v41
	v_add_f32_e32 v43, 1.0, v43
	v_sub_f32_e32 v42, v53, v42
	v_add_f32_e32 v44, v42, v43
	v_frexp_mant_f32_e32 v45, v41
	v_cvt_f64_f32_e32 v[42:43], v41
	v_frexp_exp_i32_f64_e32 v42, v[42:43]
	v_cmp_gt_f32_e64 s[80:81], s2, v45
	s_mov_b32 s2, 0x3f317218
	s_nop 0
	v_subbrev_co_u32_e64 v48, s[80:81], 0, v42, s[80:81]
	v_sub_u32_e32 v42, 0, v48
	v_ldexp_f32 v41, v41, v42
	v_ldexp_f32 v42, v44, v42
	v_add_f32_e32 v44, -1.0, v41
	v_add_f32_e32 v43, 1.0, v44
	v_sub_f32_e32 v43, v41, v43
	v_add_f32_e32 v45, v42, v43
	v_add_f32_e32 v43, 1.0, v41
	v_add_f32_e32 v46, -1.0, v43
	v_sub_f32_e32 v41, v41, v46
	v_add_f32_e32 v41, v42, v41
	v_add_f32_e32 v56, v43, v41
	v_rcp_f32_e32 v57, v56
	v_sub_f32_e32 v42, v43, v56
	v_add_f32_e32 v43, v44, v45
	v_add_f32_e32 v41, v41, v42
	v_mul_f32_e32 v59, v43, v57
	v_sub_f32_e32 v42, v44, v43
	v_mul_f32_e32 v44, v56, v59
	v_fma_f32 v46, v59, v56, -v44
	v_fmac_f32_e32 v46, v59, v41
	v_add_f32_e32 v58, v45, v42
	v_add_f32_e32 v42, v44, v46
	v_sub_f32_e32 v45, v43, v42
	v_pk_add_f32 v[54:55], v[42:43], v[44:45] neg_lo:[0,1] neg_hi:[0,1]
	v_mov_b32_e32 v47, v42
	v_pk_add_f32 v[42:43], v[54:55], v[46:47] neg_lo:[0,1] neg_hi:[0,1]
	v_cmp_eq_f32_e64 s[80:81], s3, v53
	v_add_f32_e32 v43, v58, v43
	v_add_f32_e32 v42, v42, v43
	;; [unrolled: 1-line block ×3, first 2 shown]
	v_mul_f32_e32 v58, v57, v43
	v_mul_f32_e32 v44, v56, v58
	v_fma_f32 v46, v58, v56, -v44
	v_fmac_f32_e32 v46, v58, v41
	v_sub_f32_e32 v41, v45, v43
	v_add_f32_e32 v41, v42, v41
	v_add_f32_e32 v42, v44, v46
	v_sub_f32_e32 v45, v43, v42
	v_pk_add_f32 v[54:55], v[42:43], v[44:45] neg_lo:[0,1] neg_hi:[0,1]
	v_mov_b32_e32 v47, v42
	v_pk_add_f32 v[42:43], v[54:55], v[46:47] neg_lo:[0,1] neg_hi:[0,1]
	v_cvt_f32_i32_e32 v44, v48
	v_add_f32_e32 v41, v41, v43
	v_add_f32_e32 v41, v42, v41
	;; [unrolled: 1-line block ×4, first 2 shown]
	v_sub_f32_e32 v43, v42, v59
	v_mul_f32_e32 v41, v57, v41
	v_sub_f32_e32 v43, v58, v43
	v_add_f32_e32 v41, v43, v41
	v_add_f32_e32 v45, v42, v41
	v_mul_f32_e32 v46, v45, v45
	v_mov_b32_e32 v43, 0x3ecc95a3
	v_fmac_f32_e32 v43, 0x3e9b6dac, v46
	v_sub_f32_e32 v42, v45, v42
	v_fmaak_f32 v43, v46, v43, 0x3f2aaada
	v_sub_f32_e32 v41, v41, v42
	v_ldexp_f32 v47, v45, 1
	v_mul_f32_e32 v45, v45, v46
	v_mov_b32_e32 v42, 0x3f317218
	v_pk_mul_f32 v[42:43], v[44:45], v[42:43]
	v_ldexp_f32 v41, v41, 1
	v_fma_f32 v45, v44, s2, -v42
	v_fmamk_f32 v46, v44, 0xb102e308, v45
	v_pk_add_f32 v[44:45], v[42:43], v[46:47]
	v_mov_b32_e32 v54, v42
	v_sub_f32_e32 v47, v45, v47
	v_sub_f32_e32 v47, v43, v47
	v_add_f32_e32 v55, v41, v47
	v_pk_add_f32 v[42:43], v[44:45], v[42:43] neg_lo:[0,1] neg_hi:[0,1]
	v_pk_add_f32 v[56:57], v[44:45], v[54:55]
	v_mov_b32_e32 v47, v44
	v_mov_b32_e32 v43, v57
	v_pk_add_f32 v[58:59], v[46:47], v[42:43] neg_lo:[0,1] neg_hi:[0,1]
	v_pk_add_f32 v[42:43], v[46:47], v[42:43]
	v_mov_b32_e32 v54, v55
	v_mov_b32_e32 v46, v43
	v_pk_add_f32 v[60:61], v[46:47], v[44:45] neg_lo:[0,1] neg_hi:[0,1]
	v_mov_b32_e32 v42, v57
	v_mov_b32_e32 v41, v60
	v_pk_add_f32 v[62:63], v[56:57], v[40:41] neg_lo:[0,1] neg_hi:[0,1]
	v_mov_b32_e32 v56, v45
	v_mov_b32_e32 v57, v60
	;; [unrolled: 1-line block ×3, first 2 shown]
	v_pk_add_f32 v[42:43], v[42:43], v[56:57] neg_lo:[0,1] neg_hi:[0,1]
	v_mov_b32_e32 v55, v44
	v_pk_add_f32 v[42:43], v[54:55], v[42:43] neg_lo:[0,1] neg_hi:[0,1]
	v_mov_b32_e32 v62, v58
	v_pk_add_f32 v[44:45], v[62:63], v[42:43]
	s_mov_b32 s2, 0x33800000
	v_mov_b32_e32 v48, v45
	v_pk_add_f32 v[54:55], v[44:45], v[48:49]
	v_cmp_lt_f32_e64 s[86:87], |v53|, s2
	v_pk_add_f32 v[46:47], v[46:47], v[54:55]
	v_mov_b32_e32 v43, v54
	v_mov_b32_e32 v45, v46
	v_pk_add_f32 v[56:57], v[44:45], v[58:59] neg_lo:[0,1] neg_hi:[0,1]
	s_or_b64 s[80:81], s[80:81], s[86:87]
	v_sub_f32_e32 v41, v44, v56
	v_pk_add_f32 v[42:43], v[42:43], v[56:57] neg_lo:[0,1] neg_hi:[0,1]
	v_sub_f32_e32 v41, v58, v41
	v_add_f32_e32 v41, v42, v41
	v_add_f32_e32 v41, v41, v43
	;; [unrolled: 1-line block ×3, first 2 shown]
	v_cndmask_b32_e64 v41, v41, v53, s[80:81]
	v_add_f32_e32 v41, v40, v41
.LBB509_80:
	s_or_b64 exec, exec, s[82:83]
	v_bfe_u32 v40, v41, 16, 1
	v_add3_u32 v40, v41, v40, s84
	v_and_b32_e32 v40, 0xffff0000, v40
	v_cmp_o_f32_e64 s[80:81], v41, v41
	v_and_b32_e32 v6, 0xffff0000, v6
	s_nop 0
	v_cndmask_b32_e64 v42, v38, v40, s[80:81]
	v_max_f32_e32 v38, v42, v42
	v_max_f32_e32 v40, v6, v6
	v_min_f32_e32 v41, v38, v40
	v_cmp_u_f32_e64 s[82:83], v42, v42
	v_max_f32_e32 v38, v38, v40
	v_cmp_u_f32_e64 s[80:81], v6, v6
	v_cndmask_b32_e64 v41, v41, v42, s[82:83]
	v_cndmask_b32_e64 v38, v38, v42, s[82:83]
	;; [unrolled: 1-line block ×4, first 2 shown]
	v_cmp_neq_f32_e64 s[82:83], v41, v38
	v_cmp_class_f32_e64 s[84:85], v41, s33
	s_or_b64 s[82:83], s[82:83], s[84:85]
	s_and_saveexec_b64 s[84:85], s[82:83]
	s_cbranch_execz .LBB509_82
; %bb.81:
	v_sub_f32_e32 v41, v41, v38
	s_mov_b32 s2, 0x3fb8aa3b
	v_mul_f32_e32 v42, 0x3fb8aa3b, v41
	v_fma_f32 v43, v41, s2, -v42
	v_rndne_f32_e32 v44, v42
	v_fmamk_f32 v43, v41, 0x32a5705f, v43
	v_sub_f32_e32 v42, v42, v44
	v_add_f32_e32 v42, v42, v43
	v_exp_f32_e32 v42, v42
	v_cvt_i32_f32_e32 v43, v44
	s_mov_b32 s2, 0xc2ce8ed0
	v_cmp_ngt_f32_e64 s[82:83], s2, v41
	s_mov_b32 s2, 0x42b17218
	v_ldexp_f32 v42, v42, v43
	v_cndmask_b32_e64 v42, 0, v42, s[82:83]
	v_mov_b32_e32 v43, 0x7f800000
	v_cmp_nlt_f32_e64 s[82:83], s2, v41
	s_mov_b32 s2, 0x3f2aaaab
	s_mov_b32 s3, 0x7f800000
	v_cndmask_b32_e64 v53, v43, v42, s[82:83]
	v_add_f32_e32 v41, 1.0, v53
	v_add_f32_e32 v42, -1.0, v41
	v_sub_f32_e32 v43, v42, v41
	v_add_f32_e32 v43, 1.0, v43
	v_sub_f32_e32 v42, v53, v42
	v_add_f32_e32 v44, v42, v43
	v_frexp_mant_f32_e32 v45, v41
	v_cvt_f64_f32_e32 v[42:43], v41
	v_frexp_exp_i32_f64_e32 v42, v[42:43]
	v_cmp_gt_f32_e64 s[82:83], s2, v45
	s_mov_b32 s2, 0x3f317218
	s_nop 0
	v_subbrev_co_u32_e64 v48, s[82:83], 0, v42, s[82:83]
	v_sub_u32_e32 v42, 0, v48
	v_ldexp_f32 v41, v41, v42
	v_ldexp_f32 v42, v44, v42
	v_add_f32_e32 v44, -1.0, v41
	v_add_f32_e32 v43, 1.0, v44
	v_sub_f32_e32 v43, v41, v43
	v_add_f32_e32 v45, v42, v43
	v_add_f32_e32 v43, 1.0, v41
	v_add_f32_e32 v46, -1.0, v43
	v_sub_f32_e32 v41, v41, v46
	v_add_f32_e32 v41, v42, v41
	v_add_f32_e32 v56, v43, v41
	v_rcp_f32_e32 v57, v56
	v_sub_f32_e32 v42, v43, v56
	v_add_f32_e32 v43, v44, v45
	v_add_f32_e32 v41, v41, v42
	v_mul_f32_e32 v59, v43, v57
	v_sub_f32_e32 v42, v44, v43
	v_mul_f32_e32 v44, v56, v59
	v_fma_f32 v46, v59, v56, -v44
	v_fmac_f32_e32 v46, v59, v41
	v_add_f32_e32 v58, v45, v42
	v_add_f32_e32 v42, v44, v46
	v_sub_f32_e32 v45, v43, v42
	v_pk_add_f32 v[54:55], v[42:43], v[44:45] neg_lo:[0,1] neg_hi:[0,1]
	v_mov_b32_e32 v47, v42
	v_pk_add_f32 v[42:43], v[54:55], v[46:47] neg_lo:[0,1] neg_hi:[0,1]
	v_cmp_eq_f32_e64 s[82:83], s3, v53
	v_add_f32_e32 v43, v58, v43
	v_add_f32_e32 v42, v42, v43
	;; [unrolled: 1-line block ×3, first 2 shown]
	v_mul_f32_e32 v58, v57, v43
	v_mul_f32_e32 v44, v56, v58
	v_fma_f32 v46, v58, v56, -v44
	v_fmac_f32_e32 v46, v58, v41
	v_sub_f32_e32 v41, v45, v43
	v_add_f32_e32 v41, v42, v41
	v_add_f32_e32 v42, v44, v46
	v_sub_f32_e32 v45, v43, v42
	v_pk_add_f32 v[54:55], v[42:43], v[44:45] neg_lo:[0,1] neg_hi:[0,1]
	v_mov_b32_e32 v47, v42
	v_pk_add_f32 v[42:43], v[54:55], v[46:47] neg_lo:[0,1] neg_hi:[0,1]
	v_cvt_f32_i32_e32 v44, v48
	v_add_f32_e32 v41, v41, v43
	v_add_f32_e32 v41, v42, v41
	;; [unrolled: 1-line block ×4, first 2 shown]
	v_sub_f32_e32 v43, v42, v59
	v_mul_f32_e32 v41, v57, v41
	v_sub_f32_e32 v43, v58, v43
	v_add_f32_e32 v41, v43, v41
	v_add_f32_e32 v45, v42, v41
	v_mul_f32_e32 v46, v45, v45
	v_mov_b32_e32 v43, 0x3ecc95a3
	v_fmac_f32_e32 v43, 0x3e9b6dac, v46
	v_sub_f32_e32 v42, v45, v42
	v_fmaak_f32 v43, v46, v43, 0x3f2aaada
	v_sub_f32_e32 v41, v41, v42
	v_ldexp_f32 v47, v45, 1
	v_mul_f32_e32 v45, v45, v46
	v_mov_b32_e32 v42, 0x3f317218
	v_pk_mul_f32 v[42:43], v[44:45], v[42:43]
	v_ldexp_f32 v41, v41, 1
	v_fma_f32 v45, v44, s2, -v42
	v_fmamk_f32 v46, v44, 0xb102e308, v45
	v_pk_add_f32 v[44:45], v[42:43], v[46:47]
	v_mov_b32_e32 v54, v42
	v_sub_f32_e32 v47, v45, v47
	v_sub_f32_e32 v47, v43, v47
	v_add_f32_e32 v55, v41, v47
	v_pk_add_f32 v[42:43], v[44:45], v[42:43] neg_lo:[0,1] neg_hi:[0,1]
	v_pk_add_f32 v[56:57], v[44:45], v[54:55]
	v_mov_b32_e32 v47, v44
	v_mov_b32_e32 v43, v57
	v_pk_add_f32 v[58:59], v[46:47], v[42:43] neg_lo:[0,1] neg_hi:[0,1]
	v_pk_add_f32 v[42:43], v[46:47], v[42:43]
	v_mov_b32_e32 v54, v55
	v_mov_b32_e32 v46, v43
	v_pk_add_f32 v[60:61], v[46:47], v[44:45] neg_lo:[0,1] neg_hi:[0,1]
	v_mov_b32_e32 v42, v57
	v_mov_b32_e32 v41, v60
	v_pk_add_f32 v[62:63], v[56:57], v[40:41] neg_lo:[0,1] neg_hi:[0,1]
	v_mov_b32_e32 v56, v45
	v_mov_b32_e32 v57, v60
	;; [unrolled: 1-line block ×3, first 2 shown]
	v_pk_add_f32 v[42:43], v[42:43], v[56:57] neg_lo:[0,1] neg_hi:[0,1]
	v_mov_b32_e32 v55, v44
	v_pk_add_f32 v[42:43], v[54:55], v[42:43] neg_lo:[0,1] neg_hi:[0,1]
	v_mov_b32_e32 v62, v58
	v_pk_add_f32 v[44:45], v[62:63], v[42:43]
	s_mov_b32 s2, 0x33800000
	v_mov_b32_e32 v48, v45
	v_pk_add_f32 v[54:55], v[44:45], v[48:49]
	v_cmp_lt_f32_e64 s[86:87], |v53|, s2
	v_pk_add_f32 v[46:47], v[46:47], v[54:55]
	v_mov_b32_e32 v43, v54
	v_mov_b32_e32 v45, v46
	v_pk_add_f32 v[56:57], v[44:45], v[58:59] neg_lo:[0,1] neg_hi:[0,1]
	s_or_b64 s[82:83], s[82:83], s[86:87]
	v_sub_f32_e32 v41, v44, v56
	v_pk_add_f32 v[42:43], v[42:43], v[56:57] neg_lo:[0,1] neg_hi:[0,1]
	v_sub_f32_e32 v41, v58, v41
	v_add_f32_e32 v41, v42, v41
	v_add_f32_e32 v41, v41, v43
	v_add_f32_e32 v41, v46, v41
	v_cndmask_b32_e64 v41, v41, v53, s[82:83]
	v_add_f32_e32 v42, v38, v41
.LBB509_82:
	s_or_b64 exec, exec, s[84:85]
	v_bfe_u32 v38, v42, 16, 1
	s_movk_i32 s88, 0x7fff
	v_add3_u32 v38, v42, v38, s88
	v_and_b32_e32 v38, 0xffff0000, v38
	v_mov_b32_e32 v41, 0x7fc00000
	v_cmp_o_f32_e64 s[82:83], v42, v42
	s_nop 1
	v_cndmask_b32_e64 v44, v41, v38, s[82:83]
	v_lshlrev_b32_e32 v38, 16, v7
	v_max_f32_e32 v43, v44, v44
	v_max_f32_e32 v42, v38, v38
	v_min_f32_e32 v45, v43, v42
	v_cmp_u_f32_e64 s[84:85], v44, v44
	v_max_f32_e32 v43, v43, v42
	v_cmp_u_f32_e64 s[82:83], v38, v38
	v_cndmask_b32_e64 v45, v45, v44, s[84:85]
	v_cndmask_b32_e64 v43, v43, v44, s[84:85]
	;; [unrolled: 1-line block ×4, first 2 shown]
	v_cmp_neq_f32_e64 s[84:85], v45, v43
	v_cmp_class_f32_e64 s[86:87], v45, s33
	s_or_b64 s[84:85], s[84:85], s[86:87]
	s_and_saveexec_b64 s[86:87], s[84:85]
	s_cbranch_execz .LBB509_84
; %bb.83:
	v_sub_f32_e32 v44, v45, v43
	s_mov_b32 s2, 0x3fb8aa3b
	v_mul_f32_e32 v45, 0x3fb8aa3b, v44
	v_fma_f32 v46, v44, s2, -v45
	v_rndne_f32_e32 v47, v45
	v_fmamk_f32 v46, v44, 0x32a5705f, v46
	v_sub_f32_e32 v45, v45, v47
	v_add_f32_e32 v45, v45, v46
	v_exp_f32_e32 v45, v45
	v_cvt_i32_f32_e32 v46, v47
	s_mov_b32 s2, 0xc2ce8ed0
	v_cmp_ngt_f32_e64 s[84:85], s2, v44
	s_mov_b32 s2, 0x42b17218
	v_ldexp_f32 v45, v45, v46
	v_cndmask_b32_e64 v45, 0, v45, s[84:85]
	v_mov_b32_e32 v46, 0x7f800000
	v_cmp_nlt_f32_e64 s[84:85], s2, v44
	s_mov_b32 s2, 0x3f2aaaab
	s_mov_b32 s3, 0x7f800000
	v_cndmask_b32_e64 v64, v46, v45, s[84:85]
	v_add_f32_e32 v46, 1.0, v64
	v_add_f32_e32 v44, -1.0, v46
	v_sub_f32_e32 v45, v44, v46
	v_add_f32_e32 v45, 1.0, v45
	v_sub_f32_e32 v44, v64, v44
	v_add_f32_e32 v47, v44, v45
	v_frexp_mant_f32_e32 v48, v46
	v_cvt_f64_f32_e32 v[44:45], v46
	v_frexp_exp_i32_f64_e32 v44, v[44:45]
	v_cmp_gt_f32_e64 s[84:85], s2, v48
	s_mov_b32 s2, 0x3f317218
	s_nop 0
	v_subbrev_co_u32_e64 v48, s[84:85], 0, v44, s[84:85]
	v_sub_u32_e32 v44, 0, v48
	v_ldexp_f32 v45, v46, v44
	v_add_f32_e32 v46, -1.0, v45
	v_add_f32_e32 v53, 1.0, v45
	v_ldexp_f32 v44, v47, v44
	v_add_f32_e32 v47, 1.0, v46
	v_add_f32_e32 v54, -1.0, v53
	v_sub_f32_e32 v47, v45, v47
	v_sub_f32_e32 v45, v45, v54
	v_add_f32_e32 v47, v44, v47
	v_add_f32_e32 v44, v44, v45
	;; [unrolled: 1-line block ×3, first 2 shown]
	v_rcp_f32_e32 v59, v58
	v_sub_f32_e32 v45, v53, v58
	v_add_f32_e32 v53, v44, v45
	v_add_f32_e32 v45, v46, v47
	v_mul_f32_e32 v61, v45, v59
	v_sub_f32_e32 v44, v46, v45
	v_mul_f32_e32 v46, v58, v61
	v_fma_f32 v54, v61, v58, -v46
	v_fmac_f32_e32 v54, v61, v53
	v_add_f32_e32 v60, v47, v44
	v_add_f32_e32 v44, v46, v54
	v_sub_f32_e32 v47, v45, v44
	v_pk_add_f32 v[56:57], v[44:45], v[46:47] neg_lo:[0,1] neg_hi:[0,1]
	v_mov_b32_e32 v55, v44
	v_pk_add_f32 v[44:45], v[56:57], v[54:55] neg_lo:[0,1] neg_hi:[0,1]
	v_cmp_eq_f32_e64 s[84:85], s3, v64
	v_add_f32_e32 v45, v60, v45
	v_add_f32_e32 v44, v44, v45
	;; [unrolled: 1-line block ×3, first 2 shown]
	v_mul_f32_e32 v60, v59, v45
	v_mul_f32_e32 v46, v58, v60
	v_fma_f32 v54, v60, v58, -v46
	v_fmac_f32_e32 v54, v60, v53
	v_sub_f32_e32 v47, v47, v45
	v_add_f32_e32 v53, v44, v47
	v_add_f32_e32 v44, v46, v54
	v_sub_f32_e32 v47, v45, v44
	v_pk_add_f32 v[56:57], v[44:45], v[46:47] neg_lo:[0,1] neg_hi:[0,1]
	v_mov_b32_e32 v55, v44
	v_pk_add_f32 v[44:45], v[56:57], v[54:55] neg_lo:[0,1] neg_hi:[0,1]
	v_cvt_f32_i32_e32 v46, v48
	v_add_f32_e32 v45, v53, v45
	v_add_f32_e32 v44, v44, v45
	;; [unrolled: 1-line block ×4, first 2 shown]
	v_sub_f32_e32 v45, v47, v61
	v_mul_f32_e32 v44, v59, v44
	v_sub_f32_e32 v45, v60, v45
	v_add_f32_e32 v44, v45, v44
	v_add_f32_e32 v53, v47, v44
	v_mul_f32_e32 v54, v53, v53
	v_mov_b32_e32 v45, 0x3ecc95a3
	v_sub_f32_e32 v47, v53, v47
	v_fmac_f32_e32 v45, 0x3e9b6dac, v54
	v_sub_f32_e32 v44, v44, v47
	v_fmaak_f32 v45, v54, v45, 0x3f2aaada
	v_ldexp_f32 v48, v44, 1
	v_mul_f32_e32 v47, v53, v54
	v_mov_b32_e32 v44, 0x3f317218
	v_pk_mul_f32 v[44:45], v[46:47], v[44:45]
	v_ldexp_f32 v55, v53, 1
	v_fma_f32 v47, v46, s2, -v44
	v_fmamk_f32 v54, v46, 0xb102e308, v47
	v_pk_add_f32 v[46:47], v[44:45], v[54:55]
	v_mov_b32_e32 v56, v44
	v_sub_f32_e32 v53, v47, v55
	v_sub_f32_e32 v53, v45, v53
	v_add_f32_e32 v57, v48, v53
	v_pk_add_f32 v[44:45], v[46:47], v[44:45] neg_lo:[0,1] neg_hi:[0,1]
	v_pk_add_f32 v[58:59], v[46:47], v[56:57]
	v_mov_b32_e32 v55, v46
	v_mov_b32_e32 v45, v59
	v_pk_add_f32 v[60:61], v[54:55], v[44:45] neg_lo:[0,1] neg_hi:[0,1]
	v_pk_add_f32 v[44:45], v[54:55], v[44:45]
	s_mov_b32 s2, 0x33800000
	v_mov_b32_e32 v48, v45
	v_pk_add_f32 v[54:55], v[48:49], v[46:47] neg_lo:[0,1] neg_hi:[0,1]
	v_mov_b32_e32 v44, v59
	v_mov_b32_e32 v53, v54
	v_pk_add_f32 v[62:63], v[58:59], v[52:53] neg_lo:[0,1] neg_hi:[0,1]
	v_mov_b32_e32 v58, v47
	v_mov_b32_e32 v59, v54
	;; [unrolled: 1-line block ×3, first 2 shown]
	v_pk_add_f32 v[44:45], v[44:45], v[58:59] neg_lo:[0,1] neg_hi:[0,1]
	v_mov_b32_e32 v54, v57
	v_mov_b32_e32 v55, v46
	v_pk_add_f32 v[44:45], v[54:55], v[44:45] neg_lo:[0,1] neg_hi:[0,1]
	v_mov_b32_e32 v62, v60
	v_pk_add_f32 v[46:47], v[62:63], v[44:45]
	v_cmp_lt_f32_e64 s[90:91], |v64|, s2
	v_mov_b32_e32 v54, v47
	v_pk_add_f32 v[54:55], v[46:47], v[54:55]
	s_or_b64 s[84:85], s[84:85], s[90:91]
	v_pk_add_f32 v[56:57], v[48:49], v[54:55]
	v_mov_b32_e32 v45, v54
	v_mov_b32_e32 v47, v56
	v_pk_add_f32 v[58:59], v[46:47], v[60:61] neg_lo:[0,1] neg_hi:[0,1]
	s_nop 0
	v_sub_f32_e32 v46, v46, v58
	v_pk_add_f32 v[44:45], v[44:45], v[58:59] neg_lo:[0,1] neg_hi:[0,1]
	v_sub_f32_e32 v46, v60, v46
	v_add_f32_e32 v44, v44, v46
	v_add_f32_e32 v44, v44, v45
	;; [unrolled: 1-line block ×3, first 2 shown]
	v_cndmask_b32_e64 v44, v44, v64, s[84:85]
	v_add_f32_e32 v44, v43, v44
.LBB509_84:
	s_or_b64 exec, exec, s[86:87]
	v_bfe_u32 v43, v44, 16, 1
	v_add3_u32 v43, v44, v43, s88
	v_and_b32_e32 v43, 0xffff0000, v43
	v_cmp_o_f32_e64 s[84:85], v44, v44
	v_and_b32_e32 v7, 0xffff0000, v7
	s_nop 0
	v_cndmask_b32_e64 v45, v41, v43, s[84:85]
	v_max_f32_e32 v41, v45, v45
	v_max_f32_e32 v43, v7, v7
	v_min_f32_e32 v44, v41, v43
	v_cmp_u_f32_e64 s[86:87], v45, v45
	v_max_f32_e32 v41, v41, v43
	v_cmp_u_f32_e64 s[84:85], v7, v7
	v_cndmask_b32_e64 v44, v44, v45, s[86:87]
	v_cndmask_b32_e64 v41, v41, v45, s[86:87]
	;; [unrolled: 1-line block ×4, first 2 shown]
	v_cmp_neq_f32_e64 s[86:87], v44, v41
	v_cmp_class_f32_e64 s[88:89], v44, s33
	s_or_b64 s[86:87], s[86:87], s[88:89]
	s_and_saveexec_b64 s[88:89], s[86:87]
	s_cbranch_execz .LBB509_86
; %bb.85:
	v_sub_f32_e32 v44, v44, v41
	s_mov_b32 s2, 0x3fb8aa3b
	v_mul_f32_e32 v45, 0x3fb8aa3b, v44
	v_fma_f32 v46, v44, s2, -v45
	v_rndne_f32_e32 v47, v45
	v_fmamk_f32 v46, v44, 0x32a5705f, v46
	v_sub_f32_e32 v45, v45, v47
	v_add_f32_e32 v45, v45, v46
	v_exp_f32_e32 v45, v45
	v_cvt_i32_f32_e32 v46, v47
	s_mov_b32 s2, 0xc2ce8ed0
	v_cmp_ngt_f32_e64 s[86:87], s2, v44
	s_mov_b32 s2, 0x42b17218
	v_ldexp_f32 v45, v45, v46
	v_cndmask_b32_e64 v45, 0, v45, s[86:87]
	v_mov_b32_e32 v46, 0x7f800000
	v_cmp_nlt_f32_e64 s[86:87], s2, v44
	s_mov_b32 s2, 0x3f2aaaab
	s_mov_b32 s3, 0x7f800000
	v_cndmask_b32_e64 v64, v46, v45, s[86:87]
	v_add_f32_e32 v46, 1.0, v64
	v_add_f32_e32 v44, -1.0, v46
	v_sub_f32_e32 v45, v44, v46
	v_add_f32_e32 v45, 1.0, v45
	v_sub_f32_e32 v44, v64, v44
	v_add_f32_e32 v47, v44, v45
	v_frexp_mant_f32_e32 v48, v46
	v_cvt_f64_f32_e32 v[44:45], v46
	v_frexp_exp_i32_f64_e32 v44, v[44:45]
	v_cmp_gt_f32_e64 s[86:87], s2, v48
	s_mov_b32 s2, 0x3f317218
	s_nop 0
	v_subbrev_co_u32_e64 v48, s[86:87], 0, v44, s[86:87]
	v_sub_u32_e32 v44, 0, v48
	v_ldexp_f32 v45, v46, v44
	v_add_f32_e32 v46, -1.0, v45
	v_add_f32_e32 v53, 1.0, v45
	v_ldexp_f32 v44, v47, v44
	v_add_f32_e32 v47, 1.0, v46
	v_add_f32_e32 v54, -1.0, v53
	v_sub_f32_e32 v47, v45, v47
	v_sub_f32_e32 v45, v45, v54
	v_add_f32_e32 v47, v44, v47
	v_add_f32_e32 v44, v44, v45
	;; [unrolled: 1-line block ×3, first 2 shown]
	v_rcp_f32_e32 v59, v58
	v_sub_f32_e32 v45, v53, v58
	v_add_f32_e32 v53, v44, v45
	v_add_f32_e32 v45, v46, v47
	v_mul_f32_e32 v61, v45, v59
	v_sub_f32_e32 v44, v46, v45
	v_mul_f32_e32 v46, v58, v61
	v_fma_f32 v54, v61, v58, -v46
	v_fmac_f32_e32 v54, v61, v53
	v_add_f32_e32 v60, v47, v44
	v_add_f32_e32 v44, v46, v54
	v_sub_f32_e32 v47, v45, v44
	v_pk_add_f32 v[56:57], v[44:45], v[46:47] neg_lo:[0,1] neg_hi:[0,1]
	v_mov_b32_e32 v55, v44
	v_pk_add_f32 v[44:45], v[56:57], v[54:55] neg_lo:[0,1] neg_hi:[0,1]
	v_cmp_eq_f32_e64 s[86:87], s3, v64
	v_add_f32_e32 v45, v60, v45
	v_add_f32_e32 v44, v44, v45
	;; [unrolled: 1-line block ×3, first 2 shown]
	v_mul_f32_e32 v60, v59, v45
	v_mul_f32_e32 v46, v58, v60
	v_fma_f32 v54, v60, v58, -v46
	v_fmac_f32_e32 v54, v60, v53
	v_sub_f32_e32 v47, v47, v45
	v_add_f32_e32 v53, v44, v47
	v_add_f32_e32 v44, v46, v54
	v_sub_f32_e32 v47, v45, v44
	v_pk_add_f32 v[56:57], v[44:45], v[46:47] neg_lo:[0,1] neg_hi:[0,1]
	v_mov_b32_e32 v55, v44
	v_pk_add_f32 v[44:45], v[56:57], v[54:55] neg_lo:[0,1] neg_hi:[0,1]
	v_cvt_f32_i32_e32 v46, v48
	v_add_f32_e32 v45, v53, v45
	v_add_f32_e32 v44, v44, v45
	;; [unrolled: 1-line block ×4, first 2 shown]
	v_sub_f32_e32 v45, v47, v61
	v_mul_f32_e32 v44, v59, v44
	v_sub_f32_e32 v45, v60, v45
	v_add_f32_e32 v44, v45, v44
	v_add_f32_e32 v53, v47, v44
	v_mul_f32_e32 v54, v53, v53
	v_mov_b32_e32 v45, 0x3ecc95a3
	v_sub_f32_e32 v47, v53, v47
	v_fmac_f32_e32 v45, 0x3e9b6dac, v54
	v_sub_f32_e32 v44, v44, v47
	v_fmaak_f32 v45, v54, v45, 0x3f2aaada
	v_ldexp_f32 v48, v44, 1
	v_mul_f32_e32 v47, v53, v54
	v_mov_b32_e32 v44, 0x3f317218
	v_pk_mul_f32 v[44:45], v[46:47], v[44:45]
	v_ldexp_f32 v55, v53, 1
	v_fma_f32 v47, v46, s2, -v44
	v_fmamk_f32 v54, v46, 0xb102e308, v47
	v_pk_add_f32 v[46:47], v[44:45], v[54:55]
	v_mov_b32_e32 v56, v44
	v_sub_f32_e32 v53, v47, v55
	v_sub_f32_e32 v53, v45, v53
	v_add_f32_e32 v57, v48, v53
	v_pk_add_f32 v[44:45], v[46:47], v[44:45] neg_lo:[0,1] neg_hi:[0,1]
	v_pk_add_f32 v[58:59], v[46:47], v[56:57]
	v_mov_b32_e32 v55, v46
	v_mov_b32_e32 v45, v59
	v_pk_add_f32 v[60:61], v[54:55], v[44:45] neg_lo:[0,1] neg_hi:[0,1]
	v_pk_add_f32 v[44:45], v[54:55], v[44:45]
	s_mov_b32 s2, 0x33800000
	v_mov_b32_e32 v48, v45
	v_pk_add_f32 v[54:55], v[48:49], v[46:47] neg_lo:[0,1] neg_hi:[0,1]
	v_mov_b32_e32 v44, v59
	v_mov_b32_e32 v53, v54
	v_pk_add_f32 v[62:63], v[58:59], v[52:53] neg_lo:[0,1] neg_hi:[0,1]
	v_mov_b32_e32 v58, v47
	v_mov_b32_e32 v59, v54
	;; [unrolled: 1-line block ×3, first 2 shown]
	v_pk_add_f32 v[44:45], v[44:45], v[58:59] neg_lo:[0,1] neg_hi:[0,1]
	v_mov_b32_e32 v54, v57
	v_mov_b32_e32 v55, v46
	v_pk_add_f32 v[44:45], v[54:55], v[44:45] neg_lo:[0,1] neg_hi:[0,1]
	v_mov_b32_e32 v62, v60
	v_pk_add_f32 v[46:47], v[62:63], v[44:45]
	v_cmp_lt_f32_e64 s[90:91], |v64|, s2
	v_mov_b32_e32 v54, v47
	v_pk_add_f32 v[54:55], v[46:47], v[54:55]
	s_or_b64 s[86:87], s[86:87], s[90:91]
	v_pk_add_f32 v[56:57], v[48:49], v[54:55]
	v_mov_b32_e32 v45, v54
	v_mov_b32_e32 v47, v56
	v_pk_add_f32 v[58:59], v[46:47], v[60:61] neg_lo:[0,1] neg_hi:[0,1]
	s_nop 0
	v_sub_f32_e32 v46, v46, v58
	v_pk_add_f32 v[44:45], v[44:45], v[58:59] neg_lo:[0,1] neg_hi:[0,1]
	v_sub_f32_e32 v46, v60, v46
	v_add_f32_e32 v44, v44, v46
	v_add_f32_e32 v44, v44, v45
	;; [unrolled: 1-line block ×3, first 2 shown]
	v_cndmask_b32_e64 v44, v44, v64, s[86:87]
	v_add_f32_e32 v45, v41, v44
.LBB509_86:
	s_or_b64 exec, exec, s[88:89]
	v_bfe_u32 v41, v45, 16, 1
	s_movk_i32 s92, 0x7fff
	v_add3_u32 v41, v45, v41, s92
	v_and_b32_e32 v41, 0xffff0000, v41
	v_mov_b32_e32 v44, 0x7fc00000
	v_cmp_o_f32_e64 s[86:87], v45, v45
	s_nop 1
	v_cndmask_b32_e64 v47, v44, v41, s[86:87]
	v_lshlrev_b32_e32 v41, 16, v8
	v_max_f32_e32 v46, v47, v47
	v_max_f32_e32 v45, v41, v41
	v_min_f32_e32 v48, v46, v45
	v_cmp_u_f32_e64 s[88:89], v47, v47
	v_max_f32_e32 v46, v46, v45
	v_cmp_u_f32_e64 s[86:87], v41, v41
	v_cndmask_b32_e64 v48, v48, v47, s[88:89]
	v_cndmask_b32_e64 v46, v46, v47, s[88:89]
	;; [unrolled: 1-line block ×4, first 2 shown]
	v_cmp_neq_f32_e64 s[88:89], v48, v46
	v_cmp_class_f32_e64 s[90:91], v48, s33
	s_or_b64 s[88:89], s[88:89], s[90:91]
	s_and_saveexec_b64 s[90:91], s[88:89]
	s_cbranch_execz .LBB509_88
; %bb.87:
	v_sub_f32_e32 v47, v48, v46
	s_mov_b32 s2, 0x3fb8aa3b
	v_mul_f32_e32 v48, 0x3fb8aa3b, v47
	v_fma_f32 v53, v47, s2, -v48
	v_rndne_f32_e32 v54, v48
	v_fmamk_f32 v53, v47, 0x32a5705f, v53
	v_sub_f32_e32 v48, v48, v54
	v_add_f32_e32 v48, v48, v53
	v_exp_f32_e32 v48, v48
	v_cvt_i32_f32_e32 v53, v54
	s_mov_b32 s2, 0xc2ce8ed0
	v_cmp_ngt_f32_e64 s[88:89], s2, v47
	s_mov_b32 s2, 0x42b17218
	v_ldexp_f32 v48, v48, v53
	v_cndmask_b32_e64 v48, 0, v48, s[88:89]
	v_mov_b32_e32 v53, 0x7f800000
	v_cmp_nlt_f32_e64 s[88:89], s2, v47
	s_mov_b32 s2, 0x3f2aaaab
	s_mov_b32 s3, 0x7f800000
	v_cndmask_b32_e64 v53, v53, v48, s[88:89]
	v_add_f32_e32 v47, 1.0, v53
	v_add_f32_e32 v48, -1.0, v47
	v_sub_f32_e32 v54, v48, v47
	v_add_f32_e32 v54, 1.0, v54
	v_sub_f32_e32 v48, v53, v48
	v_add_f32_e32 v48, v48, v54
	v_frexp_mant_f32_e32 v56, v47
	v_cvt_f64_f32_e32 v[54:55], v47
	v_frexp_exp_i32_f64_e32 v54, v[54:55]
	v_cmp_gt_f32_e64 s[88:89], s2, v56
	s_mov_b32 s2, 0x3f317218
	s_nop 0
	v_subbrev_co_u32_e64 v62, s[88:89], 0, v54, s[88:89]
	v_sub_u32_e32 v54, 0, v62
	v_ldexp_f32 v47, v47, v54
	v_ldexp_f32 v48, v48, v54
	v_add_f32_e32 v54, -1.0, v47
	v_add_f32_e32 v55, 1.0, v54
	v_sub_f32_e32 v55, v47, v55
	v_add_f32_e32 v56, v48, v55
	v_add_f32_e32 v55, 1.0, v47
	v_add_f32_e32 v57, -1.0, v55
	v_sub_f32_e32 v47, v47, v57
	v_add_f32_e32 v47, v48, v47
	v_add_f32_e32 v48, v55, v47
	v_rcp_f32_e32 v63, v48
	v_sub_f32_e32 v55, v55, v48
	v_add_f32_e32 v47, v47, v55
	v_add_f32_e32 v55, v54, v56
	v_sub_f32_e32 v54, v54, v55
	v_mul_f32_e32 v65, v55, v63
	v_add_f32_e32 v64, v56, v54
	v_mul_f32_e32 v56, v48, v65
	v_fma_f32 v58, v65, v48, -v56
	v_fmac_f32_e32 v58, v65, v47
	v_add_f32_e32 v54, v56, v58
	v_sub_f32_e32 v57, v55, v54
	v_pk_add_f32 v[60:61], v[54:55], v[56:57] neg_lo:[0,1] neg_hi:[0,1]
	v_mov_b32_e32 v59, v54
	v_pk_add_f32 v[54:55], v[60:61], v[58:59] neg_lo:[0,1] neg_hi:[0,1]
	v_cmp_eq_f32_e64 s[88:89], s3, v53
	v_add_f32_e32 v55, v64, v55
	v_add_f32_e32 v54, v54, v55
	;; [unrolled: 1-line block ×3, first 2 shown]
	v_mul_f32_e32 v64, v63, v55
	v_mul_f32_e32 v56, v48, v64
	v_fma_f32 v58, v64, v48, -v56
	v_fmac_f32_e32 v58, v64, v47
	v_sub_f32_e32 v47, v57, v55
	v_add_f32_e32 v47, v54, v47
	v_add_f32_e32 v54, v56, v58
	v_sub_f32_e32 v57, v55, v54
	v_pk_add_f32 v[60:61], v[54:55], v[56:57] neg_lo:[0,1] neg_hi:[0,1]
	v_mov_b32_e32 v59, v54
	v_pk_add_f32 v[54:55], v[60:61], v[58:59] neg_lo:[0,1] neg_hi:[0,1]
	v_add_f32_e32 v48, v65, v64
	v_add_f32_e32 v47, v47, v55
	;; [unrolled: 1-line block ×4, first 2 shown]
	v_sub_f32_e32 v54, v48, v65
	v_mul_f32_e32 v47, v63, v47
	v_sub_f32_e32 v54, v64, v54
	v_add_f32_e32 v47, v54, v47
	v_add_f32_e32 v54, v48, v47
	v_cvt_f32_i32_e32 v56, v62
	v_mul_f32_e32 v57, v54, v54
	v_mov_b32_e32 v55, 0x3ecc95a3
	v_fmac_f32_e32 v55, 0x3e9b6dac, v57
	v_fmaak_f32 v55, v57, v55, 0x3f2aaada
	v_sub_f32_e32 v48, v54, v48
	v_ldexp_f32 v59, v54, 1
	v_mul_f32_e32 v57, v54, v57
	v_mov_b32_e32 v54, 0x3f317218
	v_pk_mul_f32 v[54:55], v[56:57], v[54:55]
	v_sub_f32_e32 v47, v47, v48
	v_fma_f32 v48, v56, s2, -v54
	v_fmamk_f32 v58, v56, 0xb102e308, v48
	v_pk_add_f32 v[56:57], v[54:55], v[58:59]
	v_ldexp_f32 v47, v47, 1
	v_sub_f32_e32 v48, v57, v59
	v_sub_f32_e32 v48, v55, v48
	v_add_f32_e32 v61, v47, v48
	v_mov_b32_e32 v60, v54
	v_pk_add_f32 v[54:55], v[56:57], v[54:55] neg_lo:[0,1] neg_hi:[0,1]
	v_pk_add_f32 v[62:63], v[56:57], v[60:61]
	v_mov_b32_e32 v59, v56
	v_mov_b32_e32 v55, v63
	v_pk_add_f32 v[64:65], v[58:59], v[54:55] neg_lo:[0,1] neg_hi:[0,1]
	v_pk_add_f32 v[54:55], v[58:59], v[54:55]
	s_mov_b32 s2, 0x33800000
	v_mov_b32_e32 v48, v55
	v_pk_add_f32 v[58:59], v[48:49], v[56:57] neg_lo:[0,1] neg_hi:[0,1]
	v_mov_b32_e32 v54, v63
	v_mov_b32_e32 v47, v58
	v_pk_add_f32 v[66:67], v[62:63], v[46:47] neg_lo:[0,1] neg_hi:[0,1]
	v_mov_b32_e32 v62, v57
	v_mov_b32_e32 v63, v58
	;; [unrolled: 1-line block ×3, first 2 shown]
	v_pk_add_f32 v[54:55], v[54:55], v[62:63] neg_lo:[0,1] neg_hi:[0,1]
	v_mov_b32_e32 v58, v61
	v_mov_b32_e32 v59, v56
	v_pk_add_f32 v[54:55], v[58:59], v[54:55] neg_lo:[0,1] neg_hi:[0,1]
	v_mov_b32_e32 v66, v64
	v_pk_add_f32 v[56:57], v[66:67], v[54:55]
	v_cmp_lt_f32_e64 s[96:97], |v53|, s2
	v_mov_b32_e32 v58, v57
	v_pk_add_f32 v[58:59], v[56:57], v[58:59]
	s_or_b64 s[88:89], s[88:89], s[96:97]
	v_pk_add_f32 v[60:61], v[48:49], v[58:59]
	v_mov_b32_e32 v55, v58
	v_mov_b32_e32 v57, v60
	v_pk_add_f32 v[62:63], v[56:57], v[64:65] neg_lo:[0,1] neg_hi:[0,1]
	s_nop 0
	v_sub_f32_e32 v47, v56, v62
	v_pk_add_f32 v[54:55], v[54:55], v[62:63] neg_lo:[0,1] neg_hi:[0,1]
	v_sub_f32_e32 v47, v64, v47
	v_add_f32_e32 v47, v54, v47
	v_add_f32_e32 v47, v47, v55
	;; [unrolled: 1-line block ×3, first 2 shown]
	v_cndmask_b32_e64 v47, v47, v53, s[88:89]
	v_add_f32_e32 v47, v46, v47
.LBB509_88:
	s_or_b64 exec, exec, s[90:91]
	v_bfe_u32 v46, v47, 16, 1
	v_add3_u32 v46, v47, v46, s92
	v_and_b32_e32 v46, 0xffff0000, v46
	v_cmp_o_f32_e64 s[88:89], v47, v47
	v_and_b32_e32 v8, 0xffff0000, v8
	s_nop 0
	v_cndmask_b32_e64 v47, v44, v46, s[88:89]
	v_max_f32_e32 v44, v47, v47
	v_max_f32_e32 v46, v8, v8
	v_min_f32_e32 v48, v44, v46
	v_cmp_u_f32_e64 s[90:91], v47, v47
	v_max_f32_e32 v44, v44, v46
	v_cmp_u_f32_e64 s[88:89], v8, v8
	v_cndmask_b32_e64 v48, v48, v47, s[90:91]
	v_cndmask_b32_e64 v44, v44, v47, s[90:91]
	;; [unrolled: 1-line block ×4, first 2 shown]
	v_cmp_neq_f32_e64 s[90:91], v48, v44
	v_cmp_class_f32_e64 s[92:93], v48, s33
	s_or_b64 s[90:91], s[90:91], s[92:93]
	s_and_saveexec_b64 s[92:93], s[90:91]
	s_cbranch_execz .LBB509_90
; %bb.89:
	v_sub_f32_e32 v47, v48, v44
	s_mov_b32 s2, 0x3fb8aa3b
	v_mul_f32_e32 v48, 0x3fb8aa3b, v47
	v_fma_f32 v53, v47, s2, -v48
	v_rndne_f32_e32 v54, v48
	v_fmamk_f32 v53, v47, 0x32a5705f, v53
	v_sub_f32_e32 v48, v48, v54
	v_add_f32_e32 v48, v48, v53
	v_exp_f32_e32 v48, v48
	v_cvt_i32_f32_e32 v53, v54
	s_mov_b32 s2, 0xc2ce8ed0
	v_cmp_ngt_f32_e64 s[90:91], s2, v47
	s_mov_b32 s2, 0x42b17218
	v_ldexp_f32 v48, v48, v53
	v_cndmask_b32_e64 v48, 0, v48, s[90:91]
	v_mov_b32_e32 v53, 0x7f800000
	v_cmp_nlt_f32_e64 s[90:91], s2, v47
	s_mov_b32 s2, 0x3f2aaaab
	s_mov_b32 s3, 0x7f800000
	v_cndmask_b32_e64 v53, v53, v48, s[90:91]
	v_add_f32_e32 v47, 1.0, v53
	v_add_f32_e32 v48, -1.0, v47
	v_sub_f32_e32 v54, v48, v47
	v_add_f32_e32 v54, 1.0, v54
	v_sub_f32_e32 v48, v53, v48
	v_add_f32_e32 v48, v48, v54
	v_frexp_mant_f32_e32 v56, v47
	v_cvt_f64_f32_e32 v[54:55], v47
	v_frexp_exp_i32_f64_e32 v54, v[54:55]
	v_cmp_gt_f32_e64 s[90:91], s2, v56
	s_mov_b32 s2, 0x3f317218
	s_nop 0
	v_subbrev_co_u32_e64 v62, s[90:91], 0, v54, s[90:91]
	v_sub_u32_e32 v54, 0, v62
	v_ldexp_f32 v47, v47, v54
	v_ldexp_f32 v48, v48, v54
	v_add_f32_e32 v54, -1.0, v47
	v_add_f32_e32 v55, 1.0, v54
	v_sub_f32_e32 v55, v47, v55
	v_add_f32_e32 v56, v48, v55
	v_add_f32_e32 v55, 1.0, v47
	v_add_f32_e32 v57, -1.0, v55
	v_sub_f32_e32 v47, v47, v57
	v_add_f32_e32 v47, v48, v47
	v_add_f32_e32 v48, v55, v47
	v_rcp_f32_e32 v63, v48
	v_sub_f32_e32 v55, v55, v48
	v_add_f32_e32 v47, v47, v55
	v_add_f32_e32 v55, v54, v56
	v_sub_f32_e32 v54, v54, v55
	v_mul_f32_e32 v65, v55, v63
	v_add_f32_e32 v64, v56, v54
	v_mul_f32_e32 v56, v48, v65
	v_fma_f32 v58, v65, v48, -v56
	v_fmac_f32_e32 v58, v65, v47
	v_add_f32_e32 v54, v56, v58
	v_sub_f32_e32 v57, v55, v54
	v_pk_add_f32 v[60:61], v[54:55], v[56:57] neg_lo:[0,1] neg_hi:[0,1]
	v_mov_b32_e32 v59, v54
	v_pk_add_f32 v[54:55], v[60:61], v[58:59] neg_lo:[0,1] neg_hi:[0,1]
	v_cmp_eq_f32_e64 s[90:91], s3, v53
	v_add_f32_e32 v55, v64, v55
	v_add_f32_e32 v54, v54, v55
	;; [unrolled: 1-line block ×3, first 2 shown]
	v_mul_f32_e32 v64, v63, v55
	v_mul_f32_e32 v56, v48, v64
	v_fma_f32 v58, v64, v48, -v56
	v_fmac_f32_e32 v58, v64, v47
	v_sub_f32_e32 v47, v57, v55
	v_add_f32_e32 v47, v54, v47
	v_add_f32_e32 v54, v56, v58
	v_sub_f32_e32 v57, v55, v54
	v_pk_add_f32 v[60:61], v[54:55], v[56:57] neg_lo:[0,1] neg_hi:[0,1]
	v_mov_b32_e32 v59, v54
	v_pk_add_f32 v[54:55], v[60:61], v[58:59] neg_lo:[0,1] neg_hi:[0,1]
	v_add_f32_e32 v48, v65, v64
	v_add_f32_e32 v47, v47, v55
	;; [unrolled: 1-line block ×4, first 2 shown]
	v_sub_f32_e32 v54, v48, v65
	v_mul_f32_e32 v47, v63, v47
	v_sub_f32_e32 v54, v64, v54
	v_add_f32_e32 v47, v54, v47
	v_add_f32_e32 v54, v48, v47
	v_cvt_f32_i32_e32 v56, v62
	v_mul_f32_e32 v57, v54, v54
	v_mov_b32_e32 v55, 0x3ecc95a3
	v_fmac_f32_e32 v55, 0x3e9b6dac, v57
	v_fmaak_f32 v55, v57, v55, 0x3f2aaada
	v_sub_f32_e32 v48, v54, v48
	v_ldexp_f32 v59, v54, 1
	v_mul_f32_e32 v57, v54, v57
	v_mov_b32_e32 v54, 0x3f317218
	v_pk_mul_f32 v[54:55], v[56:57], v[54:55]
	v_sub_f32_e32 v47, v47, v48
	v_fma_f32 v48, v56, s2, -v54
	v_fmamk_f32 v58, v56, 0xb102e308, v48
	v_pk_add_f32 v[56:57], v[54:55], v[58:59]
	v_ldexp_f32 v47, v47, 1
	v_sub_f32_e32 v48, v57, v59
	v_sub_f32_e32 v48, v55, v48
	v_add_f32_e32 v61, v47, v48
	v_mov_b32_e32 v60, v54
	v_pk_add_f32 v[54:55], v[56:57], v[54:55] neg_lo:[0,1] neg_hi:[0,1]
	v_pk_add_f32 v[62:63], v[56:57], v[60:61]
	v_mov_b32_e32 v59, v56
	v_mov_b32_e32 v55, v63
	v_pk_add_f32 v[64:65], v[58:59], v[54:55] neg_lo:[0,1] neg_hi:[0,1]
	v_pk_add_f32 v[54:55], v[58:59], v[54:55]
	s_mov_b32 s2, 0x33800000
	v_mov_b32_e32 v48, v55
	v_pk_add_f32 v[58:59], v[48:49], v[56:57] neg_lo:[0,1] neg_hi:[0,1]
	v_mov_b32_e32 v54, v63
	v_mov_b32_e32 v47, v58
	v_pk_add_f32 v[66:67], v[62:63], v[46:47] neg_lo:[0,1] neg_hi:[0,1]
	v_mov_b32_e32 v62, v57
	v_mov_b32_e32 v63, v58
	;; [unrolled: 1-line block ×3, first 2 shown]
	v_pk_add_f32 v[54:55], v[54:55], v[62:63] neg_lo:[0,1] neg_hi:[0,1]
	v_mov_b32_e32 v58, v61
	v_mov_b32_e32 v59, v56
	v_pk_add_f32 v[54:55], v[58:59], v[54:55] neg_lo:[0,1] neg_hi:[0,1]
	v_mov_b32_e32 v66, v64
	v_pk_add_f32 v[56:57], v[66:67], v[54:55]
	v_cmp_lt_f32_e64 s[96:97], |v53|, s2
	v_mov_b32_e32 v58, v57
	v_pk_add_f32 v[58:59], v[56:57], v[58:59]
	s_or_b64 s[90:91], s[90:91], s[96:97]
	v_pk_add_f32 v[60:61], v[48:49], v[58:59]
	v_mov_b32_e32 v55, v58
	v_mov_b32_e32 v57, v60
	v_pk_add_f32 v[62:63], v[56:57], v[64:65] neg_lo:[0,1] neg_hi:[0,1]
	s_nop 0
	v_sub_f32_e32 v47, v56, v62
	v_pk_add_f32 v[54:55], v[54:55], v[62:63] neg_lo:[0,1] neg_hi:[0,1]
	v_sub_f32_e32 v47, v64, v47
	v_add_f32_e32 v47, v54, v47
	v_add_f32_e32 v47, v47, v55
	;; [unrolled: 1-line block ×3, first 2 shown]
	v_cndmask_b32_e64 v47, v47, v53, s[90:91]
	v_add_f32_e32 v47, v44, v47
.LBB509_90:
	s_or_b64 exec, exec, s[92:93]
	v_bfe_u32 v44, v47, 16, 1
	s_movk_i32 s98, 0x7fff
	v_add3_u32 v44, v47, v44, s98
	v_and_b32_e32 v44, 0xffff0000, v44
	v_mov_b32_e32 v48, 0x7fc00000
	v_cmp_o_f32_e64 s[90:91], v47, v47
	s_nop 1
	v_cndmask_b32_e64 v54, v48, v44, s[90:91]
	v_lshlrev_b32_e32 v44, 16, v9
	v_max_f32_e32 v53, v54, v54
	v_max_f32_e32 v47, v44, v44
	v_min_f32_e32 v55, v53, v47
	v_cmp_u_f32_e64 s[92:93], v54, v54
	v_max_f32_e32 v53, v53, v47
	v_cmp_u_f32_e64 s[90:91], v44, v44
	v_cndmask_b32_e64 v55, v55, v54, s[92:93]
	v_cndmask_b32_e64 v53, v53, v54, s[92:93]
	;; [unrolled: 1-line block ×4, first 2 shown]
	v_cmp_neq_f32_e64 s[92:93], v55, v53
	v_cmp_class_f32_e64 s[96:97], v55, s33
	s_or_b64 s[92:93], s[92:93], s[96:97]
	s_and_saveexec_b64 s[96:97], s[92:93]
	s_cbranch_execz .LBB509_92
; %bb.91:
	v_sub_f32_e32 v54, v55, v53
	s_mov_b32 s2, 0x3fb8aa3b
	v_mul_f32_e32 v55, 0x3fb8aa3b, v54
	v_fma_f32 v56, v54, s2, -v55
	v_rndne_f32_e32 v57, v55
	v_fmamk_f32 v56, v54, 0x32a5705f, v56
	v_sub_f32_e32 v55, v55, v57
	v_add_f32_e32 v55, v55, v56
	v_exp_f32_e32 v55, v55
	v_cvt_i32_f32_e32 v56, v57
	s_mov_b32 s2, 0xc2ce8ed0
	v_cmp_ngt_f32_e64 s[92:93], s2, v54
	s_mov_b32 s2, 0x42b17218
	v_ldexp_f32 v55, v55, v56
	v_cndmask_b32_e64 v55, 0, v55, s[92:93]
	v_mov_b32_e32 v56, 0x7f800000
	v_cmp_nlt_f32_e64 s[92:93], s2, v54
	s_mov_b32 s2, 0x3f2aaaab
	s_mov_b32 s3, 0x7f800000
	v_cndmask_b32_e64 v70, v56, v55, s[92:93]
	v_add_f32_e32 v56, 1.0, v70
	v_add_f32_e32 v54, -1.0, v56
	v_sub_f32_e32 v55, v54, v56
	v_add_f32_e32 v55, 1.0, v55
	v_sub_f32_e32 v54, v70, v54
	v_add_f32_e32 v57, v54, v55
	v_frexp_mant_f32_e32 v58, v56
	v_cvt_f64_f32_e32 v[54:55], v56
	v_frexp_exp_i32_f64_e32 v54, v[54:55]
	v_cmp_gt_f32_e64 s[92:93], s2, v58
	s_mov_b32 s2, 0x3f317218
	s_nop 0
	v_subbrev_co_u32_e64 v62, s[92:93], 0, v54, s[92:93]
	v_sub_u32_e32 v54, 0, v62
	v_ldexp_f32 v55, v56, v54
	v_add_f32_e32 v56, -1.0, v55
	v_add_f32_e32 v58, 1.0, v55
	v_ldexp_f32 v54, v57, v54
	v_add_f32_e32 v57, 1.0, v56
	v_add_f32_e32 v59, -1.0, v58
	v_sub_f32_e32 v57, v55, v57
	v_sub_f32_e32 v55, v55, v59
	v_add_f32_e32 v57, v54, v57
	v_add_f32_e32 v54, v54, v55
	;; [unrolled: 1-line block ×3, first 2 shown]
	v_rcp_f32_e32 v65, v63
	v_sub_f32_e32 v55, v58, v63
	v_add_f32_e32 v64, v54, v55
	v_add_f32_e32 v55, v56, v57
	v_mul_f32_e32 v67, v55, v65
	v_sub_f32_e32 v54, v56, v55
	v_mul_f32_e32 v56, v63, v67
	v_fma_f32 v58, v67, v63, -v56
	v_fmac_f32_e32 v58, v67, v64
	v_add_f32_e32 v66, v57, v54
	v_add_f32_e32 v54, v56, v58
	v_sub_f32_e32 v57, v55, v54
	v_pk_add_f32 v[60:61], v[54:55], v[56:57] neg_lo:[0,1] neg_hi:[0,1]
	v_mov_b32_e32 v59, v54
	v_pk_add_f32 v[54:55], v[60:61], v[58:59] neg_lo:[0,1] neg_hi:[0,1]
	v_cmp_eq_f32_e64 s[92:93], s3, v70
	v_add_f32_e32 v55, v66, v55
	v_add_f32_e32 v54, v54, v55
	;; [unrolled: 1-line block ×3, first 2 shown]
	v_mul_f32_e32 v66, v65, v55
	v_mul_f32_e32 v56, v63, v66
	v_fma_f32 v58, v66, v63, -v56
	v_fmac_f32_e32 v58, v66, v64
	v_sub_f32_e32 v57, v57, v55
	v_add_f32_e32 v63, v54, v57
	v_add_f32_e32 v54, v56, v58
	v_sub_f32_e32 v57, v55, v54
	v_pk_add_f32 v[60:61], v[54:55], v[56:57] neg_lo:[0,1] neg_hi:[0,1]
	v_mov_b32_e32 v59, v54
	v_pk_add_f32 v[54:55], v[60:61], v[58:59] neg_lo:[0,1] neg_hi:[0,1]
	v_cvt_f32_i32_e32 v56, v62
	v_add_f32_e32 v55, v63, v55
	v_add_f32_e32 v54, v54, v55
	v_add_f32_e32 v54, v57, v54
	v_add_f32_e32 v57, v67, v66
	v_sub_f32_e32 v55, v57, v67
	v_mul_f32_e32 v54, v65, v54
	v_sub_f32_e32 v55, v66, v55
	v_add_f32_e32 v54, v55, v54
	v_add_f32_e32 v58, v57, v54
	v_mul_f32_e32 v60, v58, v58
	v_mov_b32_e32 v55, 0x3ecc95a3
	v_sub_f32_e32 v57, v58, v57
	v_fmac_f32_e32 v55, 0x3e9b6dac, v60
	v_sub_f32_e32 v54, v54, v57
	v_fmaak_f32 v55, v60, v55, 0x3f2aaada
	v_ldexp_f32 v61, v54, 1
	v_mul_f32_e32 v57, v58, v60
	v_mov_b32_e32 v54, 0x3f317218
	v_pk_mul_f32 v[54:55], v[56:57], v[54:55]
	v_ldexp_f32 v59, v58, 1
	v_fma_f32 v57, v56, s2, -v54
	v_fmamk_f32 v58, v56, 0xb102e308, v57
	v_pk_add_f32 v[56:57], v[54:55], v[58:59]
	v_mov_b32_e32 v60, v54
	v_sub_f32_e32 v59, v57, v59
	v_sub_f32_e32 v59, v55, v59
	v_add_f32_e32 v61, v61, v59
	v_pk_add_f32 v[54:55], v[56:57], v[54:55] neg_lo:[0,1] neg_hi:[0,1]
	v_pk_add_f32 v[62:63], v[56:57], v[60:61]
	v_mov_b32_e32 v59, v56
	v_mov_b32_e32 v55, v63
	v_pk_add_f32 v[64:65], v[58:59], v[54:55] neg_lo:[0,1] neg_hi:[0,1]
	v_pk_add_f32 v[54:55], v[58:59], v[54:55]
	v_mov_b32_e32 v60, v61
	v_mov_b32_e32 v58, v55
	v_pk_add_f32 v[66:67], v[58:59], v[56:57] neg_lo:[0,1] neg_hi:[0,1]
	v_mov_b32_e32 v54, v63
	v_mov_b32_e32 v59, v66
	v_pk_add_f32 v[68:69], v[62:63], v[58:59] neg_lo:[0,1] neg_hi:[0,1]
	v_mov_b32_e32 v62, v57
	v_mov_b32_e32 v63, v66
	;; [unrolled: 1-line block ×3, first 2 shown]
	v_pk_add_f32 v[54:55], v[54:55], v[62:63] neg_lo:[0,1] neg_hi:[0,1]
	v_mov_b32_e32 v61, v56
	v_pk_add_f32 v[54:55], v[60:61], v[54:55] neg_lo:[0,1] neg_hi:[0,1]
	v_mov_b32_e32 v68, v64
	v_pk_add_f32 v[56:57], v[68:69], v[54:55]
	s_mov_b32 s2, 0x33800000
	v_mov_b32_e32 v60, v57
	v_pk_add_f32 v[60:61], v[56:57], v[60:61]
	v_cmp_lt_f32_e64 vcc, |v70|, s2
	v_pk_add_f32 v[58:59], v[58:59], v[60:61]
	v_mov_b32_e32 v55, v60
	v_mov_b32_e32 v57, v58
	v_pk_add_f32 v[62:63], v[56:57], v[64:65] neg_lo:[0,1] neg_hi:[0,1]
	s_or_b64 s[92:93], s[92:93], vcc
	v_sub_f32_e32 v56, v56, v62
	v_pk_add_f32 v[54:55], v[54:55], v[62:63] neg_lo:[0,1] neg_hi:[0,1]
	v_sub_f32_e32 v56, v64, v56
	v_add_f32_e32 v54, v54, v56
	v_add_f32_e32 v54, v54, v55
	;; [unrolled: 1-line block ×3, first 2 shown]
	v_cndmask_b32_e64 v54, v54, v70, s[92:93]
	v_add_f32_e32 v54, v53, v54
.LBB509_92:
	s_or_b64 exec, exec, s[96:97]
	v_bfe_u32 v53, v54, 16, 1
	v_add3_u32 v53, v54, v53, s98
	v_and_b32_e32 v53, 0xffff0000, v53
	v_cmp_o_f32_e64 s[92:93], v54, v54
	v_and_b32_e32 v9, 0xffff0000, v9
	s_movk_i32 s2, 0x1f8
	v_cndmask_b32_e64 v54, v48, v53, s[92:93]
	v_max_f32_e32 v53, v54, v54
	v_max_f32_e32 v48, v9, v9
	v_min_f32_e32 v55, v53, v48
	v_cmp_u_f32_e64 s[98:99], v54, v54
	v_max_f32_e32 v53, v53, v48
	v_cmp_u_f32_e64 s[92:93], v9, v9
	v_cndmask_b32_e64 v55, v55, v54, s[98:99]
	v_cndmask_b32_e64 v53, v53, v54, s[98:99]
	;; [unrolled: 1-line block ×4, first 2 shown]
	v_cmp_neq_f32_e64 s[98:99], v55, v53
	v_cmp_class_f32_e64 s[96:97], v55, s2
	s_or_b64 s[98:99], s[98:99], s[96:97]
	s_and_saveexec_b64 s[96:97], s[98:99]
	s_cbranch_execz .LBB509_94
; %bb.93:
	v_sub_f32_e32 v54, v55, v53
	s_mov_b32 s2, 0x3fb8aa3b
	v_mul_f32_e32 v55, 0x3fb8aa3b, v54
	v_fma_f32 v56, v54, s2, -v55
	v_rndne_f32_e32 v57, v55
	v_fmamk_f32 v56, v54, 0x32a5705f, v56
	v_sub_f32_e32 v55, v55, v57
	v_add_f32_e32 v55, v55, v56
	v_exp_f32_e32 v55, v55
	v_cvt_i32_f32_e32 v56, v57
	s_mov_b32 s2, 0xc2ce8ed0
	v_cmp_ngt_f32_e64 s[98:99], s2, v54
	s_mov_b32 s2, 0x42b17218
	v_ldexp_f32 v55, v55, v56
	v_cndmask_b32_e64 v55, 0, v55, s[98:99]
	v_mov_b32_e32 v56, 0x7f800000
	v_cmp_nlt_f32_e64 s[98:99], s2, v54
	s_mov_b32 s2, 0x3f2aaaab
	s_mov_b32 s3, 0x7f800000
	v_cndmask_b32_e64 v70, v56, v55, s[98:99]
	v_add_f32_e32 v56, 1.0, v70
	v_add_f32_e32 v54, -1.0, v56
	v_sub_f32_e32 v55, v54, v56
	v_add_f32_e32 v55, 1.0, v55
	v_sub_f32_e32 v54, v70, v54
	v_add_f32_e32 v57, v54, v55
	v_frexp_mant_f32_e32 v58, v56
	v_cvt_f64_f32_e32 v[54:55], v56
	v_frexp_exp_i32_f64_e32 v54, v[54:55]
	v_cmp_gt_f32_e64 s[98:99], s2, v58
	s_mov_b32 s2, 0x3f317218
	s_nop 0
	v_subbrev_co_u32_e64 v62, s[98:99], 0, v54, s[98:99]
	v_sub_u32_e32 v54, 0, v62
	v_ldexp_f32 v55, v56, v54
	v_add_f32_e32 v56, -1.0, v55
	v_add_f32_e32 v58, 1.0, v55
	v_ldexp_f32 v54, v57, v54
	v_add_f32_e32 v57, 1.0, v56
	v_add_f32_e32 v59, -1.0, v58
	v_sub_f32_e32 v57, v55, v57
	v_sub_f32_e32 v55, v55, v59
	v_add_f32_e32 v57, v54, v57
	v_add_f32_e32 v54, v54, v55
	;; [unrolled: 1-line block ×3, first 2 shown]
	v_rcp_f32_e32 v65, v63
	v_sub_f32_e32 v55, v58, v63
	v_add_f32_e32 v64, v54, v55
	v_add_f32_e32 v55, v56, v57
	v_mul_f32_e32 v67, v55, v65
	v_sub_f32_e32 v54, v56, v55
	v_mul_f32_e32 v56, v63, v67
	v_fma_f32 v58, v67, v63, -v56
	v_fmac_f32_e32 v58, v67, v64
	v_add_f32_e32 v66, v57, v54
	v_add_f32_e32 v54, v56, v58
	v_sub_f32_e32 v57, v55, v54
	v_pk_add_f32 v[60:61], v[54:55], v[56:57] neg_lo:[0,1] neg_hi:[0,1]
	v_mov_b32_e32 v59, v54
	v_pk_add_f32 v[54:55], v[60:61], v[58:59] neg_lo:[0,1] neg_hi:[0,1]
	v_cmp_eq_f32_e64 s[98:99], s3, v70
	v_add_f32_e32 v55, v66, v55
	v_add_f32_e32 v54, v54, v55
	;; [unrolled: 1-line block ×3, first 2 shown]
	v_mul_f32_e32 v66, v65, v55
	v_mul_f32_e32 v56, v63, v66
	v_fma_f32 v58, v66, v63, -v56
	v_fmac_f32_e32 v58, v66, v64
	v_sub_f32_e32 v57, v57, v55
	v_add_f32_e32 v63, v54, v57
	v_add_f32_e32 v54, v56, v58
	v_sub_f32_e32 v57, v55, v54
	v_pk_add_f32 v[60:61], v[54:55], v[56:57] neg_lo:[0,1] neg_hi:[0,1]
	v_mov_b32_e32 v59, v54
	v_pk_add_f32 v[54:55], v[60:61], v[58:59] neg_lo:[0,1] neg_hi:[0,1]
	v_cvt_f32_i32_e32 v56, v62
	v_add_f32_e32 v55, v63, v55
	v_add_f32_e32 v54, v54, v55
	;; [unrolled: 1-line block ×4, first 2 shown]
	v_sub_f32_e32 v55, v57, v67
	v_mul_f32_e32 v54, v65, v54
	v_sub_f32_e32 v55, v66, v55
	v_add_f32_e32 v54, v55, v54
	v_add_f32_e32 v58, v57, v54
	v_mul_f32_e32 v60, v58, v58
	v_mov_b32_e32 v55, 0x3ecc95a3
	v_sub_f32_e32 v57, v58, v57
	v_fmac_f32_e32 v55, 0x3e9b6dac, v60
	v_sub_f32_e32 v54, v54, v57
	v_fmaak_f32 v55, v60, v55, 0x3f2aaada
	v_ldexp_f32 v61, v54, 1
	v_mul_f32_e32 v57, v58, v60
	v_mov_b32_e32 v54, 0x3f317218
	v_pk_mul_f32 v[54:55], v[56:57], v[54:55]
	v_ldexp_f32 v59, v58, 1
	v_fma_f32 v57, v56, s2, -v54
	v_fmamk_f32 v58, v56, 0xb102e308, v57
	v_pk_add_f32 v[56:57], v[54:55], v[58:59]
	v_mov_b32_e32 v60, v54
	v_sub_f32_e32 v59, v57, v59
	v_sub_f32_e32 v59, v55, v59
	v_add_f32_e32 v61, v61, v59
	v_pk_add_f32 v[54:55], v[56:57], v[54:55] neg_lo:[0,1] neg_hi:[0,1]
	v_pk_add_f32 v[62:63], v[56:57], v[60:61]
	v_mov_b32_e32 v59, v56
	v_mov_b32_e32 v55, v63
	v_pk_add_f32 v[64:65], v[58:59], v[54:55] neg_lo:[0,1] neg_hi:[0,1]
	v_pk_add_f32 v[54:55], v[58:59], v[54:55]
	v_mov_b32_e32 v60, v61
	v_mov_b32_e32 v58, v55
	v_pk_add_f32 v[66:67], v[58:59], v[56:57] neg_lo:[0,1] neg_hi:[0,1]
	v_mov_b32_e32 v54, v63
	v_mov_b32_e32 v59, v66
	v_pk_add_f32 v[68:69], v[62:63], v[58:59] neg_lo:[0,1] neg_hi:[0,1]
	v_mov_b32_e32 v62, v57
	v_mov_b32_e32 v63, v66
	;; [unrolled: 1-line block ×3, first 2 shown]
	v_pk_add_f32 v[54:55], v[54:55], v[62:63] neg_lo:[0,1] neg_hi:[0,1]
	v_mov_b32_e32 v61, v56
	v_pk_add_f32 v[54:55], v[60:61], v[54:55] neg_lo:[0,1] neg_hi:[0,1]
	v_mov_b32_e32 v68, v64
	v_pk_add_f32 v[56:57], v[68:69], v[54:55]
	s_mov_b32 s2, 0x33800000
	v_mov_b32_e32 v60, v57
	v_pk_add_f32 v[60:61], v[56:57], v[60:61]
	v_cmp_lt_f32_e64 vcc, |v70|, s2
	v_pk_add_f32 v[58:59], v[58:59], v[60:61]
	v_mov_b32_e32 v55, v60
	v_mov_b32_e32 v57, v58
	v_pk_add_f32 v[62:63], v[56:57], v[64:65] neg_lo:[0,1] neg_hi:[0,1]
	s_or_b64 s[98:99], s[98:99], vcc
	v_sub_f32_e32 v56, v56, v62
	v_pk_add_f32 v[54:55], v[54:55], v[62:63] neg_lo:[0,1] neg_hi:[0,1]
	v_sub_f32_e32 v56, v64, v56
	v_add_f32_e32 v54, v54, v56
	v_add_f32_e32 v54, v54, v55
	;; [unrolled: 1-line block ×3, first 2 shown]
	v_cndmask_b32_e64 v54, v54, v70, s[98:99]
	v_add_f32_e32 v54, v53, v54
.LBB509_94:
	s_or_b64 exec, exec, s[96:97]
	v_bfe_u32 v53, v54, 16, 1
	s_movk_i32 s2, 0x7fff
	v_add3_u32 v53, v54, v53, s2
	v_lshrrev_b32_e32 v53, 16, v53
	v_mov_b32_e32 v55, 0x7fc0
	v_cmp_o_f32_e64 s[98:99], v54, v54
	s_nop 1
	v_cndmask_b32_e64 v56, v55, v53, s[98:99]
	v_mbcnt_lo_u32_b32 v53, -1, 0
	v_mbcnt_hi_u32_b32 v54, -1, v53
	v_and_b32_e32 v55, 15, v54
	v_and_b32_e32 v57, 0xffff, v56
	v_cmp_ne_u32_e64 s[98:99], 0, v55
	s_nop 0
	v_mov_b32_dpp v53, v57 row_shr:1 row_mask:0xf bank_mask:0xf
	s_and_saveexec_b64 s[96:97], s[98:99]
	s_cbranch_execz .LBB509_98
; %bb.95:
	v_lshlrev_b32_e32 v56, 16, v53
	v_lshlrev_b32_e32 v53, 16, v57
	v_max_f32_e32 v58, v53, v53
	v_max_f32_e32 v59, v56, v56
	v_min_f32_e32 v57, v59, v58
	v_cmp_u_f32_e64 s[98:99], v56, v56
	v_max_f32_e32 v58, v59, v58
	v_cmp_u_f32_e32 vcc, v53, v53
	v_cndmask_b32_e64 v57, v57, v56, s[98:99]
	v_cndmask_b32_e64 v58, v58, v56, s[98:99]
	v_cndmask_b32_e32 v57, v57, v53, vcc
	v_cndmask_b32_e32 v53, v58, v53, vcc
	s_movk_i32 s2, 0x1f8
	v_cmp_neq_f32_e32 vcc, v57, v53
	v_cmp_class_f32_e64 s[98:99], v57, s2
	s_or_b64 vcc, vcc, s[98:99]
	s_and_saveexec_b64 s[98:99], vcc
	s_cbranch_execz .LBB509_97
; %bb.96:
	v_sub_f32_e32 v56, v57, v53
	s_mov_b32 s2, 0x3fb8aa3b
	v_mul_f32_e32 v57, 0x3fb8aa3b, v56
	v_fma_f32 v58, v56, s2, -v57
	v_rndne_f32_e32 v59, v57
	v_fmamk_f32 v58, v56, 0x32a5705f, v58
	v_sub_f32_e32 v57, v57, v59
	v_add_f32_e32 v57, v57, v58
	v_exp_f32_e32 v57, v57
	v_cvt_i32_f32_e32 v58, v59
	s_mov_b32 s2, 0xc2ce8ed0
	v_cmp_ngt_f32_e32 vcc, s2, v56
	s_mov_b32 s2, 0x42b17218
	v_ldexp_f32 v57, v57, v58
	v_cndmask_b32_e32 v57, 0, v57, vcc
	v_mov_b32_e32 v58, 0x7f800000
	v_cmp_nlt_f32_e32 vcc, s2, v56
	s_mov_b32 s2, 0x3f2aaaab
	s_mov_b32 s3, 0x7f800000
	v_cndmask_b32_e32 v72, v58, v57, vcc
	v_add_f32_e32 v58, 1.0, v72
	v_add_f32_e32 v56, -1.0, v58
	v_sub_f32_e32 v57, v56, v58
	v_add_f32_e32 v57, 1.0, v57
	v_sub_f32_e32 v56, v72, v56
	v_add_f32_e32 v59, v56, v57
	v_frexp_mant_f32_e32 v60, v58
	v_cvt_f64_f32_e32 v[56:57], v58
	v_frexp_exp_i32_f64_e32 v56, v[56:57]
	v_cmp_gt_f32_e32 vcc, s2, v60
	s_mov_b32 s2, 0x3f317218
	s_nop 0
	v_subbrev_co_u32_e32 v64, vcc, 0, v56, vcc
	v_sub_u32_e32 v56, 0, v64
	v_ldexp_f32 v57, v58, v56
	v_add_f32_e32 v58, -1.0, v57
	v_add_f32_e32 v60, 1.0, v57
	v_ldexp_f32 v56, v59, v56
	v_add_f32_e32 v59, 1.0, v58
	v_add_f32_e32 v61, -1.0, v60
	v_sub_f32_e32 v59, v57, v59
	v_sub_f32_e32 v57, v57, v61
	v_add_f32_e32 v59, v56, v59
	v_add_f32_e32 v56, v56, v57
	;; [unrolled: 1-line block ×3, first 2 shown]
	v_rcp_f32_e32 v67, v65
	v_sub_f32_e32 v57, v60, v65
	v_add_f32_e32 v66, v56, v57
	v_add_f32_e32 v57, v58, v59
	v_mul_f32_e32 v69, v57, v67
	v_sub_f32_e32 v56, v58, v57
	v_mul_f32_e32 v58, v65, v69
	v_fma_f32 v60, v69, v65, -v58
	v_fmac_f32_e32 v60, v69, v66
	v_add_f32_e32 v68, v59, v56
	v_add_f32_e32 v56, v58, v60
	v_sub_f32_e32 v59, v57, v56
	v_pk_add_f32 v[62:63], v[56:57], v[58:59] neg_lo:[0,1] neg_hi:[0,1]
	v_mov_b32_e32 v61, v56
	v_pk_add_f32 v[56:57], v[62:63], v[60:61] neg_lo:[0,1] neg_hi:[0,1]
	v_cmp_eq_f32_e32 vcc, s3, v72
	v_add_f32_e32 v57, v68, v57
	v_add_f32_e32 v56, v56, v57
	;; [unrolled: 1-line block ×3, first 2 shown]
	v_mul_f32_e32 v68, v67, v57
	v_mul_f32_e32 v58, v65, v68
	v_fma_f32 v60, v68, v65, -v58
	v_fmac_f32_e32 v60, v68, v66
	v_sub_f32_e32 v59, v59, v57
	v_add_f32_e32 v65, v56, v59
	v_add_f32_e32 v56, v58, v60
	v_sub_f32_e32 v59, v57, v56
	v_pk_add_f32 v[62:63], v[56:57], v[58:59] neg_lo:[0,1] neg_hi:[0,1]
	v_mov_b32_e32 v61, v56
	v_pk_add_f32 v[56:57], v[62:63], v[60:61] neg_lo:[0,1] neg_hi:[0,1]
	v_cvt_f32_i32_e32 v58, v64
	v_add_f32_e32 v57, v65, v57
	v_add_f32_e32 v56, v56, v57
	;; [unrolled: 1-line block ×4, first 2 shown]
	v_sub_f32_e32 v57, v59, v69
	v_mul_f32_e32 v56, v67, v56
	v_sub_f32_e32 v57, v68, v57
	v_add_f32_e32 v56, v57, v56
	v_add_f32_e32 v60, v59, v56
	v_mul_f32_e32 v62, v60, v60
	v_mov_b32_e32 v57, 0x3ecc95a3
	v_sub_f32_e32 v59, v60, v59
	v_fmac_f32_e32 v57, 0x3e9b6dac, v62
	v_sub_f32_e32 v56, v56, v59
	v_fmaak_f32 v57, v62, v57, 0x3f2aaada
	v_ldexp_f32 v63, v56, 1
	v_mul_f32_e32 v59, v60, v62
	v_mov_b32_e32 v56, 0x3f317218
	v_pk_mul_f32 v[56:57], v[58:59], v[56:57]
	v_ldexp_f32 v61, v60, 1
	v_fma_f32 v59, v58, s2, -v56
	v_fmamk_f32 v60, v58, 0xb102e308, v59
	v_pk_add_f32 v[58:59], v[56:57], v[60:61]
	v_mov_b32_e32 v62, v56
	v_sub_f32_e32 v61, v59, v61
	v_sub_f32_e32 v61, v57, v61
	v_add_f32_e32 v63, v63, v61
	v_pk_add_f32 v[56:57], v[58:59], v[56:57] neg_lo:[0,1] neg_hi:[0,1]
	v_pk_add_f32 v[64:65], v[58:59], v[62:63]
	v_mov_b32_e32 v61, v58
	v_mov_b32_e32 v57, v65
	v_pk_add_f32 v[66:67], v[60:61], v[56:57] neg_lo:[0,1] neg_hi:[0,1]
	v_pk_add_f32 v[56:57], v[60:61], v[56:57]
	v_mov_b32_e32 v62, v63
	v_mov_b32_e32 v60, v57
	v_pk_add_f32 v[68:69], v[60:61], v[58:59] neg_lo:[0,1] neg_hi:[0,1]
	v_mov_b32_e32 v56, v65
	v_mov_b32_e32 v61, v68
	v_pk_add_f32 v[70:71], v[64:65], v[60:61] neg_lo:[0,1] neg_hi:[0,1]
	v_mov_b32_e32 v64, v59
	v_mov_b32_e32 v65, v68
	;; [unrolled: 1-line block ×3, first 2 shown]
	v_pk_add_f32 v[56:57], v[56:57], v[64:65] neg_lo:[0,1] neg_hi:[0,1]
	v_mov_b32_e32 v63, v58
	v_pk_add_f32 v[56:57], v[62:63], v[56:57] neg_lo:[0,1] neg_hi:[0,1]
	v_mov_b32_e32 v70, v66
	v_pk_add_f32 v[58:59], v[70:71], v[56:57]
	s_mov_b32 s2, 0x33800000
	v_mov_b32_e32 v62, v59
	v_pk_add_f32 v[62:63], v[58:59], v[62:63]
	v_cmp_lt_f32_e64 s[2:3], |v72|, s2
	v_pk_add_f32 v[60:61], v[60:61], v[62:63]
	v_mov_b32_e32 v57, v62
	v_mov_b32_e32 v59, v60
	v_pk_add_f32 v[64:65], v[58:59], v[66:67] neg_lo:[0,1] neg_hi:[0,1]
	s_or_b64 vcc, vcc, s[2:3]
	v_sub_f32_e32 v58, v58, v64
	v_pk_add_f32 v[56:57], v[56:57], v[64:65] neg_lo:[0,1] neg_hi:[0,1]
	v_sub_f32_e32 v58, v66, v58
	v_add_f32_e32 v56, v56, v58
	v_add_f32_e32 v56, v56, v57
	v_add_f32_e32 v56, v60, v56
	v_cndmask_b32_e32 v56, v56, v72, vcc
	v_add_f32_e32 v56, v53, v56
.LBB509_97:
	s_or_b64 exec, exec, s[98:99]
	v_bfe_u32 v53, v56, 16, 1
	s_movk_i32 s2, 0x7fff
	v_add3_u32 v53, v56, v53, s2
	v_lshrrev_b32_e32 v53, 16, v53
	v_mov_b32_e32 v57, 0x7fc0
	v_cmp_o_f32_e32 vcc, v56, v56
	s_nop 1
	v_cndmask_b32_e32 v56, v57, v53, vcc
	v_and_b32_e32 v57, 0xffff, v56
.LBB509_98:
	s_or_b64 exec, exec, s[96:97]
	s_load_dwordx2 s[0:1], s[0:1], 0x18
	v_mul_u32_u24_e32 v53, 46, v0
	v_mov_b32_dpp v58, v57 row_shr:2 row_mask:0xf bank_mask:0xf
	v_cmp_lt_u32_e32 vcc, 1, v55
	s_waitcnt lgkmcnt(0)
	v_writelane_b32 v77, s0, 6
	s_nop 1
	v_writelane_b32 v77, s1, 7
	s_and_saveexec_b64 s[96:97], vcc
	s_cbranch_execz .LBB509_102
; %bb.99:
	v_lshlrev_b32_e32 v58, 16, v58
	v_lshlrev_b32_e32 v56, 16, v57
	v_max_f32_e32 v59, v56, v56
	v_max_f32_e32 v60, v58, v58
	v_min_f32_e32 v57, v60, v59
	v_cmp_u_f32_e32 vcc, v58, v58
	v_max_f32_e32 v59, v60, v59
	v_cmp_u_f32_e64 s[0:1], v56, v56
	v_cndmask_b32_e32 v57, v57, v58, vcc
	v_cndmask_b32_e32 v59, v59, v58, vcc
	v_cndmask_b32_e64 v57, v57, v56, s[0:1]
	v_cndmask_b32_e64 v56, v59, v56, s[0:1]
	s_movk_i32 s0, 0x1f8
	v_cmp_neq_f32_e32 vcc, v57, v56
	v_cmp_class_f32_e64 s[0:1], v57, s0
	s_or_b64 s[2:3], vcc, s[0:1]
	s_and_saveexec_b64 s[0:1], s[2:3]
	s_cbranch_execz .LBB509_101
; %bb.100:
	v_sub_f32_e32 v57, v57, v56
	s_mov_b32 s2, 0x3fb8aa3b
	v_mul_f32_e32 v58, 0x3fb8aa3b, v57
	v_fma_f32 v59, v57, s2, -v58
	v_rndne_f32_e32 v60, v58
	v_fmamk_f32 v59, v57, 0x32a5705f, v59
	v_sub_f32_e32 v58, v58, v60
	v_add_f32_e32 v58, v58, v59
	v_exp_f32_e32 v58, v58
	v_cvt_i32_f32_e32 v59, v60
	s_mov_b32 s2, 0xc2ce8ed0
	v_cmp_ngt_f32_e32 vcc, s2, v57
	s_mov_b32 s2, 0x42b17218
	v_ldexp_f32 v58, v58, v59
	v_cndmask_b32_e32 v58, 0, v58, vcc
	v_mov_b32_e32 v59, 0x7f800000
	v_cmp_nlt_f32_e32 vcc, s2, v57
	s_mov_b32 s2, 0x3f2aaaab
	s_mov_b32 s3, 0x7f800000
	v_cndmask_b32_e32 v74, v59, v58, vcc
	v_add_f32_e32 v57, 1.0, v74
	v_add_f32_e32 v58, -1.0, v57
	v_sub_f32_e32 v59, v58, v57
	v_add_f32_e32 v59, 1.0, v59
	v_sub_f32_e32 v58, v74, v58
	v_add_f32_e32 v60, v58, v59
	v_frexp_mant_f32_e32 v61, v57
	v_cvt_f64_f32_e32 v[58:59], v57
	v_frexp_exp_i32_f64_e32 v58, v[58:59]
	v_cmp_gt_f32_e32 vcc, s2, v61
	s_mov_b32 s2, 0x3f317218
	s_nop 0
	v_subbrev_co_u32_e32 v66, vcc, 0, v58, vcc
	v_sub_u32_e32 v58, 0, v66
	v_ldexp_f32 v57, v57, v58
	v_ldexp_f32 v58, v60, v58
	v_add_f32_e32 v60, -1.0, v57
	v_add_f32_e32 v59, 1.0, v60
	v_sub_f32_e32 v59, v57, v59
	v_add_f32_e32 v61, v58, v59
	v_add_f32_e32 v59, 1.0, v57
	v_add_f32_e32 v62, -1.0, v59
	v_sub_f32_e32 v57, v57, v62
	v_add_f32_e32 v57, v58, v57
	v_add_f32_e32 v67, v59, v57
	v_rcp_f32_e32 v68, v67
	v_sub_f32_e32 v58, v59, v67
	v_add_f32_e32 v59, v60, v61
	v_add_f32_e32 v57, v57, v58
	v_mul_f32_e32 v70, v59, v68
	v_sub_f32_e32 v58, v60, v59
	v_mul_f32_e32 v60, v67, v70
	v_fma_f32 v62, v70, v67, -v60
	v_fmac_f32_e32 v62, v70, v57
	v_add_f32_e32 v69, v61, v58
	v_add_f32_e32 v58, v60, v62
	v_sub_f32_e32 v61, v59, v58
	v_pk_add_f32 v[64:65], v[58:59], v[60:61] neg_lo:[0,1] neg_hi:[0,1]
	v_mov_b32_e32 v63, v58
	v_pk_add_f32 v[58:59], v[64:65], v[62:63] neg_lo:[0,1] neg_hi:[0,1]
	v_cmp_eq_f32_e32 vcc, s3, v74
	v_add_f32_e32 v59, v69, v59
	v_add_f32_e32 v58, v58, v59
	;; [unrolled: 1-line block ×3, first 2 shown]
	v_mul_f32_e32 v69, v68, v59
	v_mul_f32_e32 v60, v67, v69
	v_fma_f32 v62, v69, v67, -v60
	v_fmac_f32_e32 v62, v69, v57
	v_sub_f32_e32 v57, v61, v59
	v_add_f32_e32 v57, v58, v57
	v_add_f32_e32 v58, v60, v62
	v_sub_f32_e32 v61, v59, v58
	v_pk_add_f32 v[64:65], v[58:59], v[60:61] neg_lo:[0,1] neg_hi:[0,1]
	v_mov_b32_e32 v63, v58
	v_pk_add_f32 v[58:59], v[64:65], v[62:63] neg_lo:[0,1] neg_hi:[0,1]
	v_cvt_f32_i32_e32 v60, v66
	v_add_f32_e32 v57, v57, v59
	v_add_f32_e32 v57, v58, v57
	;; [unrolled: 1-line block ×4, first 2 shown]
	v_sub_f32_e32 v59, v58, v70
	v_mul_f32_e32 v57, v68, v57
	v_sub_f32_e32 v59, v69, v59
	v_add_f32_e32 v57, v59, v57
	v_add_f32_e32 v61, v58, v57
	v_mul_f32_e32 v62, v61, v61
	v_mov_b32_e32 v59, 0x3ecc95a3
	v_fmac_f32_e32 v59, 0x3e9b6dac, v62
	v_sub_f32_e32 v58, v61, v58
	v_fmaak_f32 v59, v62, v59, 0x3f2aaada
	v_sub_f32_e32 v57, v57, v58
	v_ldexp_f32 v63, v61, 1
	v_mul_f32_e32 v61, v61, v62
	v_mov_b32_e32 v58, 0x3f317218
	v_pk_mul_f32 v[58:59], v[60:61], v[58:59]
	v_ldexp_f32 v57, v57, 1
	v_fma_f32 v61, v60, s2, -v58
	v_fmamk_f32 v62, v60, 0xb102e308, v61
	v_pk_add_f32 v[60:61], v[58:59], v[62:63]
	v_mov_b32_e32 v64, v58
	v_sub_f32_e32 v63, v61, v63
	v_sub_f32_e32 v63, v59, v63
	v_add_f32_e32 v65, v57, v63
	v_pk_add_f32 v[58:59], v[60:61], v[58:59] neg_lo:[0,1] neg_hi:[0,1]
	v_pk_add_f32 v[66:67], v[60:61], v[64:65]
	v_mov_b32_e32 v63, v60
	v_mov_b32_e32 v59, v67
	v_pk_add_f32 v[68:69], v[62:63], v[58:59] neg_lo:[0,1] neg_hi:[0,1]
	v_pk_add_f32 v[58:59], v[62:63], v[58:59]
	v_mov_b32_e32 v64, v65
	v_mov_b32_e32 v62, v59
	v_pk_add_f32 v[70:71], v[62:63], v[60:61] neg_lo:[0,1] neg_hi:[0,1]
	v_mov_b32_e32 v58, v67
	v_mov_b32_e32 v57, v70
	v_pk_add_f32 v[72:73], v[66:67], v[56:57] neg_lo:[0,1] neg_hi:[0,1]
	v_mov_b32_e32 v66, v61
	v_mov_b32_e32 v67, v70
	;; [unrolled: 1-line block ×3, first 2 shown]
	v_pk_add_f32 v[58:59], v[58:59], v[66:67] neg_lo:[0,1] neg_hi:[0,1]
	v_mov_b32_e32 v65, v60
	v_pk_add_f32 v[58:59], v[64:65], v[58:59] neg_lo:[0,1] neg_hi:[0,1]
	v_mov_b32_e32 v72, v68
	v_pk_add_f32 v[60:61], v[72:73], v[58:59]
	s_mov_b32 s2, 0x33800000
	v_mov_b32_e32 v64, v61
	v_pk_add_f32 v[64:65], v[60:61], v[64:65]
	v_cmp_lt_f32_e64 s[2:3], |v74|, s2
	v_pk_add_f32 v[62:63], v[62:63], v[64:65]
	v_mov_b32_e32 v59, v64
	v_mov_b32_e32 v61, v62
	v_pk_add_f32 v[66:67], v[60:61], v[68:69] neg_lo:[0,1] neg_hi:[0,1]
	s_or_b64 vcc, vcc, s[2:3]
	v_sub_f32_e32 v57, v60, v66
	v_pk_add_f32 v[58:59], v[58:59], v[66:67] neg_lo:[0,1] neg_hi:[0,1]
	v_sub_f32_e32 v57, v68, v57
	v_add_f32_e32 v57, v58, v57
	v_add_f32_e32 v57, v57, v59
	;; [unrolled: 1-line block ×3, first 2 shown]
	v_cndmask_b32_e32 v57, v57, v74, vcc
	v_add_f32_e32 v58, v56, v57
.LBB509_101:
	s_or_b64 exec, exec, s[0:1]
	v_bfe_u32 v56, v58, 16, 1
	s_movk_i32 s0, 0x7fff
	v_add3_u32 v56, v58, v56, s0
	v_lshrrev_b32_e32 v56, 16, v56
	v_mov_b32_e32 v57, 0x7fc0
	v_cmp_o_f32_e32 vcc, v58, v58
	s_nop 1
	v_cndmask_b32_e32 v56, v57, v56, vcc
	v_and_b32_e32 v57, 0xffff, v56
.LBB509_102:
	s_or_b64 exec, exec, s[96:97]
	s_nop 0
	v_mov_b32_dpp v58, v57 row_shr:4 row_mask:0xf bank_mask:0xf
	v_cmp_lt_u32_e32 vcc, 3, v55
	s_and_saveexec_b64 s[96:97], vcc
	s_cbranch_execz .LBB509_106
; %bb.103:
	v_lshlrev_b32_e32 v58, 16, v58
	v_lshlrev_b32_e32 v56, 16, v57
	v_max_f32_e32 v59, v56, v56
	v_max_f32_e32 v60, v58, v58
	v_min_f32_e32 v57, v60, v59
	v_cmp_u_f32_e32 vcc, v58, v58
	v_max_f32_e32 v59, v60, v59
	v_cmp_u_f32_e64 s[0:1], v56, v56
	v_cndmask_b32_e32 v57, v57, v58, vcc
	v_cndmask_b32_e32 v59, v59, v58, vcc
	v_cndmask_b32_e64 v57, v57, v56, s[0:1]
	v_cndmask_b32_e64 v56, v59, v56, s[0:1]
	s_movk_i32 s0, 0x1f8
	v_cmp_neq_f32_e32 vcc, v57, v56
	v_cmp_class_f32_e64 s[0:1], v57, s0
	s_or_b64 s[2:3], vcc, s[0:1]
	s_and_saveexec_b64 s[0:1], s[2:3]
	s_cbranch_execz .LBB509_105
; %bb.104:
	v_sub_f32_e32 v57, v57, v56
	s_mov_b32 s2, 0x3fb8aa3b
	v_mul_f32_e32 v58, 0x3fb8aa3b, v57
	v_fma_f32 v59, v57, s2, -v58
	v_rndne_f32_e32 v60, v58
	v_fmamk_f32 v59, v57, 0x32a5705f, v59
	v_sub_f32_e32 v58, v58, v60
	v_add_f32_e32 v58, v58, v59
	v_exp_f32_e32 v58, v58
	v_cvt_i32_f32_e32 v59, v60
	s_mov_b32 s2, 0xc2ce8ed0
	v_cmp_ngt_f32_e32 vcc, s2, v57
	s_mov_b32 s2, 0x42b17218
	v_ldexp_f32 v58, v58, v59
	v_cndmask_b32_e32 v58, 0, v58, vcc
	v_mov_b32_e32 v59, 0x7f800000
	v_cmp_nlt_f32_e32 vcc, s2, v57
	s_mov_b32 s2, 0x3f2aaaab
	s_mov_b32 s3, 0x7f800000
	v_cndmask_b32_e32 v74, v59, v58, vcc
	v_add_f32_e32 v57, 1.0, v74
	v_add_f32_e32 v58, -1.0, v57
	v_sub_f32_e32 v59, v58, v57
	v_add_f32_e32 v59, 1.0, v59
	v_sub_f32_e32 v58, v74, v58
	v_add_f32_e32 v60, v58, v59
	v_frexp_mant_f32_e32 v61, v57
	v_cvt_f64_f32_e32 v[58:59], v57
	v_frexp_exp_i32_f64_e32 v58, v[58:59]
	v_cmp_gt_f32_e32 vcc, s2, v61
	s_mov_b32 s2, 0x3f317218
	s_nop 0
	v_subbrev_co_u32_e32 v66, vcc, 0, v58, vcc
	v_sub_u32_e32 v58, 0, v66
	v_ldexp_f32 v57, v57, v58
	v_ldexp_f32 v58, v60, v58
	v_add_f32_e32 v60, -1.0, v57
	v_add_f32_e32 v59, 1.0, v60
	v_sub_f32_e32 v59, v57, v59
	v_add_f32_e32 v61, v58, v59
	v_add_f32_e32 v59, 1.0, v57
	v_add_f32_e32 v62, -1.0, v59
	v_sub_f32_e32 v57, v57, v62
	v_add_f32_e32 v57, v58, v57
	v_add_f32_e32 v67, v59, v57
	v_rcp_f32_e32 v68, v67
	v_sub_f32_e32 v58, v59, v67
	v_add_f32_e32 v59, v60, v61
	v_add_f32_e32 v57, v57, v58
	v_mul_f32_e32 v70, v59, v68
	v_sub_f32_e32 v58, v60, v59
	v_mul_f32_e32 v60, v67, v70
	v_fma_f32 v62, v70, v67, -v60
	v_fmac_f32_e32 v62, v70, v57
	v_add_f32_e32 v69, v61, v58
	v_add_f32_e32 v58, v60, v62
	v_sub_f32_e32 v61, v59, v58
	v_pk_add_f32 v[64:65], v[58:59], v[60:61] neg_lo:[0,1] neg_hi:[0,1]
	v_mov_b32_e32 v63, v58
	v_pk_add_f32 v[58:59], v[64:65], v[62:63] neg_lo:[0,1] neg_hi:[0,1]
	v_cmp_eq_f32_e32 vcc, s3, v74
	v_add_f32_e32 v59, v69, v59
	v_add_f32_e32 v58, v58, v59
	;; [unrolled: 1-line block ×3, first 2 shown]
	v_mul_f32_e32 v69, v68, v59
	v_mul_f32_e32 v60, v67, v69
	v_fma_f32 v62, v69, v67, -v60
	v_fmac_f32_e32 v62, v69, v57
	v_sub_f32_e32 v57, v61, v59
	v_add_f32_e32 v57, v58, v57
	v_add_f32_e32 v58, v60, v62
	v_sub_f32_e32 v61, v59, v58
	v_pk_add_f32 v[64:65], v[58:59], v[60:61] neg_lo:[0,1] neg_hi:[0,1]
	v_mov_b32_e32 v63, v58
	v_pk_add_f32 v[58:59], v[64:65], v[62:63] neg_lo:[0,1] neg_hi:[0,1]
	v_cvt_f32_i32_e32 v60, v66
	v_add_f32_e32 v57, v57, v59
	v_add_f32_e32 v57, v58, v57
	;; [unrolled: 1-line block ×4, first 2 shown]
	v_sub_f32_e32 v59, v58, v70
	v_mul_f32_e32 v57, v68, v57
	v_sub_f32_e32 v59, v69, v59
	v_add_f32_e32 v57, v59, v57
	v_add_f32_e32 v61, v58, v57
	v_mul_f32_e32 v62, v61, v61
	v_mov_b32_e32 v59, 0x3ecc95a3
	v_fmac_f32_e32 v59, 0x3e9b6dac, v62
	v_sub_f32_e32 v58, v61, v58
	v_fmaak_f32 v59, v62, v59, 0x3f2aaada
	v_sub_f32_e32 v57, v57, v58
	v_ldexp_f32 v63, v61, 1
	v_mul_f32_e32 v61, v61, v62
	v_mov_b32_e32 v58, 0x3f317218
	v_pk_mul_f32 v[58:59], v[60:61], v[58:59]
	v_ldexp_f32 v57, v57, 1
	v_fma_f32 v61, v60, s2, -v58
	v_fmamk_f32 v62, v60, 0xb102e308, v61
	v_pk_add_f32 v[60:61], v[58:59], v[62:63]
	v_mov_b32_e32 v64, v58
	v_sub_f32_e32 v63, v61, v63
	v_sub_f32_e32 v63, v59, v63
	v_add_f32_e32 v65, v57, v63
	v_pk_add_f32 v[58:59], v[60:61], v[58:59] neg_lo:[0,1] neg_hi:[0,1]
	v_pk_add_f32 v[66:67], v[60:61], v[64:65]
	v_mov_b32_e32 v63, v60
	v_mov_b32_e32 v59, v67
	v_pk_add_f32 v[68:69], v[62:63], v[58:59] neg_lo:[0,1] neg_hi:[0,1]
	v_pk_add_f32 v[58:59], v[62:63], v[58:59]
	v_mov_b32_e32 v64, v65
	v_mov_b32_e32 v62, v59
	v_pk_add_f32 v[70:71], v[62:63], v[60:61] neg_lo:[0,1] neg_hi:[0,1]
	v_mov_b32_e32 v58, v67
	v_mov_b32_e32 v57, v70
	v_pk_add_f32 v[72:73], v[66:67], v[56:57] neg_lo:[0,1] neg_hi:[0,1]
	v_mov_b32_e32 v66, v61
	v_mov_b32_e32 v67, v70
	;; [unrolled: 1-line block ×3, first 2 shown]
	v_pk_add_f32 v[58:59], v[58:59], v[66:67] neg_lo:[0,1] neg_hi:[0,1]
	v_mov_b32_e32 v65, v60
	v_pk_add_f32 v[58:59], v[64:65], v[58:59] neg_lo:[0,1] neg_hi:[0,1]
	v_mov_b32_e32 v72, v68
	v_pk_add_f32 v[60:61], v[72:73], v[58:59]
	s_mov_b32 s2, 0x33800000
	v_mov_b32_e32 v64, v61
	v_pk_add_f32 v[64:65], v[60:61], v[64:65]
	v_cmp_lt_f32_e64 s[2:3], |v74|, s2
	v_pk_add_f32 v[62:63], v[62:63], v[64:65]
	v_mov_b32_e32 v59, v64
	v_mov_b32_e32 v61, v62
	v_pk_add_f32 v[66:67], v[60:61], v[68:69] neg_lo:[0,1] neg_hi:[0,1]
	s_or_b64 vcc, vcc, s[2:3]
	v_sub_f32_e32 v57, v60, v66
	v_pk_add_f32 v[58:59], v[58:59], v[66:67] neg_lo:[0,1] neg_hi:[0,1]
	v_sub_f32_e32 v57, v68, v57
	v_add_f32_e32 v57, v58, v57
	v_add_f32_e32 v57, v57, v59
	;; [unrolled: 1-line block ×3, first 2 shown]
	v_cndmask_b32_e32 v57, v57, v74, vcc
	v_add_f32_e32 v58, v56, v57
.LBB509_105:
	s_or_b64 exec, exec, s[0:1]
	v_bfe_u32 v56, v58, 16, 1
	s_movk_i32 s0, 0x7fff
	v_add3_u32 v56, v58, v56, s0
	v_lshrrev_b32_e32 v56, 16, v56
	v_mov_b32_e32 v57, 0x7fc0
	v_cmp_o_f32_e32 vcc, v58, v58
	s_nop 1
	v_cndmask_b32_e32 v56, v57, v56, vcc
	v_and_b32_e32 v57, 0xffff, v56
.LBB509_106:
	s_or_b64 exec, exec, s[96:97]
	s_nop 0
	v_mov_b32_dpp v58, v57 row_shr:8 row_mask:0xf bank_mask:0xf
	v_cmp_lt_u32_e32 vcc, 7, v55
	s_and_saveexec_b64 s[96:97], vcc
	s_cbranch_execz .LBB509_110
; %bb.107:
	v_lshlrev_b32_e32 v56, 16, v58
	v_lshlrev_b32_e32 v55, 16, v57
	v_max_f32_e32 v58, v55, v55
	v_max_f32_e32 v59, v56, v56
	v_min_f32_e32 v57, v59, v58
	v_cmp_u_f32_e32 vcc, v56, v56
	v_max_f32_e32 v58, v59, v58
	v_cmp_u_f32_e64 s[0:1], v55, v55
	v_cndmask_b32_e32 v57, v57, v56, vcc
	v_cndmask_b32_e32 v58, v58, v56, vcc
	v_cndmask_b32_e64 v57, v57, v55, s[0:1]
	v_cndmask_b32_e64 v55, v58, v55, s[0:1]
	s_movk_i32 s0, 0x1f8
	v_cmp_neq_f32_e32 vcc, v57, v55
	v_cmp_class_f32_e64 s[0:1], v57, s0
	s_or_b64 s[2:3], vcc, s[0:1]
	s_and_saveexec_b64 s[0:1], s[2:3]
	s_cbranch_execz .LBB509_109
; %bb.108:
	v_sub_f32_e32 v56, v57, v55
	s_mov_b32 s2, 0x3fb8aa3b
	v_mul_f32_e32 v57, 0x3fb8aa3b, v56
	v_fma_f32 v58, v56, s2, -v57
	v_rndne_f32_e32 v59, v57
	v_fmamk_f32 v58, v56, 0x32a5705f, v58
	v_sub_f32_e32 v57, v57, v59
	v_add_f32_e32 v57, v57, v58
	v_exp_f32_e32 v57, v57
	v_cvt_i32_f32_e32 v58, v59
	s_mov_b32 s2, 0xc2ce8ed0
	v_cmp_ngt_f32_e32 vcc, s2, v56
	s_mov_b32 s2, 0x42b17218
	v_ldexp_f32 v57, v57, v58
	v_cndmask_b32_e32 v57, 0, v57, vcc
	v_mov_b32_e32 v58, 0x7f800000
	v_cmp_nlt_f32_e32 vcc, s2, v56
	s_mov_b32 s2, 0x3f2aaaab
	s_mov_b32 s3, 0x7f800000
	v_cndmask_b32_e32 v72, v58, v57, vcc
	v_add_f32_e32 v58, 1.0, v72
	v_add_f32_e32 v56, -1.0, v58
	v_sub_f32_e32 v57, v56, v58
	v_add_f32_e32 v57, 1.0, v57
	v_sub_f32_e32 v56, v72, v56
	v_add_f32_e32 v59, v56, v57
	v_frexp_mant_f32_e32 v60, v58
	v_cvt_f64_f32_e32 v[56:57], v58
	v_frexp_exp_i32_f64_e32 v56, v[56:57]
	v_cmp_gt_f32_e32 vcc, s2, v60
	s_mov_b32 s2, 0x3f317218
	s_nop 0
	v_subbrev_co_u32_e32 v64, vcc, 0, v56, vcc
	v_sub_u32_e32 v56, 0, v64
	v_ldexp_f32 v57, v58, v56
	v_add_f32_e32 v58, -1.0, v57
	v_add_f32_e32 v60, 1.0, v57
	v_ldexp_f32 v56, v59, v56
	v_add_f32_e32 v59, 1.0, v58
	v_add_f32_e32 v61, -1.0, v60
	v_sub_f32_e32 v59, v57, v59
	v_sub_f32_e32 v57, v57, v61
	v_add_f32_e32 v59, v56, v59
	v_add_f32_e32 v56, v56, v57
	;; [unrolled: 1-line block ×3, first 2 shown]
	v_rcp_f32_e32 v67, v65
	v_sub_f32_e32 v57, v60, v65
	v_add_f32_e32 v66, v56, v57
	v_add_f32_e32 v57, v58, v59
	v_mul_f32_e32 v69, v57, v67
	v_sub_f32_e32 v56, v58, v57
	v_mul_f32_e32 v58, v65, v69
	v_fma_f32 v60, v69, v65, -v58
	v_fmac_f32_e32 v60, v69, v66
	v_add_f32_e32 v68, v59, v56
	v_add_f32_e32 v56, v58, v60
	v_sub_f32_e32 v59, v57, v56
	v_pk_add_f32 v[62:63], v[56:57], v[58:59] neg_lo:[0,1] neg_hi:[0,1]
	v_mov_b32_e32 v61, v56
	v_pk_add_f32 v[56:57], v[62:63], v[60:61] neg_lo:[0,1] neg_hi:[0,1]
	v_cmp_eq_f32_e32 vcc, s3, v72
	v_add_f32_e32 v57, v68, v57
	v_add_f32_e32 v56, v56, v57
	;; [unrolled: 1-line block ×3, first 2 shown]
	v_mul_f32_e32 v68, v67, v57
	v_mul_f32_e32 v58, v65, v68
	v_fma_f32 v60, v68, v65, -v58
	v_fmac_f32_e32 v60, v68, v66
	v_sub_f32_e32 v59, v59, v57
	v_add_f32_e32 v65, v56, v59
	v_add_f32_e32 v56, v58, v60
	v_sub_f32_e32 v59, v57, v56
	v_pk_add_f32 v[62:63], v[56:57], v[58:59] neg_lo:[0,1] neg_hi:[0,1]
	v_mov_b32_e32 v61, v56
	v_pk_add_f32 v[56:57], v[62:63], v[60:61] neg_lo:[0,1] neg_hi:[0,1]
	v_cvt_f32_i32_e32 v58, v64
	v_add_f32_e32 v57, v65, v57
	v_add_f32_e32 v56, v56, v57
	;; [unrolled: 1-line block ×4, first 2 shown]
	v_sub_f32_e32 v57, v59, v69
	v_mul_f32_e32 v56, v67, v56
	v_sub_f32_e32 v57, v68, v57
	v_add_f32_e32 v56, v57, v56
	v_add_f32_e32 v60, v59, v56
	v_mul_f32_e32 v62, v60, v60
	v_mov_b32_e32 v57, 0x3ecc95a3
	v_sub_f32_e32 v59, v60, v59
	v_fmac_f32_e32 v57, 0x3e9b6dac, v62
	v_sub_f32_e32 v56, v56, v59
	v_fmaak_f32 v57, v62, v57, 0x3f2aaada
	v_ldexp_f32 v63, v56, 1
	v_mul_f32_e32 v59, v60, v62
	v_mov_b32_e32 v56, 0x3f317218
	v_pk_mul_f32 v[56:57], v[58:59], v[56:57]
	v_ldexp_f32 v61, v60, 1
	v_fma_f32 v59, v58, s2, -v56
	v_fmamk_f32 v60, v58, 0xb102e308, v59
	v_pk_add_f32 v[58:59], v[56:57], v[60:61]
	v_mov_b32_e32 v62, v56
	v_sub_f32_e32 v61, v59, v61
	v_sub_f32_e32 v61, v57, v61
	v_add_f32_e32 v63, v63, v61
	v_pk_add_f32 v[56:57], v[58:59], v[56:57] neg_lo:[0,1] neg_hi:[0,1]
	v_pk_add_f32 v[64:65], v[58:59], v[62:63]
	v_mov_b32_e32 v61, v58
	v_mov_b32_e32 v57, v65
	v_pk_add_f32 v[66:67], v[60:61], v[56:57] neg_lo:[0,1] neg_hi:[0,1]
	v_pk_add_f32 v[56:57], v[60:61], v[56:57]
	v_mov_b32_e32 v62, v63
	v_mov_b32_e32 v60, v57
	v_pk_add_f32 v[68:69], v[60:61], v[58:59] neg_lo:[0,1] neg_hi:[0,1]
	v_mov_b32_e32 v56, v65
	v_mov_b32_e32 v61, v68
	v_pk_add_f32 v[70:71], v[64:65], v[60:61] neg_lo:[0,1] neg_hi:[0,1]
	v_mov_b32_e32 v64, v59
	v_mov_b32_e32 v65, v68
	v_mov_b32_e32 v67, v57
	v_pk_add_f32 v[56:57], v[56:57], v[64:65] neg_lo:[0,1] neg_hi:[0,1]
	v_mov_b32_e32 v63, v58
	v_pk_add_f32 v[56:57], v[62:63], v[56:57] neg_lo:[0,1] neg_hi:[0,1]
	v_mov_b32_e32 v70, v66
	v_pk_add_f32 v[58:59], v[70:71], v[56:57]
	s_mov_b32 s2, 0x33800000
	v_mov_b32_e32 v62, v59
	v_pk_add_f32 v[62:63], v[58:59], v[62:63]
	v_cmp_lt_f32_e64 s[2:3], |v72|, s2
	v_pk_add_f32 v[60:61], v[60:61], v[62:63]
	v_mov_b32_e32 v57, v62
	v_mov_b32_e32 v59, v60
	v_pk_add_f32 v[64:65], v[58:59], v[66:67] neg_lo:[0,1] neg_hi:[0,1]
	s_or_b64 vcc, vcc, s[2:3]
	v_sub_f32_e32 v58, v58, v64
	v_pk_add_f32 v[56:57], v[56:57], v[64:65] neg_lo:[0,1] neg_hi:[0,1]
	v_sub_f32_e32 v58, v66, v58
	v_add_f32_e32 v56, v56, v58
	v_add_f32_e32 v56, v56, v57
	;; [unrolled: 1-line block ×3, first 2 shown]
	v_cndmask_b32_e32 v56, v56, v72, vcc
	v_add_f32_e32 v56, v55, v56
.LBB509_109:
	s_or_b64 exec, exec, s[0:1]
	v_bfe_u32 v55, v56, 16, 1
	s_movk_i32 s0, 0x7fff
	v_add3_u32 v55, v56, v55, s0
	v_lshrrev_b32_e32 v55, 16, v55
	v_mov_b32_e32 v57, 0x7fc0
	v_cmp_o_f32_e32 vcc, v56, v56
	s_nop 1
	v_cndmask_b32_e32 v56, v57, v55, vcc
	v_and_b32_e32 v57, 0xffff, v56
.LBB509_110:
	s_or_b64 exec, exec, s[96:97]
	v_and_b32_e32 v58, 16, v54
	v_mov_b32_dpp v55, v57 row_bcast:15 row_mask:0xf bank_mask:0xf
	v_cmp_ne_u32_e32 vcc, 0, v58
	s_and_saveexec_b64 s[96:97], vcc
	s_cbranch_execz .LBB509_114
; %bb.111:
	v_lshlrev_b32_e32 v56, 16, v55
	v_lshlrev_b32_e32 v55, 16, v57
	v_max_f32_e32 v58, v55, v55
	v_max_f32_e32 v59, v56, v56
	v_min_f32_e32 v57, v59, v58
	v_cmp_u_f32_e32 vcc, v56, v56
	v_max_f32_e32 v58, v59, v58
	v_cmp_u_f32_e64 s[0:1], v55, v55
	v_cndmask_b32_e32 v57, v57, v56, vcc
	v_cndmask_b32_e32 v58, v58, v56, vcc
	v_cndmask_b32_e64 v57, v57, v55, s[0:1]
	v_cndmask_b32_e64 v55, v58, v55, s[0:1]
	s_movk_i32 s0, 0x1f8
	v_cmp_neq_f32_e32 vcc, v57, v55
	v_cmp_class_f32_e64 s[0:1], v57, s0
	s_or_b64 s[2:3], vcc, s[0:1]
	s_and_saveexec_b64 s[0:1], s[2:3]
	s_cbranch_execz .LBB509_113
; %bb.112:
	v_sub_f32_e32 v56, v57, v55
	s_mov_b32 s2, 0x3fb8aa3b
	v_mul_f32_e32 v57, 0x3fb8aa3b, v56
	v_fma_f32 v58, v56, s2, -v57
	v_rndne_f32_e32 v59, v57
	v_fmamk_f32 v58, v56, 0x32a5705f, v58
	v_sub_f32_e32 v57, v57, v59
	v_add_f32_e32 v57, v57, v58
	v_exp_f32_e32 v57, v57
	v_cvt_i32_f32_e32 v58, v59
	s_mov_b32 s2, 0xc2ce8ed0
	v_cmp_ngt_f32_e32 vcc, s2, v56
	s_mov_b32 s2, 0x42b17218
	v_ldexp_f32 v57, v57, v58
	v_cndmask_b32_e32 v57, 0, v57, vcc
	v_mov_b32_e32 v58, 0x7f800000
	v_cmp_nlt_f32_e32 vcc, s2, v56
	s_mov_b32 s2, 0x3f2aaaab
	s_mov_b32 s3, 0x7f800000
	v_cndmask_b32_e32 v72, v58, v57, vcc
	v_add_f32_e32 v58, 1.0, v72
	v_add_f32_e32 v56, -1.0, v58
	v_sub_f32_e32 v57, v56, v58
	v_add_f32_e32 v57, 1.0, v57
	v_sub_f32_e32 v56, v72, v56
	v_add_f32_e32 v59, v56, v57
	v_frexp_mant_f32_e32 v60, v58
	v_cvt_f64_f32_e32 v[56:57], v58
	v_frexp_exp_i32_f64_e32 v56, v[56:57]
	v_cmp_gt_f32_e32 vcc, s2, v60
	s_mov_b32 s2, 0x3f317218
	s_nop 0
	v_subbrev_co_u32_e32 v64, vcc, 0, v56, vcc
	v_sub_u32_e32 v56, 0, v64
	v_ldexp_f32 v57, v58, v56
	v_add_f32_e32 v58, -1.0, v57
	v_add_f32_e32 v60, 1.0, v57
	v_ldexp_f32 v56, v59, v56
	v_add_f32_e32 v59, 1.0, v58
	v_add_f32_e32 v61, -1.0, v60
	v_sub_f32_e32 v59, v57, v59
	v_sub_f32_e32 v57, v57, v61
	v_add_f32_e32 v59, v56, v59
	v_add_f32_e32 v56, v56, v57
	;; [unrolled: 1-line block ×3, first 2 shown]
	v_rcp_f32_e32 v67, v65
	v_sub_f32_e32 v57, v60, v65
	v_add_f32_e32 v66, v56, v57
	v_add_f32_e32 v57, v58, v59
	v_mul_f32_e32 v69, v57, v67
	v_sub_f32_e32 v56, v58, v57
	v_mul_f32_e32 v58, v65, v69
	v_fma_f32 v60, v69, v65, -v58
	v_fmac_f32_e32 v60, v69, v66
	v_add_f32_e32 v68, v59, v56
	v_add_f32_e32 v56, v58, v60
	v_sub_f32_e32 v59, v57, v56
	v_pk_add_f32 v[62:63], v[56:57], v[58:59] neg_lo:[0,1] neg_hi:[0,1]
	v_mov_b32_e32 v61, v56
	v_pk_add_f32 v[56:57], v[62:63], v[60:61] neg_lo:[0,1] neg_hi:[0,1]
	v_cmp_eq_f32_e32 vcc, s3, v72
	v_add_f32_e32 v57, v68, v57
	v_add_f32_e32 v56, v56, v57
	;; [unrolled: 1-line block ×3, first 2 shown]
	v_mul_f32_e32 v68, v67, v57
	v_mul_f32_e32 v58, v65, v68
	v_fma_f32 v60, v68, v65, -v58
	v_fmac_f32_e32 v60, v68, v66
	v_sub_f32_e32 v59, v59, v57
	v_add_f32_e32 v65, v56, v59
	v_add_f32_e32 v56, v58, v60
	v_sub_f32_e32 v59, v57, v56
	v_pk_add_f32 v[62:63], v[56:57], v[58:59] neg_lo:[0,1] neg_hi:[0,1]
	v_mov_b32_e32 v61, v56
	v_pk_add_f32 v[56:57], v[62:63], v[60:61] neg_lo:[0,1] neg_hi:[0,1]
	v_cvt_f32_i32_e32 v58, v64
	v_add_f32_e32 v57, v65, v57
	v_add_f32_e32 v56, v56, v57
	;; [unrolled: 1-line block ×4, first 2 shown]
	v_sub_f32_e32 v57, v59, v69
	v_mul_f32_e32 v56, v67, v56
	v_sub_f32_e32 v57, v68, v57
	v_add_f32_e32 v56, v57, v56
	v_add_f32_e32 v60, v59, v56
	v_mul_f32_e32 v62, v60, v60
	v_mov_b32_e32 v57, 0x3ecc95a3
	v_sub_f32_e32 v59, v60, v59
	v_fmac_f32_e32 v57, 0x3e9b6dac, v62
	v_sub_f32_e32 v56, v56, v59
	v_fmaak_f32 v57, v62, v57, 0x3f2aaada
	v_ldexp_f32 v63, v56, 1
	v_mul_f32_e32 v59, v60, v62
	v_mov_b32_e32 v56, 0x3f317218
	v_pk_mul_f32 v[56:57], v[58:59], v[56:57]
	v_ldexp_f32 v61, v60, 1
	v_fma_f32 v59, v58, s2, -v56
	v_fmamk_f32 v60, v58, 0xb102e308, v59
	v_pk_add_f32 v[58:59], v[56:57], v[60:61]
	v_mov_b32_e32 v62, v56
	v_sub_f32_e32 v61, v59, v61
	v_sub_f32_e32 v61, v57, v61
	v_add_f32_e32 v63, v63, v61
	v_pk_add_f32 v[56:57], v[58:59], v[56:57] neg_lo:[0,1] neg_hi:[0,1]
	v_pk_add_f32 v[64:65], v[58:59], v[62:63]
	v_mov_b32_e32 v61, v58
	v_mov_b32_e32 v57, v65
	v_pk_add_f32 v[66:67], v[60:61], v[56:57] neg_lo:[0,1] neg_hi:[0,1]
	v_pk_add_f32 v[56:57], v[60:61], v[56:57]
	v_mov_b32_e32 v62, v63
	v_mov_b32_e32 v60, v57
	v_pk_add_f32 v[68:69], v[60:61], v[58:59] neg_lo:[0,1] neg_hi:[0,1]
	v_mov_b32_e32 v56, v65
	v_mov_b32_e32 v61, v68
	v_pk_add_f32 v[70:71], v[64:65], v[60:61] neg_lo:[0,1] neg_hi:[0,1]
	v_mov_b32_e32 v64, v59
	v_mov_b32_e32 v65, v68
	;; [unrolled: 1-line block ×3, first 2 shown]
	v_pk_add_f32 v[56:57], v[56:57], v[64:65] neg_lo:[0,1] neg_hi:[0,1]
	v_mov_b32_e32 v63, v58
	v_pk_add_f32 v[56:57], v[62:63], v[56:57] neg_lo:[0,1] neg_hi:[0,1]
	v_mov_b32_e32 v70, v66
	v_pk_add_f32 v[58:59], v[70:71], v[56:57]
	s_mov_b32 s2, 0x33800000
	v_mov_b32_e32 v62, v59
	v_pk_add_f32 v[62:63], v[58:59], v[62:63]
	v_cmp_lt_f32_e64 s[2:3], |v72|, s2
	v_pk_add_f32 v[60:61], v[60:61], v[62:63]
	v_mov_b32_e32 v57, v62
	v_mov_b32_e32 v59, v60
	v_pk_add_f32 v[64:65], v[58:59], v[66:67] neg_lo:[0,1] neg_hi:[0,1]
	s_or_b64 vcc, vcc, s[2:3]
	v_sub_f32_e32 v58, v58, v64
	v_pk_add_f32 v[56:57], v[56:57], v[64:65] neg_lo:[0,1] neg_hi:[0,1]
	v_sub_f32_e32 v58, v66, v58
	v_add_f32_e32 v56, v56, v58
	v_add_f32_e32 v56, v56, v57
	;; [unrolled: 1-line block ×3, first 2 shown]
	v_cndmask_b32_e32 v56, v56, v72, vcc
	v_add_f32_e32 v56, v55, v56
.LBB509_113:
	s_or_b64 exec, exec, s[0:1]
	v_bfe_u32 v55, v56, 16, 1
	s_movk_i32 s0, 0x7fff
	v_add3_u32 v55, v56, v55, s0
	v_lshrrev_b32_e32 v55, 16, v55
	v_mov_b32_e32 v57, 0x7fc0
	v_cmp_o_f32_e32 vcc, v56, v56
	s_nop 1
	v_cndmask_b32_e32 v56, v57, v55, vcc
	v_and_b32_e32 v57, 0xffff, v56
.LBB509_114:
	s_or_b64 exec, exec, s[96:97]
	s_nop 0
	v_mov_b32_dpp v55, v57 row_bcast:31 row_mask:0xf bank_mask:0xf
	v_cmp_lt_u32_e32 vcc, 31, v54
	s_and_saveexec_b64 s[96:97], vcc
	s_cbranch_execz .LBB509_118
; %bb.115:
	v_lshlrev_b32_e32 v56, 16, v55
	v_lshlrev_b32_e32 v55, 16, v57
	v_max_f32_e32 v58, v55, v55
	v_max_f32_e32 v59, v56, v56
	v_min_f32_e32 v57, v59, v58
	v_cmp_u_f32_e32 vcc, v56, v56
	v_max_f32_e32 v58, v59, v58
	v_cmp_u_f32_e64 s[0:1], v55, v55
	v_cndmask_b32_e32 v57, v57, v56, vcc
	v_cndmask_b32_e32 v58, v58, v56, vcc
	v_cndmask_b32_e64 v57, v57, v55, s[0:1]
	v_cndmask_b32_e64 v55, v58, v55, s[0:1]
	s_movk_i32 s0, 0x1f8
	v_cmp_neq_f32_e32 vcc, v57, v55
	v_cmp_class_f32_e64 s[0:1], v57, s0
	s_or_b64 s[2:3], vcc, s[0:1]
	s_and_saveexec_b64 s[0:1], s[2:3]
	s_cbranch_execz .LBB509_117
; %bb.116:
	v_sub_f32_e32 v56, v57, v55
	s_mov_b32 s2, 0x3fb8aa3b
	v_mul_f32_e32 v57, 0x3fb8aa3b, v56
	v_fma_f32 v58, v56, s2, -v57
	v_rndne_f32_e32 v59, v57
	v_fmamk_f32 v58, v56, 0x32a5705f, v58
	v_sub_f32_e32 v57, v57, v59
	v_add_f32_e32 v57, v57, v58
	v_exp_f32_e32 v57, v57
	v_cvt_i32_f32_e32 v58, v59
	s_mov_b32 s2, 0xc2ce8ed0
	v_cmp_ngt_f32_e32 vcc, s2, v56
	s_mov_b32 s2, 0x42b17218
	v_ldexp_f32 v57, v57, v58
	v_cndmask_b32_e32 v57, 0, v57, vcc
	v_mov_b32_e32 v58, 0x7f800000
	v_cmp_nlt_f32_e32 vcc, s2, v56
	s_mov_b32 s2, 0x3f2aaaab
	s_mov_b32 s3, 0x7f800000
	v_cndmask_b32_e32 v72, v58, v57, vcc
	v_add_f32_e32 v58, 1.0, v72
	v_add_f32_e32 v56, -1.0, v58
	v_sub_f32_e32 v57, v56, v58
	v_add_f32_e32 v57, 1.0, v57
	v_sub_f32_e32 v56, v72, v56
	v_add_f32_e32 v59, v56, v57
	v_frexp_mant_f32_e32 v60, v58
	v_cvt_f64_f32_e32 v[56:57], v58
	v_frexp_exp_i32_f64_e32 v56, v[56:57]
	v_cmp_gt_f32_e32 vcc, s2, v60
	s_mov_b32 s2, 0x3f317218
	s_nop 0
	v_subbrev_co_u32_e32 v64, vcc, 0, v56, vcc
	v_sub_u32_e32 v56, 0, v64
	v_ldexp_f32 v57, v58, v56
	v_add_f32_e32 v58, -1.0, v57
	v_add_f32_e32 v60, 1.0, v57
	v_ldexp_f32 v56, v59, v56
	v_add_f32_e32 v59, 1.0, v58
	v_add_f32_e32 v61, -1.0, v60
	v_sub_f32_e32 v59, v57, v59
	v_sub_f32_e32 v57, v57, v61
	v_add_f32_e32 v59, v56, v59
	v_add_f32_e32 v56, v56, v57
	;; [unrolled: 1-line block ×3, first 2 shown]
	v_rcp_f32_e32 v67, v65
	v_sub_f32_e32 v57, v60, v65
	v_add_f32_e32 v66, v56, v57
	v_add_f32_e32 v57, v58, v59
	v_mul_f32_e32 v69, v57, v67
	v_sub_f32_e32 v56, v58, v57
	v_mul_f32_e32 v58, v65, v69
	v_fma_f32 v60, v69, v65, -v58
	v_fmac_f32_e32 v60, v69, v66
	v_add_f32_e32 v68, v59, v56
	v_add_f32_e32 v56, v58, v60
	v_sub_f32_e32 v59, v57, v56
	v_pk_add_f32 v[62:63], v[56:57], v[58:59] neg_lo:[0,1] neg_hi:[0,1]
	v_mov_b32_e32 v61, v56
	v_pk_add_f32 v[56:57], v[62:63], v[60:61] neg_lo:[0,1] neg_hi:[0,1]
	v_cmp_eq_f32_e32 vcc, s3, v72
	v_add_f32_e32 v57, v68, v57
	v_add_f32_e32 v56, v56, v57
	v_add_f32_e32 v57, v59, v56
	v_mul_f32_e32 v68, v67, v57
	v_mul_f32_e32 v58, v65, v68
	v_fma_f32 v60, v68, v65, -v58
	v_fmac_f32_e32 v60, v68, v66
	v_sub_f32_e32 v59, v59, v57
	v_add_f32_e32 v65, v56, v59
	v_add_f32_e32 v56, v58, v60
	v_sub_f32_e32 v59, v57, v56
	v_pk_add_f32 v[62:63], v[56:57], v[58:59] neg_lo:[0,1] neg_hi:[0,1]
	v_mov_b32_e32 v61, v56
	v_pk_add_f32 v[56:57], v[62:63], v[60:61] neg_lo:[0,1] neg_hi:[0,1]
	v_cvt_f32_i32_e32 v58, v64
	v_add_f32_e32 v57, v65, v57
	v_add_f32_e32 v56, v56, v57
	;; [unrolled: 1-line block ×4, first 2 shown]
	v_sub_f32_e32 v57, v59, v69
	v_mul_f32_e32 v56, v67, v56
	v_sub_f32_e32 v57, v68, v57
	v_add_f32_e32 v56, v57, v56
	v_add_f32_e32 v60, v59, v56
	v_mul_f32_e32 v62, v60, v60
	v_mov_b32_e32 v57, 0x3ecc95a3
	v_sub_f32_e32 v59, v60, v59
	v_fmac_f32_e32 v57, 0x3e9b6dac, v62
	v_sub_f32_e32 v56, v56, v59
	v_fmaak_f32 v57, v62, v57, 0x3f2aaada
	v_ldexp_f32 v63, v56, 1
	v_mul_f32_e32 v59, v60, v62
	v_mov_b32_e32 v56, 0x3f317218
	v_pk_mul_f32 v[56:57], v[58:59], v[56:57]
	v_ldexp_f32 v61, v60, 1
	v_fma_f32 v59, v58, s2, -v56
	v_fmamk_f32 v60, v58, 0xb102e308, v59
	v_pk_add_f32 v[58:59], v[56:57], v[60:61]
	v_mov_b32_e32 v62, v56
	v_sub_f32_e32 v61, v59, v61
	v_sub_f32_e32 v61, v57, v61
	v_add_f32_e32 v63, v63, v61
	v_pk_add_f32 v[56:57], v[58:59], v[56:57] neg_lo:[0,1] neg_hi:[0,1]
	v_pk_add_f32 v[64:65], v[58:59], v[62:63]
	v_mov_b32_e32 v61, v58
	v_mov_b32_e32 v57, v65
	v_pk_add_f32 v[66:67], v[60:61], v[56:57] neg_lo:[0,1] neg_hi:[0,1]
	v_pk_add_f32 v[56:57], v[60:61], v[56:57]
	v_mov_b32_e32 v62, v63
	v_mov_b32_e32 v60, v57
	v_pk_add_f32 v[68:69], v[60:61], v[58:59] neg_lo:[0,1] neg_hi:[0,1]
	v_mov_b32_e32 v56, v65
	v_mov_b32_e32 v61, v68
	v_pk_add_f32 v[70:71], v[64:65], v[60:61] neg_lo:[0,1] neg_hi:[0,1]
	v_mov_b32_e32 v64, v59
	v_mov_b32_e32 v65, v68
	;; [unrolled: 1-line block ×3, first 2 shown]
	v_pk_add_f32 v[56:57], v[56:57], v[64:65] neg_lo:[0,1] neg_hi:[0,1]
	v_mov_b32_e32 v63, v58
	v_pk_add_f32 v[56:57], v[62:63], v[56:57] neg_lo:[0,1] neg_hi:[0,1]
	v_mov_b32_e32 v70, v66
	v_pk_add_f32 v[58:59], v[70:71], v[56:57]
	s_mov_b32 s2, 0x33800000
	v_mov_b32_e32 v62, v59
	v_pk_add_f32 v[62:63], v[58:59], v[62:63]
	v_cmp_lt_f32_e64 s[2:3], |v72|, s2
	v_pk_add_f32 v[60:61], v[60:61], v[62:63]
	v_mov_b32_e32 v57, v62
	v_mov_b32_e32 v59, v60
	v_pk_add_f32 v[64:65], v[58:59], v[66:67] neg_lo:[0,1] neg_hi:[0,1]
	s_or_b64 vcc, vcc, s[2:3]
	v_sub_f32_e32 v58, v58, v64
	v_pk_add_f32 v[56:57], v[56:57], v[64:65] neg_lo:[0,1] neg_hi:[0,1]
	v_sub_f32_e32 v58, v66, v58
	v_add_f32_e32 v56, v56, v58
	v_add_f32_e32 v56, v56, v57
	;; [unrolled: 1-line block ×3, first 2 shown]
	v_cndmask_b32_e32 v56, v56, v72, vcc
	v_add_f32_e32 v56, v55, v56
.LBB509_117:
	s_or_b64 exec, exec, s[0:1]
	v_bfe_u32 v55, v56, 16, 1
	s_movk_i32 s0, 0x7fff
	v_add3_u32 v55, v56, v55, s0
	v_lshrrev_b32_e32 v55, 16, v55
	v_mov_b32_e32 v57, 0x7fc0
	v_cmp_o_f32_e32 vcc, v56, v56
	s_nop 1
	v_cndmask_b32_e32 v56, v57, v55, vcc
.LBB509_118:
	s_or_b64 exec, exec, s[96:97]
	v_or_b32_e32 v57, 63, v0
	v_lshrrev_b32_e32 v55, 6, v0
	v_cmp_eq_u32_e32 vcc, v57, v0
	s_and_saveexec_b64 s[0:1], vcc
	s_cbranch_execz .LBB509_120
; %bb.119:
	v_lshlrev_b32_e32 v57, 1, v55
	ds_write_b16 v57, v56
.LBB509_120:
	s_or_b64 exec, exec, s[0:1]
	v_cmp_gt_u32_e32 vcc, 4, v0
	s_waitcnt lgkmcnt(0)
	s_barrier
	s_and_saveexec_b64 s[98:99], vcc
	s_cbranch_execz .LBB509_130
; %bb.121:
	ds_read_u16 v58, v14
	v_and_b32_e32 v57, 3, v54
	v_cmp_ne_u32_e32 vcc, 0, v57
	s_waitcnt lgkmcnt(0)
	v_and_b32_e32 v60, 0xffff, v58
	s_nop 1
	v_mov_b32_dpp v59, v60 row_shr:1 row_mask:0xf bank_mask:0xf
	s_and_saveexec_b64 s[96:97], vcc
	s_cbranch_execz .LBB509_125
; %bb.122:
	v_lshlrev_b32_e32 v59, 16, v59
	v_lshlrev_b32_e32 v58, 16, v60
	v_max_f32_e32 v61, v58, v58
	v_max_f32_e32 v62, v59, v59
	v_min_f32_e32 v60, v62, v61
	v_cmp_u_f32_e32 vcc, v59, v59
	v_max_f32_e32 v61, v62, v61
	v_cmp_u_f32_e64 s[0:1], v58, v58
	v_cndmask_b32_e32 v60, v60, v59, vcc
	v_cndmask_b32_e32 v61, v61, v59, vcc
	v_cndmask_b32_e64 v60, v60, v58, s[0:1]
	v_cndmask_b32_e64 v58, v61, v58, s[0:1]
	s_movk_i32 s0, 0x1f8
	v_cmp_neq_f32_e32 vcc, v60, v58
	v_cmp_class_f32_e64 s[0:1], v60, s0
	s_or_b64 s[2:3], vcc, s[0:1]
	s_and_saveexec_b64 s[0:1], s[2:3]
	s_cbranch_execz .LBB509_124
; %bb.123:
	v_sub_f32_e32 v59, v60, v58
	s_mov_b32 s2, 0x3fb8aa3b
	v_mul_f32_e32 v60, 0x3fb8aa3b, v59
	v_fma_f32 v61, v59, s2, -v60
	v_rndne_f32_e32 v62, v60
	v_fmamk_f32 v61, v59, 0x32a5705f, v61
	v_sub_f32_e32 v60, v60, v62
	v_add_f32_e32 v60, v60, v61
	v_exp_f32_e32 v60, v60
	v_cvt_i32_f32_e32 v61, v62
	s_mov_b32 s2, 0xc2ce8ed0
	v_cmp_ngt_f32_e32 vcc, s2, v59
	s_mov_b32 s2, 0x42b17218
	v_ldexp_f32 v60, v60, v61
	v_cndmask_b32_e32 v60, 0, v60, vcc
	v_mov_b32_e32 v61, 0x7f800000
	v_cmp_nlt_f32_e32 vcc, s2, v59
	s_mov_b32 s2, 0x3f2aaaab
	s_mov_b32 s3, 0x7f800000
	v_cndmask_b32_e32 v76, v61, v60, vcc
	v_add_f32_e32 v59, 1.0, v76
	v_add_f32_e32 v60, -1.0, v59
	v_sub_f32_e32 v61, v60, v59
	v_add_f32_e32 v61, 1.0, v61
	v_sub_f32_e32 v60, v76, v60
	v_add_f32_e32 v62, v60, v61
	v_frexp_mant_f32_e32 v63, v59
	v_cvt_f64_f32_e32 v[60:61], v59
	v_frexp_exp_i32_f64_e32 v60, v[60:61]
	v_cmp_gt_f32_e32 vcc, s2, v63
	s_mov_b32 s2, 0x3f317218
	s_nop 0
	v_subbrev_co_u32_e32 v68, vcc, 0, v60, vcc
	v_sub_u32_e32 v60, 0, v68
	v_ldexp_f32 v59, v59, v60
	v_ldexp_f32 v60, v62, v60
	v_add_f32_e32 v62, -1.0, v59
	v_add_f32_e32 v61, 1.0, v62
	v_sub_f32_e32 v61, v59, v61
	v_add_f32_e32 v63, v60, v61
	v_add_f32_e32 v61, 1.0, v59
	v_add_f32_e32 v64, -1.0, v61
	v_sub_f32_e32 v59, v59, v64
	v_add_f32_e32 v59, v60, v59
	v_add_f32_e32 v69, v61, v59
	v_rcp_f32_e32 v70, v69
	v_sub_f32_e32 v60, v61, v69
	v_add_f32_e32 v61, v62, v63
	v_add_f32_e32 v59, v59, v60
	v_mul_f32_e32 v72, v61, v70
	v_sub_f32_e32 v60, v62, v61
	v_mul_f32_e32 v62, v69, v72
	v_fma_f32 v64, v72, v69, -v62
	v_fmac_f32_e32 v64, v72, v59
	v_add_f32_e32 v71, v63, v60
	v_add_f32_e32 v60, v62, v64
	v_sub_f32_e32 v63, v61, v60
	v_pk_add_f32 v[66:67], v[60:61], v[62:63] neg_lo:[0,1] neg_hi:[0,1]
	v_mov_b32_e32 v65, v60
	v_pk_add_f32 v[60:61], v[66:67], v[64:65] neg_lo:[0,1] neg_hi:[0,1]
	v_cmp_eq_f32_e32 vcc, s3, v76
	v_add_f32_e32 v61, v71, v61
	v_add_f32_e32 v60, v60, v61
	;; [unrolled: 1-line block ×3, first 2 shown]
	v_mul_f32_e32 v71, v70, v61
	v_mul_f32_e32 v62, v69, v71
	v_fma_f32 v64, v71, v69, -v62
	v_fmac_f32_e32 v64, v71, v59
	v_sub_f32_e32 v59, v63, v61
	v_add_f32_e32 v59, v60, v59
	v_add_f32_e32 v60, v62, v64
	v_sub_f32_e32 v63, v61, v60
	v_pk_add_f32 v[66:67], v[60:61], v[62:63] neg_lo:[0,1] neg_hi:[0,1]
	v_mov_b32_e32 v65, v60
	v_pk_add_f32 v[60:61], v[66:67], v[64:65] neg_lo:[0,1] neg_hi:[0,1]
	v_cvt_f32_i32_e32 v62, v68
	v_add_f32_e32 v59, v59, v61
	v_add_f32_e32 v59, v60, v59
	;; [unrolled: 1-line block ×4, first 2 shown]
	v_sub_f32_e32 v61, v60, v72
	v_mul_f32_e32 v59, v70, v59
	v_sub_f32_e32 v61, v71, v61
	v_add_f32_e32 v59, v61, v59
	v_add_f32_e32 v63, v60, v59
	v_mul_f32_e32 v64, v63, v63
	v_mov_b32_e32 v61, 0x3ecc95a3
	v_fmac_f32_e32 v61, 0x3e9b6dac, v64
	v_sub_f32_e32 v60, v63, v60
	v_fmaak_f32 v61, v64, v61, 0x3f2aaada
	v_sub_f32_e32 v59, v59, v60
	v_ldexp_f32 v65, v63, 1
	v_mul_f32_e32 v63, v63, v64
	v_mov_b32_e32 v60, 0x3f317218
	v_pk_mul_f32 v[60:61], v[62:63], v[60:61]
	v_ldexp_f32 v59, v59, 1
	v_fma_f32 v63, v62, s2, -v60
	v_fmamk_f32 v64, v62, 0xb102e308, v63
	v_pk_add_f32 v[62:63], v[60:61], v[64:65]
	v_mov_b32_e32 v66, v60
	v_sub_f32_e32 v65, v63, v65
	v_sub_f32_e32 v65, v61, v65
	v_add_f32_e32 v67, v59, v65
	v_pk_add_f32 v[60:61], v[62:63], v[60:61] neg_lo:[0,1] neg_hi:[0,1]
	v_pk_add_f32 v[68:69], v[62:63], v[66:67]
	v_mov_b32_e32 v65, v62
	v_mov_b32_e32 v61, v69
	v_pk_add_f32 v[70:71], v[64:65], v[60:61] neg_lo:[0,1] neg_hi:[0,1]
	v_pk_add_f32 v[60:61], v[64:65], v[60:61]
	v_mov_b32_e32 v66, v67
	v_mov_b32_e32 v64, v61
	v_pk_add_f32 v[72:73], v[64:65], v[62:63] neg_lo:[0,1] neg_hi:[0,1]
	v_mov_b32_e32 v60, v69
	v_mov_b32_e32 v59, v72
	v_pk_add_f32 v[74:75], v[68:69], v[58:59] neg_lo:[0,1] neg_hi:[0,1]
	v_mov_b32_e32 v68, v63
	v_mov_b32_e32 v69, v72
	;; [unrolled: 1-line block ×3, first 2 shown]
	v_pk_add_f32 v[60:61], v[60:61], v[68:69] neg_lo:[0,1] neg_hi:[0,1]
	v_mov_b32_e32 v67, v62
	v_pk_add_f32 v[60:61], v[66:67], v[60:61] neg_lo:[0,1] neg_hi:[0,1]
	v_mov_b32_e32 v74, v70
	v_pk_add_f32 v[62:63], v[74:75], v[60:61]
	s_mov_b32 s2, 0x33800000
	v_mov_b32_e32 v66, v63
	v_pk_add_f32 v[66:67], v[62:63], v[66:67]
	v_cmp_lt_f32_e64 s[2:3], |v76|, s2
	v_pk_add_f32 v[64:65], v[64:65], v[66:67]
	v_mov_b32_e32 v61, v66
	v_mov_b32_e32 v63, v64
	v_pk_add_f32 v[68:69], v[62:63], v[70:71] neg_lo:[0,1] neg_hi:[0,1]
	s_or_b64 vcc, vcc, s[2:3]
	v_sub_f32_e32 v59, v62, v68
	v_pk_add_f32 v[60:61], v[60:61], v[68:69] neg_lo:[0,1] neg_hi:[0,1]
	v_sub_f32_e32 v59, v70, v59
	v_add_f32_e32 v59, v60, v59
	v_add_f32_e32 v59, v59, v61
	;; [unrolled: 1-line block ×3, first 2 shown]
	v_cndmask_b32_e32 v59, v59, v76, vcc
	v_add_f32_e32 v59, v58, v59
.LBB509_124:
	s_or_b64 exec, exec, s[0:1]
	v_bfe_u32 v58, v59, 16, 1
	s_movk_i32 s0, 0x7fff
	v_add3_u32 v58, v59, v58, s0
	v_lshrrev_b32_e32 v58, 16, v58
	v_mov_b32_e32 v60, 0x7fc0
	v_cmp_o_f32_e32 vcc, v59, v59
	s_nop 1
	v_cndmask_b32_e32 v58, v60, v58, vcc
	v_and_b32_e32 v60, 0xffff, v58
.LBB509_125:
	s_or_b64 exec, exec, s[96:97]
	s_nop 0
	v_mov_b32_dpp v59, v60 row_shr:2 row_mask:0xf bank_mask:0xf
	v_cmp_lt_u32_e32 vcc, 1, v57
	s_and_saveexec_b64 s[96:97], vcc
	s_cbranch_execz .LBB509_129
; %bb.126:
	v_lshlrev_b32_e32 v58, 16, v59
	v_lshlrev_b32_e32 v57, 16, v60
	v_max_f32_e32 v60, v57, v57
	v_max_f32_e32 v61, v58, v58
	v_min_f32_e32 v59, v61, v60
	v_cmp_u_f32_e32 vcc, v58, v58
	v_max_f32_e32 v60, v61, v60
	v_cmp_u_f32_e64 s[0:1], v57, v57
	v_cndmask_b32_e32 v59, v59, v58, vcc
	v_cndmask_b32_e32 v60, v60, v58, vcc
	v_cndmask_b32_e64 v59, v59, v57, s[0:1]
	v_cndmask_b32_e64 v57, v60, v57, s[0:1]
	s_movk_i32 s0, 0x1f8
	v_cmp_neq_f32_e32 vcc, v59, v57
	v_cmp_class_f32_e64 s[0:1], v59, s0
	s_or_b64 s[2:3], vcc, s[0:1]
	s_and_saveexec_b64 s[0:1], s[2:3]
	s_cbranch_execz .LBB509_128
; %bb.127:
	v_sub_f32_e32 v58, v59, v57
	s_mov_b32 s2, 0x3fb8aa3b
	v_mul_f32_e32 v59, 0x3fb8aa3b, v58
	v_fma_f32 v60, v58, s2, -v59
	v_rndne_f32_e32 v61, v59
	v_fmamk_f32 v60, v58, 0x32a5705f, v60
	v_sub_f32_e32 v59, v59, v61
	v_add_f32_e32 v59, v59, v60
	v_exp_f32_e32 v59, v59
	v_cvt_i32_f32_e32 v60, v61
	s_mov_b32 s2, 0xc2ce8ed0
	v_cmp_ngt_f32_e32 vcc, s2, v58
	s_mov_b32 s2, 0x42b17218
	v_ldexp_f32 v59, v59, v60
	v_cndmask_b32_e32 v59, 0, v59, vcc
	v_mov_b32_e32 v60, 0x7f800000
	v_cmp_nlt_f32_e32 vcc, s2, v58
	s_mov_b32 s2, 0x3f2aaaab
	s_mov_b32 s3, 0x7f800000
	v_cndmask_b32_e32 v74, v60, v59, vcc
	v_add_f32_e32 v60, 1.0, v74
	v_add_f32_e32 v58, -1.0, v60
	v_sub_f32_e32 v59, v58, v60
	v_add_f32_e32 v59, 1.0, v59
	v_sub_f32_e32 v58, v74, v58
	v_add_f32_e32 v61, v58, v59
	v_frexp_mant_f32_e32 v62, v60
	v_cvt_f64_f32_e32 v[58:59], v60
	v_frexp_exp_i32_f64_e32 v58, v[58:59]
	v_cmp_gt_f32_e32 vcc, s2, v62
	s_mov_b32 s2, 0x3f317218
	s_nop 0
	v_subbrev_co_u32_e32 v66, vcc, 0, v58, vcc
	v_sub_u32_e32 v58, 0, v66
	v_ldexp_f32 v59, v60, v58
	v_add_f32_e32 v60, -1.0, v59
	v_add_f32_e32 v62, 1.0, v59
	v_ldexp_f32 v58, v61, v58
	v_add_f32_e32 v61, 1.0, v60
	v_add_f32_e32 v63, -1.0, v62
	v_sub_f32_e32 v61, v59, v61
	v_sub_f32_e32 v59, v59, v63
	v_add_f32_e32 v61, v58, v61
	v_add_f32_e32 v58, v58, v59
	;; [unrolled: 1-line block ×3, first 2 shown]
	v_rcp_f32_e32 v69, v67
	v_sub_f32_e32 v59, v62, v67
	v_add_f32_e32 v68, v58, v59
	v_add_f32_e32 v59, v60, v61
	v_mul_f32_e32 v71, v59, v69
	v_sub_f32_e32 v58, v60, v59
	v_mul_f32_e32 v60, v67, v71
	v_fma_f32 v62, v71, v67, -v60
	v_fmac_f32_e32 v62, v71, v68
	v_add_f32_e32 v70, v61, v58
	v_add_f32_e32 v58, v60, v62
	v_sub_f32_e32 v61, v59, v58
	v_pk_add_f32 v[64:65], v[58:59], v[60:61] neg_lo:[0,1] neg_hi:[0,1]
	v_mov_b32_e32 v63, v58
	v_pk_add_f32 v[58:59], v[64:65], v[62:63] neg_lo:[0,1] neg_hi:[0,1]
	v_cmp_eq_f32_e32 vcc, s3, v74
	v_add_f32_e32 v59, v70, v59
	v_add_f32_e32 v58, v58, v59
	;; [unrolled: 1-line block ×3, first 2 shown]
	v_mul_f32_e32 v70, v69, v59
	v_mul_f32_e32 v60, v67, v70
	v_fma_f32 v62, v70, v67, -v60
	v_fmac_f32_e32 v62, v70, v68
	v_sub_f32_e32 v61, v61, v59
	v_add_f32_e32 v67, v58, v61
	v_add_f32_e32 v58, v60, v62
	v_sub_f32_e32 v61, v59, v58
	v_pk_add_f32 v[64:65], v[58:59], v[60:61] neg_lo:[0,1] neg_hi:[0,1]
	v_mov_b32_e32 v63, v58
	v_pk_add_f32 v[58:59], v[64:65], v[62:63] neg_lo:[0,1] neg_hi:[0,1]
	v_cvt_f32_i32_e32 v60, v66
	v_add_f32_e32 v59, v67, v59
	v_add_f32_e32 v58, v58, v59
	;; [unrolled: 1-line block ×4, first 2 shown]
	v_sub_f32_e32 v59, v61, v71
	v_mul_f32_e32 v58, v69, v58
	v_sub_f32_e32 v59, v70, v59
	v_add_f32_e32 v58, v59, v58
	v_add_f32_e32 v62, v61, v58
	v_mul_f32_e32 v64, v62, v62
	v_mov_b32_e32 v59, 0x3ecc95a3
	v_sub_f32_e32 v61, v62, v61
	v_fmac_f32_e32 v59, 0x3e9b6dac, v64
	v_sub_f32_e32 v58, v58, v61
	v_fmaak_f32 v59, v64, v59, 0x3f2aaada
	v_ldexp_f32 v65, v58, 1
	v_mul_f32_e32 v61, v62, v64
	v_mov_b32_e32 v58, 0x3f317218
	v_pk_mul_f32 v[58:59], v[60:61], v[58:59]
	v_ldexp_f32 v63, v62, 1
	v_fma_f32 v61, v60, s2, -v58
	v_fmamk_f32 v62, v60, 0xb102e308, v61
	v_pk_add_f32 v[60:61], v[58:59], v[62:63]
	v_mov_b32_e32 v64, v58
	v_sub_f32_e32 v63, v61, v63
	v_sub_f32_e32 v63, v59, v63
	v_add_f32_e32 v65, v65, v63
	v_pk_add_f32 v[58:59], v[60:61], v[58:59] neg_lo:[0,1] neg_hi:[0,1]
	v_pk_add_f32 v[66:67], v[60:61], v[64:65]
	v_mov_b32_e32 v63, v60
	v_mov_b32_e32 v59, v67
	v_pk_add_f32 v[68:69], v[62:63], v[58:59] neg_lo:[0,1] neg_hi:[0,1]
	v_pk_add_f32 v[58:59], v[62:63], v[58:59]
	v_mov_b32_e32 v64, v65
	v_mov_b32_e32 v62, v59
	v_pk_add_f32 v[70:71], v[62:63], v[60:61] neg_lo:[0,1] neg_hi:[0,1]
	v_mov_b32_e32 v58, v67
	v_mov_b32_e32 v63, v70
	v_pk_add_f32 v[72:73], v[66:67], v[62:63] neg_lo:[0,1] neg_hi:[0,1]
	v_mov_b32_e32 v66, v61
	v_mov_b32_e32 v67, v70
	;; [unrolled: 1-line block ×3, first 2 shown]
	v_pk_add_f32 v[58:59], v[58:59], v[66:67] neg_lo:[0,1] neg_hi:[0,1]
	v_mov_b32_e32 v65, v60
	v_pk_add_f32 v[58:59], v[64:65], v[58:59] neg_lo:[0,1] neg_hi:[0,1]
	v_mov_b32_e32 v72, v68
	v_pk_add_f32 v[60:61], v[72:73], v[58:59]
	s_mov_b32 s2, 0x33800000
	v_mov_b32_e32 v64, v61
	v_pk_add_f32 v[64:65], v[60:61], v[64:65]
	v_cmp_lt_f32_e64 s[2:3], |v74|, s2
	v_pk_add_f32 v[62:63], v[62:63], v[64:65]
	v_mov_b32_e32 v59, v64
	v_mov_b32_e32 v61, v62
	v_pk_add_f32 v[66:67], v[60:61], v[68:69] neg_lo:[0,1] neg_hi:[0,1]
	s_or_b64 vcc, vcc, s[2:3]
	v_sub_f32_e32 v60, v60, v66
	v_pk_add_f32 v[58:59], v[58:59], v[66:67] neg_lo:[0,1] neg_hi:[0,1]
	v_sub_f32_e32 v60, v68, v60
	v_add_f32_e32 v58, v58, v60
	v_add_f32_e32 v58, v58, v59
	;; [unrolled: 1-line block ×3, first 2 shown]
	v_cndmask_b32_e32 v58, v58, v74, vcc
	v_add_f32_e32 v58, v57, v58
.LBB509_128:
	s_or_b64 exec, exec, s[0:1]
	v_bfe_u32 v57, v58, 16, 1
	s_movk_i32 s0, 0x7fff
	v_add3_u32 v57, v58, v57, s0
	v_lshrrev_b32_e32 v57, 16, v57
	v_mov_b32_e32 v59, 0x7fc0
	v_cmp_o_f32_e32 vcc, v58, v58
	s_nop 1
	v_cndmask_b32_e32 v58, v59, v57, vcc
.LBB509_129:
	s_or_b64 exec, exec, s[96:97]
	ds_write_b16 v14, v58
.LBB509_130:
	s_or_b64 exec, exec, s[98:99]
	v_cmp_lt_u32_e32 vcc, 63, v0
	s_waitcnt lgkmcnt(0)
	s_barrier
	s_waitcnt lgkmcnt(0)
                                        ; implicit-def: $vgpr57
	s_and_saveexec_b64 s[98:99], vcc
	s_cbranch_execz .LBB509_134
; %bb.131:
	v_lshl_add_u32 v55, v55, 1, -2
	ds_read_u16 v57, v55
	v_lshlrev_b32_e32 v55, 16, v56
	v_max_f32_e32 v59, v55, v55
	v_cmp_u_f32_e32 vcc, v55, v55
	s_waitcnt lgkmcnt(0)
	v_lshlrev_b32_e32 v56, 16, v57
	v_max_f32_e32 v60, v56, v56
	v_cmp_u_f32_e64 s[0:1], v56, v56
	v_min_f32_e32 v58, v60, v59
	v_max_f32_e32 v59, v60, v59
	v_cndmask_b32_e64 v58, v58, v56, s[0:1]
	v_cndmask_b32_e64 v59, v59, v56, s[0:1]
	v_cndmask_b32_e32 v58, v58, v55, vcc
	v_cndmask_b32_e32 v55, v59, v55, vcc
	s_movk_i32 s0, 0x1f8
	v_cmp_neq_f32_e32 vcc, v58, v55
	v_cmp_class_f32_e64 s[0:1], v58, s0
	s_or_b64 s[2:3], vcc, s[0:1]
	s_and_saveexec_b64 s[0:1], s[2:3]
	s_cbranch_execz .LBB509_133
; %bb.132:
	v_sub_f32_e32 v56, v58, v55
	s_mov_b32 s2, 0x3fb8aa3b
	v_mul_f32_e32 v58, 0x3fb8aa3b, v56
	v_fma_f32 v59, v56, s2, -v58
	v_rndne_f32_e32 v60, v58
	v_fmamk_f32 v59, v56, 0x32a5705f, v59
	v_sub_f32_e32 v58, v58, v60
	v_add_f32_e32 v58, v58, v59
	v_exp_f32_e32 v58, v58
	v_cvt_i32_f32_e32 v59, v60
	s_mov_b32 s2, 0xc2ce8ed0
	v_cmp_ngt_f32_e32 vcc, s2, v56
	s_mov_b32 s2, 0x42b17218
	v_ldexp_f32 v58, v58, v59
	v_cndmask_b32_e32 v58, 0, v58, vcc
	v_mov_b32_e32 v59, 0x7f800000
	v_cmp_nlt_f32_e32 vcc, s2, v56
	s_mov_b32 s2, 0x3f2aaaab
	s_mov_b32 s3, 0x7f800000
	v_cndmask_b32_e32 v72, v59, v58, vcc
	v_add_f32_e32 v56, 1.0, v72
	v_add_f32_e32 v58, -1.0, v56
	v_sub_f32_e32 v59, v58, v56
	v_add_f32_e32 v59, 1.0, v59
	v_sub_f32_e32 v58, v72, v58
	v_add_f32_e32 v60, v58, v59
	v_frexp_mant_f32_e32 v61, v56
	v_cvt_f64_f32_e32 v[58:59], v56
	v_frexp_exp_i32_f64_e32 v58, v[58:59]
	v_cmp_gt_f32_e32 vcc, s2, v61
	s_mov_b32 s2, 0x3f317218
	s_nop 0
	v_subbrev_co_u32_e32 v66, vcc, 0, v58, vcc
	v_sub_u32_e32 v58, 0, v66
	v_ldexp_f32 v56, v56, v58
	v_ldexp_f32 v58, v60, v58
	v_add_f32_e32 v60, -1.0, v56
	v_add_f32_e32 v59, 1.0, v60
	v_sub_f32_e32 v59, v56, v59
	v_add_f32_e32 v61, v58, v59
	v_add_f32_e32 v59, 1.0, v56
	v_add_f32_e32 v62, -1.0, v59
	v_sub_f32_e32 v56, v56, v62
	v_add_f32_e32 v56, v58, v56
	v_add_f32_e32 v67, v59, v56
	v_rcp_f32_e32 v68, v67
	v_sub_f32_e32 v58, v59, v67
	v_add_f32_e32 v59, v60, v61
	v_add_f32_e32 v56, v56, v58
	v_mul_f32_e32 v70, v59, v68
	v_sub_f32_e32 v58, v60, v59
	v_mul_f32_e32 v60, v67, v70
	v_fma_f32 v62, v70, v67, -v60
	v_fmac_f32_e32 v62, v70, v56
	v_add_f32_e32 v69, v61, v58
	v_add_f32_e32 v58, v60, v62
	v_sub_f32_e32 v61, v59, v58
	v_pk_add_f32 v[64:65], v[58:59], v[60:61] neg_lo:[0,1] neg_hi:[0,1]
	v_mov_b32_e32 v63, v58
	v_pk_add_f32 v[58:59], v[64:65], v[62:63] neg_lo:[0,1] neg_hi:[0,1]
	v_cmp_eq_f32_e32 vcc, s3, v72
	v_add_f32_e32 v59, v69, v59
	v_add_f32_e32 v58, v58, v59
	;; [unrolled: 1-line block ×3, first 2 shown]
	v_mul_f32_e32 v69, v68, v59
	v_mul_f32_e32 v60, v67, v69
	v_fma_f32 v62, v69, v67, -v60
	v_fmac_f32_e32 v62, v69, v56
	v_sub_f32_e32 v56, v61, v59
	v_add_f32_e32 v56, v58, v56
	v_add_f32_e32 v58, v60, v62
	v_sub_f32_e32 v61, v59, v58
	v_pk_add_f32 v[64:65], v[58:59], v[60:61] neg_lo:[0,1] neg_hi:[0,1]
	v_mov_b32_e32 v63, v58
	v_pk_add_f32 v[58:59], v[64:65], v[62:63] neg_lo:[0,1] neg_hi:[0,1]
	v_cvt_f32_i32_e32 v60, v66
	v_add_f32_e32 v56, v56, v59
	v_add_f32_e32 v56, v58, v56
	;; [unrolled: 1-line block ×4, first 2 shown]
	v_sub_f32_e32 v59, v58, v70
	v_mul_f32_e32 v56, v68, v56
	v_sub_f32_e32 v59, v69, v59
	v_add_f32_e32 v56, v59, v56
	v_add_f32_e32 v61, v58, v56
	v_mul_f32_e32 v62, v61, v61
	v_mov_b32_e32 v59, 0x3ecc95a3
	v_fmac_f32_e32 v59, 0x3e9b6dac, v62
	v_sub_f32_e32 v58, v61, v58
	v_fmaak_f32 v59, v62, v59, 0x3f2aaada
	v_sub_f32_e32 v56, v56, v58
	v_ldexp_f32 v63, v61, 1
	v_mul_f32_e32 v61, v61, v62
	v_mov_b32_e32 v58, 0x3f317218
	v_pk_mul_f32 v[58:59], v[60:61], v[58:59]
	v_ldexp_f32 v56, v56, 1
	v_fma_f32 v61, v60, s2, -v58
	v_fmamk_f32 v62, v60, 0xb102e308, v61
	v_pk_add_f32 v[60:61], v[58:59], v[62:63]
	v_mov_b32_e32 v64, v58
	v_sub_f32_e32 v63, v61, v63
	v_sub_f32_e32 v63, v59, v63
	v_add_f32_e32 v65, v56, v63
	v_pk_add_f32 v[58:59], v[60:61], v[58:59] neg_lo:[0,1] neg_hi:[0,1]
	v_pk_add_f32 v[66:67], v[60:61], v[64:65]
	v_mov_b32_e32 v63, v60
	v_mov_b32_e32 v59, v67
	v_pk_add_f32 v[68:69], v[62:63], v[58:59] neg_lo:[0,1] neg_hi:[0,1]
	v_pk_add_f32 v[58:59], v[62:63], v[58:59]
	s_mov_b32 s2, 0x33800000
	v_mov_b32_e32 v56, v59
	v_pk_add_f32 v[62:63], v[56:57], v[60:61] neg_lo:[0,1] neg_hi:[0,1]
	v_mov_b32_e32 v58, v67
	v_mov_b32_e32 v63, v62
	v_pk_add_f32 v[70:71], v[66:67], v[62:63] neg_lo:[0,1] neg_hi:[0,1]
	v_mov_b32_e32 v66, v61
	v_mov_b32_e32 v67, v62
	;; [unrolled: 1-line block ×3, first 2 shown]
	v_pk_add_f32 v[58:59], v[58:59], v[66:67] neg_lo:[0,1] neg_hi:[0,1]
	v_mov_b32_e32 v62, v65
	v_mov_b32_e32 v63, v60
	v_pk_add_f32 v[58:59], v[62:63], v[58:59] neg_lo:[0,1] neg_hi:[0,1]
	v_mov_b32_e32 v70, v68
	v_pk_add_f32 v[60:61], v[70:71], v[58:59]
	v_cmp_lt_f32_e64 s[2:3], |v72|, s2
	v_mov_b32_e32 v62, v61
	v_pk_add_f32 v[62:63], v[60:61], v[62:63]
	s_or_b64 vcc, vcc, s[2:3]
	v_pk_add_f32 v[64:65], v[56:57], v[62:63]
	v_mov_b32_e32 v59, v62
	v_mov_b32_e32 v61, v64
	v_pk_add_f32 v[66:67], v[60:61], v[68:69] neg_lo:[0,1] neg_hi:[0,1]
	s_nop 0
	v_sub_f32_e32 v56, v60, v66
	v_pk_add_f32 v[58:59], v[58:59], v[66:67] neg_lo:[0,1] neg_hi:[0,1]
	v_sub_f32_e32 v56, v68, v56
	v_add_f32_e32 v56, v58, v56
	v_add_f32_e32 v56, v56, v59
	;; [unrolled: 1-line block ×3, first 2 shown]
	v_cndmask_b32_e32 v56, v56, v72, vcc
	v_add_f32_e32 v56, v55, v56
.LBB509_133:
	s_or_b64 exec, exec, s[0:1]
	v_bfe_u32 v55, v56, 16, 1
	s_movk_i32 s0, 0x7fff
	v_add3_u32 v55, v56, v55, s0
	v_lshrrev_b32_e32 v55, 16, v55
	v_mov_b32_e32 v58, 0x7fc0
	v_cmp_o_f32_e32 vcc, v56, v56
	s_nop 1
	v_cndmask_b32_e32 v56, v58, v55, vcc
.LBB509_134:
	s_or_b64 exec, exec, s[98:99]
	v_and_b32_e32 v55, 0xffff, v56
	v_add_u32_e32 v56, -1, v54
	v_and_b32_e32 v58, 64, v54
	v_cmp_lt_i32_e32 vcc, v56, v58
	s_nop 1
	v_cndmask_b32_e32 v56, v56, v54, vcc
	v_lshlrev_b32_e32 v56, 2, v56
	ds_bpermute_b32 v55, v56, v55
	v_cmp_ne_u32_e32 vcc, 0, v0
	s_and_saveexec_b64 s[0:1], vcc
	s_cbranch_execz .LBB509_138
; %bb.135:
	v_cmp_eq_u32_e32 vcc, 0, v54
	s_movk_i32 s2, 0x1f8
	s_waitcnt lgkmcnt(0)
	v_cndmask_b32_e32 v0, v55, v57, vcc
	v_lshlrev_b32_e32 v2, 16, v0
	v_max_f32_e32 v0, v2, v2
	v_min_f32_e32 v50, v0, v51
	v_cmp_u_f32_e32 vcc, v2, v2
	v_max_f32_e32 v0, v0, v51
	s_nop 0
	v_cndmask_b32_e32 v50, v50, v2, vcc
	v_cndmask_b32_e32 v0, v0, v2, vcc
	v_cndmask_b32_e64 v50, v50, v49, s[94:95]
	v_cndmask_b32_e64 v0, v0, v49, s[94:95]
	v_cmp_neq_f32_e32 vcc, v50, v0
	v_cmp_class_f32_e64 s[2:3], v50, s2
	s_or_b64 s[2:3], vcc, s[2:3]
	s_and_saveexec_b64 s[94:95], s[2:3]
	s_cbranch_execz .LBB509_137
; %bb.136:
	v_sub_f32_e32 v2, v50, v0
	s_mov_b32 s2, 0x3fb8aa3b
	v_mul_f32_e32 v49, 0x3fb8aa3b, v2
	v_fma_f32 v50, v2, s2, -v49
	v_rndne_f32_e32 v51, v49
	v_fmamk_f32 v50, v2, 0x32a5705f, v50
	v_sub_f32_e32 v49, v49, v51
	v_add_f32_e32 v49, v49, v50
	v_exp_f32_e32 v49, v49
	v_cvt_i32_f32_e32 v50, v51
	s_mov_b32 s2, 0xc2ce8ed0
	v_cmp_ngt_f32_e32 vcc, s2, v2
	s_mov_b32 s2, 0x42b17218
	v_ldexp_f32 v49, v49, v50
	v_cndmask_b32_e32 v49, 0, v49, vcc
	v_mov_b32_e32 v50, 0x7f800000
	v_cmp_nlt_f32_e32 vcc, s2, v2
	s_mov_b32 s2, 0x3f2aaaab
	s_mov_b32 s3, 0x7f800000
	v_cndmask_b32_e32 v66, v50, v49, vcc
	v_add_f32_e32 v2, 1.0, v66
	v_add_f32_e32 v49, -1.0, v2
	v_sub_f32_e32 v50, v49, v2
	v_add_f32_e32 v50, 1.0, v50
	v_sub_f32_e32 v49, v66, v49
	v_add_f32_e32 v49, v49, v50
	v_frexp_mant_f32_e32 v52, v2
	v_cvt_f64_f32_e32 v[50:51], v2
	v_frexp_exp_i32_f64_e32 v50, v[50:51]
	v_cmp_gt_f32_e32 vcc, s2, v52
	s_mov_b32 s2, 0x3f317218
	s_nop 0
	v_subbrev_co_u32_e32 v52, vcc, 0, v50, vcc
	v_sub_u32_e32 v50, 0, v52
	v_ldexp_f32 v2, v2, v50
	v_ldexp_f32 v49, v49, v50
	v_add_f32_e32 v50, -1.0, v2
	v_add_f32_e32 v51, 1.0, v50
	v_sub_f32_e32 v51, v2, v51
	v_add_f32_e32 v54, v49, v51
	v_add_f32_e32 v51, 1.0, v2
	v_add_f32_e32 v55, -1.0, v51
	v_sub_f32_e32 v2, v2, v55
	v_add_f32_e32 v2, v49, v2
	v_add_f32_e32 v49, v51, v2
	v_rcp_f32_e32 v60, v49
	v_sub_f32_e32 v51, v51, v49
	v_add_f32_e32 v2, v2, v51
	v_add_f32_e32 v51, v50, v54
	v_sub_f32_e32 v50, v50, v51
	v_mul_f32_e32 v62, v51, v60
	v_add_f32_e32 v61, v54, v50
	v_mul_f32_e32 v54, v49, v62
	v_fma_f32 v56, v62, v49, -v54
	v_fmac_f32_e32 v56, v62, v2
	v_add_f32_e32 v50, v54, v56
	v_sub_f32_e32 v55, v51, v50
	v_pk_add_f32 v[58:59], v[50:51], v[54:55] neg_lo:[0,1] neg_hi:[0,1]
	v_mov_b32_e32 v57, v50
	v_pk_add_f32 v[50:51], v[58:59], v[56:57] neg_lo:[0,1] neg_hi:[0,1]
	v_cmp_eq_f32_e32 vcc, s3, v66
	v_add_f32_e32 v51, v61, v51
	v_add_f32_e32 v50, v50, v51
	;; [unrolled: 1-line block ×3, first 2 shown]
	v_mul_f32_e32 v61, v60, v51
	v_mul_f32_e32 v54, v49, v61
	v_fma_f32 v56, v61, v49, -v54
	v_fmac_f32_e32 v56, v61, v2
	v_sub_f32_e32 v2, v55, v51
	v_add_f32_e32 v2, v50, v2
	v_add_f32_e32 v50, v54, v56
	v_sub_f32_e32 v55, v51, v50
	v_pk_add_f32 v[58:59], v[50:51], v[54:55] neg_lo:[0,1] neg_hi:[0,1]
	v_mov_b32_e32 v57, v50
	v_pk_add_f32 v[50:51], v[58:59], v[56:57] neg_lo:[0,1] neg_hi:[0,1]
	v_add_f32_e32 v49, v62, v61
	v_add_f32_e32 v2, v2, v51
	;; [unrolled: 1-line block ×4, first 2 shown]
	v_sub_f32_e32 v50, v49, v62
	v_mul_f32_e32 v2, v60, v2
	v_sub_f32_e32 v50, v61, v50
	v_add_f32_e32 v2, v50, v2
	v_add_f32_e32 v50, v49, v2
	v_cvt_f32_i32_e32 v54, v52
	v_mul_f32_e32 v55, v50, v50
	v_mov_b32_e32 v51, 0x3ecc95a3
	v_fmac_f32_e32 v51, 0x3e9b6dac, v55
	v_fmaak_f32 v51, v55, v51, 0x3f2aaada
	v_sub_f32_e32 v49, v50, v49
	v_ldexp_f32 v57, v50, 1
	v_mul_f32_e32 v55, v50, v55
	v_mov_b32_e32 v50, 0x3f317218
	v_pk_mul_f32 v[50:51], v[54:55], v[50:51]
	v_sub_f32_e32 v2, v2, v49
	v_fma_f32 v49, v54, s2, -v50
	v_fmamk_f32 v56, v54, 0xb102e308, v49
	v_pk_add_f32 v[54:55], v[50:51], v[56:57]
	v_ldexp_f32 v2, v2, 1
	v_sub_f32_e32 v49, v55, v57
	v_sub_f32_e32 v49, v51, v49
	v_add_f32_e32 v59, v2, v49
	v_mov_b32_e32 v58, v50
	v_pk_add_f32 v[50:51], v[54:55], v[50:51] neg_lo:[0,1] neg_hi:[0,1]
	v_pk_add_f32 v[60:61], v[54:55], v[58:59]
	v_mov_b32_e32 v57, v54
	v_mov_b32_e32 v51, v61
	v_pk_add_f32 v[62:63], v[56:57], v[50:51] neg_lo:[0,1] neg_hi:[0,1]
	v_pk_add_f32 v[50:51], v[56:57], v[50:51]
	s_mov_b32 s2, 0x33800000
	v_mov_b32_e32 v2, v51
	v_pk_add_f32 v[56:57], v[2:3], v[54:55] neg_lo:[0,1] neg_hi:[0,1]
	v_mov_b32_e32 v50, v61
	v_mov_b32_e32 v49, v56
	v_pk_add_f32 v[64:65], v[60:61], v[48:49] neg_lo:[0,1] neg_hi:[0,1]
	v_mov_b32_e32 v60, v55
	v_mov_b32_e32 v61, v56
	;; [unrolled: 1-line block ×3, first 2 shown]
	v_pk_add_f32 v[50:51], v[50:51], v[60:61] neg_lo:[0,1] neg_hi:[0,1]
	v_mov_b32_e32 v56, v59
	v_mov_b32_e32 v57, v54
	v_pk_add_f32 v[50:51], v[56:57], v[50:51] neg_lo:[0,1] neg_hi:[0,1]
	v_mov_b32_e32 v64, v62
	v_pk_add_f32 v[54:55], v[64:65], v[50:51]
	v_cmp_lt_f32_e64 s[2:3], |v66|, s2
	v_mov_b32_e32 v52, v55
	v_pk_add_f32 v[56:57], v[54:55], v[52:53]
	s_or_b64 vcc, vcc, s[2:3]
	v_pk_add_f32 v[58:59], v[2:3], v[56:57]
	v_mov_b32_e32 v51, v56
	v_mov_b32_e32 v55, v58
	v_pk_add_f32 v[60:61], v[54:55], v[62:63] neg_lo:[0,1] neg_hi:[0,1]
	s_nop 0
	v_sub_f32_e32 v2, v54, v60
	v_pk_add_f32 v[50:51], v[50:51], v[60:61] neg_lo:[0,1] neg_hi:[0,1]
	v_sub_f32_e32 v2, v62, v2
	v_add_f32_e32 v2, v50, v2
	v_add_f32_e32 v2, v2, v51
	;; [unrolled: 1-line block ×3, first 2 shown]
	v_cndmask_b32_e32 v2, v2, v66, vcc
	v_add_f32_e32 v2, v0, v2
.LBB509_137:
	s_or_b64 exec, exec, s[94:95]
	v_bfe_u32 v0, v2, 16, 1
	s_movk_i32 s2, 0x7fff
	v_add3_u32 v0, v2, v0, s2
	v_lshrrev_b32_e32 v0, 16, v0
	v_mov_b32_e32 v49, 0x7fc0
	v_cmp_o_f32_e32 vcc, v2, v2
	;;#ASMSTART
	;;#ASMEND
	s_nop 1
	v_cndmask_b32_e32 v2, v49, v0, vcc
	v_lshlrev_b32_e32 v49, 16, v2
	v_max_f32_e32 v0, v49, v49
	v_min_f32_e32 v50, v0, v24
	v_max_f32_e32 v52, v0, v24
.LBB509_138:
	s_or_b64 exec, exec, s[0:1]
	v_cmp_u_f32_e32 vcc, v49, v49
	s_nop 1
	v_cndmask_b32_e32 v0, v50, v49, vcc
	v_cndmask_b32_e64 v24, v0, v1, s[48:49]
	v_cndmask_b32_e32 v0, v52, v49, vcc
	v_cndmask_b32_e64 v0, v0, v1, s[48:49]
	v_cmp_neq_f32_e32 vcc, v24, v0
	v_cmp_class_f32_e64 s[0:1], v24, s33
	s_or_b64 s[2:3], vcc, s[0:1]
	s_and_saveexec_b64 s[0:1], s[2:3]
	s_cbranch_execz .LBB509_140
; %bb.139:
	v_sub_f32_e32 v1, v24, v0
	s_mov_b32 s2, 0x3fb8aa3b
	v_mul_f32_e32 v24, 0x3fb8aa3b, v1
	v_fma_f32 v49, v1, s2, -v24
	v_rndne_f32_e32 v50, v24
	v_fmamk_f32 v49, v1, 0x32a5705f, v49
	v_sub_f32_e32 v24, v24, v50
	v_add_f32_e32 v24, v24, v49
	v_exp_f32_e32 v24, v24
	v_cvt_i32_f32_e32 v49, v50
	s_mov_b32 s2, 0xc2ce8ed0
	v_cmp_ngt_f32_e32 vcc, s2, v1
	s_mov_b32 s2, 0x42b17218
	v_ldexp_f32 v24, v24, v49
	v_cndmask_b32_e32 v24, 0, v24, vcc
	v_mov_b32_e32 v49, 0x7f800000
	v_cmp_nlt_f32_e32 vcc, s2, v1
	s_mov_b32 s2, 0x3f2aaaab
	s_mov_b32 s3, 0x7f800000
	v_cndmask_b32_e32 v49, v49, v24, vcc
	v_add_f32_e32 v1, 1.0, v49
	v_add_f32_e32 v24, -1.0, v1
	v_sub_f32_e32 v50, v24, v1
	v_add_f32_e32 v50, 1.0, v50
	v_sub_f32_e32 v24, v49, v24
	v_add_f32_e32 v24, v24, v50
	v_frexp_mant_f32_e32 v52, v1
	v_cvt_f64_f32_e32 v[50:51], v1
	v_frexp_exp_i32_f64_e32 v50, v[50:51]
	v_cmp_gt_f32_e32 vcc, s2, v52
	s_mov_b32 s2, 0x3f317218
	s_nop 0
	v_subbrev_co_u32_e32 v52, vcc, 0, v50, vcc
	v_sub_u32_e32 v50, 0, v52
	v_ldexp_f32 v1, v1, v50
	v_ldexp_f32 v24, v24, v50
	v_add_f32_e32 v50, -1.0, v1
	v_add_f32_e32 v51, 1.0, v50
	v_sub_f32_e32 v51, v1, v51
	v_add_f32_e32 v54, v24, v51
	v_add_f32_e32 v51, 1.0, v1
	s_waitcnt lgkmcnt(0)
	v_add_f32_e32 v55, -1.0, v51
	v_sub_f32_e32 v1, v1, v55
	v_add_f32_e32 v1, v24, v1
	v_add_f32_e32 v24, v51, v1
	v_rcp_f32_e32 v60, v24
	v_sub_f32_e32 v51, v51, v24
	v_add_f32_e32 v1, v1, v51
	v_add_f32_e32 v51, v50, v54
	v_sub_f32_e32 v50, v50, v51
	v_mul_f32_e32 v62, v51, v60
	v_add_f32_e32 v61, v54, v50
	v_mul_f32_e32 v54, v24, v62
	v_fma_f32 v56, v62, v24, -v54
	v_fmac_f32_e32 v56, v62, v1
	v_add_f32_e32 v50, v54, v56
	v_sub_f32_e32 v55, v51, v50
	v_pk_add_f32 v[58:59], v[50:51], v[54:55] neg_lo:[0,1] neg_hi:[0,1]
	v_mov_b32_e32 v57, v50
	v_pk_add_f32 v[50:51], v[58:59], v[56:57] neg_lo:[0,1] neg_hi:[0,1]
	v_cmp_eq_f32_e32 vcc, s3, v49
	v_add_f32_e32 v51, v61, v51
	v_add_f32_e32 v50, v50, v51
	v_add_f32_e32 v51, v55, v50
	v_mul_f32_e32 v61, v60, v51
	v_mul_f32_e32 v54, v24, v61
	v_fma_f32 v56, v61, v24, -v54
	v_fmac_f32_e32 v56, v61, v1
	v_sub_f32_e32 v1, v55, v51
	v_add_f32_e32 v1, v50, v1
	v_add_f32_e32 v50, v54, v56
	v_sub_f32_e32 v55, v51, v50
	v_pk_add_f32 v[58:59], v[50:51], v[54:55] neg_lo:[0,1] neg_hi:[0,1]
	v_mov_b32_e32 v57, v50
	v_pk_add_f32 v[50:51], v[58:59], v[56:57] neg_lo:[0,1] neg_hi:[0,1]
	v_add_f32_e32 v24, v62, v61
	v_add_f32_e32 v1, v1, v51
	;; [unrolled: 1-line block ×4, first 2 shown]
	v_sub_f32_e32 v50, v24, v62
	v_mul_f32_e32 v1, v60, v1
	v_sub_f32_e32 v50, v61, v50
	v_add_f32_e32 v1, v50, v1
	v_add_f32_e32 v50, v24, v1
	v_cvt_f32_i32_e32 v54, v52
	v_mul_f32_e32 v55, v50, v50
	v_mov_b32_e32 v51, 0x3ecc95a3
	v_fmac_f32_e32 v51, 0x3e9b6dac, v55
	v_fmaak_f32 v51, v55, v51, 0x3f2aaada
	v_sub_f32_e32 v24, v50, v24
	v_ldexp_f32 v57, v50, 1
	v_mul_f32_e32 v55, v50, v55
	v_mov_b32_e32 v50, 0x3f317218
	v_pk_mul_f32 v[50:51], v[54:55], v[50:51]
	v_sub_f32_e32 v1, v1, v24
	v_fma_f32 v24, v54, s2, -v50
	v_fmamk_f32 v56, v54, 0xb102e308, v24
	v_pk_add_f32 v[54:55], v[50:51], v[56:57]
	v_ldexp_f32 v1, v1, 1
	v_sub_f32_e32 v24, v55, v57
	v_sub_f32_e32 v24, v51, v24
	v_add_f32_e32 v59, v1, v24
	v_mov_b32_e32 v58, v50
	v_pk_add_f32 v[50:51], v[54:55], v[50:51] neg_lo:[0,1] neg_hi:[0,1]
	v_pk_add_f32 v[60:61], v[54:55], v[58:59]
	v_mov_b32_e32 v57, v54
	v_mov_b32_e32 v51, v61
	v_pk_add_f32 v[62:63], v[56:57], v[50:51] neg_lo:[0,1] neg_hi:[0,1]
	v_pk_add_f32 v[50:51], v[56:57], v[50:51]
	s_mov_b32 s2, 0x33800000
	v_mov_b32_e32 v24, v51
	v_pk_add_f32 v[56:57], v[24:25], v[54:55] neg_lo:[0,1] neg_hi:[0,1]
	v_mov_b32_e32 v50, v61
	v_mov_b32_e32 v1, v56
	v_pk_add_f32 v[64:65], v[60:61], v[0:1] neg_lo:[0,1] neg_hi:[0,1]
	v_mov_b32_e32 v60, v55
	v_mov_b32_e32 v61, v56
	;; [unrolled: 1-line block ×3, first 2 shown]
	v_pk_add_f32 v[50:51], v[50:51], v[60:61] neg_lo:[0,1] neg_hi:[0,1]
	v_mov_b32_e32 v56, v59
	v_mov_b32_e32 v57, v54
	v_pk_add_f32 v[50:51], v[56:57], v[50:51] neg_lo:[0,1] neg_hi:[0,1]
	v_mov_b32_e32 v64, v62
	v_pk_add_f32 v[54:55], v[64:65], v[50:51]
	v_cmp_lt_f32_e64 s[2:3], |v49|, s2
	v_mov_b32_e32 v52, v55
	v_pk_add_f32 v[56:57], v[54:55], v[52:53]
	s_or_b64 vcc, vcc, s[2:3]
	v_pk_add_f32 v[58:59], v[24:25], v[56:57]
	v_mov_b32_e32 v51, v56
	v_mov_b32_e32 v55, v58
	v_pk_add_f32 v[60:61], v[54:55], v[62:63] neg_lo:[0,1] neg_hi:[0,1]
	s_nop 0
	v_sub_f32_e32 v1, v54, v60
	v_pk_add_f32 v[50:51], v[50:51], v[60:61] neg_lo:[0,1] neg_hi:[0,1]
	v_sub_f32_e32 v1, v62, v1
	v_add_f32_e32 v1, v50, v1
	v_add_f32_e32 v1, v1, v51
	;; [unrolled: 1-line block ×3, first 2 shown]
	v_cndmask_b32_e32 v1, v1, v49, vcc
	v_add_f32_e32 v49, v0, v1
.LBB509_140:
	s_or_b64 exec, exec, s[0:1]
	v_bfe_u32 v0, v49, 16, 1
	s_movk_i32 s48, 0x7fff
	v_add3_u32 v0, v49, v0, s48
	v_lshrrev_b32_e32 v0, 16, v0
	v_mov_b32_e32 v1, 0x7fc0
	v_cmp_o_f32_e32 vcc, v49, v49
	s_nop 1
	v_cndmask_b32_e32 v0, v1, v0, vcc
	v_lshlrev_b32_e32 v24, 16, v0
	v_max_f32_e32 v50, v24, v24
	v_min_f32_e32 v49, v50, v17
	v_cmp_u_f32_e32 vcc, v24, v24
	v_max_f32_e32 v17, v50, v17
	s_nop 0
	v_cndmask_b32_e32 v49, v49, v24, vcc
	v_cndmask_b32_e32 v17, v17, v24, vcc
	v_cndmask_b32_e64 v49, v49, v15, s[50:51]
	v_cndmask_b32_e64 v15, v17, v15, s[50:51]
	v_cmp_neq_f32_e32 vcc, v49, v15
	v_cmp_class_f32_e64 s[0:1], v49, s33
	s_or_b64 s[2:3], vcc, s[0:1]
	s_and_saveexec_b64 s[0:1], s[2:3]
	s_cbranch_execz .LBB509_142
; %bb.141:
	v_sub_f32_e32 v17, v49, v15
	s_mov_b32 s2, 0x3fb8aa3b
	v_mul_f32_e32 v24, 0x3fb8aa3b, v17
	v_fma_f32 v49, v17, s2, -v24
	v_rndne_f32_e32 v50, v24
	v_fmamk_f32 v49, v17, 0x32a5705f, v49
	v_sub_f32_e32 v24, v24, v50
	v_add_f32_e32 v24, v24, v49
	v_exp_f32_e32 v24, v24
	v_cvt_i32_f32_e32 v49, v50
	s_mov_b32 s2, 0xc2ce8ed0
	v_cmp_ngt_f32_e32 vcc, s2, v17
	s_mov_b32 s2, 0x42b17218
	v_ldexp_f32 v24, v24, v49
	v_cndmask_b32_e32 v24, 0, v24, vcc
	v_mov_b32_e32 v49, 0x7f800000
	v_cmp_nlt_f32_e32 vcc, s2, v17
	s_mov_b32 s2, 0x3f2aaaab
	s_mov_b32 s3, 0x7f800000
	v_cndmask_b32_e32 v49, v49, v24, vcc
	v_add_f32_e32 v17, 1.0, v49
	v_add_f32_e32 v24, -1.0, v17
	v_sub_f32_e32 v50, v24, v17
	v_add_f32_e32 v50, 1.0, v50
	v_sub_f32_e32 v24, v49, v24
	v_add_f32_e32 v24, v24, v50
	v_frexp_mant_f32_e32 v52, v17
	v_cvt_f64_f32_e32 v[50:51], v17
	v_frexp_exp_i32_f64_e32 v50, v[50:51]
	v_cmp_gt_f32_e32 vcc, s2, v52
	s_mov_b32 s2, 0x3f317218
	s_nop 0
	v_subbrev_co_u32_e32 v52, vcc, 0, v50, vcc
	v_sub_u32_e32 v50, 0, v52
	v_ldexp_f32 v17, v17, v50
	v_ldexp_f32 v24, v24, v50
	v_add_f32_e32 v50, -1.0, v17
	v_add_f32_e32 v51, 1.0, v50
	v_sub_f32_e32 v51, v17, v51
	v_add_f32_e32 v54, v24, v51
	v_add_f32_e32 v51, 1.0, v17
	s_waitcnt lgkmcnt(0)
	v_add_f32_e32 v55, -1.0, v51
	v_sub_f32_e32 v17, v17, v55
	v_add_f32_e32 v17, v24, v17
	v_add_f32_e32 v24, v51, v17
	v_rcp_f32_e32 v60, v24
	v_sub_f32_e32 v51, v51, v24
	v_add_f32_e32 v17, v17, v51
	v_add_f32_e32 v51, v50, v54
	v_sub_f32_e32 v50, v50, v51
	v_mul_f32_e32 v62, v51, v60
	v_add_f32_e32 v61, v54, v50
	v_mul_f32_e32 v54, v24, v62
	v_fma_f32 v56, v62, v24, -v54
	v_fmac_f32_e32 v56, v62, v17
	v_add_f32_e32 v50, v54, v56
	v_sub_f32_e32 v55, v51, v50
	v_pk_add_f32 v[58:59], v[50:51], v[54:55] neg_lo:[0,1] neg_hi:[0,1]
	v_mov_b32_e32 v57, v50
	v_pk_add_f32 v[50:51], v[58:59], v[56:57] neg_lo:[0,1] neg_hi:[0,1]
	v_cmp_eq_f32_e32 vcc, s3, v49
	v_add_f32_e32 v51, v61, v51
	v_add_f32_e32 v50, v50, v51
	;; [unrolled: 1-line block ×3, first 2 shown]
	v_mul_f32_e32 v61, v60, v51
	v_mul_f32_e32 v54, v24, v61
	v_fma_f32 v56, v61, v24, -v54
	v_fmac_f32_e32 v56, v61, v17
	v_sub_f32_e32 v17, v55, v51
	v_add_f32_e32 v17, v50, v17
	v_add_f32_e32 v50, v54, v56
	v_sub_f32_e32 v55, v51, v50
	v_pk_add_f32 v[58:59], v[50:51], v[54:55] neg_lo:[0,1] neg_hi:[0,1]
	v_mov_b32_e32 v57, v50
	v_pk_add_f32 v[50:51], v[58:59], v[56:57] neg_lo:[0,1] neg_hi:[0,1]
	v_add_f32_e32 v24, v62, v61
	v_add_f32_e32 v17, v17, v51
	;; [unrolled: 1-line block ×4, first 2 shown]
	v_sub_f32_e32 v50, v24, v62
	v_mul_f32_e32 v17, v60, v17
	v_sub_f32_e32 v50, v61, v50
	v_add_f32_e32 v17, v50, v17
	v_add_f32_e32 v50, v24, v17
	v_cvt_f32_i32_e32 v54, v52
	v_mul_f32_e32 v55, v50, v50
	v_mov_b32_e32 v51, 0x3ecc95a3
	v_fmac_f32_e32 v51, 0x3e9b6dac, v55
	v_fmaak_f32 v51, v55, v51, 0x3f2aaada
	v_sub_f32_e32 v24, v50, v24
	v_ldexp_f32 v57, v50, 1
	v_mul_f32_e32 v55, v50, v55
	v_mov_b32_e32 v50, 0x3f317218
	v_pk_mul_f32 v[50:51], v[54:55], v[50:51]
	v_sub_f32_e32 v17, v17, v24
	v_fma_f32 v24, v54, s2, -v50
	v_fmamk_f32 v56, v54, 0xb102e308, v24
	v_pk_add_f32 v[54:55], v[50:51], v[56:57]
	v_ldexp_f32 v17, v17, 1
	v_sub_f32_e32 v24, v55, v57
	v_sub_f32_e32 v24, v51, v24
	v_add_f32_e32 v59, v17, v24
	v_mov_b32_e32 v58, v50
	v_pk_add_f32 v[50:51], v[54:55], v[50:51] neg_lo:[0,1] neg_hi:[0,1]
	v_pk_add_f32 v[60:61], v[54:55], v[58:59]
	v_mov_b32_e32 v57, v54
	v_mov_b32_e32 v51, v61
	v_pk_add_f32 v[62:63], v[56:57], v[50:51] neg_lo:[0,1] neg_hi:[0,1]
	v_pk_add_f32 v[50:51], v[56:57], v[50:51]
	s_mov_b32 s2, 0x33800000
	v_mov_b32_e32 v24, v51
	v_pk_add_f32 v[56:57], v[24:25], v[54:55] neg_lo:[0,1] neg_hi:[0,1]
	v_mov_b32_e32 v50, v61
	v_mov_b32_e32 v17, v56
	v_pk_add_f32 v[64:65], v[60:61], v[16:17] neg_lo:[0,1] neg_hi:[0,1]
	v_mov_b32_e32 v60, v55
	v_mov_b32_e32 v61, v56
	v_mov_b32_e32 v63, v51
	v_pk_add_f32 v[50:51], v[50:51], v[60:61] neg_lo:[0,1] neg_hi:[0,1]
	v_mov_b32_e32 v56, v59
	v_mov_b32_e32 v57, v54
	v_pk_add_f32 v[50:51], v[56:57], v[50:51] neg_lo:[0,1] neg_hi:[0,1]
	v_mov_b32_e32 v64, v62
	v_pk_add_f32 v[54:55], v[64:65], v[50:51]
	v_cmp_lt_f32_e64 s[2:3], |v49|, s2
	v_mov_b32_e32 v52, v55
	v_pk_add_f32 v[56:57], v[54:55], v[52:53]
	s_or_b64 vcc, vcc, s[2:3]
	v_pk_add_f32 v[58:59], v[24:25], v[56:57]
	v_mov_b32_e32 v51, v56
	v_mov_b32_e32 v55, v58
	v_pk_add_f32 v[60:61], v[54:55], v[62:63] neg_lo:[0,1] neg_hi:[0,1]
	s_nop 0
	v_sub_f32_e32 v17, v54, v60
	v_pk_add_f32 v[50:51], v[50:51], v[60:61] neg_lo:[0,1] neg_hi:[0,1]
	v_sub_f32_e32 v17, v62, v17
	v_add_f32_e32 v17, v50, v17
	v_add_f32_e32 v17, v17, v51
	;; [unrolled: 1-line block ×3, first 2 shown]
	v_cndmask_b32_e32 v17, v17, v49, vcc
	v_add_f32_e32 v24, v15, v17
.LBB509_142:
	s_or_b64 exec, exec, s[0:1]
	v_bfe_u32 v15, v24, 16, 1
	v_add3_u32 v15, v24, v15, s48
	v_lshrrev_b32_e32 v15, 16, v15
	v_cmp_o_f32_e32 vcc, v24, v24
	s_nop 1
	v_cndmask_b32_e32 v1, v1, v15, vcc
	v_lshlrev_b32_e32 v17, 16, v1
	v_max_f32_e32 v24, v17, v17
	v_min_f32_e32 v15, v24, v18
	v_cmp_u_f32_e32 vcc, v17, v17
	v_max_f32_e32 v18, v24, v18
	s_nop 0
	v_cndmask_b32_e32 v15, v15, v17, vcc
	v_cndmask_b32_e32 v18, v18, v17, vcc
	v_cndmask_b32_e64 v15, v15, v3, s[52:53]
	v_cndmask_b32_e64 v3, v18, v3, s[52:53]
	v_cmp_neq_f32_e32 vcc, v15, v3
	v_cmp_class_f32_e64 s[0:1], v15, s33
	s_or_b64 s[2:3], vcc, s[0:1]
	s_and_saveexec_b64 s[0:1], s[2:3]
	s_cbranch_execz .LBB509_144
; %bb.143:
	v_sub_f32_e32 v15, v15, v3
	s_mov_b32 s2, 0x3fb8aa3b
	v_mul_f32_e32 v17, 0x3fb8aa3b, v15
	v_fma_f32 v18, v15, s2, -v17
	v_rndne_f32_e32 v24, v17
	v_fmamk_f32 v18, v15, 0x32a5705f, v18
	v_sub_f32_e32 v17, v17, v24
	v_add_f32_e32 v17, v17, v18
	v_exp_f32_e32 v17, v17
	v_cvt_i32_f32_e32 v18, v24
	s_mov_b32 s2, 0xc2ce8ed0
	v_cmp_ngt_f32_e32 vcc, s2, v15
	s_mov_b32 s2, 0x42b17218
	v_ldexp_f32 v17, v17, v18
	v_cndmask_b32_e32 v17, 0, v17, vcc
	v_mov_b32_e32 v18, 0x7f800000
	v_cmp_nlt_f32_e32 vcc, s2, v15
	s_mov_b32 s2, 0x3f2aaaab
	s_mov_b32 s3, 0x7f800000
	v_cndmask_b32_e32 v17, v18, v17, vcc
	v_add_f32_e32 v15, 1.0, v17
	v_add_f32_e32 v18, -1.0, v15
	v_sub_f32_e32 v24, v18, v15
	v_add_f32_e32 v24, 1.0, v24
	v_sub_f32_e32 v18, v17, v18
	v_add_f32_e32 v18, v18, v24
	v_frexp_mant_f32_e32 v24, v15
	v_cvt_f64_f32_e32 v[50:51], v15
	v_frexp_exp_i32_f64_e32 v49, v[50:51]
	v_cmp_gt_f32_e32 vcc, s2, v24
	s_mov_b32 s2, 0x3f317218
	s_nop 0
	v_subbrev_co_u32_e32 v24, vcc, 0, v49, vcc
	v_sub_u32_e32 v49, 0, v24
	v_ldexp_f32 v15, v15, v49
	v_ldexp_f32 v18, v18, v49
	v_add_f32_e32 v49, -1.0, v15
	v_add_f32_e32 v51, 1.0, v15
	v_add_f32_e32 v50, 1.0, v49
	v_add_f32_e32 v52, -1.0, v51
	v_sub_f32_e32 v50, v15, v50
	v_sub_f32_e32 v15, v15, v52
	v_add_f32_e32 v15, v18, v15
	v_add_f32_e32 v50, v18, v50
	;; [unrolled: 1-line block ×3, first 2 shown]
	v_rcp_f32_e32 v52, v18
	v_sub_f32_e32 v51, v51, v18
	v_add_f32_e32 v15, v15, v51
	v_add_f32_e32 v51, v49, v50
	v_mul_f32_e32 v60, v51, v52
	v_mul_f32_e32 v54, v18, v60
	v_fma_f32 v56, v60, v18, -v54
	v_sub_f32_e32 v49, v49, v51
	v_fmac_f32_e32 v56, v60, v15
	v_add_f32_e32 v49, v50, v49
	v_add_f32_e32 v50, v54, v56
	s_waitcnt lgkmcnt(0)
	v_sub_f32_e32 v55, v51, v50
	v_pk_add_f32 v[58:59], v[50:51], v[54:55] neg_lo:[0,1] neg_hi:[0,1]
	v_mov_b32_e32 v57, v50
	v_pk_add_f32 v[50:51], v[58:59], v[56:57] neg_lo:[0,1] neg_hi:[0,1]
	v_cmp_eq_f32_e32 vcc, s3, v17
	v_add_f32_e32 v49, v49, v51
	v_add_f32_e32 v49, v50, v49
	v_add_f32_e32 v51, v55, v49
	v_mul_f32_e32 v61, v52, v51
	v_mul_f32_e32 v54, v18, v61
	v_fma_f32 v56, v61, v18, -v54
	v_fmac_f32_e32 v56, v61, v15
	v_add_f32_e32 v50, v54, v56
	v_sub_f32_e32 v15, v55, v51
	v_sub_f32_e32 v55, v51, v50
	v_pk_add_f32 v[58:59], v[50:51], v[54:55] neg_lo:[0,1] neg_hi:[0,1]
	v_mov_b32_e32 v57, v50
	v_add_f32_e32 v15, v49, v15
	v_pk_add_f32 v[50:51], v[58:59], v[56:57] neg_lo:[0,1] neg_hi:[0,1]
	v_add_f32_e32 v18, v60, v61
	v_add_f32_e32 v15, v15, v51
	;; [unrolled: 1-line block ×4, first 2 shown]
	v_sub_f32_e32 v49, v18, v60
	v_mul_f32_e32 v15, v52, v15
	v_sub_f32_e32 v49, v61, v49
	v_add_f32_e32 v15, v49, v15
	v_add_f32_e32 v49, v18, v15
	v_cvt_f32_i32_e32 v54, v24
	v_mul_f32_e32 v50, v49, v49
	v_mov_b32_e32 v51, 0x3ecc95a3
	v_fmac_f32_e32 v51, 0x3e9b6dac, v50
	v_fmaak_f32 v51, v50, v51, 0x3f2aaada
	v_mul_f32_e32 v55, v49, v50
	v_mov_b32_e32 v50, 0x3f317218
	v_sub_f32_e32 v18, v49, v18
	v_pk_mul_f32 v[50:51], v[54:55], v[50:51]
	v_sub_f32_e32 v15, v15, v18
	v_fma_f32 v18, v54, s2, -v50
	v_ldexp_f32 v57, v49, 1
	v_fmamk_f32 v56, v54, 0xb102e308, v18
	v_pk_add_f32 v[54:55], v[50:51], v[56:57]
	v_ldexp_f32 v15, v15, 1
	v_sub_f32_e32 v18, v55, v57
	v_sub_f32_e32 v18, v51, v18
	v_add_f32_e32 v59, v15, v18
	v_mov_b32_e32 v58, v50
	v_pk_add_f32 v[50:51], v[54:55], v[50:51] neg_lo:[0,1] neg_hi:[0,1]
	v_pk_add_f32 v[60:61], v[54:55], v[58:59]
	v_mov_b32_e32 v57, v54
	v_mov_b32_e32 v51, v61
	v_pk_add_f32 v[62:63], v[56:57], v[50:51] neg_lo:[0,1] neg_hi:[0,1]
	v_pk_add_f32 v[50:51], v[56:57], v[50:51]
	s_mov_b32 s2, 0x33800000
	v_mov_b32_e32 v18, v51
	v_pk_add_f32 v[56:57], v[18:19], v[54:55] neg_lo:[0,1] neg_hi:[0,1]
	v_mov_b32_e32 v50, v61
	v_mov_b32_e32 v15, v56
	v_pk_add_f32 v[64:65], v[60:61], v[14:15] neg_lo:[0,1] neg_hi:[0,1]
	v_mov_b32_e32 v60, v55
	v_mov_b32_e32 v61, v56
	;; [unrolled: 1-line block ×3, first 2 shown]
	v_pk_add_f32 v[50:51], v[50:51], v[60:61] neg_lo:[0,1] neg_hi:[0,1]
	v_mov_b32_e32 v56, v59
	v_mov_b32_e32 v57, v54
	v_pk_add_f32 v[50:51], v[56:57], v[50:51] neg_lo:[0,1] neg_hi:[0,1]
	v_mov_b32_e32 v64, v62
	v_pk_add_f32 v[54:55], v[64:65], v[50:51]
	v_cmp_lt_f32_e64 s[2:3], |v17|, s2
	v_mov_b32_e32 v24, v55
	v_pk_add_f32 v[56:57], v[54:55], v[24:25]
	s_or_b64 vcc, vcc, s[2:3]
	v_pk_add_f32 v[58:59], v[18:19], v[56:57]
	v_mov_b32_e32 v51, v56
	v_mov_b32_e32 v55, v58
	v_pk_add_f32 v[60:61], v[54:55], v[62:63] neg_lo:[0,1] neg_hi:[0,1]
	s_nop 0
	v_sub_f32_e32 v15, v54, v60
	v_pk_add_f32 v[50:51], v[50:51], v[60:61] neg_lo:[0,1] neg_hi:[0,1]
	v_sub_f32_e32 v15, v62, v15
	v_add_f32_e32 v15, v50, v15
	v_add_f32_e32 v15, v15, v51
	v_add_f32_e32 v15, v58, v15
	v_cndmask_b32_e32 v15, v15, v17, vcc
	v_add_f32_e32 v17, v3, v15
.LBB509_144:
	s_or_b64 exec, exec, s[0:1]
	v_bfe_u32 v3, v17, 16, 1
	v_add3_u32 v3, v17, v3, s48
	v_lshrrev_b32_e32 v3, 16, v3
	v_mov_b32_e32 v15, 0x7fc0
	v_cmp_o_f32_e32 vcc, v17, v17
	s_nop 1
	v_cndmask_b32_e32 v3, v15, v3, vcc
	v_lshlrev_b32_e32 v17, 16, v3
	v_max_f32_e32 v24, v17, v17
	v_min_f32_e32 v18, v24, v20
	v_cmp_u_f32_e32 vcc, v17, v17
	v_max_f32_e32 v20, v24, v20
	s_nop 0
	v_cndmask_b32_e32 v18, v18, v17, vcc
	v_cndmask_b32_e32 v20, v20, v17, vcc
	v_cndmask_b32_e64 v18, v18, v16, s[54:55]
	v_cndmask_b32_e64 v16, v20, v16, s[54:55]
	v_cmp_neq_f32_e32 vcc, v18, v16
	v_cmp_class_f32_e64 s[0:1], v18, s33
	s_or_b64 s[2:3], vcc, s[0:1]
	s_and_saveexec_b64 s[0:1], s[2:3]
	s_cbranch_execz .LBB509_146
; %bb.145:
	v_sub_f32_e32 v17, v18, v16
	s_mov_b32 s2, 0x3fb8aa3b
	v_mul_f32_e32 v18, 0x3fb8aa3b, v17
	v_fma_f32 v20, v17, s2, -v18
	v_rndne_f32_e32 v24, v18
	v_fmamk_f32 v20, v17, 0x32a5705f, v20
	v_sub_f32_e32 v18, v18, v24
	v_add_f32_e32 v18, v18, v20
	v_exp_f32_e32 v18, v18
	v_cvt_i32_f32_e32 v20, v24
	s_mov_b32 s2, 0xc2ce8ed0
	v_cmp_ngt_f32_e32 vcc, s2, v17
	s_mov_b32 s2, 0x42b17218
	v_ldexp_f32 v18, v18, v20
	v_cndmask_b32_e32 v18, 0, v18, vcc
	v_mov_b32_e32 v20, 0x7f800000
	v_cmp_nlt_f32_e32 vcc, s2, v17
	s_mov_b32 s2, 0x3f2aaaab
	s_mov_b32 s3, 0x7f800000
	v_cndmask_b32_e32 v24, v20, v18, vcc
	v_add_f32_e32 v17, 1.0, v24
	v_add_f32_e32 v18, -1.0, v17
	v_sub_f32_e32 v20, v18, v17
	v_add_f32_e32 v20, 1.0, v20
	v_sub_f32_e32 v18, v24, v18
	v_add_f32_e32 v18, v18, v20
	v_frexp_mant_f32_e32 v20, v17
	v_cvt_f64_f32_e32 v[50:51], v17
	v_frexp_exp_i32_f64_e32 v49, v[50:51]
	v_cmp_gt_f32_e32 vcc, s2, v20
	s_mov_b32 s2, 0x3f317218
	s_nop 0
	v_subbrev_co_u32_e32 v20, vcc, 0, v49, vcc
	v_sub_u32_e32 v49, 0, v20
	v_ldexp_f32 v17, v17, v49
	v_ldexp_f32 v18, v18, v49
	v_add_f32_e32 v49, -1.0, v17
	v_add_f32_e32 v51, 1.0, v17
	v_add_f32_e32 v50, 1.0, v49
	v_add_f32_e32 v52, -1.0, v51
	v_sub_f32_e32 v50, v17, v50
	v_sub_f32_e32 v17, v17, v52
	v_add_f32_e32 v17, v18, v17
	v_add_f32_e32 v50, v18, v50
	;; [unrolled: 1-line block ×3, first 2 shown]
	v_rcp_f32_e32 v52, v18
	v_sub_f32_e32 v51, v51, v18
	v_add_f32_e32 v17, v17, v51
	v_add_f32_e32 v51, v49, v50
	v_mul_f32_e32 v60, v51, v52
	v_mul_f32_e32 v54, v18, v60
	v_fma_f32 v56, v60, v18, -v54
	v_sub_f32_e32 v49, v49, v51
	v_fmac_f32_e32 v56, v60, v17
	v_add_f32_e32 v49, v50, v49
	v_add_f32_e32 v50, v54, v56
	s_waitcnt lgkmcnt(0)
	v_sub_f32_e32 v55, v51, v50
	v_pk_add_f32 v[58:59], v[50:51], v[54:55] neg_lo:[0,1] neg_hi:[0,1]
	v_mov_b32_e32 v57, v50
	v_pk_add_f32 v[50:51], v[58:59], v[56:57] neg_lo:[0,1] neg_hi:[0,1]
	v_cmp_eq_f32_e32 vcc, s3, v24
	v_add_f32_e32 v49, v49, v51
	v_add_f32_e32 v49, v50, v49
	;; [unrolled: 1-line block ×3, first 2 shown]
	v_mul_f32_e32 v61, v52, v51
	v_mul_f32_e32 v54, v18, v61
	v_fma_f32 v56, v61, v18, -v54
	v_fmac_f32_e32 v56, v61, v17
	v_add_f32_e32 v50, v54, v56
	v_sub_f32_e32 v17, v55, v51
	v_sub_f32_e32 v55, v51, v50
	v_pk_add_f32 v[58:59], v[50:51], v[54:55] neg_lo:[0,1] neg_hi:[0,1]
	v_mov_b32_e32 v57, v50
	v_add_f32_e32 v17, v49, v17
	v_pk_add_f32 v[50:51], v[58:59], v[56:57] neg_lo:[0,1] neg_hi:[0,1]
	v_add_f32_e32 v18, v60, v61
	v_add_f32_e32 v17, v17, v51
	;; [unrolled: 1-line block ×4, first 2 shown]
	v_sub_f32_e32 v49, v18, v60
	v_mul_f32_e32 v17, v52, v17
	v_sub_f32_e32 v49, v61, v49
	v_add_f32_e32 v17, v49, v17
	v_add_f32_e32 v49, v18, v17
	v_cvt_f32_i32_e32 v54, v20
	v_mul_f32_e32 v50, v49, v49
	v_mov_b32_e32 v51, 0x3ecc95a3
	v_fmac_f32_e32 v51, 0x3e9b6dac, v50
	v_fmaak_f32 v51, v50, v51, 0x3f2aaada
	v_mul_f32_e32 v55, v49, v50
	v_mov_b32_e32 v50, 0x3f317218
	v_sub_f32_e32 v18, v49, v18
	v_pk_mul_f32 v[50:51], v[54:55], v[50:51]
	v_sub_f32_e32 v17, v17, v18
	v_fma_f32 v18, v54, s2, -v50
	v_ldexp_f32 v57, v49, 1
	v_fmamk_f32 v56, v54, 0xb102e308, v18
	v_pk_add_f32 v[54:55], v[50:51], v[56:57]
	v_ldexp_f32 v17, v17, 1
	v_sub_f32_e32 v18, v55, v57
	v_sub_f32_e32 v18, v51, v18
	v_add_f32_e32 v59, v17, v18
	v_mov_b32_e32 v58, v50
	v_pk_add_f32 v[50:51], v[54:55], v[50:51] neg_lo:[0,1] neg_hi:[0,1]
	v_pk_add_f32 v[60:61], v[54:55], v[58:59]
	v_mov_b32_e32 v57, v54
	v_mov_b32_e32 v51, v61
	v_pk_add_f32 v[62:63], v[56:57], v[50:51] neg_lo:[0,1] neg_hi:[0,1]
	v_pk_add_f32 v[50:51], v[56:57], v[50:51]
	s_mov_b32 s2, 0x33800000
	v_mov_b32_e32 v18, v51
	v_pk_add_f32 v[56:57], v[18:19], v[54:55] neg_lo:[0,1] neg_hi:[0,1]
	v_mov_b32_e32 v50, v61
	v_mov_b32_e32 v17, v56
	v_pk_add_f32 v[64:65], v[60:61], v[16:17] neg_lo:[0,1] neg_hi:[0,1]
	v_mov_b32_e32 v60, v55
	v_mov_b32_e32 v61, v56
	v_mov_b32_e32 v63, v51
	v_pk_add_f32 v[50:51], v[50:51], v[60:61] neg_lo:[0,1] neg_hi:[0,1]
	v_mov_b32_e32 v56, v59
	v_mov_b32_e32 v57, v54
	v_pk_add_f32 v[50:51], v[56:57], v[50:51] neg_lo:[0,1] neg_hi:[0,1]
	v_mov_b32_e32 v64, v62
	v_pk_add_f32 v[54:55], v[64:65], v[50:51]
	v_cmp_lt_f32_e64 s[2:3], |v24|, s2
	v_mov_b32_e32 v20, v55
	v_pk_add_f32 v[56:57], v[54:55], v[20:21]
	s_or_b64 vcc, vcc, s[2:3]
	v_pk_add_f32 v[58:59], v[18:19], v[56:57]
	v_mov_b32_e32 v51, v56
	v_mov_b32_e32 v55, v58
	v_pk_add_f32 v[60:61], v[54:55], v[62:63] neg_lo:[0,1] neg_hi:[0,1]
	s_nop 0
	v_sub_f32_e32 v17, v54, v60
	v_pk_add_f32 v[50:51], v[50:51], v[60:61] neg_lo:[0,1] neg_hi:[0,1]
	v_sub_f32_e32 v17, v62, v17
	v_add_f32_e32 v17, v50, v17
	v_add_f32_e32 v17, v17, v51
	;; [unrolled: 1-line block ×3, first 2 shown]
	v_cndmask_b32_e32 v17, v17, v24, vcc
	v_add_f32_e32 v17, v16, v17
.LBB509_146:
	s_or_b64 exec, exec, s[0:1]
	v_bfe_u32 v16, v17, 16, 1
	v_add3_u32 v16, v17, v16, s48
	v_lshrrev_b32_e32 v16, 16, v16
	v_cmp_o_f32_e32 vcc, v17, v17
	s_nop 1
	v_cndmask_b32_e32 v15, v15, v16, vcc
	v_lshlrev_b32_e32 v17, 16, v15
	v_max_f32_e32 v18, v17, v17
	v_min_f32_e32 v16, v18, v21
	v_cmp_u_f32_e32 vcc, v17, v17
	v_max_f32_e32 v18, v18, v21
	s_nop 0
	v_cndmask_b32_e32 v16, v16, v17, vcc
	v_cndmask_b32_e32 v18, v18, v17, vcc
	v_cndmask_b32_e64 v16, v16, v4, s[56:57]
	v_cndmask_b32_e64 v4, v18, v4, s[56:57]
	v_cmp_neq_f32_e32 vcc, v16, v4
	v_cmp_class_f32_e64 s[0:1], v16, s33
	s_or_b64 s[2:3], vcc, s[0:1]
	s_and_saveexec_b64 s[0:1], s[2:3]
	s_cbranch_execz .LBB509_148
; %bb.147:
	v_sub_f32_e32 v16, v16, v4
	s_mov_b32 s2, 0x3fb8aa3b
	v_mul_f32_e32 v17, 0x3fb8aa3b, v16
	v_fma_f32 v18, v16, s2, -v17
	v_rndne_f32_e32 v20, v17
	v_fmamk_f32 v18, v16, 0x32a5705f, v18
	v_sub_f32_e32 v17, v17, v20
	v_add_f32_e32 v17, v17, v18
	v_exp_f32_e32 v17, v17
	v_cvt_i32_f32_e32 v18, v20
	s_mov_b32 s2, 0xc2ce8ed0
	v_cmp_ngt_f32_e32 vcc, s2, v16
	s_mov_b32 s2, 0x42b17218
	v_ldexp_f32 v17, v17, v18
	v_cndmask_b32_e32 v17, 0, v17, vcc
	v_mov_b32_e32 v18, 0x7f800000
	v_cmp_nlt_f32_e32 vcc, s2, v16
	s_mov_b32 s2, 0x3f2aaaab
	s_mov_b32 s3, 0x7f800000
	v_cndmask_b32_e32 v52, v18, v17, vcc
	v_add_f32_e32 v18, 1.0, v52
	v_add_f32_e32 v16, -1.0, v18
	v_sub_f32_e32 v17, v16, v18
	v_add_f32_e32 v17, 1.0, v17
	v_sub_f32_e32 v16, v52, v16
	v_add_f32_e32 v20, v16, v17
	v_frexp_mant_f32_e32 v21, v18
	v_cvt_f64_f32_e32 v[16:17], v18
	v_frexp_exp_i32_f64_e32 v16, v[16:17]
	v_cmp_gt_f32_e32 vcc, s2, v21
	s_mov_b32 s2, 0x3f317218
	s_nop 0
	v_subbrev_co_u32_e32 v24, vcc, 0, v16, vcc
	v_sub_u32_e32 v16, 0, v24
	v_ldexp_f32 v17, v18, v16
	v_add_f32_e32 v18, -1.0, v17
	v_add_f32_e32 v21, 1.0, v17
	v_ldexp_f32 v16, v20, v16
	v_add_f32_e32 v20, 1.0, v18
	v_add_f32_e32 v49, -1.0, v21
	v_sub_f32_e32 v20, v17, v20
	v_sub_f32_e32 v17, v17, v49
	v_add_f32_e32 v20, v16, v20
	v_add_f32_e32 v16, v16, v17
	;; [unrolled: 1-line block ×3, first 2 shown]
	v_rcp_f32_e32 v57, v49
	v_sub_f32_e32 v17, v21, v49
	v_add_f32_e32 v56, v16, v17
	v_add_f32_e32 v17, v18, v20
	v_sub_f32_e32 v16, v18, v17
	v_mul_f32_e32 v58, v17, v57
	v_add_f32_e32 v18, v20, v16
	v_mul_f32_e32 v20, v49, v58
	v_fma_f32 v50, v58, v49, -v20
	v_fmac_f32_e32 v50, v58, v56
	v_add_f32_e32 v16, v20, v50
	v_sub_f32_e32 v21, v17, v16
	s_waitcnt lgkmcnt(0)
	v_pk_add_f32 v[54:55], v[16:17], v[20:21] neg_lo:[0,1] neg_hi:[0,1]
	v_mov_b32_e32 v51, v16
	v_pk_add_f32 v[16:17], v[54:55], v[50:51] neg_lo:[0,1] neg_hi:[0,1]
	v_cmp_eq_f32_e32 vcc, s3, v52
	v_add_f32_e32 v17, v18, v17
	v_add_f32_e32 v16, v16, v17
	v_add_f32_e32 v17, v21, v16
	v_mul_f32_e32 v18, v57, v17
	v_mul_f32_e32 v20, v49, v18
	v_fma_f32 v50, v18, v49, -v20
	v_fmac_f32_e32 v50, v18, v56
	v_sub_f32_e32 v21, v21, v17
	v_add_f32_e32 v49, v16, v21
	v_add_f32_e32 v16, v20, v50
	v_sub_f32_e32 v21, v17, v16
	v_pk_add_f32 v[54:55], v[16:17], v[20:21] neg_lo:[0,1] neg_hi:[0,1]
	v_mov_b32_e32 v51, v16
	v_pk_add_f32 v[16:17], v[54:55], v[50:51] neg_lo:[0,1] neg_hi:[0,1]
	v_cvt_f32_i32_e32 v20, v24
	v_add_f32_e32 v17, v49, v17
	v_add_f32_e32 v16, v16, v17
	;; [unrolled: 1-line block ×4, first 2 shown]
	v_sub_f32_e32 v17, v21, v58
	v_mul_f32_e32 v16, v57, v16
	v_sub_f32_e32 v17, v18, v17
	v_add_f32_e32 v16, v17, v16
	v_add_f32_e32 v18, v21, v16
	v_mul_f32_e32 v49, v18, v18
	v_mov_b32_e32 v17, 0x3ecc95a3
	v_sub_f32_e32 v21, v18, v21
	v_fmac_f32_e32 v17, 0x3e9b6dac, v49
	v_sub_f32_e32 v16, v16, v21
	v_fmaak_f32 v17, v49, v17, 0x3f2aaada
	v_ldexp_f32 v24, v16, 1
	v_mul_f32_e32 v21, v18, v49
	v_mov_b32_e32 v16, 0x3f317218
	v_pk_mul_f32 v[16:17], v[20:21], v[16:17]
	v_ldexp_f32 v51, v18, 1
	v_fma_f32 v18, v20, s2, -v16
	v_fmamk_f32 v50, v20, 0xb102e308, v18
	v_pk_add_f32 v[20:21], v[16:17], v[50:51]
	v_mov_b32_e32 v54, v16
	v_sub_f32_e32 v18, v21, v51
	v_sub_f32_e32 v18, v17, v18
	v_add_f32_e32 v55, v24, v18
	v_pk_add_f32 v[16:17], v[20:21], v[16:17] neg_lo:[0,1] neg_hi:[0,1]
	v_pk_add_f32 v[56:57], v[20:21], v[54:55]
	v_mov_b32_e32 v51, v20
	v_mov_b32_e32 v17, v57
	v_pk_add_f32 v[58:59], v[50:51], v[16:17] neg_lo:[0,1] neg_hi:[0,1]
	v_pk_add_f32 v[16:17], v[50:51], v[16:17]
	s_mov_b32 s2, 0x33800000
	v_mov_b32_e32 v18, v17
	v_pk_add_f32 v[50:51], v[18:19], v[20:21] neg_lo:[0,1] neg_hi:[0,1]
	v_mov_b32_e32 v16, v57
	v_mov_b32_e32 v49, v50
	v_pk_add_f32 v[60:61], v[56:57], v[48:49] neg_lo:[0,1] neg_hi:[0,1]
	v_mov_b32_e32 v56, v21
	v_mov_b32_e32 v57, v50
	;; [unrolled: 1-line block ×3, first 2 shown]
	v_pk_add_f32 v[16:17], v[16:17], v[56:57] neg_lo:[0,1] neg_hi:[0,1]
	v_mov_b32_e32 v50, v55
	v_mov_b32_e32 v51, v20
	v_pk_add_f32 v[16:17], v[50:51], v[16:17] neg_lo:[0,1] neg_hi:[0,1]
	v_mov_b32_e32 v60, v58
	v_pk_add_f32 v[20:21], v[60:61], v[16:17]
	v_cmp_lt_f32_e64 s[2:3], |v52|, s2
	v_mov_b32_e32 v24, v21
	v_pk_add_f32 v[50:51], v[20:21], v[24:25]
	s_or_b64 vcc, vcc, s[2:3]
	v_pk_add_f32 v[54:55], v[18:19], v[50:51]
	v_mov_b32_e32 v17, v50
	v_mov_b32_e32 v21, v54
	v_pk_add_f32 v[56:57], v[20:21], v[58:59] neg_lo:[0,1] neg_hi:[0,1]
	s_nop 0
	v_sub_f32_e32 v18, v20, v56
	v_pk_add_f32 v[16:17], v[16:17], v[56:57] neg_lo:[0,1] neg_hi:[0,1]
	v_sub_f32_e32 v18, v58, v18
	v_add_f32_e32 v16, v16, v18
	v_add_f32_e32 v16, v16, v17
	;; [unrolled: 1-line block ×3, first 2 shown]
	v_cndmask_b32_e32 v16, v16, v52, vcc
	v_add_f32_e32 v17, v4, v16
.LBB509_148:
	s_or_b64 exec, exec, s[0:1]
	v_bfe_u32 v4, v17, 16, 1
	v_add3_u32 v4, v17, v4, s48
	v_lshrrev_b32_e32 v4, 16, v4
	v_mov_b32_e32 v16, 0x7fc0
	v_cmp_o_f32_e32 vcc, v17, v17
	s_nop 1
	v_cndmask_b32_e32 v4, v16, v4, vcc
	v_lshlrev_b32_e32 v18, 16, v4
	v_max_f32_e32 v17, v18, v18
	v_min_f32_e32 v20, v17, v23
	v_cmp_u_f32_e32 vcc, v18, v18
	v_max_f32_e32 v17, v17, v23
	s_nop 0
	v_cndmask_b32_e32 v20, v20, v18, vcc
	v_cndmask_b32_e32 v17, v17, v18, vcc
	v_cndmask_b32_e64 v20, v20, v19, s[58:59]
	v_cndmask_b32_e64 v17, v17, v19, s[58:59]
	v_cmp_neq_f32_e32 vcc, v20, v17
	v_cmp_class_f32_e64 s[0:1], v20, s33
	s_or_b64 s[2:3], vcc, s[0:1]
	s_and_saveexec_b64 s[0:1], s[2:3]
	s_cbranch_execz .LBB509_150
; %bb.149:
	v_sub_f32_e32 v18, v20, v17
	s_mov_b32 s2, 0x3fb8aa3b
	v_mul_f32_e32 v19, 0x3fb8aa3b, v18
	v_fma_f32 v20, v18, s2, -v19
	v_rndne_f32_e32 v21, v19
	v_fmamk_f32 v20, v18, 0x32a5705f, v20
	v_sub_f32_e32 v19, v19, v21
	v_add_f32_e32 v19, v19, v20
	v_exp_f32_e32 v19, v19
	v_cvt_i32_f32_e32 v20, v21
	s_mov_b32 s2, 0xc2ce8ed0
	v_cmp_ngt_f32_e32 vcc, s2, v18
	s_mov_b32 s2, 0x42b17218
	v_ldexp_f32 v19, v19, v20
	v_cndmask_b32_e32 v19, 0, v19, vcc
	v_mov_b32_e32 v20, 0x7f800000
	v_cmp_nlt_f32_e32 vcc, s2, v18
	s_mov_b32 s2, 0x3f2aaaab
	s_mov_b32 s3, 0x7f800000
	v_cndmask_b32_e32 v49, v20, v19, vcc
	v_add_f32_e32 v20, 1.0, v49
	v_add_f32_e32 v18, -1.0, v20
	v_sub_f32_e32 v19, v18, v20
	v_add_f32_e32 v19, 1.0, v19
	v_sub_f32_e32 v18, v49, v18
	v_add_f32_e32 v21, v18, v19
	v_frexp_mant_f32_e32 v23, v20
	v_cvt_f64_f32_e32 v[18:19], v20
	v_frexp_exp_i32_f64_e32 v18, v[18:19]
	v_cmp_gt_f32_e32 vcc, s2, v23
	s_mov_b32 s2, 0x3f317218
	s_nop 0
	v_subbrev_co_u32_e32 v23, vcc, 0, v18, vcc
	v_sub_u32_e32 v18, 0, v23
	v_ldexp_f32 v19, v20, v18
	v_add_f32_e32 v20, -1.0, v19
	v_add_f32_e32 v24, 1.0, v19
	v_ldexp_f32 v18, v21, v18
	v_add_f32_e32 v21, 1.0, v20
	v_add_f32_e32 v50, -1.0, v24
	v_sub_f32_e32 v21, v19, v21
	v_sub_f32_e32 v19, v19, v50
	v_add_f32_e32 v21, v18, v21
	v_add_f32_e32 v18, v18, v19
	;; [unrolled: 1-line block ×3, first 2 shown]
	v_rcp_f32_e32 v56, v52
	v_sub_f32_e32 v19, v24, v52
	v_add_f32_e32 v24, v18, v19
	v_add_f32_e32 v19, v20, v21
	v_mul_f32_e32 v58, v19, v56
	v_sub_f32_e32 v18, v20, v19
	v_mul_f32_e32 v20, v52, v58
	v_fma_f32 v50, v58, v52, -v20
	v_fmac_f32_e32 v50, v58, v24
	v_add_f32_e32 v57, v21, v18
	v_add_f32_e32 v18, v20, v50
	v_sub_f32_e32 v21, v19, v18
	s_waitcnt lgkmcnt(0)
	v_pk_add_f32 v[54:55], v[18:19], v[20:21] neg_lo:[0,1] neg_hi:[0,1]
	v_mov_b32_e32 v51, v18
	v_pk_add_f32 v[18:19], v[54:55], v[50:51] neg_lo:[0,1] neg_hi:[0,1]
	v_cmp_eq_f32_e32 vcc, s3, v49
	v_add_f32_e32 v19, v57, v19
	v_add_f32_e32 v18, v18, v19
	;; [unrolled: 1-line block ×3, first 2 shown]
	v_mul_f32_e32 v57, v56, v19
	v_mul_f32_e32 v20, v52, v57
	v_fma_f32 v50, v57, v52, -v20
	v_fmac_f32_e32 v50, v57, v24
	v_sub_f32_e32 v21, v21, v19
	v_add_f32_e32 v24, v18, v21
	v_add_f32_e32 v18, v20, v50
	v_sub_f32_e32 v21, v19, v18
	v_pk_add_f32 v[54:55], v[18:19], v[20:21] neg_lo:[0,1] neg_hi:[0,1]
	v_mov_b32_e32 v51, v18
	v_pk_add_f32 v[18:19], v[54:55], v[50:51] neg_lo:[0,1] neg_hi:[0,1]
	v_cvt_f32_i32_e32 v20, v23
	v_add_f32_e32 v19, v24, v19
	v_add_f32_e32 v18, v18, v19
	;; [unrolled: 1-line block ×4, first 2 shown]
	v_sub_f32_e32 v19, v21, v58
	v_mul_f32_e32 v18, v56, v18
	v_sub_f32_e32 v19, v57, v19
	v_add_f32_e32 v18, v19, v18
	v_add_f32_e32 v24, v21, v18
	v_mul_f32_e32 v50, v24, v24
	v_mov_b32_e32 v19, 0x3ecc95a3
	v_sub_f32_e32 v21, v24, v21
	v_fmac_f32_e32 v19, 0x3e9b6dac, v50
	v_sub_f32_e32 v18, v18, v21
	v_fmaak_f32 v19, v50, v19, 0x3f2aaada
	v_ldexp_f32 v23, v18, 1
	v_mul_f32_e32 v21, v24, v50
	v_mov_b32_e32 v18, 0x3f317218
	v_pk_mul_f32 v[18:19], v[20:21], v[18:19]
	v_ldexp_f32 v51, v24, 1
	v_fma_f32 v21, v20, s2, -v18
	v_fmamk_f32 v50, v20, 0xb102e308, v21
	v_pk_add_f32 v[20:21], v[18:19], v[50:51]
	v_mov_b32_e32 v54, v18
	v_sub_f32_e32 v24, v21, v51
	v_sub_f32_e32 v24, v19, v24
	v_add_f32_e32 v55, v23, v24
	v_pk_add_f32 v[18:19], v[20:21], v[18:19] neg_lo:[0,1] neg_hi:[0,1]
	v_pk_add_f32 v[56:57], v[20:21], v[54:55]
	v_mov_b32_e32 v51, v20
	v_mov_b32_e32 v19, v57
	v_pk_add_f32 v[58:59], v[50:51], v[18:19] neg_lo:[0,1] neg_hi:[0,1]
	v_pk_add_f32 v[18:19], v[50:51], v[18:19]
	s_mov_b32 s2, 0x33800000
	v_mov_b32_e32 v24, v19
	v_pk_add_f32 v[50:51], v[24:25], v[20:21] neg_lo:[0,1] neg_hi:[0,1]
	v_mov_b32_e32 v18, v57
	v_mov_b32_e32 v23, v50
	v_pk_add_f32 v[60:61], v[56:57], v[22:23] neg_lo:[0,1] neg_hi:[0,1]
	v_mov_b32_e32 v56, v21
	v_mov_b32_e32 v57, v50
	;; [unrolled: 1-line block ×3, first 2 shown]
	v_pk_add_f32 v[18:19], v[18:19], v[56:57] neg_lo:[0,1] neg_hi:[0,1]
	v_mov_b32_e32 v50, v55
	v_mov_b32_e32 v51, v20
	v_pk_add_f32 v[18:19], v[50:51], v[18:19] neg_lo:[0,1] neg_hi:[0,1]
	v_mov_b32_e32 v60, v58
	v_pk_add_f32 v[20:21], v[60:61], v[18:19]
	v_cmp_lt_f32_e64 s[2:3], |v49|, s2
	v_mov_b32_e32 v50, v21
	v_pk_add_f32 v[50:51], v[20:21], v[50:51]
	s_or_b64 vcc, vcc, s[2:3]
	v_pk_add_f32 v[54:55], v[24:25], v[50:51]
	v_mov_b32_e32 v19, v50
	v_mov_b32_e32 v21, v54
	v_pk_add_f32 v[56:57], v[20:21], v[58:59] neg_lo:[0,1] neg_hi:[0,1]
	s_nop 0
	v_sub_f32_e32 v20, v20, v56
	v_pk_add_f32 v[18:19], v[18:19], v[56:57] neg_lo:[0,1] neg_hi:[0,1]
	v_sub_f32_e32 v20, v58, v20
	v_add_f32_e32 v18, v18, v20
	v_add_f32_e32 v18, v18, v19
	;; [unrolled: 1-line block ×3, first 2 shown]
	v_cndmask_b32_e32 v18, v18, v49, vcc
	v_add_f32_e32 v18, v17, v18
.LBB509_150:
	s_or_b64 exec, exec, s[0:1]
	v_bfe_u32 v17, v18, 16, 1
	v_add3_u32 v17, v18, v17, s48
	v_lshrrev_b32_e32 v17, 16, v17
	v_cmp_o_f32_e32 vcc, v18, v18
	s_nop 1
	v_cndmask_b32_e32 v16, v16, v17, vcc
	v_lshlrev_b32_e32 v18, 16, v16
	v_max_f32_e32 v19, v18, v18
	v_min_f32_e32 v17, v19, v25
	v_cmp_u_f32_e32 vcc, v18, v18
	v_max_f32_e32 v19, v19, v25
	s_nop 0
	v_cndmask_b32_e32 v17, v17, v18, vcc
	v_cndmask_b32_e32 v19, v19, v18, vcc
	v_cndmask_b32_e64 v17, v17, v5, s[60:61]
	v_cndmask_b32_e64 v5, v19, v5, s[60:61]
	v_cmp_neq_f32_e32 vcc, v17, v5
	v_cmp_class_f32_e64 s[0:1], v17, s33
	s_or_b64 s[2:3], vcc, s[0:1]
	s_and_saveexec_b64 s[0:1], s[2:3]
	s_cbranch_execz .LBB509_152
; %bb.151:
	v_sub_f32_e32 v17, v17, v5
	s_mov_b32 s2, 0x3fb8aa3b
	v_mul_f32_e32 v18, 0x3fb8aa3b, v17
	v_fma_f32 v19, v17, s2, -v18
	v_rndne_f32_e32 v20, v18
	v_fmamk_f32 v19, v17, 0x32a5705f, v19
	v_sub_f32_e32 v18, v18, v20
	v_add_f32_e32 v18, v18, v19
	v_exp_f32_e32 v18, v18
	v_cvt_i32_f32_e32 v19, v20
	s_mov_b32 s2, 0xc2ce8ed0
	v_cmp_ngt_f32_e32 vcc, s2, v17
	s_mov_b32 s2, 0x42b17218
	v_ldexp_f32 v18, v18, v19
	v_cndmask_b32_e32 v18, 0, v18, vcc
	v_mov_b32_e32 v19, 0x7f800000
	v_cmp_nlt_f32_e32 vcc, s2, v17
	s_mov_b32 s2, 0x3f2aaaab
	s_mov_b32 s3, 0x7f800000
	v_cndmask_b32_e32 v23, v19, v18, vcc
	v_add_f32_e32 v17, 1.0, v23
	v_add_f32_e32 v18, -1.0, v17
	v_sub_f32_e32 v19, v18, v17
	v_add_f32_e32 v19, 1.0, v19
	v_sub_f32_e32 v18, v23, v18
	v_add_f32_e32 v20, v18, v19
	v_frexp_mant_f32_e32 v21, v17
	v_cvt_f64_f32_e32 v[18:19], v17
	v_frexp_exp_i32_f64_e32 v18, v[18:19]
	v_cmp_gt_f32_e32 vcc, s2, v21
	s_mov_b32 s2, 0x3f317218
	s_nop 0
	v_subbrev_co_u32_e32 v49, vcc, 0, v18, vcc
	v_sub_u32_e32 v18, 0, v49
	v_ldexp_f32 v17, v17, v18
	v_ldexp_f32 v18, v20, v18
	v_add_f32_e32 v20, -1.0, v17
	v_add_f32_e32 v19, 1.0, v20
	v_sub_f32_e32 v19, v17, v19
	v_add_f32_e32 v21, v18, v19
	v_add_f32_e32 v19, 1.0, v17
	v_add_f32_e32 v24, -1.0, v19
	v_sub_f32_e32 v17, v17, v24
	v_add_f32_e32 v17, v18, v17
	v_add_f32_e32 v52, v19, v17
	v_rcp_f32_e32 v54, v52
	v_sub_f32_e32 v18, v19, v52
	v_add_f32_e32 v19, v20, v21
	v_add_f32_e32 v17, v17, v18
	v_mul_f32_e32 v56, v19, v54
	v_sub_f32_e32 v18, v20, v19
	v_mul_f32_e32 v20, v52, v56
	v_fma_f32 v24, v56, v52, -v20
	v_fmac_f32_e32 v24, v56, v17
	s_waitcnt lgkmcnt(0)
	v_add_f32_e32 v55, v21, v18
	v_add_f32_e32 v18, v20, v24
	v_sub_f32_e32 v21, v19, v18
	v_pk_add_f32 v[50:51], v[18:19], v[20:21] neg_lo:[0,1] neg_hi:[0,1]
	v_mov_b32_e32 v25, v18
	v_pk_add_f32 v[18:19], v[50:51], v[24:25] neg_lo:[0,1] neg_hi:[0,1]
	v_cmp_eq_f32_e32 vcc, s3, v23
	v_add_f32_e32 v19, v55, v19
	v_add_f32_e32 v18, v18, v19
	;; [unrolled: 1-line block ×3, first 2 shown]
	v_mul_f32_e32 v55, v54, v19
	v_mul_f32_e32 v20, v52, v55
	v_fma_f32 v24, v55, v52, -v20
	v_fmac_f32_e32 v24, v55, v17
	v_sub_f32_e32 v17, v21, v19
	v_add_f32_e32 v17, v18, v17
	v_add_f32_e32 v18, v20, v24
	v_sub_f32_e32 v21, v19, v18
	v_pk_add_f32 v[50:51], v[18:19], v[20:21] neg_lo:[0,1] neg_hi:[0,1]
	v_mov_b32_e32 v25, v18
	v_pk_add_f32 v[18:19], v[50:51], v[24:25] neg_lo:[0,1] neg_hi:[0,1]
	v_cvt_f32_i32_e32 v20, v49
	v_add_f32_e32 v17, v17, v19
	v_add_f32_e32 v17, v18, v17
	;; [unrolled: 1-line block ×4, first 2 shown]
	v_sub_f32_e32 v19, v18, v56
	v_mul_f32_e32 v17, v54, v17
	v_sub_f32_e32 v19, v55, v19
	v_add_f32_e32 v17, v19, v17
	v_add_f32_e32 v21, v18, v17
	v_mul_f32_e32 v24, v21, v21
	v_mov_b32_e32 v19, 0x3ecc95a3
	v_fmac_f32_e32 v19, 0x3e9b6dac, v24
	v_sub_f32_e32 v18, v21, v18
	v_fmaak_f32 v19, v24, v19, 0x3f2aaada
	v_sub_f32_e32 v17, v17, v18
	v_ldexp_f32 v25, v21, 1
	v_mul_f32_e32 v21, v21, v24
	v_mov_b32_e32 v18, 0x3f317218
	v_pk_mul_f32 v[18:19], v[20:21], v[18:19]
	v_ldexp_f32 v17, v17, 1
	v_fma_f32 v21, v20, s2, -v18
	v_fmamk_f32 v24, v20, 0xb102e308, v21
	v_pk_add_f32 v[20:21], v[18:19], v[24:25]
	v_mov_b32_e32 v50, v18
	v_sub_f32_e32 v25, v21, v25
	v_sub_f32_e32 v25, v19, v25
	v_add_f32_e32 v51, v17, v25
	v_pk_add_f32 v[18:19], v[20:21], v[18:19] neg_lo:[0,1] neg_hi:[0,1]
	v_pk_add_f32 v[54:55], v[20:21], v[50:51]
	v_mov_b32_e32 v25, v20
	v_mov_b32_e32 v19, v55
	v_pk_add_f32 v[56:57], v[24:25], v[18:19] neg_lo:[0,1] neg_hi:[0,1]
	v_pk_add_f32 v[18:19], v[24:25], v[18:19]
	v_mov_b32_e32 v50, v51
	v_mov_b32_e32 v24, v19
	v_pk_add_f32 v[58:59], v[24:25], v[20:21] neg_lo:[0,1] neg_hi:[0,1]
	v_mov_b32_e32 v18, v55
	v_mov_b32_e32 v17, v58
	v_pk_add_f32 v[60:61], v[54:55], v[16:17] neg_lo:[0,1] neg_hi:[0,1]
	v_mov_b32_e32 v54, v21
	v_mov_b32_e32 v55, v58
	;; [unrolled: 1-line block ×3, first 2 shown]
	v_pk_add_f32 v[18:19], v[18:19], v[54:55] neg_lo:[0,1] neg_hi:[0,1]
	v_mov_b32_e32 v51, v20
	v_pk_add_f32 v[18:19], v[50:51], v[18:19] neg_lo:[0,1] neg_hi:[0,1]
	v_mov_b32_e32 v60, v56
	v_pk_add_f32 v[20:21], v[60:61], v[18:19]
	s_mov_b32 s2, 0x33800000
	v_mov_b32_e32 v50, v21
	v_pk_add_f32 v[50:51], v[20:21], v[50:51]
	v_cmp_lt_f32_e64 s[2:3], |v23|, s2
	v_pk_add_f32 v[24:25], v[24:25], v[50:51]
	v_mov_b32_e32 v19, v50
	v_mov_b32_e32 v21, v24
	v_pk_add_f32 v[54:55], v[20:21], v[56:57] neg_lo:[0,1] neg_hi:[0,1]
	s_or_b64 vcc, vcc, s[2:3]
	v_sub_f32_e32 v17, v20, v54
	v_pk_add_f32 v[18:19], v[18:19], v[54:55] neg_lo:[0,1] neg_hi:[0,1]
	v_sub_f32_e32 v17, v56, v17
	v_add_f32_e32 v17, v18, v17
	v_add_f32_e32 v17, v17, v19
	;; [unrolled: 1-line block ×3, first 2 shown]
	v_cndmask_b32_e32 v17, v17, v23, vcc
	v_add_f32_e32 v18, v5, v17
.LBB509_152:
	s_or_b64 exec, exec, s[0:1]
	v_bfe_u32 v5, v18, 16, 1
	v_add3_u32 v5, v18, v5, s48
	v_lshrrev_b32_e32 v5, 16, v5
	v_mov_b32_e32 v17, 0x7fc0
	v_cmp_o_f32_e32 vcc, v18, v18
	s_nop 1
	v_cndmask_b32_e32 v5, v17, v5, vcc
	v_lshlrev_b32_e32 v19, 16, v5
	v_max_f32_e32 v18, v19, v19
	v_min_f32_e32 v20, v18, v27
	v_cmp_u_f32_e32 vcc, v19, v19
	v_max_f32_e32 v18, v18, v27
	s_nop 0
	v_cndmask_b32_e32 v20, v20, v19, vcc
	v_cndmask_b32_e32 v18, v18, v19, vcc
	v_cndmask_b32_e64 v20, v20, v22, s[62:63]
	v_cndmask_b32_e64 v18, v18, v22, s[62:63]
	v_cmp_neq_f32_e32 vcc, v20, v18
	v_cmp_class_f32_e64 s[0:1], v20, s33
	s_or_b64 s[2:3], vcc, s[0:1]
	s_and_saveexec_b64 s[0:1], s[2:3]
	s_cbranch_execz .LBB509_154
; %bb.153:
	v_sub_f32_e32 v19, v20, v18
	s_mov_b32 s2, 0x3fb8aa3b
	v_mul_f32_e32 v20, 0x3fb8aa3b, v19
	v_fma_f32 v21, v19, s2, -v20
	v_rndne_f32_e32 v22, v20
	v_fmamk_f32 v21, v19, 0x32a5705f, v21
	v_sub_f32_e32 v20, v20, v22
	v_add_f32_e32 v20, v20, v21
	v_exp_f32_e32 v20, v20
	v_cvt_i32_f32_e32 v21, v22
	s_mov_b32 s2, 0xc2ce8ed0
	v_cmp_ngt_f32_e32 vcc, s2, v19
	s_mov_b32 s2, 0x42b17218
	v_ldexp_f32 v20, v20, v21
	v_cndmask_b32_e32 v20, 0, v20, vcc
	v_mov_b32_e32 v21, 0x7f800000
	v_cmp_nlt_f32_e32 vcc, s2, v19
	s_mov_b32 s2, 0x3f2aaaab
	s_mov_b32 s3, 0x7f800000
	v_cndmask_b32_e32 v27, v21, v20, vcc
	v_add_f32_e32 v19, 1.0, v27
	v_add_f32_e32 v20, -1.0, v19
	v_sub_f32_e32 v21, v20, v19
	v_add_f32_e32 v21, 1.0, v21
	v_sub_f32_e32 v20, v27, v20
	v_add_f32_e32 v22, v20, v21
	v_frexp_mant_f32_e32 v23, v19
	v_cvt_f64_f32_e32 v[20:21], v19
	v_frexp_exp_i32_f64_e32 v20, v[20:21]
	v_cmp_gt_f32_e32 vcc, s2, v23
	s_mov_b32 s2, 0x3f317218
	s_nop 0
	v_subbrev_co_u32_e32 v49, vcc, 0, v20, vcc
	v_sub_u32_e32 v20, 0, v49
	v_ldexp_f32 v19, v19, v20
	v_ldexp_f32 v20, v22, v20
	v_add_f32_e32 v22, -1.0, v19
	v_add_f32_e32 v21, 1.0, v22
	v_sub_f32_e32 v21, v19, v21
	v_add_f32_e32 v23, v20, v21
	v_add_f32_e32 v21, 1.0, v19
	v_add_f32_e32 v24, -1.0, v21
	v_sub_f32_e32 v19, v19, v24
	v_add_f32_e32 v19, v20, v19
	v_add_f32_e32 v52, v21, v19
	v_rcp_f32_e32 v54, v52
	v_sub_f32_e32 v20, v21, v52
	v_add_f32_e32 v21, v22, v23
	v_add_f32_e32 v19, v19, v20
	v_mul_f32_e32 v56, v21, v54
	v_sub_f32_e32 v20, v22, v21
	v_mul_f32_e32 v22, v52, v56
	v_fma_f32 v24, v56, v52, -v22
	v_fmac_f32_e32 v24, v56, v19
	s_waitcnt lgkmcnt(0)
	v_add_f32_e32 v55, v23, v20
	v_add_f32_e32 v20, v22, v24
	v_sub_f32_e32 v23, v21, v20
	v_pk_add_f32 v[50:51], v[20:21], v[22:23] neg_lo:[0,1] neg_hi:[0,1]
	v_mov_b32_e32 v25, v20
	v_pk_add_f32 v[20:21], v[50:51], v[24:25] neg_lo:[0,1] neg_hi:[0,1]
	v_cmp_eq_f32_e32 vcc, s3, v27
	v_add_f32_e32 v21, v55, v21
	v_add_f32_e32 v20, v20, v21
	;; [unrolled: 1-line block ×3, first 2 shown]
	v_mul_f32_e32 v55, v54, v21
	v_mul_f32_e32 v22, v52, v55
	v_fma_f32 v24, v55, v52, -v22
	v_fmac_f32_e32 v24, v55, v19
	v_sub_f32_e32 v19, v23, v21
	v_add_f32_e32 v19, v20, v19
	v_add_f32_e32 v20, v22, v24
	v_sub_f32_e32 v23, v21, v20
	v_pk_add_f32 v[50:51], v[20:21], v[22:23] neg_lo:[0,1] neg_hi:[0,1]
	v_mov_b32_e32 v25, v20
	v_pk_add_f32 v[20:21], v[50:51], v[24:25] neg_lo:[0,1] neg_hi:[0,1]
	v_cvt_f32_i32_e32 v22, v49
	v_add_f32_e32 v19, v19, v21
	v_add_f32_e32 v19, v20, v19
	;; [unrolled: 1-line block ×4, first 2 shown]
	v_sub_f32_e32 v21, v20, v56
	v_mul_f32_e32 v19, v54, v19
	v_sub_f32_e32 v21, v55, v21
	v_add_f32_e32 v19, v21, v19
	v_add_f32_e32 v23, v20, v19
	v_mul_f32_e32 v24, v23, v23
	v_mov_b32_e32 v21, 0x3ecc95a3
	v_fmac_f32_e32 v21, 0x3e9b6dac, v24
	v_sub_f32_e32 v20, v23, v20
	v_fmaak_f32 v21, v24, v21, 0x3f2aaada
	v_sub_f32_e32 v19, v19, v20
	v_ldexp_f32 v25, v23, 1
	v_mul_f32_e32 v23, v23, v24
	v_mov_b32_e32 v20, 0x3f317218
	v_pk_mul_f32 v[20:21], v[22:23], v[20:21]
	v_ldexp_f32 v19, v19, 1
	v_fma_f32 v23, v22, s2, -v20
	v_fmamk_f32 v24, v22, 0xb102e308, v23
	v_pk_add_f32 v[22:23], v[20:21], v[24:25]
	v_mov_b32_e32 v50, v20
	v_sub_f32_e32 v25, v23, v25
	v_sub_f32_e32 v25, v21, v25
	v_add_f32_e32 v51, v19, v25
	v_pk_add_f32 v[20:21], v[22:23], v[20:21] neg_lo:[0,1] neg_hi:[0,1]
	v_pk_add_f32 v[54:55], v[22:23], v[50:51]
	v_mov_b32_e32 v25, v22
	v_mov_b32_e32 v21, v55
	v_pk_add_f32 v[56:57], v[24:25], v[20:21] neg_lo:[0,1] neg_hi:[0,1]
	v_pk_add_f32 v[20:21], v[24:25], v[20:21]
	v_mov_b32_e32 v50, v51
	v_mov_b32_e32 v24, v21
	v_pk_add_f32 v[58:59], v[24:25], v[22:23] neg_lo:[0,1] neg_hi:[0,1]
	v_mov_b32_e32 v20, v55
	v_mov_b32_e32 v19, v58
	v_pk_add_f32 v[60:61], v[54:55], v[18:19] neg_lo:[0,1] neg_hi:[0,1]
	v_mov_b32_e32 v54, v23
	v_mov_b32_e32 v55, v58
	;; [unrolled: 1-line block ×3, first 2 shown]
	v_pk_add_f32 v[20:21], v[20:21], v[54:55] neg_lo:[0,1] neg_hi:[0,1]
	v_mov_b32_e32 v51, v22
	v_pk_add_f32 v[20:21], v[50:51], v[20:21] neg_lo:[0,1] neg_hi:[0,1]
	v_mov_b32_e32 v60, v56
	v_pk_add_f32 v[22:23], v[60:61], v[20:21]
	s_mov_b32 s2, 0x33800000
	v_mov_b32_e32 v50, v23
	v_pk_add_f32 v[50:51], v[22:23], v[50:51]
	v_cmp_lt_f32_e64 s[2:3], |v27|, s2
	v_pk_add_f32 v[24:25], v[24:25], v[50:51]
	v_mov_b32_e32 v21, v50
	v_mov_b32_e32 v23, v24
	v_pk_add_f32 v[54:55], v[22:23], v[56:57] neg_lo:[0,1] neg_hi:[0,1]
	s_or_b64 vcc, vcc, s[2:3]
	v_sub_f32_e32 v19, v22, v54
	v_pk_add_f32 v[20:21], v[20:21], v[54:55] neg_lo:[0,1] neg_hi:[0,1]
	v_sub_f32_e32 v19, v56, v19
	v_add_f32_e32 v19, v20, v19
	v_add_f32_e32 v19, v19, v21
	;; [unrolled: 1-line block ×3, first 2 shown]
	v_cndmask_b32_e32 v19, v19, v27, vcc
	v_add_f32_e32 v19, v18, v19
.LBB509_154:
	s_or_b64 exec, exec, s[0:1]
	v_bfe_u32 v18, v19, 16, 1
	v_add3_u32 v18, v19, v18, s48
	v_lshrrev_b32_e32 v18, 16, v18
	v_cmp_o_f32_e32 vcc, v19, v19
	s_nop 1
	v_cndmask_b32_e32 v17, v17, v18, vcc
	v_lshlrev_b32_e32 v19, 16, v17
	v_max_f32_e32 v20, v19, v19
	v_min_f32_e32 v18, v20, v28
	v_cmp_u_f32_e32 vcc, v19, v19
	v_max_f32_e32 v20, v20, v28
	s_nop 0
	v_cndmask_b32_e32 v18, v18, v19, vcc
	v_cndmask_b32_e32 v20, v20, v19, vcc
	v_cndmask_b32_e64 v18, v18, v10, s[64:65]
	v_cndmask_b32_e64 v10, v20, v10, s[64:65]
	v_cmp_neq_f32_e32 vcc, v18, v10
	v_cmp_class_f32_e64 s[0:1], v18, s33
	s_or_b64 s[2:3], vcc, s[0:1]
	s_and_saveexec_b64 s[0:1], s[2:3]
	s_cbranch_execz .LBB509_156
; %bb.155:
	v_sub_f32_e32 v18, v18, v10
	s_mov_b32 s2, 0x3fb8aa3b
	v_mul_f32_e32 v19, 0x3fb8aa3b, v18
	v_fma_f32 v20, v18, s2, -v19
	v_rndne_f32_e32 v21, v19
	v_fmamk_f32 v20, v18, 0x32a5705f, v20
	v_sub_f32_e32 v19, v19, v21
	v_add_f32_e32 v19, v19, v20
	v_exp_f32_e32 v19, v19
	v_cvt_i32_f32_e32 v20, v21
	s_mov_b32 s2, 0xc2ce8ed0
	v_cmp_ngt_f32_e32 vcc, s2, v18
	s_mov_b32 s2, 0x42b17218
	v_ldexp_f32 v19, v19, v20
	v_cndmask_b32_e32 v19, 0, v19, vcc
	v_mov_b32_e32 v20, 0x7f800000
	v_cmp_nlt_f32_e32 vcc, s2, v18
	s_mov_b32 s2, 0x3f2aaaab
	s_mov_b32 s3, 0x7f800000
	v_cndmask_b32_e32 v27, v20, v19, vcc
	v_add_f32_e32 v20, 1.0, v27
	v_add_f32_e32 v18, -1.0, v20
	v_sub_f32_e32 v19, v18, v20
	v_add_f32_e32 v19, 1.0, v19
	v_sub_f32_e32 v18, v27, v18
	v_add_f32_e32 v21, v18, v19
	v_frexp_mant_f32_e32 v22, v20
	v_cvt_f64_f32_e32 v[18:19], v20
	v_frexp_exp_i32_f64_e32 v18, v[18:19]
	v_cmp_gt_f32_e32 vcc, s2, v22
	s_mov_b32 s2, 0x3f317218
	s_nop 0
	v_subbrev_co_u32_e32 v28, vcc, 0, v18, vcc
	v_sub_u32_e32 v18, 0, v28
	v_ldexp_f32 v19, v20, v18
	v_add_f32_e32 v20, -1.0, v19
	v_add_f32_e32 v22, 1.0, v19
	v_ldexp_f32 v18, v21, v18
	v_add_f32_e32 v21, 1.0, v20
	v_add_f32_e32 v23, -1.0, v22
	v_sub_f32_e32 v21, v19, v21
	v_sub_f32_e32 v19, v19, v23
	v_add_f32_e32 v21, v18, v21
	v_add_f32_e32 v18, v18, v19
	;; [unrolled: 1-line block ×3, first 2 shown]
	v_rcp_f32_e32 v51, v49
	v_sub_f32_e32 v19, v22, v49
	v_add_f32_e32 v50, v18, v19
	v_add_f32_e32 v19, v20, v21
	v_mul_f32_e32 v54, v19, v51
	v_sub_f32_e32 v18, v20, v19
	v_mul_f32_e32 v20, v49, v54
	v_fma_f32 v22, v54, v49, -v20
	v_fmac_f32_e32 v22, v54, v50
	v_add_f32_e32 v52, v21, v18
	v_add_f32_e32 v18, v20, v22
	v_sub_f32_e32 v21, v19, v18
	v_pk_add_f32 v[24:25], v[18:19], v[20:21] neg_lo:[0,1] neg_hi:[0,1]
	v_mov_b32_e32 v23, v18
	v_pk_add_f32 v[18:19], v[24:25], v[22:23] neg_lo:[0,1] neg_hi:[0,1]
	v_cmp_eq_f32_e32 vcc, s3, v27
	v_add_f32_e32 v19, v52, v19
	v_add_f32_e32 v18, v18, v19
	;; [unrolled: 1-line block ×3, first 2 shown]
	v_mul_f32_e32 v52, v51, v19
	v_mul_f32_e32 v20, v49, v52
	v_fma_f32 v22, v52, v49, -v20
	v_fmac_f32_e32 v22, v52, v50
	v_sub_f32_e32 v21, v21, v19
	v_add_f32_e32 v49, v18, v21
	v_add_f32_e32 v18, v20, v22
	v_sub_f32_e32 v21, v19, v18
	v_pk_add_f32 v[24:25], v[18:19], v[20:21] neg_lo:[0,1] neg_hi:[0,1]
	v_mov_b32_e32 v23, v18
	v_pk_add_f32 v[18:19], v[24:25], v[22:23] neg_lo:[0,1] neg_hi:[0,1]
	v_cvt_f32_i32_e32 v20, v28
	v_add_f32_e32 v19, v49, v19
	v_add_f32_e32 v18, v18, v19
	;; [unrolled: 1-line block ×4, first 2 shown]
	v_sub_f32_e32 v19, v21, v54
	v_mul_f32_e32 v18, v51, v18
	v_sub_f32_e32 v19, v52, v19
	v_add_f32_e32 v18, v19, v18
	v_add_f32_e32 v22, v21, v18
	v_mul_f32_e32 v24, v22, v22
	v_mov_b32_e32 v19, 0x3ecc95a3
	v_sub_f32_e32 v21, v22, v21
	v_fmac_f32_e32 v19, 0x3e9b6dac, v24
	v_sub_f32_e32 v18, v18, v21
	v_fmaak_f32 v19, v24, v19, 0x3f2aaada
	v_ldexp_f32 v25, v18, 1
	v_mul_f32_e32 v21, v22, v24
	v_mov_b32_e32 v18, 0x3f317218
	v_pk_mul_f32 v[18:19], v[20:21], v[18:19]
	v_ldexp_f32 v23, v22, 1
	v_fma_f32 v21, v20, s2, -v18
	v_fmamk_f32 v22, v20, 0xb102e308, v21
	v_pk_add_f32 v[20:21], v[18:19], v[22:23]
	v_mov_b32_e32 v24, v18
	v_sub_f32_e32 v23, v21, v23
	v_sub_f32_e32 v23, v19, v23
	v_add_f32_e32 v25, v25, v23
	v_pk_add_f32 v[18:19], v[20:21], v[18:19] neg_lo:[0,1] neg_hi:[0,1]
	v_pk_add_f32 v[50:51], v[20:21], v[24:25]
	v_mov_b32_e32 v23, v20
	v_mov_b32_e32 v19, v51
	s_waitcnt lgkmcnt(0)
	v_pk_add_f32 v[54:55], v[22:23], v[18:19] neg_lo:[0,1] neg_hi:[0,1]
	v_pk_add_f32 v[18:19], v[22:23], v[18:19]
	v_mov_b32_e32 v24, v25
	v_mov_b32_e32 v22, v19
	v_pk_add_f32 v[56:57], v[22:23], v[20:21] neg_lo:[0,1] neg_hi:[0,1]
	v_mov_b32_e32 v18, v51
	v_mov_b32_e32 v23, v56
	v_pk_add_f32 v[58:59], v[50:51], v[22:23] neg_lo:[0,1] neg_hi:[0,1]
	v_mov_b32_e32 v50, v21
	v_mov_b32_e32 v51, v56
	;; [unrolled: 1-line block ×3, first 2 shown]
	v_pk_add_f32 v[18:19], v[18:19], v[50:51] neg_lo:[0,1] neg_hi:[0,1]
	v_mov_b32_e32 v25, v20
	v_pk_add_f32 v[18:19], v[24:25], v[18:19] neg_lo:[0,1] neg_hi:[0,1]
	v_mov_b32_e32 v58, v54
	v_pk_add_f32 v[20:21], v[58:59], v[18:19]
	s_mov_b32 s2, 0x33800000
	v_mov_b32_e32 v24, v21
	v_pk_add_f32 v[24:25], v[20:21], v[24:25]
	v_cmp_lt_f32_e64 s[2:3], |v27|, s2
	v_pk_add_f32 v[22:23], v[22:23], v[24:25]
	v_mov_b32_e32 v19, v24
	v_mov_b32_e32 v21, v22
	v_pk_add_f32 v[50:51], v[20:21], v[54:55] neg_lo:[0,1] neg_hi:[0,1]
	s_or_b64 vcc, vcc, s[2:3]
	v_sub_f32_e32 v20, v20, v50
	v_pk_add_f32 v[18:19], v[18:19], v[50:51] neg_lo:[0,1] neg_hi:[0,1]
	v_sub_f32_e32 v20, v54, v20
	v_add_f32_e32 v18, v18, v20
	v_add_f32_e32 v18, v18, v19
	;; [unrolled: 1-line block ×3, first 2 shown]
	v_cndmask_b32_e32 v18, v18, v27, vcc
	v_add_f32_e32 v19, v10, v18
.LBB509_156:
	s_or_b64 exec, exec, s[0:1]
	v_bfe_u32 v10, v19, 16, 1
	v_add3_u32 v10, v19, v10, s48
	v_lshrrev_b32_e32 v10, 16, v10
	v_mov_b32_e32 v18, 0x7fc0
	v_cmp_o_f32_e32 vcc, v19, v19
	s_nop 1
	v_cndmask_b32_e32 v10, v18, v10, vcc
	v_lshlrev_b32_e32 v20, 16, v10
	v_max_f32_e32 v19, v20, v20
	v_min_f32_e32 v21, v19, v30
	v_cmp_u_f32_e32 vcc, v20, v20
	v_max_f32_e32 v19, v19, v30
	s_nop 0
	v_cndmask_b32_e32 v21, v21, v20, vcc
	v_cndmask_b32_e32 v19, v19, v20, vcc
	v_cndmask_b32_e64 v21, v21, v26, s[66:67]
	v_cndmask_b32_e64 v19, v19, v26, s[66:67]
	v_cmp_neq_f32_e32 vcc, v21, v19
	v_cmp_class_f32_e64 s[0:1], v21, s33
	s_or_b64 s[2:3], vcc, s[0:1]
	s_and_saveexec_b64 s[0:1], s[2:3]
	s_cbranch_execz .LBB509_158
; %bb.157:
	v_sub_f32_e32 v20, v21, v19
	s_mov_b32 s2, 0x3fb8aa3b
	v_mul_f32_e32 v21, 0x3fb8aa3b, v20
	v_fma_f32 v22, v20, s2, -v21
	v_rndne_f32_e32 v23, v21
	v_fmamk_f32 v22, v20, 0x32a5705f, v22
	v_sub_f32_e32 v21, v21, v23
	v_add_f32_e32 v21, v21, v22
	v_exp_f32_e32 v21, v21
	v_cvt_i32_f32_e32 v22, v23
	s_mov_b32 s2, 0xc2ce8ed0
	v_cmp_ngt_f32_e32 vcc, s2, v20
	s_mov_b32 s2, 0x42b17218
	v_ldexp_f32 v21, v21, v22
	v_cndmask_b32_e32 v21, 0, v21, vcc
	v_mov_b32_e32 v22, 0x7f800000
	v_cmp_nlt_f32_e32 vcc, s2, v20
	s_mov_b32 s2, 0x3f2aaaab
	s_mov_b32 s3, 0x7f800000
	v_cndmask_b32_e32 v28, v22, v21, vcc
	v_add_f32_e32 v22, 1.0, v28
	v_add_f32_e32 v20, -1.0, v22
	v_sub_f32_e32 v21, v20, v22
	v_add_f32_e32 v21, 1.0, v21
	v_sub_f32_e32 v20, v28, v20
	v_add_f32_e32 v23, v20, v21
	v_frexp_mant_f32_e32 v24, v22
	v_cvt_f64_f32_e32 v[20:21], v22
	v_frexp_exp_i32_f64_e32 v20, v[20:21]
	v_cmp_gt_f32_e32 vcc, s2, v24
	s_mov_b32 s2, 0x3f317218
	s_nop 0
	v_subbrev_co_u32_e32 v30, vcc, 0, v20, vcc
	v_sub_u32_e32 v20, 0, v30
	v_ldexp_f32 v21, v22, v20
	v_add_f32_e32 v22, -1.0, v21
	v_add_f32_e32 v24, 1.0, v21
	v_ldexp_f32 v20, v23, v20
	v_add_f32_e32 v23, 1.0, v22
	v_add_f32_e32 v25, -1.0, v24
	v_sub_f32_e32 v23, v21, v23
	v_sub_f32_e32 v21, v21, v25
	v_add_f32_e32 v23, v20, v23
	v_add_f32_e32 v20, v20, v21
	;; [unrolled: 1-line block ×3, first 2 shown]
	v_rcp_f32_e32 v51, v49
	v_sub_f32_e32 v21, v24, v49
	v_add_f32_e32 v50, v20, v21
	v_add_f32_e32 v21, v22, v23
	v_mul_f32_e32 v54, v21, v51
	v_sub_f32_e32 v20, v22, v21
	v_mul_f32_e32 v22, v49, v54
	v_fma_f32 v24, v54, v49, -v22
	v_fmac_f32_e32 v24, v54, v50
	v_add_f32_e32 v52, v23, v20
	v_add_f32_e32 v20, v22, v24
	v_sub_f32_e32 v23, v21, v20
	v_pk_add_f32 v[26:27], v[20:21], v[22:23] neg_lo:[0,1] neg_hi:[0,1]
	v_mov_b32_e32 v25, v20
	v_pk_add_f32 v[20:21], v[26:27], v[24:25] neg_lo:[0,1] neg_hi:[0,1]
	v_cmp_eq_f32_e32 vcc, s3, v28
	v_add_f32_e32 v21, v52, v21
	v_add_f32_e32 v20, v20, v21
	;; [unrolled: 1-line block ×3, first 2 shown]
	v_mul_f32_e32 v52, v51, v21
	v_mul_f32_e32 v22, v49, v52
	v_fma_f32 v24, v52, v49, -v22
	v_fmac_f32_e32 v24, v52, v50
	v_sub_f32_e32 v23, v23, v21
	v_add_f32_e32 v49, v20, v23
	v_add_f32_e32 v20, v22, v24
	v_sub_f32_e32 v23, v21, v20
	v_pk_add_f32 v[26:27], v[20:21], v[22:23] neg_lo:[0,1] neg_hi:[0,1]
	v_mov_b32_e32 v25, v20
	v_pk_add_f32 v[20:21], v[26:27], v[24:25] neg_lo:[0,1] neg_hi:[0,1]
	v_cvt_f32_i32_e32 v22, v30
	v_add_f32_e32 v21, v49, v21
	v_add_f32_e32 v20, v20, v21
	;; [unrolled: 1-line block ×4, first 2 shown]
	v_sub_f32_e32 v21, v23, v54
	v_mul_f32_e32 v20, v51, v20
	v_sub_f32_e32 v21, v52, v21
	v_add_f32_e32 v20, v21, v20
	v_add_f32_e32 v24, v23, v20
	v_mul_f32_e32 v26, v24, v24
	v_mov_b32_e32 v21, 0x3ecc95a3
	v_sub_f32_e32 v23, v24, v23
	v_fmac_f32_e32 v21, 0x3e9b6dac, v26
	v_sub_f32_e32 v20, v20, v23
	v_fmaak_f32 v21, v26, v21, 0x3f2aaada
	v_ldexp_f32 v27, v20, 1
	v_mul_f32_e32 v23, v24, v26
	v_mov_b32_e32 v20, 0x3f317218
	v_pk_mul_f32 v[20:21], v[22:23], v[20:21]
	v_ldexp_f32 v25, v24, 1
	v_fma_f32 v23, v22, s2, -v20
	v_fmamk_f32 v24, v22, 0xb102e308, v23
	v_pk_add_f32 v[22:23], v[20:21], v[24:25]
	v_mov_b32_e32 v26, v20
	v_sub_f32_e32 v25, v23, v25
	v_sub_f32_e32 v25, v21, v25
	v_add_f32_e32 v27, v27, v25
	v_pk_add_f32 v[20:21], v[22:23], v[20:21] neg_lo:[0,1] neg_hi:[0,1]
	v_pk_add_f32 v[50:51], v[22:23], v[26:27]
	v_mov_b32_e32 v25, v22
	v_mov_b32_e32 v21, v51
	s_waitcnt lgkmcnt(0)
	v_pk_add_f32 v[54:55], v[24:25], v[20:21] neg_lo:[0,1] neg_hi:[0,1]
	v_pk_add_f32 v[20:21], v[24:25], v[20:21]
	v_mov_b32_e32 v26, v27
	v_mov_b32_e32 v24, v21
	v_pk_add_f32 v[56:57], v[24:25], v[22:23] neg_lo:[0,1] neg_hi:[0,1]
	v_mov_b32_e32 v20, v51
	v_mov_b32_e32 v25, v56
	v_pk_add_f32 v[58:59], v[50:51], v[24:25] neg_lo:[0,1] neg_hi:[0,1]
	v_mov_b32_e32 v50, v23
	v_mov_b32_e32 v51, v56
	;; [unrolled: 1-line block ×3, first 2 shown]
	v_pk_add_f32 v[20:21], v[20:21], v[50:51] neg_lo:[0,1] neg_hi:[0,1]
	v_mov_b32_e32 v27, v22
	v_pk_add_f32 v[20:21], v[26:27], v[20:21] neg_lo:[0,1] neg_hi:[0,1]
	v_mov_b32_e32 v58, v54
	v_pk_add_f32 v[22:23], v[58:59], v[20:21]
	s_mov_b32 s2, 0x33800000
	v_mov_b32_e32 v26, v23
	v_pk_add_f32 v[26:27], v[22:23], v[26:27]
	v_cmp_lt_f32_e64 s[2:3], |v28|, s2
	v_pk_add_f32 v[24:25], v[24:25], v[26:27]
	v_mov_b32_e32 v21, v26
	v_mov_b32_e32 v23, v24
	v_pk_add_f32 v[50:51], v[22:23], v[54:55] neg_lo:[0,1] neg_hi:[0,1]
	s_or_b64 vcc, vcc, s[2:3]
	v_sub_f32_e32 v22, v22, v50
	v_pk_add_f32 v[20:21], v[20:21], v[50:51] neg_lo:[0,1] neg_hi:[0,1]
	v_sub_f32_e32 v22, v54, v22
	v_add_f32_e32 v20, v20, v22
	v_add_f32_e32 v20, v20, v21
	;; [unrolled: 1-line block ×3, first 2 shown]
	v_cndmask_b32_e32 v20, v20, v28, vcc
	v_add_f32_e32 v20, v19, v20
.LBB509_158:
	s_or_b64 exec, exec, s[0:1]
	v_bfe_u32 v19, v20, 16, 1
	v_add3_u32 v19, v20, v19, s48
	v_lshrrev_b32_e32 v19, 16, v19
	v_cmp_o_f32_e32 vcc, v20, v20
	s_nop 1
	v_cndmask_b32_e32 v18, v18, v19, vcc
	v_lshlrev_b32_e32 v20, 16, v18
	v_max_f32_e32 v21, v20, v20
	v_min_f32_e32 v19, v21, v31
	v_cmp_u_f32_e32 vcc, v20, v20
	v_max_f32_e32 v21, v21, v31
	s_nop 0
	v_cndmask_b32_e32 v19, v19, v20, vcc
	v_cndmask_b32_e32 v21, v21, v20, vcc
	v_cndmask_b32_e64 v19, v19, v11, s[68:69]
	v_cndmask_b32_e64 v11, v21, v11, s[68:69]
	v_cmp_neq_f32_e32 vcc, v19, v11
	v_cmp_class_f32_e64 s[0:1], v19, s33
	s_or_b64 s[2:3], vcc, s[0:1]
	s_and_saveexec_b64 s[0:1], s[2:3]
	s_cbranch_execz .LBB509_160
; %bb.159:
	v_sub_f32_e32 v19, v19, v11
	s_mov_b32 s2, 0x3fb8aa3b
	v_mul_f32_e32 v20, 0x3fb8aa3b, v19
	v_fma_f32 v21, v19, s2, -v20
	v_rndne_f32_e32 v22, v20
	v_fmamk_f32 v21, v19, 0x32a5705f, v21
	v_sub_f32_e32 v20, v20, v22
	v_add_f32_e32 v20, v20, v21
	v_exp_f32_e32 v20, v20
	v_cvt_i32_f32_e32 v21, v22
	s_mov_b32 s2, 0xc2ce8ed0
	v_cmp_ngt_f32_e32 vcc, s2, v19
	s_mov_b32 s2, 0x42b17218
	v_ldexp_f32 v20, v20, v21
	v_cndmask_b32_e32 v20, 0, v20, vcc
	v_mov_b32_e32 v21, 0x7f800000
	v_cmp_nlt_f32_e32 vcc, s2, v19
	s_mov_b32 s2, 0x3f2aaaab
	s_mov_b32 s3, 0x7f800000
	v_cndmask_b32_e32 v28, v21, v20, vcc
	v_add_f32_e32 v19, 1.0, v28
	v_add_f32_e32 v20, -1.0, v19
	v_sub_f32_e32 v21, v20, v19
	v_add_f32_e32 v21, 1.0, v21
	v_sub_f32_e32 v20, v28, v20
	v_add_f32_e32 v22, v20, v21
	v_frexp_mant_f32_e32 v23, v19
	v_cvt_f64_f32_e32 v[20:21], v19
	v_frexp_exp_i32_f64_e32 v20, v[20:21]
	v_cmp_gt_f32_e32 vcc, s2, v23
	s_mov_b32 s2, 0x3f317218
	s_nop 0
	v_subbrev_co_u32_e32 v30, vcc, 0, v20, vcc
	v_sub_u32_e32 v20, 0, v30
	v_ldexp_f32 v19, v19, v20
	v_ldexp_f32 v20, v22, v20
	v_add_f32_e32 v22, -1.0, v19
	v_add_f32_e32 v21, 1.0, v22
	v_sub_f32_e32 v21, v19, v21
	v_add_f32_e32 v23, v20, v21
	v_add_f32_e32 v21, 1.0, v19
	v_add_f32_e32 v24, -1.0, v21
	v_sub_f32_e32 v19, v19, v24
	v_add_f32_e32 v19, v20, v19
	v_add_f32_e32 v31, v21, v19
	v_rcp_f32_e32 v49, v31
	v_sub_f32_e32 v20, v21, v31
	v_add_f32_e32 v21, v22, v23
	v_add_f32_e32 v19, v19, v20
	v_mul_f32_e32 v51, v21, v49
	v_sub_f32_e32 v20, v22, v21
	v_mul_f32_e32 v22, v31, v51
	v_fma_f32 v24, v51, v31, -v22
	v_fmac_f32_e32 v24, v51, v19
	v_add_f32_e32 v50, v23, v20
	v_add_f32_e32 v20, v22, v24
	v_sub_f32_e32 v23, v21, v20
	v_pk_add_f32 v[26:27], v[20:21], v[22:23] neg_lo:[0,1] neg_hi:[0,1]
	v_mov_b32_e32 v25, v20
	v_pk_add_f32 v[20:21], v[26:27], v[24:25] neg_lo:[0,1] neg_hi:[0,1]
	v_cmp_eq_f32_e32 vcc, s3, v28
	v_add_f32_e32 v21, v50, v21
	v_add_f32_e32 v20, v20, v21
	;; [unrolled: 1-line block ×3, first 2 shown]
	v_mul_f32_e32 v50, v49, v21
	v_mul_f32_e32 v22, v31, v50
	v_fma_f32 v24, v50, v31, -v22
	v_fmac_f32_e32 v24, v50, v19
	v_sub_f32_e32 v19, v23, v21
	v_add_f32_e32 v19, v20, v19
	v_add_f32_e32 v20, v22, v24
	v_sub_f32_e32 v23, v21, v20
	v_pk_add_f32 v[26:27], v[20:21], v[22:23] neg_lo:[0,1] neg_hi:[0,1]
	v_mov_b32_e32 v25, v20
	v_pk_add_f32 v[20:21], v[26:27], v[24:25] neg_lo:[0,1] neg_hi:[0,1]
	v_cvt_f32_i32_e32 v22, v30
	v_add_f32_e32 v19, v19, v21
	v_add_f32_e32 v19, v20, v19
	;; [unrolled: 1-line block ×4, first 2 shown]
	v_sub_f32_e32 v21, v20, v51
	v_mul_f32_e32 v19, v49, v19
	v_sub_f32_e32 v21, v50, v21
	v_add_f32_e32 v19, v21, v19
	v_add_f32_e32 v23, v20, v19
	v_mul_f32_e32 v24, v23, v23
	v_mov_b32_e32 v21, 0x3ecc95a3
	v_fmac_f32_e32 v21, 0x3e9b6dac, v24
	v_sub_f32_e32 v20, v23, v20
	v_fmaak_f32 v21, v24, v21, 0x3f2aaada
	v_sub_f32_e32 v19, v19, v20
	v_ldexp_f32 v25, v23, 1
	v_mul_f32_e32 v23, v23, v24
	v_mov_b32_e32 v20, 0x3f317218
	v_pk_mul_f32 v[20:21], v[22:23], v[20:21]
	v_ldexp_f32 v19, v19, 1
	v_fma_f32 v23, v22, s2, -v20
	v_fmamk_f32 v24, v22, 0xb102e308, v23
	v_pk_add_f32 v[22:23], v[20:21], v[24:25]
	v_mov_b32_e32 v26, v20
	v_sub_f32_e32 v25, v23, v25
	v_sub_f32_e32 v25, v21, v25
	v_add_f32_e32 v27, v19, v25
	v_pk_add_f32 v[20:21], v[22:23], v[20:21] neg_lo:[0,1] neg_hi:[0,1]
	v_pk_add_f32 v[30:31], v[22:23], v[26:27]
	v_mov_b32_e32 v25, v22
	v_mov_b32_e32 v21, v31
	v_pk_add_f32 v[50:51], v[24:25], v[20:21] neg_lo:[0,1] neg_hi:[0,1]
	v_pk_add_f32 v[20:21], v[24:25], v[20:21]
	v_mov_b32_e32 v26, v27
	v_mov_b32_e32 v24, v21
	s_waitcnt lgkmcnt(0)
	v_pk_add_f32 v[54:55], v[24:25], v[22:23] neg_lo:[0,1] neg_hi:[0,1]
	v_mov_b32_e32 v20, v31
	v_mov_b32_e32 v19, v54
	v_pk_add_f32 v[56:57], v[30:31], v[18:19] neg_lo:[0,1] neg_hi:[0,1]
	v_mov_b32_e32 v30, v23
	v_mov_b32_e32 v31, v54
	;; [unrolled: 1-line block ×3, first 2 shown]
	v_pk_add_f32 v[20:21], v[20:21], v[30:31] neg_lo:[0,1] neg_hi:[0,1]
	v_mov_b32_e32 v27, v22
	v_pk_add_f32 v[20:21], v[26:27], v[20:21] neg_lo:[0,1] neg_hi:[0,1]
	v_mov_b32_e32 v56, v50
	v_pk_add_f32 v[22:23], v[56:57], v[20:21]
	s_mov_b32 s2, 0x33800000
	v_mov_b32_e32 v26, v23
	v_pk_add_f32 v[26:27], v[22:23], v[26:27]
	v_cmp_lt_f32_e64 s[2:3], |v28|, s2
	v_pk_add_f32 v[24:25], v[24:25], v[26:27]
	v_mov_b32_e32 v21, v26
	v_mov_b32_e32 v23, v24
	v_pk_add_f32 v[30:31], v[22:23], v[50:51] neg_lo:[0,1] neg_hi:[0,1]
	s_or_b64 vcc, vcc, s[2:3]
	v_sub_f32_e32 v19, v22, v30
	v_pk_add_f32 v[20:21], v[20:21], v[30:31] neg_lo:[0,1] neg_hi:[0,1]
	v_sub_f32_e32 v19, v50, v19
	v_add_f32_e32 v19, v20, v19
	v_add_f32_e32 v19, v19, v21
	;; [unrolled: 1-line block ×3, first 2 shown]
	v_cndmask_b32_e32 v19, v19, v28, vcc
	v_add_f32_e32 v20, v11, v19
.LBB509_160:
	s_or_b64 exec, exec, s[0:1]
	v_bfe_u32 v11, v20, 16, 1
	v_add3_u32 v11, v20, v11, s48
	v_lshrrev_b32_e32 v11, 16, v11
	v_mov_b32_e32 v19, 0x7fc0
	v_cmp_o_f32_e32 vcc, v20, v20
	s_nop 1
	v_cndmask_b32_e32 v11, v19, v11, vcc
	v_lshlrev_b32_e32 v21, 16, v11
	v_max_f32_e32 v20, v21, v21
	v_min_f32_e32 v22, v20, v33
	v_cmp_u_f32_e32 vcc, v21, v21
	v_max_f32_e32 v20, v20, v33
	s_nop 0
	v_cndmask_b32_e32 v22, v22, v21, vcc
	v_cndmask_b32_e32 v20, v20, v21, vcc
	v_cndmask_b32_e64 v22, v22, v29, s[70:71]
	v_cndmask_b32_e64 v20, v20, v29, s[70:71]
	v_cmp_neq_f32_e32 vcc, v22, v20
	v_cmp_class_f32_e64 s[0:1], v22, s33
	s_or_b64 s[2:3], vcc, s[0:1]
	s_and_saveexec_b64 s[0:1], s[2:3]
	s_cbranch_execz .LBB509_162
; %bb.161:
	v_sub_f32_e32 v21, v22, v20
	s_mov_b32 s2, 0x3fb8aa3b
	v_mul_f32_e32 v22, 0x3fb8aa3b, v21
	v_fma_f32 v23, v21, s2, -v22
	v_rndne_f32_e32 v24, v22
	v_fmamk_f32 v23, v21, 0x32a5705f, v23
	v_sub_f32_e32 v22, v22, v24
	v_add_f32_e32 v22, v22, v23
	v_exp_f32_e32 v22, v22
	v_cvt_i32_f32_e32 v23, v24
	s_mov_b32 s2, 0xc2ce8ed0
	v_cmp_ngt_f32_e32 vcc, s2, v21
	s_mov_b32 s2, 0x42b17218
	v_ldexp_f32 v22, v22, v23
	v_cndmask_b32_e32 v22, 0, v22, vcc
	v_mov_b32_e32 v23, 0x7f800000
	v_cmp_nlt_f32_e32 vcc, s2, v21
	s_mov_b32 s2, 0x3f2aaaab
	s_mov_b32 s3, 0x7f800000
	v_cndmask_b32_e32 v33, v23, v22, vcc
	v_add_f32_e32 v21, 1.0, v33
	v_add_f32_e32 v22, -1.0, v21
	v_sub_f32_e32 v23, v22, v21
	v_add_f32_e32 v23, 1.0, v23
	v_sub_f32_e32 v22, v33, v22
	v_add_f32_e32 v24, v22, v23
	v_frexp_mant_f32_e32 v25, v21
	v_cvt_f64_f32_e32 v[22:23], v21
	v_frexp_exp_i32_f64_e32 v22, v[22:23]
	v_cmp_gt_f32_e32 vcc, s2, v25
	s_mov_b32 s2, 0x3f317218
	s_nop 0
	v_subbrev_co_u32_e32 v30, vcc, 0, v22, vcc
	v_sub_u32_e32 v22, 0, v30
	v_ldexp_f32 v21, v21, v22
	v_ldexp_f32 v22, v24, v22
	v_add_f32_e32 v24, -1.0, v21
	v_add_f32_e32 v23, 1.0, v24
	v_sub_f32_e32 v23, v21, v23
	v_add_f32_e32 v25, v22, v23
	v_add_f32_e32 v23, 1.0, v21
	v_add_f32_e32 v26, -1.0, v23
	v_sub_f32_e32 v21, v21, v26
	v_add_f32_e32 v21, v22, v21
	v_add_f32_e32 v31, v23, v21
	v_rcp_f32_e32 v49, v31
	v_sub_f32_e32 v22, v23, v31
	v_add_f32_e32 v23, v24, v25
	v_add_f32_e32 v21, v21, v22
	v_mul_f32_e32 v51, v23, v49
	v_sub_f32_e32 v22, v24, v23
	v_mul_f32_e32 v24, v31, v51
	v_fma_f32 v26, v51, v31, -v24
	v_fmac_f32_e32 v26, v51, v21
	v_add_f32_e32 v50, v25, v22
	v_add_f32_e32 v22, v24, v26
	v_sub_f32_e32 v25, v23, v22
	v_pk_add_f32 v[28:29], v[22:23], v[24:25] neg_lo:[0,1] neg_hi:[0,1]
	v_mov_b32_e32 v27, v22
	v_pk_add_f32 v[22:23], v[28:29], v[26:27] neg_lo:[0,1] neg_hi:[0,1]
	v_cmp_eq_f32_e32 vcc, s3, v33
	v_add_f32_e32 v23, v50, v23
	v_add_f32_e32 v22, v22, v23
	;; [unrolled: 1-line block ×3, first 2 shown]
	v_mul_f32_e32 v50, v49, v23
	v_mul_f32_e32 v24, v31, v50
	v_fma_f32 v26, v50, v31, -v24
	v_fmac_f32_e32 v26, v50, v21
	v_sub_f32_e32 v21, v25, v23
	v_add_f32_e32 v21, v22, v21
	v_add_f32_e32 v22, v24, v26
	v_sub_f32_e32 v25, v23, v22
	v_pk_add_f32 v[28:29], v[22:23], v[24:25] neg_lo:[0,1] neg_hi:[0,1]
	v_mov_b32_e32 v27, v22
	v_pk_add_f32 v[22:23], v[28:29], v[26:27] neg_lo:[0,1] neg_hi:[0,1]
	v_cvt_f32_i32_e32 v24, v30
	v_add_f32_e32 v21, v21, v23
	v_add_f32_e32 v21, v22, v21
	;; [unrolled: 1-line block ×4, first 2 shown]
	v_sub_f32_e32 v23, v22, v51
	v_mul_f32_e32 v21, v49, v21
	v_sub_f32_e32 v23, v50, v23
	v_add_f32_e32 v21, v23, v21
	v_add_f32_e32 v25, v22, v21
	v_mul_f32_e32 v26, v25, v25
	v_mov_b32_e32 v23, 0x3ecc95a3
	v_fmac_f32_e32 v23, 0x3e9b6dac, v26
	v_sub_f32_e32 v22, v25, v22
	v_fmaak_f32 v23, v26, v23, 0x3f2aaada
	v_sub_f32_e32 v21, v21, v22
	v_ldexp_f32 v27, v25, 1
	v_mul_f32_e32 v25, v25, v26
	v_mov_b32_e32 v22, 0x3f317218
	v_pk_mul_f32 v[22:23], v[24:25], v[22:23]
	v_ldexp_f32 v21, v21, 1
	v_fma_f32 v25, v24, s2, -v22
	v_fmamk_f32 v26, v24, 0xb102e308, v25
	v_pk_add_f32 v[24:25], v[22:23], v[26:27]
	v_mov_b32_e32 v28, v22
	v_sub_f32_e32 v27, v25, v27
	v_sub_f32_e32 v27, v23, v27
	v_add_f32_e32 v29, v21, v27
	v_pk_add_f32 v[22:23], v[24:25], v[22:23] neg_lo:[0,1] neg_hi:[0,1]
	v_pk_add_f32 v[30:31], v[24:25], v[28:29]
	v_mov_b32_e32 v27, v24
	v_mov_b32_e32 v23, v31
	v_pk_add_f32 v[50:51], v[26:27], v[22:23] neg_lo:[0,1] neg_hi:[0,1]
	v_pk_add_f32 v[22:23], v[26:27], v[22:23]
	v_mov_b32_e32 v28, v29
	v_mov_b32_e32 v26, v23
	s_waitcnt lgkmcnt(0)
	v_pk_add_f32 v[54:55], v[26:27], v[24:25] neg_lo:[0,1] neg_hi:[0,1]
	v_mov_b32_e32 v22, v31
	v_mov_b32_e32 v21, v54
	v_pk_add_f32 v[56:57], v[30:31], v[20:21] neg_lo:[0,1] neg_hi:[0,1]
	v_mov_b32_e32 v30, v25
	v_mov_b32_e32 v31, v54
	;; [unrolled: 1-line block ×3, first 2 shown]
	v_pk_add_f32 v[22:23], v[22:23], v[30:31] neg_lo:[0,1] neg_hi:[0,1]
	v_mov_b32_e32 v29, v24
	v_pk_add_f32 v[22:23], v[28:29], v[22:23] neg_lo:[0,1] neg_hi:[0,1]
	v_mov_b32_e32 v56, v50
	v_pk_add_f32 v[24:25], v[56:57], v[22:23]
	s_mov_b32 s2, 0x33800000
	v_mov_b32_e32 v28, v25
	v_pk_add_f32 v[28:29], v[24:25], v[28:29]
	v_cmp_lt_f32_e64 s[2:3], |v33|, s2
	v_pk_add_f32 v[26:27], v[26:27], v[28:29]
	v_mov_b32_e32 v23, v28
	v_mov_b32_e32 v25, v26
	v_pk_add_f32 v[30:31], v[24:25], v[50:51] neg_lo:[0,1] neg_hi:[0,1]
	s_or_b64 vcc, vcc, s[2:3]
	v_sub_f32_e32 v21, v24, v30
	v_pk_add_f32 v[22:23], v[22:23], v[30:31] neg_lo:[0,1] neg_hi:[0,1]
	v_sub_f32_e32 v21, v50, v21
	v_add_f32_e32 v21, v22, v21
	v_add_f32_e32 v21, v21, v23
	v_add_f32_e32 v21, v26, v21
	v_cndmask_b32_e32 v21, v21, v33, vcc
	v_add_f32_e32 v21, v20, v21
.LBB509_162:
	s_or_b64 exec, exec, s[0:1]
	v_bfe_u32 v20, v21, 16, 1
	v_add3_u32 v20, v21, v20, s48
	v_lshrrev_b32_e32 v20, 16, v20
	v_cmp_o_f32_e32 vcc, v21, v21
	s_nop 1
	v_cndmask_b32_e32 v19, v19, v20, vcc
	v_lshlrev_b32_e32 v21, 16, v19
	v_max_f32_e32 v22, v21, v21
	v_min_f32_e32 v20, v22, v34
	v_cmp_u_f32_e32 vcc, v21, v21
	v_max_f32_e32 v22, v22, v34
	s_nop 0
	v_cndmask_b32_e32 v20, v20, v21, vcc
	v_cndmask_b32_e32 v22, v22, v21, vcc
	v_cndmask_b32_e64 v20, v20, v12, s[72:73]
	v_cndmask_b32_e64 v12, v22, v12, s[72:73]
	v_cmp_neq_f32_e32 vcc, v20, v12
	v_cmp_class_f32_e64 s[0:1], v20, s33
	s_or_b64 s[2:3], vcc, s[0:1]
	s_and_saveexec_b64 s[0:1], s[2:3]
	s_cbranch_execz .LBB509_164
; %bb.163:
	v_sub_f32_e32 v20, v20, v12
	s_mov_b32 s2, 0x3fb8aa3b
	v_mul_f32_e32 v21, 0x3fb8aa3b, v20
	v_fma_f32 v22, v20, s2, -v21
	v_rndne_f32_e32 v23, v21
	v_fmamk_f32 v22, v20, 0x32a5705f, v22
	v_sub_f32_e32 v21, v21, v23
	v_add_f32_e32 v21, v21, v22
	v_exp_f32_e32 v21, v21
	v_cvt_i32_f32_e32 v22, v23
	s_mov_b32 s2, 0xc2ce8ed0
	v_cmp_ngt_f32_e32 vcc, s2, v20
	s_mov_b32 s2, 0x42b17218
	v_ldexp_f32 v21, v21, v22
	v_cndmask_b32_e32 v21, 0, v21, vcc
	v_mov_b32_e32 v22, 0x7f800000
	v_cmp_nlt_f32_e32 vcc, s2, v20
	s_mov_b32 s2, 0x3f2aaaab
	s_mov_b32 s3, 0x7f800000
	v_cndmask_b32_e32 v33, v22, v21, vcc
	v_add_f32_e32 v22, 1.0, v33
	v_add_f32_e32 v20, -1.0, v22
	v_sub_f32_e32 v21, v20, v22
	v_add_f32_e32 v21, 1.0, v21
	v_sub_f32_e32 v20, v33, v20
	v_add_f32_e32 v23, v20, v21
	v_frexp_mant_f32_e32 v24, v22
	v_cvt_f64_f32_e32 v[20:21], v22
	v_frexp_exp_i32_f64_e32 v20, v[20:21]
	v_cmp_gt_f32_e32 vcc, s2, v24
	s_mov_b32 s2, 0x3f317218
	s_nop 0
	v_subbrev_co_u32_e32 v28, vcc, 0, v20, vcc
	v_sub_u32_e32 v20, 0, v28
	v_ldexp_f32 v21, v22, v20
	v_add_f32_e32 v22, -1.0, v21
	v_add_f32_e32 v24, 1.0, v21
	v_ldexp_f32 v20, v23, v20
	v_add_f32_e32 v23, 1.0, v22
	v_add_f32_e32 v25, -1.0, v24
	v_sub_f32_e32 v23, v21, v23
	v_sub_f32_e32 v21, v21, v25
	v_add_f32_e32 v23, v20, v23
	v_add_f32_e32 v20, v20, v21
	;; [unrolled: 1-line block ×3, first 2 shown]
	v_rcp_f32_e32 v31, v29
	v_sub_f32_e32 v21, v24, v29
	v_add_f32_e32 v30, v20, v21
	v_add_f32_e32 v21, v22, v23
	v_mul_f32_e32 v49, v21, v31
	v_sub_f32_e32 v20, v22, v21
	v_mul_f32_e32 v22, v29, v49
	v_fma_f32 v24, v49, v29, -v22
	v_fmac_f32_e32 v24, v49, v30
	v_add_f32_e32 v34, v23, v20
	v_add_f32_e32 v20, v22, v24
	v_sub_f32_e32 v23, v21, v20
	v_pk_add_f32 v[26:27], v[20:21], v[22:23] neg_lo:[0,1] neg_hi:[0,1]
	v_mov_b32_e32 v25, v20
	v_pk_add_f32 v[20:21], v[26:27], v[24:25] neg_lo:[0,1] neg_hi:[0,1]
	v_cmp_eq_f32_e32 vcc, s3, v33
	v_add_f32_e32 v21, v34, v21
	v_add_f32_e32 v20, v20, v21
	v_add_f32_e32 v21, v23, v20
	v_mul_f32_e32 v34, v31, v21
	v_mul_f32_e32 v22, v29, v34
	v_fma_f32 v24, v34, v29, -v22
	v_fmac_f32_e32 v24, v34, v30
	v_sub_f32_e32 v23, v23, v21
	v_add_f32_e32 v29, v20, v23
	v_add_f32_e32 v20, v22, v24
	v_sub_f32_e32 v23, v21, v20
	v_pk_add_f32 v[26:27], v[20:21], v[22:23] neg_lo:[0,1] neg_hi:[0,1]
	v_mov_b32_e32 v25, v20
	v_pk_add_f32 v[20:21], v[26:27], v[24:25] neg_lo:[0,1] neg_hi:[0,1]
	v_cvt_f32_i32_e32 v22, v28
	v_add_f32_e32 v21, v29, v21
	v_add_f32_e32 v20, v20, v21
	;; [unrolled: 1-line block ×4, first 2 shown]
	v_sub_f32_e32 v21, v23, v49
	v_mul_f32_e32 v20, v31, v20
	v_sub_f32_e32 v21, v34, v21
	v_add_f32_e32 v20, v21, v20
	v_add_f32_e32 v24, v23, v20
	v_mul_f32_e32 v26, v24, v24
	v_mov_b32_e32 v21, 0x3ecc95a3
	v_sub_f32_e32 v23, v24, v23
	v_fmac_f32_e32 v21, 0x3e9b6dac, v26
	v_sub_f32_e32 v20, v20, v23
	v_fmaak_f32 v21, v26, v21, 0x3f2aaada
	v_ldexp_f32 v27, v20, 1
	v_mul_f32_e32 v23, v24, v26
	v_mov_b32_e32 v20, 0x3f317218
	v_pk_mul_f32 v[20:21], v[22:23], v[20:21]
	v_ldexp_f32 v25, v24, 1
	v_fma_f32 v23, v22, s2, -v20
	v_fmamk_f32 v24, v22, 0xb102e308, v23
	v_pk_add_f32 v[22:23], v[20:21], v[24:25]
	v_mov_b32_e32 v26, v20
	v_sub_f32_e32 v25, v23, v25
	v_sub_f32_e32 v25, v21, v25
	v_add_f32_e32 v27, v27, v25
	v_pk_add_f32 v[20:21], v[22:23], v[20:21] neg_lo:[0,1] neg_hi:[0,1]
	v_pk_add_f32 v[28:29], v[22:23], v[26:27]
	v_mov_b32_e32 v25, v22
	v_mov_b32_e32 v21, v29
	v_pk_add_f32 v[30:31], v[24:25], v[20:21] neg_lo:[0,1] neg_hi:[0,1]
	v_pk_add_f32 v[20:21], v[24:25], v[20:21]
	v_mov_b32_e32 v26, v27
	v_mov_b32_e32 v24, v21
	v_pk_add_f32 v[50:51], v[24:25], v[22:23] neg_lo:[0,1] neg_hi:[0,1]
	v_mov_b32_e32 v20, v29
	v_mov_b32_e32 v25, v50
	s_waitcnt lgkmcnt(0)
	v_pk_add_f32 v[54:55], v[28:29], v[24:25] neg_lo:[0,1] neg_hi:[0,1]
	v_mov_b32_e32 v28, v23
	v_mov_b32_e32 v29, v50
	v_mov_b32_e32 v31, v21
	v_pk_add_f32 v[20:21], v[20:21], v[28:29] neg_lo:[0,1] neg_hi:[0,1]
	v_mov_b32_e32 v27, v22
	v_pk_add_f32 v[20:21], v[26:27], v[20:21] neg_lo:[0,1] neg_hi:[0,1]
	v_mov_b32_e32 v54, v30
	v_pk_add_f32 v[22:23], v[54:55], v[20:21]
	s_mov_b32 s2, 0x33800000
	v_mov_b32_e32 v26, v23
	v_pk_add_f32 v[26:27], v[22:23], v[26:27]
	v_cmp_lt_f32_e64 s[2:3], |v33|, s2
	v_pk_add_f32 v[24:25], v[24:25], v[26:27]
	v_mov_b32_e32 v21, v26
	v_mov_b32_e32 v23, v24
	v_pk_add_f32 v[28:29], v[22:23], v[30:31] neg_lo:[0,1] neg_hi:[0,1]
	s_or_b64 vcc, vcc, s[2:3]
	v_sub_f32_e32 v22, v22, v28
	v_pk_add_f32 v[20:21], v[20:21], v[28:29] neg_lo:[0,1] neg_hi:[0,1]
	v_sub_f32_e32 v22, v30, v22
	v_add_f32_e32 v20, v20, v22
	v_add_f32_e32 v20, v20, v21
	;; [unrolled: 1-line block ×3, first 2 shown]
	v_cndmask_b32_e32 v20, v20, v33, vcc
	v_add_f32_e32 v21, v12, v20
.LBB509_164:
	s_or_b64 exec, exec, s[0:1]
	v_bfe_u32 v12, v21, 16, 1
	v_add3_u32 v12, v21, v12, s48
	v_lshrrev_b32_e32 v12, 16, v12
	v_mov_b32_e32 v20, 0x7fc0
	v_cmp_o_f32_e32 vcc, v21, v21
	s_nop 1
	v_cndmask_b32_e32 v12, v20, v12, vcc
	v_lshlrev_b32_e32 v22, 16, v12
	v_max_f32_e32 v21, v22, v22
	v_min_f32_e32 v23, v21, v36
	v_cmp_u_f32_e32 vcc, v22, v22
	v_max_f32_e32 v21, v21, v36
	s_nop 0
	v_cndmask_b32_e32 v23, v23, v22, vcc
	v_cndmask_b32_e32 v21, v21, v22, vcc
	v_cndmask_b32_e64 v23, v23, v32, s[74:75]
	v_cndmask_b32_e64 v21, v21, v32, s[74:75]
	v_cmp_neq_f32_e32 vcc, v23, v21
	v_cmp_class_f32_e64 s[0:1], v23, s33
	s_or_b64 s[2:3], vcc, s[0:1]
	s_and_saveexec_b64 s[0:1], s[2:3]
	s_cbranch_execz .LBB509_166
; %bb.165:
	v_sub_f32_e32 v22, v23, v21
	s_mov_b32 s2, 0x3fb8aa3b
	v_mul_f32_e32 v23, 0x3fb8aa3b, v22
	v_fma_f32 v24, v22, s2, -v23
	v_rndne_f32_e32 v25, v23
	v_fmamk_f32 v24, v22, 0x32a5705f, v24
	v_sub_f32_e32 v23, v23, v25
	v_add_f32_e32 v23, v23, v24
	v_exp_f32_e32 v23, v23
	v_cvt_i32_f32_e32 v24, v25
	s_mov_b32 s2, 0xc2ce8ed0
	v_cmp_ngt_f32_e32 vcc, s2, v22
	s_mov_b32 s2, 0x42b17218
	v_ldexp_f32 v23, v23, v24
	v_cndmask_b32_e32 v23, 0, v23, vcc
	v_mov_b32_e32 v24, 0x7f800000
	v_cmp_nlt_f32_e32 vcc, s2, v22
	s_mov_b32 s2, 0x3f2aaaab
	s_mov_b32 s3, 0x7f800000
	v_cndmask_b32_e32 v34, v24, v23, vcc
	v_add_f32_e32 v24, 1.0, v34
	v_add_f32_e32 v22, -1.0, v24
	v_sub_f32_e32 v23, v22, v24
	v_add_f32_e32 v23, 1.0, v23
	v_sub_f32_e32 v22, v34, v22
	v_add_f32_e32 v25, v22, v23
	v_frexp_mant_f32_e32 v26, v24
	v_cvt_f64_f32_e32 v[22:23], v24
	v_frexp_exp_i32_f64_e32 v22, v[22:23]
	v_cmp_gt_f32_e32 vcc, s2, v26
	s_mov_b32 s2, 0x3f317218
	s_nop 0
	v_subbrev_co_u32_e32 v30, vcc, 0, v22, vcc
	v_sub_u32_e32 v22, 0, v30
	v_ldexp_f32 v23, v24, v22
	v_add_f32_e32 v24, -1.0, v23
	v_add_f32_e32 v26, 1.0, v23
	v_ldexp_f32 v22, v25, v22
	v_add_f32_e32 v25, 1.0, v24
	v_add_f32_e32 v27, -1.0, v26
	v_sub_f32_e32 v25, v23, v25
	v_sub_f32_e32 v23, v23, v27
	v_add_f32_e32 v25, v22, v25
	v_add_f32_e32 v22, v22, v23
	;; [unrolled: 1-line block ×3, first 2 shown]
	v_rcp_f32_e32 v33, v31
	v_sub_f32_e32 v23, v26, v31
	v_add_f32_e32 v32, v22, v23
	v_add_f32_e32 v23, v24, v25
	v_mul_f32_e32 v49, v23, v33
	v_sub_f32_e32 v22, v24, v23
	v_mul_f32_e32 v24, v31, v49
	v_fma_f32 v26, v49, v31, -v24
	v_fmac_f32_e32 v26, v49, v32
	v_add_f32_e32 v36, v25, v22
	v_add_f32_e32 v22, v24, v26
	v_sub_f32_e32 v25, v23, v22
	v_pk_add_f32 v[28:29], v[22:23], v[24:25] neg_lo:[0,1] neg_hi:[0,1]
	v_mov_b32_e32 v27, v22
	v_pk_add_f32 v[22:23], v[28:29], v[26:27] neg_lo:[0,1] neg_hi:[0,1]
	v_cmp_eq_f32_e32 vcc, s3, v34
	v_add_f32_e32 v23, v36, v23
	v_add_f32_e32 v22, v22, v23
	;; [unrolled: 1-line block ×3, first 2 shown]
	v_mul_f32_e32 v36, v33, v23
	v_mul_f32_e32 v24, v31, v36
	v_fma_f32 v26, v36, v31, -v24
	v_fmac_f32_e32 v26, v36, v32
	v_sub_f32_e32 v25, v25, v23
	v_add_f32_e32 v31, v22, v25
	v_add_f32_e32 v22, v24, v26
	v_sub_f32_e32 v25, v23, v22
	v_pk_add_f32 v[28:29], v[22:23], v[24:25] neg_lo:[0,1] neg_hi:[0,1]
	v_mov_b32_e32 v27, v22
	v_pk_add_f32 v[22:23], v[28:29], v[26:27] neg_lo:[0,1] neg_hi:[0,1]
	v_cvt_f32_i32_e32 v24, v30
	v_add_f32_e32 v23, v31, v23
	v_add_f32_e32 v22, v22, v23
	v_add_f32_e32 v22, v25, v22
	v_add_f32_e32 v25, v49, v36
	v_sub_f32_e32 v23, v25, v49
	v_mul_f32_e32 v22, v33, v22
	v_sub_f32_e32 v23, v36, v23
	v_add_f32_e32 v22, v23, v22
	v_add_f32_e32 v26, v25, v22
	v_mul_f32_e32 v28, v26, v26
	v_mov_b32_e32 v23, 0x3ecc95a3
	v_sub_f32_e32 v25, v26, v25
	v_fmac_f32_e32 v23, 0x3e9b6dac, v28
	v_sub_f32_e32 v22, v22, v25
	v_fmaak_f32 v23, v28, v23, 0x3f2aaada
	v_ldexp_f32 v29, v22, 1
	v_mul_f32_e32 v25, v26, v28
	v_mov_b32_e32 v22, 0x3f317218
	v_pk_mul_f32 v[22:23], v[24:25], v[22:23]
	v_ldexp_f32 v27, v26, 1
	v_fma_f32 v25, v24, s2, -v22
	v_fmamk_f32 v26, v24, 0xb102e308, v25
	v_pk_add_f32 v[24:25], v[22:23], v[26:27]
	v_mov_b32_e32 v28, v22
	v_sub_f32_e32 v27, v25, v27
	v_sub_f32_e32 v27, v23, v27
	v_add_f32_e32 v29, v29, v27
	v_pk_add_f32 v[22:23], v[24:25], v[22:23] neg_lo:[0,1] neg_hi:[0,1]
	v_pk_add_f32 v[30:31], v[24:25], v[28:29]
	v_mov_b32_e32 v27, v24
	v_mov_b32_e32 v23, v31
	v_pk_add_f32 v[32:33], v[26:27], v[22:23] neg_lo:[0,1] neg_hi:[0,1]
	v_pk_add_f32 v[22:23], v[26:27], v[22:23]
	v_mov_b32_e32 v28, v29
	v_mov_b32_e32 v26, v23
	v_pk_add_f32 v[50:51], v[26:27], v[24:25] neg_lo:[0,1] neg_hi:[0,1]
	v_mov_b32_e32 v22, v31
	v_mov_b32_e32 v27, v50
	s_waitcnt lgkmcnt(0)
	v_pk_add_f32 v[54:55], v[30:31], v[26:27] neg_lo:[0,1] neg_hi:[0,1]
	v_mov_b32_e32 v30, v25
	v_mov_b32_e32 v31, v50
	;; [unrolled: 1-line block ×3, first 2 shown]
	v_pk_add_f32 v[22:23], v[22:23], v[30:31] neg_lo:[0,1] neg_hi:[0,1]
	v_mov_b32_e32 v29, v24
	v_pk_add_f32 v[22:23], v[28:29], v[22:23] neg_lo:[0,1] neg_hi:[0,1]
	v_mov_b32_e32 v54, v32
	v_pk_add_f32 v[24:25], v[54:55], v[22:23]
	s_mov_b32 s2, 0x33800000
	v_mov_b32_e32 v28, v25
	v_pk_add_f32 v[28:29], v[24:25], v[28:29]
	v_cmp_lt_f32_e64 s[2:3], |v34|, s2
	v_pk_add_f32 v[26:27], v[26:27], v[28:29]
	v_mov_b32_e32 v23, v28
	v_mov_b32_e32 v25, v26
	v_pk_add_f32 v[30:31], v[24:25], v[32:33] neg_lo:[0,1] neg_hi:[0,1]
	s_or_b64 vcc, vcc, s[2:3]
	v_sub_f32_e32 v24, v24, v30
	v_pk_add_f32 v[22:23], v[22:23], v[30:31] neg_lo:[0,1] neg_hi:[0,1]
	v_sub_f32_e32 v24, v32, v24
	v_add_f32_e32 v22, v22, v24
	v_add_f32_e32 v22, v22, v23
	;; [unrolled: 1-line block ×3, first 2 shown]
	v_cndmask_b32_e32 v22, v22, v34, vcc
	v_add_f32_e32 v22, v21, v22
.LBB509_166:
	s_or_b64 exec, exec, s[0:1]
	v_bfe_u32 v21, v22, 16, 1
	v_add3_u32 v21, v22, v21, s48
	v_lshrrev_b32_e32 v21, 16, v21
	v_cmp_o_f32_e32 vcc, v22, v22
	s_nop 1
	v_cndmask_b32_e32 v20, v20, v21, vcc
	v_lshlrev_b32_e32 v22, 16, v20
	v_max_f32_e32 v23, v22, v22
	v_min_f32_e32 v21, v23, v37
	v_cmp_u_f32_e32 vcc, v22, v22
	v_max_f32_e32 v23, v23, v37
	s_nop 0
	v_cndmask_b32_e32 v21, v21, v22, vcc
	v_cndmask_b32_e32 v23, v23, v22, vcc
	v_cndmask_b32_e64 v21, v21, v13, s[76:77]
	v_cndmask_b32_e64 v13, v23, v13, s[76:77]
	v_cmp_neq_f32_e32 vcc, v21, v13
	v_cmp_class_f32_e64 s[0:1], v21, s33
	s_or_b64 s[2:3], vcc, s[0:1]
	s_and_saveexec_b64 s[0:1], s[2:3]
	s_cbranch_execz .LBB509_168
; %bb.167:
	v_sub_f32_e32 v21, v21, v13
	s_mov_b32 s2, 0x3fb8aa3b
	v_mul_f32_e32 v22, 0x3fb8aa3b, v21
	v_fma_f32 v23, v21, s2, -v22
	v_rndne_f32_e32 v24, v22
	v_fmamk_f32 v23, v21, 0x32a5705f, v23
	v_sub_f32_e32 v22, v22, v24
	v_add_f32_e32 v22, v22, v23
	v_exp_f32_e32 v22, v22
	v_cvt_i32_f32_e32 v23, v24
	s_mov_b32 s2, 0xc2ce8ed0
	v_cmp_ngt_f32_e32 vcc, s2, v21
	s_mov_b32 s2, 0x42b17218
	v_ldexp_f32 v22, v22, v23
	v_cndmask_b32_e32 v22, 0, v22, vcc
	v_mov_b32_e32 v23, 0x7f800000
	v_cmp_nlt_f32_e32 vcc, s2, v21
	s_mov_b32 s2, 0x3f2aaaab
	s_mov_b32 s3, 0x7f800000
	v_cndmask_b32_e32 v34, v23, v22, vcc
	v_add_f32_e32 v21, 1.0, v34
	v_add_f32_e32 v22, -1.0, v21
	v_sub_f32_e32 v23, v22, v21
	v_add_f32_e32 v23, 1.0, v23
	v_sub_f32_e32 v22, v34, v22
	v_add_f32_e32 v24, v22, v23
	v_frexp_mant_f32_e32 v25, v21
	v_cvt_f64_f32_e32 v[22:23], v21
	v_frexp_exp_i32_f64_e32 v22, v[22:23]
	v_cmp_gt_f32_e32 vcc, s2, v25
	s_mov_b32 s2, 0x3f317218
	s_nop 0
	v_subbrev_co_u32_e32 v30, vcc, 0, v22, vcc
	v_sub_u32_e32 v22, 0, v30
	v_ldexp_f32 v21, v21, v22
	v_ldexp_f32 v22, v24, v22
	v_add_f32_e32 v24, -1.0, v21
	v_add_f32_e32 v23, 1.0, v24
	v_sub_f32_e32 v23, v21, v23
	v_add_f32_e32 v25, v22, v23
	v_add_f32_e32 v23, 1.0, v21
	v_add_f32_e32 v26, -1.0, v23
	v_sub_f32_e32 v21, v21, v26
	v_add_f32_e32 v21, v22, v21
	v_add_f32_e32 v31, v23, v21
	v_rcp_f32_e32 v32, v31
	v_sub_f32_e32 v22, v23, v31
	v_add_f32_e32 v23, v24, v25
	v_add_f32_e32 v21, v21, v22
	v_mul_f32_e32 v36, v23, v32
	v_sub_f32_e32 v22, v24, v23
	v_mul_f32_e32 v24, v31, v36
	v_fma_f32 v26, v36, v31, -v24
	v_fmac_f32_e32 v26, v36, v21
	v_add_f32_e32 v33, v25, v22
	v_add_f32_e32 v22, v24, v26
	v_sub_f32_e32 v25, v23, v22
	v_pk_add_f32 v[28:29], v[22:23], v[24:25] neg_lo:[0,1] neg_hi:[0,1]
	v_mov_b32_e32 v27, v22
	v_pk_add_f32 v[22:23], v[28:29], v[26:27] neg_lo:[0,1] neg_hi:[0,1]
	v_cmp_eq_f32_e32 vcc, s3, v34
	v_add_f32_e32 v23, v33, v23
	v_add_f32_e32 v22, v22, v23
	;; [unrolled: 1-line block ×3, first 2 shown]
	v_mul_f32_e32 v33, v32, v23
	v_mul_f32_e32 v24, v31, v33
	v_fma_f32 v26, v33, v31, -v24
	v_fmac_f32_e32 v26, v33, v21
	v_sub_f32_e32 v21, v25, v23
	v_add_f32_e32 v21, v22, v21
	v_add_f32_e32 v22, v24, v26
	v_sub_f32_e32 v25, v23, v22
	v_pk_add_f32 v[28:29], v[22:23], v[24:25] neg_lo:[0,1] neg_hi:[0,1]
	v_mov_b32_e32 v27, v22
	v_pk_add_f32 v[22:23], v[28:29], v[26:27] neg_lo:[0,1] neg_hi:[0,1]
	v_cvt_f32_i32_e32 v24, v30
	v_add_f32_e32 v21, v21, v23
	v_add_f32_e32 v21, v22, v21
	;; [unrolled: 1-line block ×4, first 2 shown]
	v_sub_f32_e32 v23, v22, v36
	v_mul_f32_e32 v21, v32, v21
	v_sub_f32_e32 v23, v33, v23
	v_add_f32_e32 v21, v23, v21
	v_add_f32_e32 v25, v22, v21
	v_mul_f32_e32 v26, v25, v25
	v_mov_b32_e32 v23, 0x3ecc95a3
	v_fmac_f32_e32 v23, 0x3e9b6dac, v26
	v_sub_f32_e32 v22, v25, v22
	v_fmaak_f32 v23, v26, v23, 0x3f2aaada
	v_sub_f32_e32 v21, v21, v22
	v_ldexp_f32 v27, v25, 1
	v_mul_f32_e32 v25, v25, v26
	v_mov_b32_e32 v22, 0x3f317218
	v_pk_mul_f32 v[22:23], v[24:25], v[22:23]
	v_ldexp_f32 v21, v21, 1
	v_fma_f32 v25, v24, s2, -v22
	v_fmamk_f32 v26, v24, 0xb102e308, v25
	v_pk_add_f32 v[24:25], v[22:23], v[26:27]
	v_mov_b32_e32 v28, v22
	v_sub_f32_e32 v27, v25, v27
	v_sub_f32_e32 v27, v23, v27
	v_add_f32_e32 v29, v21, v27
	v_pk_add_f32 v[22:23], v[24:25], v[22:23] neg_lo:[0,1] neg_hi:[0,1]
	v_pk_add_f32 v[30:31], v[24:25], v[28:29]
	v_mov_b32_e32 v27, v24
	v_mov_b32_e32 v23, v31
	v_pk_add_f32 v[32:33], v[26:27], v[22:23] neg_lo:[0,1] neg_hi:[0,1]
	v_pk_add_f32 v[22:23], v[26:27], v[22:23]
	v_mov_b32_e32 v28, v29
	v_mov_b32_e32 v26, v23
	v_pk_add_f32 v[36:37], v[26:27], v[24:25] neg_lo:[0,1] neg_hi:[0,1]
	v_mov_b32_e32 v22, v31
	v_mov_b32_e32 v21, v36
	v_pk_add_f32 v[50:51], v[30:31], v[20:21] neg_lo:[0,1] neg_hi:[0,1]
	v_mov_b32_e32 v30, v25
	v_mov_b32_e32 v31, v36
	;; [unrolled: 1-line block ×3, first 2 shown]
	v_pk_add_f32 v[22:23], v[22:23], v[30:31] neg_lo:[0,1] neg_hi:[0,1]
	v_mov_b32_e32 v29, v24
	v_pk_add_f32 v[22:23], v[28:29], v[22:23] neg_lo:[0,1] neg_hi:[0,1]
	v_mov_b32_e32 v50, v32
	v_pk_add_f32 v[24:25], v[50:51], v[22:23]
	s_mov_b32 s2, 0x33800000
	v_mov_b32_e32 v28, v25
	v_pk_add_f32 v[28:29], v[24:25], v[28:29]
	v_cmp_lt_f32_e64 s[2:3], |v34|, s2
	v_pk_add_f32 v[26:27], v[26:27], v[28:29]
	v_mov_b32_e32 v23, v28
	v_mov_b32_e32 v25, v26
	v_pk_add_f32 v[30:31], v[24:25], v[32:33] neg_lo:[0,1] neg_hi:[0,1]
	s_or_b64 vcc, vcc, s[2:3]
	v_sub_f32_e32 v21, v24, v30
	v_pk_add_f32 v[22:23], v[22:23], v[30:31] neg_lo:[0,1] neg_hi:[0,1]
	v_sub_f32_e32 v21, v32, v21
	v_add_f32_e32 v21, v22, v21
	v_add_f32_e32 v21, v21, v23
	;; [unrolled: 1-line block ×3, first 2 shown]
	v_cndmask_b32_e32 v21, v21, v34, vcc
	v_add_f32_e32 v22, v13, v21
.LBB509_168:
	s_or_b64 exec, exec, s[0:1]
	v_bfe_u32 v13, v22, 16, 1
	v_add3_u32 v13, v22, v13, s48
	v_lshrrev_b32_e32 v13, 16, v13
	v_mov_b32_e32 v21, 0x7fc0
	v_cmp_o_f32_e32 vcc, v22, v22
	s_nop 1
	v_cndmask_b32_e32 v13, v21, v13, vcc
	v_lshlrev_b32_e32 v23, 16, v13
	v_max_f32_e32 v22, v23, v23
	v_min_f32_e32 v24, v22, v39
	v_cmp_u_f32_e32 vcc, v23, v23
	v_max_f32_e32 v22, v22, v39
	s_nop 0
	v_cndmask_b32_e32 v24, v24, v23, vcc
	v_cndmask_b32_e32 v22, v22, v23, vcc
	v_cndmask_b32_e64 v24, v24, v35, s[78:79]
	v_cndmask_b32_e64 v22, v22, v35, s[78:79]
	v_cmp_neq_f32_e32 vcc, v24, v22
	v_cmp_class_f32_e64 s[0:1], v24, s33
	s_or_b64 s[2:3], vcc, s[0:1]
	s_and_saveexec_b64 s[0:1], s[2:3]
	s_cbranch_execz .LBB509_170
; %bb.169:
	v_sub_f32_e32 v23, v24, v22
	s_mov_b32 s2, 0x3fb8aa3b
	v_mul_f32_e32 v24, 0x3fb8aa3b, v23
	v_fma_f32 v25, v23, s2, -v24
	v_rndne_f32_e32 v26, v24
	v_fmamk_f32 v25, v23, 0x32a5705f, v25
	v_sub_f32_e32 v24, v24, v26
	v_add_f32_e32 v24, v24, v25
	v_exp_f32_e32 v24, v24
	v_cvt_i32_f32_e32 v25, v26
	s_mov_b32 s2, 0xc2ce8ed0
	v_cmp_ngt_f32_e32 vcc, s2, v23
	s_mov_b32 s2, 0x42b17218
	v_ldexp_f32 v24, v24, v25
	v_cndmask_b32_e32 v24, 0, v24, vcc
	v_mov_b32_e32 v25, 0x7f800000
	v_cmp_nlt_f32_e32 vcc, s2, v23
	s_mov_b32 s2, 0x3f2aaaab
	s_mov_b32 s3, 0x7f800000
	v_cndmask_b32_e32 v39, v25, v24, vcc
	v_add_f32_e32 v23, 1.0, v39
	v_add_f32_e32 v24, -1.0, v23
	v_sub_f32_e32 v25, v24, v23
	v_add_f32_e32 v25, 1.0, v25
	v_sub_f32_e32 v24, v39, v24
	v_add_f32_e32 v26, v24, v25
	v_frexp_mant_f32_e32 v27, v23
	v_cvt_f64_f32_e32 v[24:25], v23
	v_frexp_exp_i32_f64_e32 v24, v[24:25]
	v_cmp_gt_f32_e32 vcc, s2, v27
	s_mov_b32 s2, 0x3f317218
	s_nop 0
	v_subbrev_co_u32_e32 v32, vcc, 0, v24, vcc
	v_sub_u32_e32 v24, 0, v32
	v_ldexp_f32 v23, v23, v24
	v_ldexp_f32 v24, v26, v24
	v_add_f32_e32 v26, -1.0, v23
	v_add_f32_e32 v25, 1.0, v26
	v_sub_f32_e32 v25, v23, v25
	v_add_f32_e32 v27, v24, v25
	v_add_f32_e32 v25, 1.0, v23
	v_add_f32_e32 v28, -1.0, v25
	v_sub_f32_e32 v23, v23, v28
	v_add_f32_e32 v23, v24, v23
	v_add_f32_e32 v33, v25, v23
	v_rcp_f32_e32 v34, v33
	v_sub_f32_e32 v24, v25, v33
	v_add_f32_e32 v25, v26, v27
	v_add_f32_e32 v23, v23, v24
	v_mul_f32_e32 v36, v25, v34
	v_sub_f32_e32 v24, v26, v25
	v_mul_f32_e32 v26, v33, v36
	v_fma_f32 v28, v36, v33, -v26
	v_fmac_f32_e32 v28, v36, v23
	v_add_f32_e32 v35, v27, v24
	v_add_f32_e32 v24, v26, v28
	v_sub_f32_e32 v27, v25, v24
	v_pk_add_f32 v[30:31], v[24:25], v[26:27] neg_lo:[0,1] neg_hi:[0,1]
	v_mov_b32_e32 v29, v24
	v_pk_add_f32 v[24:25], v[30:31], v[28:29] neg_lo:[0,1] neg_hi:[0,1]
	v_cmp_eq_f32_e32 vcc, s3, v39
	v_add_f32_e32 v25, v35, v25
	v_add_f32_e32 v24, v24, v25
	;; [unrolled: 1-line block ×3, first 2 shown]
	v_mul_f32_e32 v35, v34, v25
	v_mul_f32_e32 v26, v33, v35
	v_fma_f32 v28, v35, v33, -v26
	v_fmac_f32_e32 v28, v35, v23
	v_sub_f32_e32 v23, v27, v25
	v_add_f32_e32 v23, v24, v23
	v_add_f32_e32 v24, v26, v28
	v_sub_f32_e32 v27, v25, v24
	v_pk_add_f32 v[30:31], v[24:25], v[26:27] neg_lo:[0,1] neg_hi:[0,1]
	v_mov_b32_e32 v29, v24
	v_pk_add_f32 v[24:25], v[30:31], v[28:29] neg_lo:[0,1] neg_hi:[0,1]
	v_cvt_f32_i32_e32 v26, v32
	v_add_f32_e32 v23, v23, v25
	v_add_f32_e32 v23, v24, v23
	;; [unrolled: 1-line block ×4, first 2 shown]
	v_sub_f32_e32 v25, v24, v36
	v_mul_f32_e32 v23, v34, v23
	v_sub_f32_e32 v25, v35, v25
	v_add_f32_e32 v23, v25, v23
	v_add_f32_e32 v27, v24, v23
	v_mul_f32_e32 v28, v27, v27
	v_mov_b32_e32 v25, 0x3ecc95a3
	v_fmac_f32_e32 v25, 0x3e9b6dac, v28
	v_sub_f32_e32 v24, v27, v24
	v_fmaak_f32 v25, v28, v25, 0x3f2aaada
	v_sub_f32_e32 v23, v23, v24
	v_ldexp_f32 v29, v27, 1
	v_mul_f32_e32 v27, v27, v28
	v_mov_b32_e32 v24, 0x3f317218
	v_pk_mul_f32 v[24:25], v[26:27], v[24:25]
	v_ldexp_f32 v23, v23, 1
	v_fma_f32 v27, v26, s2, -v24
	v_fmamk_f32 v28, v26, 0xb102e308, v27
	v_pk_add_f32 v[26:27], v[24:25], v[28:29]
	v_mov_b32_e32 v30, v24
	v_sub_f32_e32 v29, v27, v29
	v_sub_f32_e32 v29, v25, v29
	v_add_f32_e32 v31, v23, v29
	v_pk_add_f32 v[24:25], v[26:27], v[24:25] neg_lo:[0,1] neg_hi:[0,1]
	v_pk_add_f32 v[32:33], v[26:27], v[30:31]
	v_mov_b32_e32 v29, v26
	v_mov_b32_e32 v25, v33
	v_pk_add_f32 v[34:35], v[28:29], v[24:25] neg_lo:[0,1] neg_hi:[0,1]
	v_pk_add_f32 v[24:25], v[28:29], v[24:25]
	v_mov_b32_e32 v30, v31
	v_mov_b32_e32 v28, v25
	v_pk_add_f32 v[36:37], v[28:29], v[26:27] neg_lo:[0,1] neg_hi:[0,1]
	v_mov_b32_e32 v24, v33
	v_mov_b32_e32 v23, v36
	v_pk_add_f32 v[50:51], v[32:33], v[22:23] neg_lo:[0,1] neg_hi:[0,1]
	v_mov_b32_e32 v32, v27
	v_mov_b32_e32 v33, v36
	;; [unrolled: 1-line block ×3, first 2 shown]
	v_pk_add_f32 v[24:25], v[24:25], v[32:33] neg_lo:[0,1] neg_hi:[0,1]
	v_mov_b32_e32 v31, v26
	v_pk_add_f32 v[24:25], v[30:31], v[24:25] neg_lo:[0,1] neg_hi:[0,1]
	v_mov_b32_e32 v50, v34
	v_pk_add_f32 v[26:27], v[50:51], v[24:25]
	s_mov_b32 s2, 0x33800000
	v_mov_b32_e32 v30, v27
	v_pk_add_f32 v[30:31], v[26:27], v[30:31]
	v_cmp_lt_f32_e64 s[2:3], |v39|, s2
	v_pk_add_f32 v[28:29], v[28:29], v[30:31]
	v_mov_b32_e32 v25, v30
	v_mov_b32_e32 v27, v28
	v_pk_add_f32 v[32:33], v[26:27], v[34:35] neg_lo:[0,1] neg_hi:[0,1]
	s_or_b64 vcc, vcc, s[2:3]
	v_sub_f32_e32 v23, v26, v32
	v_pk_add_f32 v[24:25], v[24:25], v[32:33] neg_lo:[0,1] neg_hi:[0,1]
	v_sub_f32_e32 v23, v34, v23
	v_add_f32_e32 v23, v24, v23
	v_add_f32_e32 v23, v23, v25
	;; [unrolled: 1-line block ×3, first 2 shown]
	v_cndmask_b32_e32 v23, v23, v39, vcc
	v_add_f32_e32 v23, v22, v23
.LBB509_170:
	s_or_b64 exec, exec, s[0:1]
	v_bfe_u32 v22, v23, 16, 1
	v_add3_u32 v22, v23, v22, s48
	v_lshrrev_b32_e32 v22, 16, v22
	v_cmp_o_f32_e32 vcc, v23, v23
	s_nop 1
	v_cndmask_b32_e32 v21, v21, v22, vcc
	v_lshlrev_b32_e32 v23, 16, v21
	v_max_f32_e32 v24, v23, v23
	v_min_f32_e32 v22, v24, v40
	v_cmp_u_f32_e32 vcc, v23, v23
	v_max_f32_e32 v24, v24, v40
	s_nop 0
	v_cndmask_b32_e32 v22, v22, v23, vcc
	v_cndmask_b32_e32 v24, v24, v23, vcc
	v_cndmask_b32_e64 v22, v22, v6, s[80:81]
	v_cndmask_b32_e64 v6, v24, v6, s[80:81]
	v_cmp_neq_f32_e32 vcc, v22, v6
	v_cmp_class_f32_e64 s[0:1], v22, s33
	s_or_b64 s[2:3], vcc, s[0:1]
	s_and_saveexec_b64 s[0:1], s[2:3]
	s_cbranch_execz .LBB509_172
; %bb.171:
	v_sub_f32_e32 v22, v22, v6
	s_mov_b32 s2, 0x3fb8aa3b
	v_mul_f32_e32 v23, 0x3fb8aa3b, v22
	v_fma_f32 v24, v22, s2, -v23
	v_rndne_f32_e32 v25, v23
	v_fmamk_f32 v24, v22, 0x32a5705f, v24
	v_sub_f32_e32 v23, v23, v25
	v_add_f32_e32 v23, v23, v24
	v_exp_f32_e32 v23, v23
	v_cvt_i32_f32_e32 v24, v25
	s_mov_b32 s2, 0xc2ce8ed0
	v_cmp_ngt_f32_e32 vcc, s2, v22
	s_mov_b32 s2, 0x42b17218
	v_ldexp_f32 v23, v23, v24
	v_cndmask_b32_e32 v23, 0, v23, vcc
	v_mov_b32_e32 v24, 0x7f800000
	v_cmp_nlt_f32_e32 vcc, s2, v22
	s_mov_b32 s2, 0x3f2aaaab
	s_mov_b32 s3, 0x7f800000
	v_cndmask_b32_e32 v39, v24, v23, vcc
	v_add_f32_e32 v24, 1.0, v39
	v_add_f32_e32 v22, -1.0, v24
	v_sub_f32_e32 v23, v22, v24
	v_add_f32_e32 v23, 1.0, v23
	v_sub_f32_e32 v22, v39, v22
	v_add_f32_e32 v25, v22, v23
	v_frexp_mant_f32_e32 v26, v24
	v_cvt_f64_f32_e32 v[22:23], v24
	v_frexp_exp_i32_f64_e32 v22, v[22:23]
	v_cmp_gt_f32_e32 vcc, s2, v26
	s_mov_b32 s2, 0x3f317218
	s_nop 0
	v_subbrev_co_u32_e32 v30, vcc, 0, v22, vcc
	v_sub_u32_e32 v22, 0, v30
	v_ldexp_f32 v23, v24, v22
	v_add_f32_e32 v24, -1.0, v23
	v_add_f32_e32 v26, 1.0, v23
	v_ldexp_f32 v22, v25, v22
	v_add_f32_e32 v25, 1.0, v24
	v_add_f32_e32 v27, -1.0, v26
	v_sub_f32_e32 v25, v23, v25
	v_sub_f32_e32 v23, v23, v27
	v_add_f32_e32 v25, v22, v25
	v_add_f32_e32 v22, v22, v23
	;; [unrolled: 1-line block ×3, first 2 shown]
	v_rcp_f32_e32 v33, v31
	v_sub_f32_e32 v23, v26, v31
	v_add_f32_e32 v32, v22, v23
	v_add_f32_e32 v23, v24, v25
	v_mul_f32_e32 v35, v23, v33
	v_sub_f32_e32 v22, v24, v23
	v_mul_f32_e32 v24, v31, v35
	v_fma_f32 v26, v35, v31, -v24
	v_fmac_f32_e32 v26, v35, v32
	v_add_f32_e32 v34, v25, v22
	v_add_f32_e32 v22, v24, v26
	v_sub_f32_e32 v25, v23, v22
	v_pk_add_f32 v[28:29], v[22:23], v[24:25] neg_lo:[0,1] neg_hi:[0,1]
	v_mov_b32_e32 v27, v22
	v_pk_add_f32 v[22:23], v[28:29], v[26:27] neg_lo:[0,1] neg_hi:[0,1]
	v_cmp_eq_f32_e32 vcc, s3, v39
	v_add_f32_e32 v23, v34, v23
	v_add_f32_e32 v22, v22, v23
	;; [unrolled: 1-line block ×3, first 2 shown]
	v_mul_f32_e32 v34, v33, v23
	v_mul_f32_e32 v24, v31, v34
	v_fma_f32 v26, v34, v31, -v24
	v_fmac_f32_e32 v26, v34, v32
	v_sub_f32_e32 v25, v25, v23
	v_add_f32_e32 v31, v22, v25
	v_add_f32_e32 v22, v24, v26
	v_sub_f32_e32 v25, v23, v22
	v_pk_add_f32 v[28:29], v[22:23], v[24:25] neg_lo:[0,1] neg_hi:[0,1]
	v_mov_b32_e32 v27, v22
	v_pk_add_f32 v[22:23], v[28:29], v[26:27] neg_lo:[0,1] neg_hi:[0,1]
	v_cvt_f32_i32_e32 v24, v30
	v_add_f32_e32 v23, v31, v23
	v_add_f32_e32 v22, v22, v23
	;; [unrolled: 1-line block ×4, first 2 shown]
	v_sub_f32_e32 v23, v25, v35
	v_mul_f32_e32 v22, v33, v22
	v_sub_f32_e32 v23, v34, v23
	v_add_f32_e32 v22, v23, v22
	v_add_f32_e32 v26, v25, v22
	v_mul_f32_e32 v28, v26, v26
	v_mov_b32_e32 v23, 0x3ecc95a3
	v_sub_f32_e32 v25, v26, v25
	v_fmac_f32_e32 v23, 0x3e9b6dac, v28
	v_sub_f32_e32 v22, v22, v25
	v_fmaak_f32 v23, v28, v23, 0x3f2aaada
	v_ldexp_f32 v29, v22, 1
	v_mul_f32_e32 v25, v26, v28
	v_mov_b32_e32 v22, 0x3f317218
	v_pk_mul_f32 v[22:23], v[24:25], v[22:23]
	v_ldexp_f32 v27, v26, 1
	v_fma_f32 v25, v24, s2, -v22
	v_fmamk_f32 v26, v24, 0xb102e308, v25
	v_pk_add_f32 v[24:25], v[22:23], v[26:27]
	v_mov_b32_e32 v28, v22
	v_sub_f32_e32 v27, v25, v27
	v_sub_f32_e32 v27, v23, v27
	v_add_f32_e32 v29, v29, v27
	v_pk_add_f32 v[22:23], v[24:25], v[22:23] neg_lo:[0,1] neg_hi:[0,1]
	v_pk_add_f32 v[30:31], v[24:25], v[28:29]
	v_mov_b32_e32 v27, v24
	v_mov_b32_e32 v23, v31
	v_pk_add_f32 v[32:33], v[26:27], v[22:23] neg_lo:[0,1] neg_hi:[0,1]
	v_pk_add_f32 v[22:23], v[26:27], v[22:23]
	v_mov_b32_e32 v28, v29
	v_mov_b32_e32 v26, v23
	v_pk_add_f32 v[34:35], v[26:27], v[24:25] neg_lo:[0,1] neg_hi:[0,1]
	v_mov_b32_e32 v22, v31
	v_mov_b32_e32 v27, v34
	v_pk_add_f32 v[36:37], v[30:31], v[26:27] neg_lo:[0,1] neg_hi:[0,1]
	v_mov_b32_e32 v30, v25
	v_mov_b32_e32 v31, v34
	;; [unrolled: 1-line block ×3, first 2 shown]
	v_pk_add_f32 v[22:23], v[22:23], v[30:31] neg_lo:[0,1] neg_hi:[0,1]
	v_mov_b32_e32 v29, v24
	v_pk_add_f32 v[22:23], v[28:29], v[22:23] neg_lo:[0,1] neg_hi:[0,1]
	v_mov_b32_e32 v36, v32
	v_pk_add_f32 v[24:25], v[36:37], v[22:23]
	s_mov_b32 s2, 0x33800000
	v_mov_b32_e32 v28, v25
	v_pk_add_f32 v[28:29], v[24:25], v[28:29]
	v_cmp_lt_f32_e64 s[2:3], |v39|, s2
	v_pk_add_f32 v[26:27], v[26:27], v[28:29]
	v_mov_b32_e32 v23, v28
	v_mov_b32_e32 v25, v26
	v_pk_add_f32 v[30:31], v[24:25], v[32:33] neg_lo:[0,1] neg_hi:[0,1]
	s_or_b64 vcc, vcc, s[2:3]
	v_sub_f32_e32 v24, v24, v30
	v_pk_add_f32 v[22:23], v[22:23], v[30:31] neg_lo:[0,1] neg_hi:[0,1]
	v_sub_f32_e32 v24, v32, v24
	v_add_f32_e32 v22, v22, v24
	v_add_f32_e32 v22, v22, v23
	;; [unrolled: 1-line block ×3, first 2 shown]
	v_cndmask_b32_e32 v22, v22, v39, vcc
	v_add_f32_e32 v23, v6, v22
.LBB509_172:
	s_or_b64 exec, exec, s[0:1]
	v_bfe_u32 v6, v23, 16, 1
	v_add3_u32 v6, v23, v6, s48
	v_lshrrev_b32_e32 v6, 16, v6
	v_mov_b32_e32 v22, 0x7fc0
	v_cmp_o_f32_e32 vcc, v23, v23
	s_nop 1
	v_cndmask_b32_e32 v6, v22, v6, vcc
	v_lshlrev_b32_e32 v24, 16, v6
	v_max_f32_e32 v23, v24, v24
	v_min_f32_e32 v25, v23, v42
	v_cmp_u_f32_e32 vcc, v24, v24
	v_max_f32_e32 v23, v23, v42
	s_nop 0
	v_cndmask_b32_e32 v25, v25, v24, vcc
	v_cndmask_b32_e32 v23, v23, v24, vcc
	v_cndmask_b32_e64 v25, v25, v38, s[82:83]
	v_cndmask_b32_e64 v23, v23, v38, s[82:83]
	v_cmp_neq_f32_e32 vcc, v25, v23
	v_cmp_class_f32_e64 s[0:1], v25, s33
	s_or_b64 s[2:3], vcc, s[0:1]
	s_and_saveexec_b64 s[0:1], s[2:3]
	s_cbranch_execz .LBB509_174
; %bb.173:
	v_sub_f32_e32 v24, v25, v23
	s_mov_b32 s2, 0x3fb8aa3b
	v_mul_f32_e32 v25, 0x3fb8aa3b, v24
	v_fma_f32 v26, v24, s2, -v25
	v_rndne_f32_e32 v27, v25
	v_fmamk_f32 v26, v24, 0x32a5705f, v26
	v_sub_f32_e32 v25, v25, v27
	v_add_f32_e32 v25, v25, v26
	v_exp_f32_e32 v25, v25
	v_cvt_i32_f32_e32 v26, v27
	s_mov_b32 s2, 0xc2ce8ed0
	v_cmp_ngt_f32_e32 vcc, s2, v24
	s_mov_b32 s2, 0x42b17218
	v_ldexp_f32 v25, v25, v26
	v_cndmask_b32_e32 v25, 0, v25, vcc
	v_mov_b32_e32 v26, 0x7f800000
	v_cmp_nlt_f32_e32 vcc, s2, v24
	s_mov_b32 s2, 0x3f2aaaab
	s_mov_b32 s3, 0x7f800000
	v_cndmask_b32_e32 v40, v26, v25, vcc
	v_add_f32_e32 v26, 1.0, v40
	v_add_f32_e32 v24, -1.0, v26
	v_sub_f32_e32 v25, v24, v26
	v_add_f32_e32 v25, 1.0, v25
	v_sub_f32_e32 v24, v40, v24
	v_add_f32_e32 v27, v24, v25
	v_frexp_mant_f32_e32 v28, v26
	v_cvt_f64_f32_e32 v[24:25], v26
	v_frexp_exp_i32_f64_e32 v24, v[24:25]
	v_cmp_gt_f32_e32 vcc, s2, v28
	s_mov_b32 s2, 0x3f317218
	s_nop 0
	v_subbrev_co_u32_e32 v32, vcc, 0, v24, vcc
	v_sub_u32_e32 v24, 0, v32
	v_ldexp_f32 v25, v26, v24
	v_add_f32_e32 v26, -1.0, v25
	v_add_f32_e32 v28, 1.0, v25
	v_ldexp_f32 v24, v27, v24
	v_add_f32_e32 v27, 1.0, v26
	v_add_f32_e32 v29, -1.0, v28
	v_sub_f32_e32 v27, v25, v27
	v_sub_f32_e32 v25, v25, v29
	v_add_f32_e32 v27, v24, v27
	v_add_f32_e32 v24, v24, v25
	;; [unrolled: 1-line block ×3, first 2 shown]
	v_rcp_f32_e32 v35, v33
	v_sub_f32_e32 v25, v28, v33
	v_add_f32_e32 v34, v24, v25
	v_add_f32_e32 v25, v26, v27
	v_mul_f32_e32 v37, v25, v35
	v_sub_f32_e32 v24, v26, v25
	v_mul_f32_e32 v26, v33, v37
	v_fma_f32 v28, v37, v33, -v26
	v_fmac_f32_e32 v28, v37, v34
	v_add_f32_e32 v36, v27, v24
	v_add_f32_e32 v24, v26, v28
	v_sub_f32_e32 v27, v25, v24
	v_pk_add_f32 v[30:31], v[24:25], v[26:27] neg_lo:[0,1] neg_hi:[0,1]
	v_mov_b32_e32 v29, v24
	v_pk_add_f32 v[24:25], v[30:31], v[28:29] neg_lo:[0,1] neg_hi:[0,1]
	v_cmp_eq_f32_e32 vcc, s3, v40
	v_add_f32_e32 v25, v36, v25
	v_add_f32_e32 v24, v24, v25
	;; [unrolled: 1-line block ×3, first 2 shown]
	v_mul_f32_e32 v36, v35, v25
	v_mul_f32_e32 v26, v33, v36
	v_fma_f32 v28, v36, v33, -v26
	v_fmac_f32_e32 v28, v36, v34
	v_sub_f32_e32 v27, v27, v25
	v_add_f32_e32 v33, v24, v27
	v_add_f32_e32 v24, v26, v28
	v_sub_f32_e32 v27, v25, v24
	v_pk_add_f32 v[30:31], v[24:25], v[26:27] neg_lo:[0,1] neg_hi:[0,1]
	v_mov_b32_e32 v29, v24
	v_pk_add_f32 v[24:25], v[30:31], v[28:29] neg_lo:[0,1] neg_hi:[0,1]
	v_cvt_f32_i32_e32 v26, v32
	v_add_f32_e32 v25, v33, v25
	v_add_f32_e32 v24, v24, v25
	;; [unrolled: 1-line block ×4, first 2 shown]
	v_sub_f32_e32 v25, v27, v37
	v_mul_f32_e32 v24, v35, v24
	v_sub_f32_e32 v25, v36, v25
	v_add_f32_e32 v24, v25, v24
	v_add_f32_e32 v28, v27, v24
	v_mul_f32_e32 v30, v28, v28
	v_mov_b32_e32 v25, 0x3ecc95a3
	v_sub_f32_e32 v27, v28, v27
	v_fmac_f32_e32 v25, 0x3e9b6dac, v30
	v_sub_f32_e32 v24, v24, v27
	v_fmaak_f32 v25, v30, v25, 0x3f2aaada
	v_ldexp_f32 v31, v24, 1
	v_mul_f32_e32 v27, v28, v30
	v_mov_b32_e32 v24, 0x3f317218
	v_pk_mul_f32 v[24:25], v[26:27], v[24:25]
	v_ldexp_f32 v29, v28, 1
	v_fma_f32 v27, v26, s2, -v24
	v_fmamk_f32 v28, v26, 0xb102e308, v27
	v_pk_add_f32 v[26:27], v[24:25], v[28:29]
	v_mov_b32_e32 v30, v24
	v_sub_f32_e32 v29, v27, v29
	v_sub_f32_e32 v29, v25, v29
	v_add_f32_e32 v31, v31, v29
	v_pk_add_f32 v[24:25], v[26:27], v[24:25] neg_lo:[0,1] neg_hi:[0,1]
	v_pk_add_f32 v[32:33], v[26:27], v[30:31]
	v_mov_b32_e32 v29, v26
	v_mov_b32_e32 v25, v33
	v_pk_add_f32 v[34:35], v[28:29], v[24:25] neg_lo:[0,1] neg_hi:[0,1]
	v_pk_add_f32 v[24:25], v[28:29], v[24:25]
	v_mov_b32_e32 v30, v31
	v_mov_b32_e32 v28, v25
	v_pk_add_f32 v[36:37], v[28:29], v[26:27] neg_lo:[0,1] neg_hi:[0,1]
	v_mov_b32_e32 v24, v33
	v_mov_b32_e32 v29, v36
	v_pk_add_f32 v[38:39], v[32:33], v[28:29] neg_lo:[0,1] neg_hi:[0,1]
	v_mov_b32_e32 v32, v27
	v_mov_b32_e32 v33, v36
	;; [unrolled: 1-line block ×3, first 2 shown]
	v_pk_add_f32 v[24:25], v[24:25], v[32:33] neg_lo:[0,1] neg_hi:[0,1]
	v_mov_b32_e32 v31, v26
	v_pk_add_f32 v[24:25], v[30:31], v[24:25] neg_lo:[0,1] neg_hi:[0,1]
	v_mov_b32_e32 v38, v34
	v_pk_add_f32 v[26:27], v[38:39], v[24:25]
	s_mov_b32 s2, 0x33800000
	v_mov_b32_e32 v30, v27
	v_pk_add_f32 v[30:31], v[26:27], v[30:31]
	v_cmp_lt_f32_e64 s[2:3], |v40|, s2
	v_pk_add_f32 v[28:29], v[28:29], v[30:31]
	v_mov_b32_e32 v25, v30
	v_mov_b32_e32 v27, v28
	v_pk_add_f32 v[32:33], v[26:27], v[34:35] neg_lo:[0,1] neg_hi:[0,1]
	s_or_b64 vcc, vcc, s[2:3]
	v_sub_f32_e32 v26, v26, v32
	v_pk_add_f32 v[24:25], v[24:25], v[32:33] neg_lo:[0,1] neg_hi:[0,1]
	v_sub_f32_e32 v26, v34, v26
	v_add_f32_e32 v24, v24, v26
	v_add_f32_e32 v24, v24, v25
	;; [unrolled: 1-line block ×3, first 2 shown]
	v_cndmask_b32_e32 v24, v24, v40, vcc
	v_add_f32_e32 v24, v23, v24
.LBB509_174:
	s_or_b64 exec, exec, s[0:1]
	v_bfe_u32 v23, v24, 16, 1
	v_add3_u32 v23, v24, v23, s48
	v_lshrrev_b32_e32 v23, 16, v23
	v_cmp_o_f32_e32 vcc, v24, v24
	s_nop 1
	v_cndmask_b32_e32 v22, v22, v23, vcc
	v_lshlrev_b32_e32 v24, 16, v22
	v_max_f32_e32 v25, v24, v24
	v_min_f32_e32 v23, v25, v43
	v_cmp_u_f32_e32 vcc, v24, v24
	v_max_f32_e32 v25, v25, v43
	s_nop 0
	v_cndmask_b32_e32 v23, v23, v24, vcc
	v_cndmask_b32_e32 v25, v25, v24, vcc
	v_cndmask_b32_e64 v23, v23, v7, s[84:85]
	v_cndmask_b32_e64 v7, v25, v7, s[84:85]
	v_cmp_neq_f32_e32 vcc, v23, v7
	v_cmp_class_f32_e64 s[0:1], v23, s33
	s_or_b64 s[2:3], vcc, s[0:1]
	s_and_saveexec_b64 s[0:1], s[2:3]
	s_cbranch_execz .LBB509_176
; %bb.175:
	v_sub_f32_e32 v23, v23, v7
	s_mov_b32 s2, 0x3fb8aa3b
	v_mul_f32_e32 v24, 0x3fb8aa3b, v23
	v_fma_f32 v25, v23, s2, -v24
	v_rndne_f32_e32 v26, v24
	v_fmamk_f32 v25, v23, 0x32a5705f, v25
	v_sub_f32_e32 v24, v24, v26
	v_add_f32_e32 v24, v24, v25
	v_exp_f32_e32 v24, v24
	v_cvt_i32_f32_e32 v25, v26
	s_mov_b32 s2, 0xc2ce8ed0
	v_cmp_ngt_f32_e32 vcc, s2, v23
	s_mov_b32 s2, 0x42b17218
	v_ldexp_f32 v24, v24, v25
	v_cndmask_b32_e32 v24, 0, v24, vcc
	v_mov_b32_e32 v25, 0x7f800000
	v_cmp_nlt_f32_e32 vcc, s2, v23
	s_mov_b32 s2, 0x3f2aaaab
	s_mov_b32 s3, 0x7f800000
	v_cndmask_b32_e32 v40, v25, v24, vcc
	v_add_f32_e32 v23, 1.0, v40
	v_add_f32_e32 v24, -1.0, v23
	v_sub_f32_e32 v25, v24, v23
	v_add_f32_e32 v25, 1.0, v25
	v_sub_f32_e32 v24, v40, v24
	v_add_f32_e32 v26, v24, v25
	v_frexp_mant_f32_e32 v27, v23
	v_cvt_f64_f32_e32 v[24:25], v23
	v_frexp_exp_i32_f64_e32 v24, v[24:25]
	v_cmp_gt_f32_e32 vcc, s2, v27
	s_mov_b32 s2, 0x3f317218
	s_nop 0
	v_subbrev_co_u32_e32 v32, vcc, 0, v24, vcc
	v_sub_u32_e32 v24, 0, v32
	v_ldexp_f32 v23, v23, v24
	v_ldexp_f32 v24, v26, v24
	v_add_f32_e32 v26, -1.0, v23
	v_add_f32_e32 v25, 1.0, v26
	v_sub_f32_e32 v25, v23, v25
	v_add_f32_e32 v27, v24, v25
	v_add_f32_e32 v25, 1.0, v23
	v_add_f32_e32 v28, -1.0, v25
	v_sub_f32_e32 v23, v23, v28
	v_add_f32_e32 v23, v24, v23
	v_add_f32_e32 v33, v25, v23
	v_rcp_f32_e32 v34, v33
	v_sub_f32_e32 v24, v25, v33
	v_add_f32_e32 v25, v26, v27
	v_add_f32_e32 v23, v23, v24
	v_mul_f32_e32 v36, v25, v34
	v_sub_f32_e32 v24, v26, v25
	v_mul_f32_e32 v26, v33, v36
	v_fma_f32 v28, v36, v33, -v26
	v_fmac_f32_e32 v28, v36, v23
	v_add_f32_e32 v35, v27, v24
	v_add_f32_e32 v24, v26, v28
	v_sub_f32_e32 v27, v25, v24
	v_pk_add_f32 v[30:31], v[24:25], v[26:27] neg_lo:[0,1] neg_hi:[0,1]
	v_mov_b32_e32 v29, v24
	v_pk_add_f32 v[24:25], v[30:31], v[28:29] neg_lo:[0,1] neg_hi:[0,1]
	v_cmp_eq_f32_e32 vcc, s3, v40
	v_add_f32_e32 v25, v35, v25
	v_add_f32_e32 v24, v24, v25
	;; [unrolled: 1-line block ×3, first 2 shown]
	v_mul_f32_e32 v35, v34, v25
	v_mul_f32_e32 v26, v33, v35
	v_fma_f32 v28, v35, v33, -v26
	v_fmac_f32_e32 v28, v35, v23
	v_sub_f32_e32 v23, v27, v25
	v_add_f32_e32 v23, v24, v23
	v_add_f32_e32 v24, v26, v28
	v_sub_f32_e32 v27, v25, v24
	v_pk_add_f32 v[30:31], v[24:25], v[26:27] neg_lo:[0,1] neg_hi:[0,1]
	v_mov_b32_e32 v29, v24
	v_pk_add_f32 v[24:25], v[30:31], v[28:29] neg_lo:[0,1] neg_hi:[0,1]
	v_cvt_f32_i32_e32 v26, v32
	v_add_f32_e32 v23, v23, v25
	v_add_f32_e32 v23, v24, v23
	v_add_f32_e32 v24, v36, v35
	v_add_f32_e32 v23, v27, v23
	v_sub_f32_e32 v25, v24, v36
	v_mul_f32_e32 v23, v34, v23
	v_sub_f32_e32 v25, v35, v25
	v_add_f32_e32 v23, v25, v23
	v_add_f32_e32 v27, v24, v23
	v_mul_f32_e32 v28, v27, v27
	v_mov_b32_e32 v25, 0x3ecc95a3
	v_fmac_f32_e32 v25, 0x3e9b6dac, v28
	v_sub_f32_e32 v24, v27, v24
	v_fmaak_f32 v25, v28, v25, 0x3f2aaada
	v_sub_f32_e32 v23, v23, v24
	v_ldexp_f32 v29, v27, 1
	v_mul_f32_e32 v27, v27, v28
	v_mov_b32_e32 v24, 0x3f317218
	v_pk_mul_f32 v[24:25], v[26:27], v[24:25]
	v_ldexp_f32 v23, v23, 1
	v_fma_f32 v27, v26, s2, -v24
	v_fmamk_f32 v28, v26, 0xb102e308, v27
	v_pk_add_f32 v[26:27], v[24:25], v[28:29]
	v_mov_b32_e32 v30, v24
	v_sub_f32_e32 v29, v27, v29
	v_sub_f32_e32 v29, v25, v29
	v_add_f32_e32 v31, v23, v29
	v_pk_add_f32 v[24:25], v[26:27], v[24:25] neg_lo:[0,1] neg_hi:[0,1]
	v_pk_add_f32 v[32:33], v[26:27], v[30:31]
	v_mov_b32_e32 v29, v26
	v_mov_b32_e32 v25, v33
	v_pk_add_f32 v[34:35], v[28:29], v[24:25] neg_lo:[0,1] neg_hi:[0,1]
	v_pk_add_f32 v[24:25], v[28:29], v[24:25]
	v_mov_b32_e32 v30, v31
	v_mov_b32_e32 v28, v25
	v_pk_add_f32 v[36:37], v[28:29], v[26:27] neg_lo:[0,1] neg_hi:[0,1]
	v_mov_b32_e32 v24, v33
	v_mov_b32_e32 v23, v36
	v_pk_add_f32 v[38:39], v[32:33], v[22:23] neg_lo:[0,1] neg_hi:[0,1]
	v_mov_b32_e32 v32, v27
	v_mov_b32_e32 v33, v36
	v_mov_b32_e32 v35, v25
	v_pk_add_f32 v[24:25], v[24:25], v[32:33] neg_lo:[0,1] neg_hi:[0,1]
	v_mov_b32_e32 v31, v26
	v_pk_add_f32 v[24:25], v[30:31], v[24:25] neg_lo:[0,1] neg_hi:[0,1]
	v_mov_b32_e32 v38, v34
	v_pk_add_f32 v[26:27], v[38:39], v[24:25]
	s_mov_b32 s2, 0x33800000
	v_mov_b32_e32 v30, v27
	v_pk_add_f32 v[30:31], v[26:27], v[30:31]
	v_cmp_lt_f32_e64 s[2:3], |v40|, s2
	v_pk_add_f32 v[28:29], v[28:29], v[30:31]
	v_mov_b32_e32 v25, v30
	v_mov_b32_e32 v27, v28
	v_pk_add_f32 v[32:33], v[26:27], v[34:35] neg_lo:[0,1] neg_hi:[0,1]
	s_or_b64 vcc, vcc, s[2:3]
	v_sub_f32_e32 v23, v26, v32
	v_pk_add_f32 v[24:25], v[24:25], v[32:33] neg_lo:[0,1] neg_hi:[0,1]
	v_sub_f32_e32 v23, v34, v23
	v_add_f32_e32 v23, v24, v23
	v_add_f32_e32 v23, v23, v25
	v_add_f32_e32 v23, v28, v23
	v_cndmask_b32_e32 v23, v23, v40, vcc
	v_add_f32_e32 v24, v7, v23
.LBB509_176:
	s_or_b64 exec, exec, s[0:1]
	v_bfe_u32 v7, v24, 16, 1
	v_add3_u32 v7, v24, v7, s48
	v_lshrrev_b32_e32 v7, 16, v7
	v_mov_b32_e32 v23, 0x7fc0
	v_cmp_o_f32_e32 vcc, v24, v24
	s_nop 1
	v_cndmask_b32_e32 v7, v23, v7, vcc
	v_lshlrev_b32_e32 v25, 16, v7
	v_max_f32_e32 v24, v25, v25
	v_min_f32_e32 v26, v24, v45
	v_cmp_u_f32_e32 vcc, v25, v25
	v_max_f32_e32 v24, v24, v45
	s_nop 0
	v_cndmask_b32_e32 v26, v26, v25, vcc
	v_cndmask_b32_e32 v24, v24, v25, vcc
	v_cndmask_b32_e64 v26, v26, v41, s[86:87]
	v_cndmask_b32_e64 v24, v24, v41, s[86:87]
	v_cmp_neq_f32_e32 vcc, v26, v24
	v_cmp_class_f32_e64 s[0:1], v26, s33
	s_or_b64 s[2:3], vcc, s[0:1]
	s_and_saveexec_b64 s[0:1], s[2:3]
	s_cbranch_execz .LBB509_178
; %bb.177:
	v_sub_f32_e32 v25, v26, v24
	s_mov_b32 s2, 0x3fb8aa3b
	v_mul_f32_e32 v26, 0x3fb8aa3b, v25
	v_fma_f32 v27, v25, s2, -v26
	v_rndne_f32_e32 v28, v26
	v_fmamk_f32 v27, v25, 0x32a5705f, v27
	v_sub_f32_e32 v26, v26, v28
	v_add_f32_e32 v26, v26, v27
	v_exp_f32_e32 v26, v26
	v_cvt_i32_f32_e32 v27, v28
	s_mov_b32 s2, 0xc2ce8ed0
	v_cmp_ngt_f32_e32 vcc, s2, v25
	s_mov_b32 s2, 0x42b17218
	v_ldexp_f32 v26, v26, v27
	v_cndmask_b32_e32 v26, 0, v26, vcc
	v_mov_b32_e32 v27, 0x7f800000
	v_cmp_nlt_f32_e32 vcc, s2, v25
	s_mov_b32 s2, 0x3f2aaaab
	s_mov_b32 s3, 0x7f800000
	v_cndmask_b32_e32 v42, v27, v26, vcc
	v_add_f32_e32 v25, 1.0, v42
	v_add_f32_e32 v26, -1.0, v25
	v_sub_f32_e32 v27, v26, v25
	v_add_f32_e32 v27, 1.0, v27
	v_sub_f32_e32 v26, v42, v26
	v_add_f32_e32 v28, v26, v27
	v_frexp_mant_f32_e32 v29, v25
	v_cvt_f64_f32_e32 v[26:27], v25
	v_frexp_exp_i32_f64_e32 v26, v[26:27]
	v_cmp_gt_f32_e32 vcc, s2, v29
	s_mov_b32 s2, 0x3f317218
	s_nop 0
	v_subbrev_co_u32_e32 v34, vcc, 0, v26, vcc
	v_sub_u32_e32 v26, 0, v34
	v_ldexp_f32 v25, v25, v26
	v_ldexp_f32 v26, v28, v26
	v_add_f32_e32 v28, -1.0, v25
	v_add_f32_e32 v27, 1.0, v28
	v_sub_f32_e32 v27, v25, v27
	v_add_f32_e32 v29, v26, v27
	v_add_f32_e32 v27, 1.0, v25
	v_add_f32_e32 v30, -1.0, v27
	v_sub_f32_e32 v25, v25, v30
	v_add_f32_e32 v25, v26, v25
	v_add_f32_e32 v35, v27, v25
	v_rcp_f32_e32 v36, v35
	v_sub_f32_e32 v26, v27, v35
	v_add_f32_e32 v27, v28, v29
	v_add_f32_e32 v25, v25, v26
	v_mul_f32_e32 v38, v27, v36
	v_sub_f32_e32 v26, v28, v27
	v_mul_f32_e32 v28, v35, v38
	v_fma_f32 v30, v38, v35, -v28
	v_fmac_f32_e32 v30, v38, v25
	v_add_f32_e32 v37, v29, v26
	v_add_f32_e32 v26, v28, v30
	v_sub_f32_e32 v29, v27, v26
	v_pk_add_f32 v[32:33], v[26:27], v[28:29] neg_lo:[0,1] neg_hi:[0,1]
	v_mov_b32_e32 v31, v26
	v_pk_add_f32 v[26:27], v[32:33], v[30:31] neg_lo:[0,1] neg_hi:[0,1]
	v_cmp_eq_f32_e32 vcc, s3, v42
	v_add_f32_e32 v27, v37, v27
	v_add_f32_e32 v26, v26, v27
	;; [unrolled: 1-line block ×3, first 2 shown]
	v_mul_f32_e32 v37, v36, v27
	v_mul_f32_e32 v28, v35, v37
	v_fma_f32 v30, v37, v35, -v28
	v_fmac_f32_e32 v30, v37, v25
	v_sub_f32_e32 v25, v29, v27
	v_add_f32_e32 v25, v26, v25
	v_add_f32_e32 v26, v28, v30
	v_sub_f32_e32 v29, v27, v26
	v_pk_add_f32 v[32:33], v[26:27], v[28:29] neg_lo:[0,1] neg_hi:[0,1]
	v_mov_b32_e32 v31, v26
	v_pk_add_f32 v[26:27], v[32:33], v[30:31] neg_lo:[0,1] neg_hi:[0,1]
	v_cvt_f32_i32_e32 v28, v34
	v_add_f32_e32 v25, v25, v27
	v_add_f32_e32 v25, v26, v25
	;; [unrolled: 1-line block ×4, first 2 shown]
	v_sub_f32_e32 v27, v26, v38
	v_mul_f32_e32 v25, v36, v25
	v_sub_f32_e32 v27, v37, v27
	v_add_f32_e32 v25, v27, v25
	v_add_f32_e32 v29, v26, v25
	v_mul_f32_e32 v30, v29, v29
	v_mov_b32_e32 v27, 0x3ecc95a3
	v_fmac_f32_e32 v27, 0x3e9b6dac, v30
	v_sub_f32_e32 v26, v29, v26
	v_fmaak_f32 v27, v30, v27, 0x3f2aaada
	v_sub_f32_e32 v25, v25, v26
	v_ldexp_f32 v31, v29, 1
	v_mul_f32_e32 v29, v29, v30
	v_mov_b32_e32 v26, 0x3f317218
	v_pk_mul_f32 v[26:27], v[28:29], v[26:27]
	v_ldexp_f32 v25, v25, 1
	v_fma_f32 v29, v28, s2, -v26
	v_fmamk_f32 v30, v28, 0xb102e308, v29
	v_pk_add_f32 v[28:29], v[26:27], v[30:31]
	v_mov_b32_e32 v32, v26
	v_sub_f32_e32 v31, v29, v31
	v_sub_f32_e32 v31, v27, v31
	v_add_f32_e32 v33, v25, v31
	v_pk_add_f32 v[26:27], v[28:29], v[26:27] neg_lo:[0,1] neg_hi:[0,1]
	v_pk_add_f32 v[34:35], v[28:29], v[32:33]
	v_mov_b32_e32 v31, v28
	v_mov_b32_e32 v27, v35
	v_pk_add_f32 v[36:37], v[30:31], v[26:27] neg_lo:[0,1] neg_hi:[0,1]
	v_pk_add_f32 v[26:27], v[30:31], v[26:27]
	v_mov_b32_e32 v32, v33
	v_mov_b32_e32 v30, v27
	v_pk_add_f32 v[38:39], v[30:31], v[28:29] neg_lo:[0,1] neg_hi:[0,1]
	v_mov_b32_e32 v26, v35
	v_mov_b32_e32 v25, v38
	v_pk_add_f32 v[40:41], v[34:35], v[24:25] neg_lo:[0,1] neg_hi:[0,1]
	v_mov_b32_e32 v34, v29
	v_mov_b32_e32 v35, v38
	;; [unrolled: 1-line block ×3, first 2 shown]
	v_pk_add_f32 v[26:27], v[26:27], v[34:35] neg_lo:[0,1] neg_hi:[0,1]
	v_mov_b32_e32 v33, v28
	v_pk_add_f32 v[26:27], v[32:33], v[26:27] neg_lo:[0,1] neg_hi:[0,1]
	v_mov_b32_e32 v40, v36
	v_pk_add_f32 v[28:29], v[40:41], v[26:27]
	s_mov_b32 s2, 0x33800000
	v_mov_b32_e32 v32, v29
	v_pk_add_f32 v[32:33], v[28:29], v[32:33]
	v_cmp_lt_f32_e64 s[2:3], |v42|, s2
	v_pk_add_f32 v[30:31], v[30:31], v[32:33]
	v_mov_b32_e32 v27, v32
	v_mov_b32_e32 v29, v30
	v_pk_add_f32 v[34:35], v[28:29], v[36:37] neg_lo:[0,1] neg_hi:[0,1]
	s_or_b64 vcc, vcc, s[2:3]
	v_sub_f32_e32 v25, v28, v34
	v_pk_add_f32 v[26:27], v[26:27], v[34:35] neg_lo:[0,1] neg_hi:[0,1]
	v_sub_f32_e32 v25, v36, v25
	v_add_f32_e32 v25, v26, v25
	v_add_f32_e32 v25, v25, v27
	;; [unrolled: 1-line block ×3, first 2 shown]
	v_cndmask_b32_e32 v25, v25, v42, vcc
	v_add_f32_e32 v25, v24, v25
.LBB509_178:
	s_or_b64 exec, exec, s[0:1]
	v_bfe_u32 v24, v25, 16, 1
	v_add3_u32 v24, v25, v24, s48
	v_lshrrev_b32_e32 v24, 16, v24
	v_cmp_o_f32_e32 vcc, v25, v25
	s_nop 1
	v_cndmask_b32_e32 v23, v23, v24, vcc
	v_lshlrev_b32_e32 v25, 16, v23
	v_max_f32_e32 v26, v25, v25
	v_min_f32_e32 v24, v26, v46
	v_cmp_u_f32_e32 vcc, v25, v25
	v_max_f32_e32 v26, v26, v46
	s_nop 0
	v_cndmask_b32_e32 v24, v24, v25, vcc
	v_cndmask_b32_e32 v26, v26, v25, vcc
	v_cndmask_b32_e64 v24, v24, v8, s[88:89]
	v_cndmask_b32_e64 v8, v26, v8, s[88:89]
	v_cmp_neq_f32_e32 vcc, v24, v8
	v_cmp_class_f32_e64 s[0:1], v24, s33
	s_or_b64 s[2:3], vcc, s[0:1]
	s_and_saveexec_b64 s[0:1], s[2:3]
	s_cbranch_execz .LBB509_180
; %bb.179:
	v_sub_f32_e32 v24, v24, v8
	s_mov_b32 s2, 0x3fb8aa3b
	v_mul_f32_e32 v25, 0x3fb8aa3b, v24
	v_fma_f32 v26, v24, s2, -v25
	v_rndne_f32_e32 v27, v25
	v_fmamk_f32 v26, v24, 0x32a5705f, v26
	v_sub_f32_e32 v25, v25, v27
	v_add_f32_e32 v25, v25, v26
	v_exp_f32_e32 v25, v25
	v_cvt_i32_f32_e32 v26, v27
	s_mov_b32 s2, 0xc2ce8ed0
	v_cmp_ngt_f32_e32 vcc, s2, v24
	s_mov_b32 s2, 0x42b17218
	v_ldexp_f32 v25, v25, v26
	v_cndmask_b32_e32 v25, 0, v25, vcc
	v_mov_b32_e32 v26, 0x7f800000
	v_cmp_nlt_f32_e32 vcc, s2, v24
	s_mov_b32 s2, 0x3f2aaaab
	s_mov_b32 s3, 0x7f800000
	v_cndmask_b32_e32 v40, v26, v25, vcc
	v_add_f32_e32 v26, 1.0, v40
	v_add_f32_e32 v24, -1.0, v26
	v_sub_f32_e32 v25, v24, v26
	v_add_f32_e32 v25, 1.0, v25
	v_sub_f32_e32 v24, v40, v24
	v_add_f32_e32 v27, v24, v25
	v_frexp_mant_f32_e32 v28, v26
	v_cvt_f64_f32_e32 v[24:25], v26
	v_frexp_exp_i32_f64_e32 v24, v[24:25]
	v_cmp_gt_f32_e32 vcc, s2, v28
	s_mov_b32 s2, 0x3f317218
	s_nop 0
	v_subbrev_co_u32_e32 v32, vcc, 0, v24, vcc
	v_sub_u32_e32 v24, 0, v32
	v_ldexp_f32 v25, v26, v24
	v_add_f32_e32 v26, -1.0, v25
	v_add_f32_e32 v28, 1.0, v25
	v_ldexp_f32 v24, v27, v24
	v_add_f32_e32 v27, 1.0, v26
	v_add_f32_e32 v29, -1.0, v28
	v_sub_f32_e32 v27, v25, v27
	v_sub_f32_e32 v25, v25, v29
	v_add_f32_e32 v27, v24, v27
	v_add_f32_e32 v24, v24, v25
	;; [unrolled: 1-line block ×3, first 2 shown]
	v_rcp_f32_e32 v35, v33
	v_sub_f32_e32 v25, v28, v33
	v_add_f32_e32 v34, v24, v25
	v_add_f32_e32 v25, v26, v27
	v_mul_f32_e32 v37, v25, v35
	v_sub_f32_e32 v24, v26, v25
	v_mul_f32_e32 v26, v33, v37
	v_fma_f32 v28, v37, v33, -v26
	v_fmac_f32_e32 v28, v37, v34
	v_add_f32_e32 v36, v27, v24
	v_add_f32_e32 v24, v26, v28
	v_sub_f32_e32 v27, v25, v24
	v_pk_add_f32 v[30:31], v[24:25], v[26:27] neg_lo:[0,1] neg_hi:[0,1]
	v_mov_b32_e32 v29, v24
	v_pk_add_f32 v[24:25], v[30:31], v[28:29] neg_lo:[0,1] neg_hi:[0,1]
	v_cmp_eq_f32_e32 vcc, s3, v40
	v_add_f32_e32 v25, v36, v25
	v_add_f32_e32 v24, v24, v25
	v_add_f32_e32 v25, v27, v24
	v_mul_f32_e32 v36, v35, v25
	v_mul_f32_e32 v26, v33, v36
	v_fma_f32 v28, v36, v33, -v26
	v_fmac_f32_e32 v28, v36, v34
	v_sub_f32_e32 v27, v27, v25
	v_add_f32_e32 v33, v24, v27
	v_add_f32_e32 v24, v26, v28
	v_sub_f32_e32 v27, v25, v24
	v_pk_add_f32 v[30:31], v[24:25], v[26:27] neg_lo:[0,1] neg_hi:[0,1]
	v_mov_b32_e32 v29, v24
	v_pk_add_f32 v[24:25], v[30:31], v[28:29] neg_lo:[0,1] neg_hi:[0,1]
	v_cvt_f32_i32_e32 v26, v32
	v_add_f32_e32 v25, v33, v25
	v_add_f32_e32 v24, v24, v25
	;; [unrolled: 1-line block ×4, first 2 shown]
	v_sub_f32_e32 v25, v27, v37
	v_mul_f32_e32 v24, v35, v24
	v_sub_f32_e32 v25, v36, v25
	v_add_f32_e32 v24, v25, v24
	v_add_f32_e32 v28, v27, v24
	v_mul_f32_e32 v30, v28, v28
	v_mov_b32_e32 v25, 0x3ecc95a3
	v_sub_f32_e32 v27, v28, v27
	v_fmac_f32_e32 v25, 0x3e9b6dac, v30
	v_sub_f32_e32 v24, v24, v27
	v_fmaak_f32 v25, v30, v25, 0x3f2aaada
	v_ldexp_f32 v31, v24, 1
	v_mul_f32_e32 v27, v28, v30
	v_mov_b32_e32 v24, 0x3f317218
	v_pk_mul_f32 v[24:25], v[26:27], v[24:25]
	v_ldexp_f32 v29, v28, 1
	v_fma_f32 v27, v26, s2, -v24
	v_fmamk_f32 v28, v26, 0xb102e308, v27
	v_pk_add_f32 v[26:27], v[24:25], v[28:29]
	v_mov_b32_e32 v30, v24
	v_sub_f32_e32 v29, v27, v29
	v_sub_f32_e32 v29, v25, v29
	v_add_f32_e32 v31, v31, v29
	v_pk_add_f32 v[24:25], v[26:27], v[24:25] neg_lo:[0,1] neg_hi:[0,1]
	v_pk_add_f32 v[32:33], v[26:27], v[30:31]
	v_mov_b32_e32 v29, v26
	v_mov_b32_e32 v25, v33
	v_pk_add_f32 v[34:35], v[28:29], v[24:25] neg_lo:[0,1] neg_hi:[0,1]
	v_pk_add_f32 v[24:25], v[28:29], v[24:25]
	v_mov_b32_e32 v30, v31
	v_mov_b32_e32 v28, v25
	v_pk_add_f32 v[36:37], v[28:29], v[26:27] neg_lo:[0,1] neg_hi:[0,1]
	v_mov_b32_e32 v24, v33
	v_mov_b32_e32 v29, v36
	v_pk_add_f32 v[38:39], v[32:33], v[28:29] neg_lo:[0,1] neg_hi:[0,1]
	v_mov_b32_e32 v32, v27
	v_mov_b32_e32 v33, v36
	;; [unrolled: 1-line block ×3, first 2 shown]
	v_pk_add_f32 v[24:25], v[24:25], v[32:33] neg_lo:[0,1] neg_hi:[0,1]
	v_mov_b32_e32 v31, v26
	v_pk_add_f32 v[24:25], v[30:31], v[24:25] neg_lo:[0,1] neg_hi:[0,1]
	v_mov_b32_e32 v38, v34
	v_pk_add_f32 v[26:27], v[38:39], v[24:25]
	s_mov_b32 s2, 0x33800000
	v_mov_b32_e32 v30, v27
	v_pk_add_f32 v[30:31], v[26:27], v[30:31]
	v_cmp_lt_f32_e64 s[2:3], |v40|, s2
	v_pk_add_f32 v[28:29], v[28:29], v[30:31]
	v_mov_b32_e32 v25, v30
	v_mov_b32_e32 v27, v28
	v_pk_add_f32 v[32:33], v[26:27], v[34:35] neg_lo:[0,1] neg_hi:[0,1]
	s_or_b64 vcc, vcc, s[2:3]
	v_sub_f32_e32 v26, v26, v32
	v_pk_add_f32 v[24:25], v[24:25], v[32:33] neg_lo:[0,1] neg_hi:[0,1]
	v_sub_f32_e32 v26, v34, v26
	v_add_f32_e32 v24, v24, v26
	v_add_f32_e32 v24, v24, v25
	v_add_f32_e32 v24, v28, v24
	v_cndmask_b32_e32 v24, v24, v40, vcc
	v_add_f32_e32 v25, v8, v24
.LBB509_180:
	s_or_b64 exec, exec, s[0:1]
	v_bfe_u32 v8, v25, 16, 1
	v_add3_u32 v8, v25, v8, s48
	v_lshrrev_b32_e32 v8, 16, v8
	v_mov_b32_e32 v24, 0x7fc0
	v_cmp_o_f32_e32 vcc, v25, v25
	s_nop 1
	v_cndmask_b32_e32 v8, v24, v8, vcc
	v_lshlrev_b32_e32 v26, 16, v8
	v_max_f32_e32 v25, v26, v26
	v_min_f32_e32 v27, v25, v47
	v_cmp_u_f32_e32 vcc, v26, v26
	v_max_f32_e32 v25, v25, v47
	s_nop 0
	v_cndmask_b32_e32 v27, v27, v26, vcc
	v_cndmask_b32_e32 v25, v25, v26, vcc
	v_cndmask_b32_e64 v27, v27, v44, s[90:91]
	v_cndmask_b32_e64 v25, v25, v44, s[90:91]
	v_cmp_neq_f32_e32 vcc, v27, v25
	v_cmp_class_f32_e64 s[0:1], v27, s33
	s_or_b64 s[2:3], vcc, s[0:1]
	s_and_saveexec_b64 s[0:1], s[2:3]
	s_cbranch_execz .LBB509_182
; %bb.181:
	v_sub_f32_e32 v26, v27, v25
	s_mov_b32 s2, 0x3fb8aa3b
	v_mul_f32_e32 v27, 0x3fb8aa3b, v26
	v_fma_f32 v28, v26, s2, -v27
	v_rndne_f32_e32 v29, v27
	v_fmamk_f32 v28, v26, 0x32a5705f, v28
	v_sub_f32_e32 v27, v27, v29
	v_add_f32_e32 v27, v27, v28
	v_exp_f32_e32 v27, v27
	v_cvt_i32_f32_e32 v28, v29
	s_mov_b32 s2, 0xc2ce8ed0
	v_cmp_ngt_f32_e32 vcc, s2, v26
	s_mov_b32 s2, 0x42b17218
	v_ldexp_f32 v27, v27, v28
	v_cndmask_b32_e32 v27, 0, v27, vcc
	v_mov_b32_e32 v28, 0x7f800000
	v_cmp_nlt_f32_e32 vcc, s2, v26
	s_mov_b32 s2, 0x3f2aaaab
	s_mov_b32 s3, 0x7f800000
	v_cndmask_b32_e32 v42, v28, v27, vcc
	v_add_f32_e32 v28, 1.0, v42
	v_add_f32_e32 v26, -1.0, v28
	v_sub_f32_e32 v27, v26, v28
	v_add_f32_e32 v27, 1.0, v27
	v_sub_f32_e32 v26, v42, v26
	v_add_f32_e32 v29, v26, v27
	v_frexp_mant_f32_e32 v30, v28
	v_cvt_f64_f32_e32 v[26:27], v28
	v_frexp_exp_i32_f64_e32 v26, v[26:27]
	v_cmp_gt_f32_e32 vcc, s2, v30
	s_mov_b32 s2, 0x3f317218
	s_nop 0
	v_subbrev_co_u32_e32 v34, vcc, 0, v26, vcc
	v_sub_u32_e32 v26, 0, v34
	v_ldexp_f32 v27, v28, v26
	v_add_f32_e32 v28, -1.0, v27
	v_add_f32_e32 v30, 1.0, v27
	v_ldexp_f32 v26, v29, v26
	v_add_f32_e32 v29, 1.0, v28
	v_add_f32_e32 v31, -1.0, v30
	v_sub_f32_e32 v29, v27, v29
	v_sub_f32_e32 v27, v27, v31
	v_add_f32_e32 v29, v26, v29
	v_add_f32_e32 v26, v26, v27
	;; [unrolled: 1-line block ×3, first 2 shown]
	v_rcp_f32_e32 v37, v35
	v_sub_f32_e32 v27, v30, v35
	v_add_f32_e32 v36, v26, v27
	v_add_f32_e32 v27, v28, v29
	v_mul_f32_e32 v39, v27, v37
	v_sub_f32_e32 v26, v28, v27
	v_mul_f32_e32 v28, v35, v39
	v_fma_f32 v30, v39, v35, -v28
	v_fmac_f32_e32 v30, v39, v36
	v_add_f32_e32 v38, v29, v26
	v_add_f32_e32 v26, v28, v30
	v_sub_f32_e32 v29, v27, v26
	v_pk_add_f32 v[32:33], v[26:27], v[28:29] neg_lo:[0,1] neg_hi:[0,1]
	v_mov_b32_e32 v31, v26
	v_pk_add_f32 v[26:27], v[32:33], v[30:31] neg_lo:[0,1] neg_hi:[0,1]
	v_cmp_eq_f32_e32 vcc, s3, v42
	v_add_f32_e32 v27, v38, v27
	v_add_f32_e32 v26, v26, v27
	;; [unrolled: 1-line block ×3, first 2 shown]
	v_mul_f32_e32 v38, v37, v27
	v_mul_f32_e32 v28, v35, v38
	v_fma_f32 v30, v38, v35, -v28
	v_fmac_f32_e32 v30, v38, v36
	v_sub_f32_e32 v29, v29, v27
	v_add_f32_e32 v35, v26, v29
	v_add_f32_e32 v26, v28, v30
	v_sub_f32_e32 v29, v27, v26
	v_pk_add_f32 v[32:33], v[26:27], v[28:29] neg_lo:[0,1] neg_hi:[0,1]
	v_mov_b32_e32 v31, v26
	v_pk_add_f32 v[26:27], v[32:33], v[30:31] neg_lo:[0,1] neg_hi:[0,1]
	v_cvt_f32_i32_e32 v28, v34
	v_add_f32_e32 v27, v35, v27
	v_add_f32_e32 v26, v26, v27
	;; [unrolled: 1-line block ×4, first 2 shown]
	v_sub_f32_e32 v27, v29, v39
	v_mul_f32_e32 v26, v37, v26
	v_sub_f32_e32 v27, v38, v27
	v_add_f32_e32 v26, v27, v26
	v_add_f32_e32 v30, v29, v26
	v_mul_f32_e32 v32, v30, v30
	v_mov_b32_e32 v27, 0x3ecc95a3
	v_sub_f32_e32 v29, v30, v29
	v_fmac_f32_e32 v27, 0x3e9b6dac, v32
	v_sub_f32_e32 v26, v26, v29
	v_fmaak_f32 v27, v32, v27, 0x3f2aaada
	v_ldexp_f32 v33, v26, 1
	v_mul_f32_e32 v29, v30, v32
	v_mov_b32_e32 v26, 0x3f317218
	v_pk_mul_f32 v[26:27], v[28:29], v[26:27]
	v_ldexp_f32 v31, v30, 1
	v_fma_f32 v29, v28, s2, -v26
	v_fmamk_f32 v30, v28, 0xb102e308, v29
	v_pk_add_f32 v[28:29], v[26:27], v[30:31]
	v_mov_b32_e32 v32, v26
	v_sub_f32_e32 v31, v29, v31
	v_sub_f32_e32 v31, v27, v31
	v_add_f32_e32 v33, v33, v31
	v_pk_add_f32 v[26:27], v[28:29], v[26:27] neg_lo:[0,1] neg_hi:[0,1]
	v_pk_add_f32 v[34:35], v[28:29], v[32:33]
	v_mov_b32_e32 v31, v28
	v_mov_b32_e32 v27, v35
	v_pk_add_f32 v[36:37], v[30:31], v[26:27] neg_lo:[0,1] neg_hi:[0,1]
	v_pk_add_f32 v[26:27], v[30:31], v[26:27]
	v_mov_b32_e32 v32, v33
	v_mov_b32_e32 v30, v27
	v_pk_add_f32 v[38:39], v[30:31], v[28:29] neg_lo:[0,1] neg_hi:[0,1]
	v_mov_b32_e32 v26, v35
	v_mov_b32_e32 v31, v38
	v_pk_add_f32 v[40:41], v[34:35], v[30:31] neg_lo:[0,1] neg_hi:[0,1]
	v_mov_b32_e32 v34, v29
	v_mov_b32_e32 v35, v38
	;; [unrolled: 1-line block ×3, first 2 shown]
	v_pk_add_f32 v[26:27], v[26:27], v[34:35] neg_lo:[0,1] neg_hi:[0,1]
	v_mov_b32_e32 v33, v28
	v_pk_add_f32 v[26:27], v[32:33], v[26:27] neg_lo:[0,1] neg_hi:[0,1]
	v_mov_b32_e32 v40, v36
	v_pk_add_f32 v[28:29], v[40:41], v[26:27]
	s_mov_b32 s2, 0x33800000
	v_mov_b32_e32 v32, v29
	v_pk_add_f32 v[32:33], v[28:29], v[32:33]
	v_cmp_lt_f32_e64 s[2:3], |v42|, s2
	v_pk_add_f32 v[30:31], v[30:31], v[32:33]
	v_mov_b32_e32 v27, v32
	v_mov_b32_e32 v29, v30
	v_pk_add_f32 v[34:35], v[28:29], v[36:37] neg_lo:[0,1] neg_hi:[0,1]
	s_or_b64 vcc, vcc, s[2:3]
	v_sub_f32_e32 v28, v28, v34
	v_pk_add_f32 v[26:27], v[26:27], v[34:35] neg_lo:[0,1] neg_hi:[0,1]
	v_sub_f32_e32 v28, v36, v28
	v_add_f32_e32 v26, v26, v28
	v_add_f32_e32 v26, v26, v27
	;; [unrolled: 1-line block ×3, first 2 shown]
	v_cndmask_b32_e32 v26, v26, v42, vcc
	v_add_f32_e32 v26, v25, v26
.LBB509_182:
	s_or_b64 exec, exec, s[0:1]
	v_bfe_u32 v25, v26, 16, 1
	v_add3_u32 v25, v26, v25, s48
	v_lshrrev_b32_e32 v25, 16, v25
	v_cmp_o_f32_e32 vcc, v26, v26
	s_movk_i32 s0, 0x1f8
	s_nop 0
	v_cndmask_b32_e32 v24, v24, v25, vcc
	v_lshlrev_b32_e32 v25, 16, v24
	v_max_f32_e32 v27, v25, v25
	v_min_f32_e32 v26, v27, v48
	v_cmp_u_f32_e32 vcc, v25, v25
	v_max_f32_e32 v27, v27, v48
	s_nop 0
	v_cndmask_b32_e32 v26, v26, v25, vcc
	v_cndmask_b32_e32 v27, v27, v25, vcc
	v_cndmask_b32_e64 v26, v26, v9, s[92:93]
	v_cndmask_b32_e64 v9, v27, v9, s[92:93]
	v_cmp_neq_f32_e32 vcc, v26, v9
	v_cmp_class_f32_e64 s[0:1], v26, s0
	s_or_b64 s[2:3], vcc, s[0:1]
	s_and_saveexec_b64 s[0:1], s[2:3]
	s_cbranch_execz .LBB509_184
; %bb.183:
	v_sub_f32_e32 v25, v26, v9
	s_mov_b32 s2, 0x3fb8aa3b
	v_mul_f32_e32 v26, 0x3fb8aa3b, v25
	v_fma_f32 v27, v25, s2, -v26
	v_rndne_f32_e32 v28, v26
	v_fmamk_f32 v27, v25, 0x32a5705f, v27
	v_sub_f32_e32 v26, v26, v28
	v_add_f32_e32 v26, v26, v27
	v_exp_f32_e32 v26, v26
	v_cvt_i32_f32_e32 v27, v28
	s_mov_b32 s2, 0xc2ce8ed0
	v_cmp_ngt_f32_e32 vcc, s2, v25
	s_mov_b32 s2, 0x42b17218
	v_ldexp_f32 v26, v26, v27
	v_cndmask_b32_e32 v26, 0, v26, vcc
	v_mov_b32_e32 v27, 0x7f800000
	v_cmp_nlt_f32_e32 vcc, s2, v25
	s_mov_b32 s2, 0x3f2aaaab
	s_mov_b32 s3, 0x7f800000
	v_cndmask_b32_e32 v42, v27, v26, vcc
	v_add_f32_e32 v25, 1.0, v42
	v_add_f32_e32 v26, -1.0, v25
	v_sub_f32_e32 v27, v26, v25
	v_add_f32_e32 v27, 1.0, v27
	v_sub_f32_e32 v26, v42, v26
	v_add_f32_e32 v28, v26, v27
	v_frexp_mant_f32_e32 v29, v25
	v_cvt_f64_f32_e32 v[26:27], v25
	v_frexp_exp_i32_f64_e32 v26, v[26:27]
	v_cmp_gt_f32_e32 vcc, s2, v29
	s_mov_b32 s2, 0x3f317218
	s_nop 0
	v_subbrev_co_u32_e32 v34, vcc, 0, v26, vcc
	v_sub_u32_e32 v26, 0, v34
	v_ldexp_f32 v25, v25, v26
	v_ldexp_f32 v26, v28, v26
	v_add_f32_e32 v28, -1.0, v25
	v_add_f32_e32 v27, 1.0, v28
	v_sub_f32_e32 v27, v25, v27
	v_add_f32_e32 v29, v26, v27
	v_add_f32_e32 v27, 1.0, v25
	v_add_f32_e32 v30, -1.0, v27
	v_sub_f32_e32 v25, v25, v30
	v_add_f32_e32 v25, v26, v25
	v_add_f32_e32 v35, v27, v25
	v_rcp_f32_e32 v36, v35
	v_sub_f32_e32 v26, v27, v35
	v_add_f32_e32 v27, v28, v29
	v_add_f32_e32 v25, v25, v26
	v_mul_f32_e32 v38, v27, v36
	v_sub_f32_e32 v26, v28, v27
	v_mul_f32_e32 v28, v35, v38
	v_fma_f32 v30, v38, v35, -v28
	v_fmac_f32_e32 v30, v38, v25
	v_add_f32_e32 v37, v29, v26
	v_add_f32_e32 v26, v28, v30
	v_sub_f32_e32 v29, v27, v26
	v_pk_add_f32 v[32:33], v[26:27], v[28:29] neg_lo:[0,1] neg_hi:[0,1]
	v_mov_b32_e32 v31, v26
	v_pk_add_f32 v[26:27], v[32:33], v[30:31] neg_lo:[0,1] neg_hi:[0,1]
	v_cmp_eq_f32_e32 vcc, s3, v42
	v_add_f32_e32 v27, v37, v27
	v_add_f32_e32 v26, v26, v27
	v_add_f32_e32 v27, v29, v26
	v_mul_f32_e32 v37, v36, v27
	v_mul_f32_e32 v28, v35, v37
	v_fma_f32 v30, v37, v35, -v28
	v_fmac_f32_e32 v30, v37, v25
	v_sub_f32_e32 v25, v29, v27
	v_add_f32_e32 v25, v26, v25
	v_add_f32_e32 v26, v28, v30
	v_sub_f32_e32 v29, v27, v26
	v_pk_add_f32 v[32:33], v[26:27], v[28:29] neg_lo:[0,1] neg_hi:[0,1]
	v_mov_b32_e32 v31, v26
	v_pk_add_f32 v[26:27], v[32:33], v[30:31] neg_lo:[0,1] neg_hi:[0,1]
	v_cvt_f32_i32_e32 v28, v34
	v_add_f32_e32 v25, v25, v27
	v_add_f32_e32 v25, v26, v25
	;; [unrolled: 1-line block ×4, first 2 shown]
	v_sub_f32_e32 v27, v26, v38
	v_mul_f32_e32 v25, v36, v25
	v_sub_f32_e32 v27, v37, v27
	v_add_f32_e32 v25, v27, v25
	v_add_f32_e32 v29, v26, v25
	v_mul_f32_e32 v30, v29, v29
	v_mov_b32_e32 v27, 0x3ecc95a3
	v_fmac_f32_e32 v27, 0x3e9b6dac, v30
	v_sub_f32_e32 v26, v29, v26
	v_fmaak_f32 v27, v30, v27, 0x3f2aaada
	v_sub_f32_e32 v25, v25, v26
	v_ldexp_f32 v31, v29, 1
	v_mul_f32_e32 v29, v29, v30
	v_mov_b32_e32 v26, 0x3f317218
	v_pk_mul_f32 v[26:27], v[28:29], v[26:27]
	v_ldexp_f32 v25, v25, 1
	v_fma_f32 v29, v28, s2, -v26
	v_fmamk_f32 v30, v28, 0xb102e308, v29
	v_pk_add_f32 v[28:29], v[26:27], v[30:31]
	v_mov_b32_e32 v32, v26
	v_sub_f32_e32 v31, v29, v31
	v_sub_f32_e32 v31, v27, v31
	v_add_f32_e32 v33, v25, v31
	v_pk_add_f32 v[26:27], v[28:29], v[26:27] neg_lo:[0,1] neg_hi:[0,1]
	v_pk_add_f32 v[34:35], v[28:29], v[32:33]
	v_mov_b32_e32 v31, v28
	v_mov_b32_e32 v27, v35
	v_pk_add_f32 v[36:37], v[30:31], v[26:27] neg_lo:[0,1] neg_hi:[0,1]
	v_pk_add_f32 v[26:27], v[30:31], v[26:27]
	v_mov_b32_e32 v32, v33
	v_mov_b32_e32 v30, v27
	v_pk_add_f32 v[38:39], v[30:31], v[28:29] neg_lo:[0,1] neg_hi:[0,1]
	v_mov_b32_e32 v26, v35
	v_mov_b32_e32 v25, v38
	v_pk_add_f32 v[40:41], v[34:35], v[24:25] neg_lo:[0,1] neg_hi:[0,1]
	v_mov_b32_e32 v34, v29
	v_mov_b32_e32 v35, v38
	v_mov_b32_e32 v37, v27
	v_pk_add_f32 v[26:27], v[26:27], v[34:35] neg_lo:[0,1] neg_hi:[0,1]
	v_mov_b32_e32 v33, v28
	v_pk_add_f32 v[26:27], v[32:33], v[26:27] neg_lo:[0,1] neg_hi:[0,1]
	v_mov_b32_e32 v40, v36
	v_pk_add_f32 v[28:29], v[40:41], v[26:27]
	s_mov_b32 s2, 0x33800000
	v_mov_b32_e32 v32, v29
	v_pk_add_f32 v[32:33], v[28:29], v[32:33]
	v_cmp_lt_f32_e64 s[2:3], |v42|, s2
	v_pk_add_f32 v[30:31], v[30:31], v[32:33]
	v_mov_b32_e32 v27, v32
	v_mov_b32_e32 v29, v30
	v_pk_add_f32 v[34:35], v[28:29], v[36:37] neg_lo:[0,1] neg_hi:[0,1]
	s_or_b64 vcc, vcc, s[2:3]
	v_sub_f32_e32 v25, v28, v34
	v_pk_add_f32 v[26:27], v[26:27], v[34:35] neg_lo:[0,1] neg_hi:[0,1]
	v_sub_f32_e32 v25, v36, v25
	v_add_f32_e32 v25, v26, v25
	v_add_f32_e32 v25, v25, v27
	;; [unrolled: 1-line block ×3, first 2 shown]
	v_cndmask_b32_e32 v25, v25, v42, vcc
	v_add_f32_e32 v25, v9, v25
.LBB509_184:
	s_or_b64 exec, exec, s[0:1]
	v_bfe_u32 v9, v25, 16, 1
	s_movk_i32 s0, 0x7fff
	v_add3_u32 v9, v25, v9, s0
	s_mov_b32 s0, 0x5040100
	v_lshrrev_b32_e32 v9, 16, v9
	v_mov_b32_e32 v26, 0x7fc0
	v_cmp_o_f32_e32 vcc, v25, v25
	v_add_u32_e32 v25, v14, v53
	v_perm_b32 v5, v5, v16, s0
	v_perm_b32 v4, v4, v15, s0
	;; [unrolled: 1-line block ×4, first 2 shown]
	v_cndmask_b32_e32 v9, v26, v9, vcc
	s_waitcnt lgkmcnt(0)
	s_barrier
	ds_write_b128 v25, v[2:5]
	v_perm_b32 v3, v13, v20, s0
	v_perm_b32 v2, v12, v19, s0
	;; [unrolled: 1-line block ×4, first 2 shown]
	ds_write_b128 v25, v[0:3] offset:16
	v_perm_b32 v2, v8, v23, s0
	v_perm_b32 v1, v7, v22, s0
	;; [unrolled: 1-line block ×4, first 2 shown]
	ds_write_b128 v25, v[0:3] offset:32
	s_waitcnt lgkmcnt(0)
	s_barrier
	ds_read_u16 v26, v14 offset:512
	ds_read_u16 v25, v14 offset:1024
	;; [unrolled: 1-line block ×23, first 2 shown]
	v_readlane_b32 s0, v77, 6
	v_mov_b32_e32 v15, 0
	v_readlane_b32 s1, v77, 7
	s_nop 1
	v_lshl_add_u64 v[0:1], s[0:1], 0, v[14:15]
	s_mov_b64 s[0:1], exec
	v_readlane_b32 s2, v77, 0
	v_readlane_b32 s3, v77, 1
	s_and_b64 s[2:3], s[0:1], s[2:3]
	s_mov_b64 exec, s[2:3]
	s_cbranch_execz .LBB509_186
; %bb.185:
	ds_read_u16 v14, v14
	s_waitcnt lgkmcnt(0)
	global_store_short v[0:1], v14, off
.LBB509_186:
	s_or_b64 exec, exec, s[0:1]
	s_mov_b64 s[0:1], exec
	v_readlane_b32 s2, v77, 2
	v_readlane_b32 s3, v77, 3
	s_and_b64 s[2:3], s[0:1], s[2:3]
	s_mov_b64 exec, s[2:3]
	s_cbranch_execz .LBB509_188
; %bb.187:
	s_waitcnt lgkmcnt(14)
	global_store_short v[0:1], v26, off offset:512
.LBB509_188:
	s_or_b64 exec, exec, s[0:1]
	s_mov_b64 s[0:1], exec
	v_readlane_b32 s2, v77, 4
	v_readlane_b32 s3, v77, 5
	s_and_b64 s[2:3], s[0:1], s[2:3]
	s_mov_b64 exec, s[2:3]
	s_cbranch_execnz .LBB509_211
; %bb.189:
	s_or_b64 exec, exec, s[0:1]
	s_and_saveexec_b64 s[0:1], s[4:5]
	s_cbranch_execnz .LBB509_212
.LBB509_190:
	s_or_b64 exec, exec, s[0:1]
	s_and_saveexec_b64 s[0:1], s[6:7]
	s_cbranch_execnz .LBB509_213
.LBB509_191:
	s_or_b64 exec, exec, s[0:1]
	s_and_saveexec_b64 s[0:1], s[8:9]
	s_cbranch_execnz .LBB509_214
.LBB509_192:
	s_or_b64 exec, exec, s[0:1]
	s_and_saveexec_b64 s[0:1], s[10:11]
	s_cbranch_execnz .LBB509_215
.LBB509_193:
	s_or_b64 exec, exec, s[0:1]
	s_and_saveexec_b64 s[0:1], s[12:13]
	s_cbranch_execnz .LBB509_216
.LBB509_194:
	s_or_b64 exec, exec, s[0:1]
	s_and_saveexec_b64 s[0:1], s[14:15]
	s_cbranch_execnz .LBB509_217
.LBB509_195:
	s_or_b64 exec, exec, s[0:1]
	s_and_saveexec_b64 s[0:1], s[16:17]
	s_cbranch_execnz .LBB509_218
.LBB509_196:
	s_or_b64 exec, exec, s[0:1]
	s_and_saveexec_b64 s[0:1], s[18:19]
	s_cbranch_execnz .LBB509_219
.LBB509_197:
	s_or_b64 exec, exec, s[0:1]
	s_and_saveexec_b64 s[0:1], s[20:21]
	s_cbranch_execnz .LBB509_220
.LBB509_198:
	s_or_b64 exec, exec, s[0:1]
	s_and_saveexec_b64 s[0:1], s[22:23]
	s_cbranch_execnz .LBB509_221
.LBB509_199:
	s_or_b64 exec, exec, s[0:1]
	s_and_saveexec_b64 s[0:1], s[24:25]
	s_cbranch_execnz .LBB509_222
.LBB509_200:
	s_or_b64 exec, exec, s[0:1]
	s_and_saveexec_b64 s[0:1], s[26:27]
	s_cbranch_execnz .LBB509_223
.LBB509_201:
	s_or_b64 exec, exec, s[0:1]
	s_and_saveexec_b64 s[0:1], s[28:29]
	s_cbranch_execnz .LBB509_224
.LBB509_202:
	s_or_b64 exec, exec, s[0:1]
	s_and_saveexec_b64 s[0:1], s[30:31]
	s_cbranch_execnz .LBB509_225
.LBB509_203:
	s_or_b64 exec, exec, s[0:1]
	s_and_saveexec_b64 s[0:1], s[34:35]
	s_cbranch_execnz .LBB509_226
.LBB509_204:
	s_or_b64 exec, exec, s[0:1]
	s_and_saveexec_b64 s[0:1], s[36:37]
	s_cbranch_execnz .LBB509_227
.LBB509_205:
	s_or_b64 exec, exec, s[0:1]
	s_and_saveexec_b64 s[0:1], s[38:39]
	s_cbranch_execnz .LBB509_228
.LBB509_206:
	s_or_b64 exec, exec, s[0:1]
	s_and_saveexec_b64 s[0:1], s[40:41]
	s_cbranch_execnz .LBB509_229
.LBB509_207:
	s_or_b64 exec, exec, s[0:1]
	s_and_saveexec_b64 s[0:1], s[42:43]
	s_cbranch_execnz .LBB509_230
.LBB509_208:
	s_or_b64 exec, exec, s[0:1]
	s_and_saveexec_b64 s[0:1], s[44:45]
	s_cbranch_execnz .LBB509_231
.LBB509_209:
	s_or_b64 exec, exec, s[0:1]
	s_and_saveexec_b64 s[0:1], s[46:47]
	s_cbranch_execnz .LBB509_232
.LBB509_210:
	s_endpgm
.LBB509_211:
	s_waitcnt lgkmcnt(14)
	global_store_short v[0:1], v25, off offset:1024
	s_or_b64 exec, exec, s[0:1]
	s_and_saveexec_b64 s[0:1], s[4:5]
	s_cbranch_execz .LBB509_190
.LBB509_212:
	s_waitcnt lgkmcnt(14)
	global_store_short v[0:1], v24, off offset:1536
	s_or_b64 exec, exec, s[0:1]
	s_and_saveexec_b64 s[0:1], s[6:7]
	s_cbranch_execz .LBB509_191
.LBB509_213:
	s_waitcnt lgkmcnt(14)
	global_store_short v[0:1], v23, off offset:2048
	s_or_b64 exec, exec, s[0:1]
	s_and_saveexec_b64 s[0:1], s[8:9]
	s_cbranch_execz .LBB509_192
.LBB509_214:
	s_waitcnt lgkmcnt(14)
	global_store_short v[0:1], v22, off offset:2560
	s_or_b64 exec, exec, s[0:1]
	s_and_saveexec_b64 s[0:1], s[10:11]
	s_cbranch_execz .LBB509_193
.LBB509_215:
	s_waitcnt lgkmcnt(14)
	global_store_short v[0:1], v21, off offset:3072
	s_or_b64 exec, exec, s[0:1]
	s_and_saveexec_b64 s[0:1], s[12:13]
	s_cbranch_execz .LBB509_194
.LBB509_216:
	s_waitcnt lgkmcnt(14)
	global_store_short v[0:1], v20, off offset:3584
	s_or_b64 exec, exec, s[0:1]
	s_and_saveexec_b64 s[0:1], s[14:15]
	s_cbranch_execz .LBB509_195
.LBB509_217:
	v_add_co_u32_e32 v14, vcc, 0x1000, v0
	s_nop 1
	v_addc_co_u32_e32 v15, vcc, 0, v1, vcc
	s_waitcnt lgkmcnt(14)
	global_store_short v[14:15], v19, off
	s_or_b64 exec, exec, s[0:1]
	s_and_saveexec_b64 s[0:1], s[16:17]
	s_cbranch_execz .LBB509_196
.LBB509_218:
	v_add_co_u32_e32 v14, vcc, 0x1000, v0
	s_nop 1
	v_addc_co_u32_e32 v15, vcc, 0, v1, vcc
	s_waitcnt lgkmcnt(14)
	global_store_short v[14:15], v18, off offset:512
	s_or_b64 exec, exec, s[0:1]
	s_and_saveexec_b64 s[0:1], s[18:19]
	s_cbranch_execz .LBB509_197
.LBB509_219:
	v_add_co_u32_e32 v14, vcc, 0x1000, v0
	s_nop 1
	v_addc_co_u32_e32 v15, vcc, 0, v1, vcc
	s_waitcnt lgkmcnt(13)
	global_store_short v[14:15], v17, off offset:1024
	s_or_b64 exec, exec, s[0:1]
	s_and_saveexec_b64 s[0:1], s[20:21]
	s_cbranch_execz .LBB509_198
.LBB509_220:
	v_add_co_u32_e32 v14, vcc, 0x1000, v0
	s_nop 1
	v_addc_co_u32_e32 v15, vcc, 0, v1, vcc
	s_waitcnt lgkmcnt(12)
	global_store_short v[14:15], v16, off offset:1536
	s_or_b64 exec, exec, s[0:1]
	s_and_saveexec_b64 s[0:1], s[22:23]
	s_cbranch_execz .LBB509_199
.LBB509_221:
	v_add_co_u32_e32 v14, vcc, 0x1000, v0
	s_nop 1
	v_addc_co_u32_e32 v15, vcc, 0, v1, vcc
	s_waitcnt lgkmcnt(11)
	global_store_short v[14:15], v13, off offset:2048
	s_or_b64 exec, exec, s[0:1]
	s_and_saveexec_b64 s[0:1], s[24:25]
	s_cbranch_execz .LBB509_200
.LBB509_222:
	v_add_co_u32_e32 v14, vcc, 0x1000, v0
	s_nop 1
	v_addc_co_u32_e32 v15, vcc, 0, v1, vcc
	s_waitcnt lgkmcnt(10)
	global_store_short v[14:15], v12, off offset:2560
	s_or_b64 exec, exec, s[0:1]
	s_and_saveexec_b64 s[0:1], s[26:27]
	s_cbranch_execz .LBB509_201
.LBB509_223:
	s_waitcnt lgkmcnt(10)
	v_add_co_u32_e32 v12, vcc, 0x1000, v0
	s_nop 1
	v_addc_co_u32_e32 v13, vcc, 0, v1, vcc
	s_waitcnt lgkmcnt(9)
	global_store_short v[12:13], v11, off offset:3072
	s_or_b64 exec, exec, s[0:1]
	s_and_saveexec_b64 s[0:1], s[28:29]
	s_cbranch_execz .LBB509_202
.LBB509_224:
	s_waitcnt lgkmcnt(10)
	v_add_co_u32_e32 v12, vcc, 0x1000, v0
	s_nop 1
	v_addc_co_u32_e32 v13, vcc, 0, v1, vcc
	s_waitcnt lgkmcnt(8)
	global_store_short v[12:13], v10, off offset:3584
	s_or_b64 exec, exec, s[0:1]
	s_and_saveexec_b64 s[0:1], s[30:31]
	s_cbranch_execz .LBB509_203
.LBB509_225:
	s_waitcnt lgkmcnt(8)
	v_add_co_u32_e32 v10, vcc, 0x2000, v0
	s_nop 1
	v_addc_co_u32_e32 v11, vcc, 0, v1, vcc
	s_waitcnt lgkmcnt(7)
	global_store_short v[10:11], v9, off
	s_or_b64 exec, exec, s[0:1]
	s_and_saveexec_b64 s[0:1], s[34:35]
	s_cbranch_execz .LBB509_204
.LBB509_226:
	s_waitcnt lgkmcnt(8)
	v_add_co_u32_e32 v10, vcc, 0x2000, v0
	s_nop 1
	v_addc_co_u32_e32 v11, vcc, 0, v1, vcc
	s_waitcnt lgkmcnt(6)
	global_store_short v[10:11], v8, off offset:512
	s_or_b64 exec, exec, s[0:1]
	s_and_saveexec_b64 s[0:1], s[36:37]
	s_cbranch_execz .LBB509_205
.LBB509_227:
	s_waitcnt lgkmcnt(6)
	v_add_co_u32_e32 v8, vcc, 0x2000, v0
	s_nop 1
	v_addc_co_u32_e32 v9, vcc, 0, v1, vcc
	s_waitcnt lgkmcnt(5)
	global_store_short v[8:9], v7, off offset:1024
	s_or_b64 exec, exec, s[0:1]
	s_and_saveexec_b64 s[0:1], s[38:39]
	s_cbranch_execz .LBB509_206
.LBB509_228:
	s_waitcnt lgkmcnt(6)
	v_add_co_u32_e32 v8, vcc, 0x2000, v0
	s_nop 1
	v_addc_co_u32_e32 v9, vcc, 0, v1, vcc
	s_waitcnt lgkmcnt(4)
	global_store_short v[8:9], v6, off offset:1536
	s_or_b64 exec, exec, s[0:1]
	s_and_saveexec_b64 s[0:1], s[40:41]
	s_cbranch_execz .LBB509_207
.LBB509_229:
	s_waitcnt lgkmcnt(4)
	v_add_co_u32_e32 v6, vcc, 0x2000, v0
	s_nop 1
	v_addc_co_u32_e32 v7, vcc, 0, v1, vcc
	s_waitcnt lgkmcnt(3)
	global_store_short v[6:7], v5, off offset:2048
	s_or_b64 exec, exec, s[0:1]
	s_and_saveexec_b64 s[0:1], s[42:43]
	s_cbranch_execz .LBB509_208
.LBB509_230:
	s_waitcnt lgkmcnt(4)
	v_add_co_u32_e32 v6, vcc, 0x2000, v0
	s_nop 1
	v_addc_co_u32_e32 v7, vcc, 0, v1, vcc
	s_waitcnt lgkmcnt(2)
	global_store_short v[6:7], v4, off offset:2560
	s_or_b64 exec, exec, s[0:1]
	s_and_saveexec_b64 s[0:1], s[44:45]
	s_cbranch_execz .LBB509_209
.LBB509_231:
	s_waitcnt lgkmcnt(2)
	v_add_co_u32_e32 v4, vcc, 0x2000, v0
	s_nop 1
	v_addc_co_u32_e32 v5, vcc, 0, v1, vcc
	s_waitcnt lgkmcnt(1)
	global_store_short v[4:5], v3, off offset:3072
	s_or_b64 exec, exec, s[0:1]
	s_and_saveexec_b64 s[0:1], s[46:47]
	s_cbranch_execz .LBB509_210
.LBB509_232:
	v_add_co_u32_e32 v0, vcc, 0x2000, v0
	s_nop 1
	v_addc_co_u32_e32 v1, vcc, 0, v1, vcc
	s_waitcnt lgkmcnt(0)
	global_store_short v[0:1], v2, off offset:3584
	s_endpgm
	.section	.rodata,"a",@progbits
	.p2align	6, 0x0
	.amdhsa_kernel _ZN7rocprim17ROCPRIM_400000_NS6detail17trampoline_kernelINS0_14default_configENS1_20scan_config_selectorIN3c108BFloat16EEEZZNS1_9scan_implILNS1_25lookback_scan_determinismE0ELb0ELb0ES3_PKS6_PS6_S6_ZZZN2at6native31launch_logcumsumexp_cuda_kernelERKNSD_10TensorBaseESH_lENKUlvE_clEvENKUlvE4_clEvEUlS6_S6_E_S6_EEDaPvRmT3_T4_T5_mT6_P12ihipStream_tbENKUlT_T0_E_clISt17integral_constantIbLb1EESX_IbLb0EEEEDaST_SU_EUlST_E0_NS1_11comp_targetILNS1_3genE5ELNS1_11target_archE942ELNS1_3gpuE9ELNS1_3repE0EEENS1_30default_config_static_selectorELNS0_4arch9wavefront6targetE1EEEvT1_
		.amdhsa_group_segment_fixed_size 12288
		.amdhsa_private_segment_fixed_size 0
		.amdhsa_kernarg_size 32
		.amdhsa_user_sgpr_count 2
		.amdhsa_user_sgpr_dispatch_ptr 0
		.amdhsa_user_sgpr_queue_ptr 0
		.amdhsa_user_sgpr_kernarg_segment_ptr 1
		.amdhsa_user_sgpr_dispatch_id 0
		.amdhsa_user_sgpr_kernarg_preload_length 0
		.amdhsa_user_sgpr_kernarg_preload_offset 0
		.amdhsa_user_sgpr_private_segment_size 0
		.amdhsa_uses_dynamic_stack 0
		.amdhsa_enable_private_segment 0
		.amdhsa_system_sgpr_workgroup_id_x 1
		.amdhsa_system_sgpr_workgroup_id_y 0
		.amdhsa_system_sgpr_workgroup_id_z 0
		.amdhsa_system_sgpr_workgroup_info 0
		.amdhsa_system_vgpr_workitem_id 0
		.amdhsa_next_free_vgpr 78
		.amdhsa_next_free_sgpr 100
		.amdhsa_accum_offset 80
		.amdhsa_reserve_vcc 1
		.amdhsa_float_round_mode_32 0
		.amdhsa_float_round_mode_16_64 0
		.amdhsa_float_denorm_mode_32 3
		.amdhsa_float_denorm_mode_16_64 3
		.amdhsa_dx10_clamp 1
		.amdhsa_ieee_mode 1
		.amdhsa_fp16_overflow 0
		.amdhsa_tg_split 0
		.amdhsa_exception_fp_ieee_invalid_op 0
		.amdhsa_exception_fp_denorm_src 0
		.amdhsa_exception_fp_ieee_div_zero 0
		.amdhsa_exception_fp_ieee_overflow 0
		.amdhsa_exception_fp_ieee_underflow 0
		.amdhsa_exception_fp_ieee_inexact 0
		.amdhsa_exception_int_div_zero 0
	.end_amdhsa_kernel
	.section	.text._ZN7rocprim17ROCPRIM_400000_NS6detail17trampoline_kernelINS0_14default_configENS1_20scan_config_selectorIN3c108BFloat16EEEZZNS1_9scan_implILNS1_25lookback_scan_determinismE0ELb0ELb0ES3_PKS6_PS6_S6_ZZZN2at6native31launch_logcumsumexp_cuda_kernelERKNSD_10TensorBaseESH_lENKUlvE_clEvENKUlvE4_clEvEUlS6_S6_E_S6_EEDaPvRmT3_T4_T5_mT6_P12ihipStream_tbENKUlT_T0_E_clISt17integral_constantIbLb1EESX_IbLb0EEEEDaST_SU_EUlST_E0_NS1_11comp_targetILNS1_3genE5ELNS1_11target_archE942ELNS1_3gpuE9ELNS1_3repE0EEENS1_30default_config_static_selectorELNS0_4arch9wavefront6targetE1EEEvT1_,"axG",@progbits,_ZN7rocprim17ROCPRIM_400000_NS6detail17trampoline_kernelINS0_14default_configENS1_20scan_config_selectorIN3c108BFloat16EEEZZNS1_9scan_implILNS1_25lookback_scan_determinismE0ELb0ELb0ES3_PKS6_PS6_S6_ZZZN2at6native31launch_logcumsumexp_cuda_kernelERKNSD_10TensorBaseESH_lENKUlvE_clEvENKUlvE4_clEvEUlS6_S6_E_S6_EEDaPvRmT3_T4_T5_mT6_P12ihipStream_tbENKUlT_T0_E_clISt17integral_constantIbLb1EESX_IbLb0EEEEDaST_SU_EUlST_E0_NS1_11comp_targetILNS1_3genE5ELNS1_11target_archE942ELNS1_3gpuE9ELNS1_3repE0EEENS1_30default_config_static_selectorELNS0_4arch9wavefront6targetE1EEEvT1_,comdat
.Lfunc_end509:
	.size	_ZN7rocprim17ROCPRIM_400000_NS6detail17trampoline_kernelINS0_14default_configENS1_20scan_config_selectorIN3c108BFloat16EEEZZNS1_9scan_implILNS1_25lookback_scan_determinismE0ELb0ELb0ES3_PKS6_PS6_S6_ZZZN2at6native31launch_logcumsumexp_cuda_kernelERKNSD_10TensorBaseESH_lENKUlvE_clEvENKUlvE4_clEvEUlS6_S6_E_S6_EEDaPvRmT3_T4_T5_mT6_P12ihipStream_tbENKUlT_T0_E_clISt17integral_constantIbLb1EESX_IbLb0EEEEDaST_SU_EUlST_E0_NS1_11comp_targetILNS1_3genE5ELNS1_11target_archE942ELNS1_3gpuE9ELNS1_3repE0EEENS1_30default_config_static_selectorELNS0_4arch9wavefront6targetE1EEEvT1_, .Lfunc_end509-_ZN7rocprim17ROCPRIM_400000_NS6detail17trampoline_kernelINS0_14default_configENS1_20scan_config_selectorIN3c108BFloat16EEEZZNS1_9scan_implILNS1_25lookback_scan_determinismE0ELb0ELb0ES3_PKS6_PS6_S6_ZZZN2at6native31launch_logcumsumexp_cuda_kernelERKNSD_10TensorBaseESH_lENKUlvE_clEvENKUlvE4_clEvEUlS6_S6_E_S6_EEDaPvRmT3_T4_T5_mT6_P12ihipStream_tbENKUlT_T0_E_clISt17integral_constantIbLb1EESX_IbLb0EEEEDaST_SU_EUlST_E0_NS1_11comp_targetILNS1_3genE5ELNS1_11target_archE942ELNS1_3gpuE9ELNS1_3repE0EEENS1_30default_config_static_selectorELNS0_4arch9wavefront6targetE1EEEvT1_
                                        ; -- End function
	.section	.AMDGPU.csdata,"",@progbits
; Kernel info:
; codeLenInByte = 52992
; NumSgprs: 106
; NumVgprs: 78
; NumAgprs: 0
; TotalNumVgprs: 78
; ScratchSize: 0
; MemoryBound: 0
; FloatMode: 240
; IeeeMode: 1
; LDSByteSize: 12288 bytes/workgroup (compile time only)
; SGPRBlocks: 13
; VGPRBlocks: 9
; NumSGPRsForWavesPerEU: 106
; NumVGPRsForWavesPerEU: 78
; AccumOffset: 80
; Occupancy: 5
; WaveLimiterHint : 0
; COMPUTE_PGM_RSRC2:SCRATCH_EN: 0
; COMPUTE_PGM_RSRC2:USER_SGPR: 2
; COMPUTE_PGM_RSRC2:TRAP_HANDLER: 0
; COMPUTE_PGM_RSRC2:TGID_X_EN: 1
; COMPUTE_PGM_RSRC2:TGID_Y_EN: 0
; COMPUTE_PGM_RSRC2:TGID_Z_EN: 0
; COMPUTE_PGM_RSRC2:TIDIG_COMP_CNT: 0
; COMPUTE_PGM_RSRC3_GFX90A:ACCUM_OFFSET: 19
; COMPUTE_PGM_RSRC3_GFX90A:TG_SPLIT: 0
	.section	.text._ZN7rocprim17ROCPRIM_400000_NS6detail17trampoline_kernelINS0_14default_configENS1_20scan_config_selectorIN3c108BFloat16EEEZZNS1_9scan_implILNS1_25lookback_scan_determinismE0ELb0ELb0ES3_PKS6_PS6_S6_ZZZN2at6native31launch_logcumsumexp_cuda_kernelERKNSD_10TensorBaseESH_lENKUlvE_clEvENKUlvE4_clEvEUlS6_S6_E_S6_EEDaPvRmT3_T4_T5_mT6_P12ihipStream_tbENKUlT_T0_E_clISt17integral_constantIbLb1EESX_IbLb0EEEEDaST_SU_EUlST_E0_NS1_11comp_targetILNS1_3genE4ELNS1_11target_archE910ELNS1_3gpuE8ELNS1_3repE0EEENS1_30default_config_static_selectorELNS0_4arch9wavefront6targetE1EEEvT1_,"axG",@progbits,_ZN7rocprim17ROCPRIM_400000_NS6detail17trampoline_kernelINS0_14default_configENS1_20scan_config_selectorIN3c108BFloat16EEEZZNS1_9scan_implILNS1_25lookback_scan_determinismE0ELb0ELb0ES3_PKS6_PS6_S6_ZZZN2at6native31launch_logcumsumexp_cuda_kernelERKNSD_10TensorBaseESH_lENKUlvE_clEvENKUlvE4_clEvEUlS6_S6_E_S6_EEDaPvRmT3_T4_T5_mT6_P12ihipStream_tbENKUlT_T0_E_clISt17integral_constantIbLb1EESX_IbLb0EEEEDaST_SU_EUlST_E0_NS1_11comp_targetILNS1_3genE4ELNS1_11target_archE910ELNS1_3gpuE8ELNS1_3repE0EEENS1_30default_config_static_selectorELNS0_4arch9wavefront6targetE1EEEvT1_,comdat
	.globl	_ZN7rocprim17ROCPRIM_400000_NS6detail17trampoline_kernelINS0_14default_configENS1_20scan_config_selectorIN3c108BFloat16EEEZZNS1_9scan_implILNS1_25lookback_scan_determinismE0ELb0ELb0ES3_PKS6_PS6_S6_ZZZN2at6native31launch_logcumsumexp_cuda_kernelERKNSD_10TensorBaseESH_lENKUlvE_clEvENKUlvE4_clEvEUlS6_S6_E_S6_EEDaPvRmT3_T4_T5_mT6_P12ihipStream_tbENKUlT_T0_E_clISt17integral_constantIbLb1EESX_IbLb0EEEEDaST_SU_EUlST_E0_NS1_11comp_targetILNS1_3genE4ELNS1_11target_archE910ELNS1_3gpuE8ELNS1_3repE0EEENS1_30default_config_static_selectorELNS0_4arch9wavefront6targetE1EEEvT1_ ; -- Begin function _ZN7rocprim17ROCPRIM_400000_NS6detail17trampoline_kernelINS0_14default_configENS1_20scan_config_selectorIN3c108BFloat16EEEZZNS1_9scan_implILNS1_25lookback_scan_determinismE0ELb0ELb0ES3_PKS6_PS6_S6_ZZZN2at6native31launch_logcumsumexp_cuda_kernelERKNSD_10TensorBaseESH_lENKUlvE_clEvENKUlvE4_clEvEUlS6_S6_E_S6_EEDaPvRmT3_T4_T5_mT6_P12ihipStream_tbENKUlT_T0_E_clISt17integral_constantIbLb1EESX_IbLb0EEEEDaST_SU_EUlST_E0_NS1_11comp_targetILNS1_3genE4ELNS1_11target_archE910ELNS1_3gpuE8ELNS1_3repE0EEENS1_30default_config_static_selectorELNS0_4arch9wavefront6targetE1EEEvT1_
	.p2align	8
	.type	_ZN7rocprim17ROCPRIM_400000_NS6detail17trampoline_kernelINS0_14default_configENS1_20scan_config_selectorIN3c108BFloat16EEEZZNS1_9scan_implILNS1_25lookback_scan_determinismE0ELb0ELb0ES3_PKS6_PS6_S6_ZZZN2at6native31launch_logcumsumexp_cuda_kernelERKNSD_10TensorBaseESH_lENKUlvE_clEvENKUlvE4_clEvEUlS6_S6_E_S6_EEDaPvRmT3_T4_T5_mT6_P12ihipStream_tbENKUlT_T0_E_clISt17integral_constantIbLb1EESX_IbLb0EEEEDaST_SU_EUlST_E0_NS1_11comp_targetILNS1_3genE4ELNS1_11target_archE910ELNS1_3gpuE8ELNS1_3repE0EEENS1_30default_config_static_selectorELNS0_4arch9wavefront6targetE1EEEvT1_,@function
_ZN7rocprim17ROCPRIM_400000_NS6detail17trampoline_kernelINS0_14default_configENS1_20scan_config_selectorIN3c108BFloat16EEEZZNS1_9scan_implILNS1_25lookback_scan_determinismE0ELb0ELb0ES3_PKS6_PS6_S6_ZZZN2at6native31launch_logcumsumexp_cuda_kernelERKNSD_10TensorBaseESH_lENKUlvE_clEvENKUlvE4_clEvEUlS6_S6_E_S6_EEDaPvRmT3_T4_T5_mT6_P12ihipStream_tbENKUlT_T0_E_clISt17integral_constantIbLb1EESX_IbLb0EEEEDaST_SU_EUlST_E0_NS1_11comp_targetILNS1_3genE4ELNS1_11target_archE910ELNS1_3gpuE8ELNS1_3repE0EEENS1_30default_config_static_selectorELNS0_4arch9wavefront6targetE1EEEvT1_: ; @_ZN7rocprim17ROCPRIM_400000_NS6detail17trampoline_kernelINS0_14default_configENS1_20scan_config_selectorIN3c108BFloat16EEEZZNS1_9scan_implILNS1_25lookback_scan_determinismE0ELb0ELb0ES3_PKS6_PS6_S6_ZZZN2at6native31launch_logcumsumexp_cuda_kernelERKNSD_10TensorBaseESH_lENKUlvE_clEvENKUlvE4_clEvEUlS6_S6_E_S6_EEDaPvRmT3_T4_T5_mT6_P12ihipStream_tbENKUlT_T0_E_clISt17integral_constantIbLb1EESX_IbLb0EEEEDaST_SU_EUlST_E0_NS1_11comp_targetILNS1_3genE4ELNS1_11target_archE910ELNS1_3gpuE8ELNS1_3repE0EEENS1_30default_config_static_selectorELNS0_4arch9wavefront6targetE1EEEvT1_
; %bb.0:
	.section	.rodata,"a",@progbits
	.p2align	6, 0x0
	.amdhsa_kernel _ZN7rocprim17ROCPRIM_400000_NS6detail17trampoline_kernelINS0_14default_configENS1_20scan_config_selectorIN3c108BFloat16EEEZZNS1_9scan_implILNS1_25lookback_scan_determinismE0ELb0ELb0ES3_PKS6_PS6_S6_ZZZN2at6native31launch_logcumsumexp_cuda_kernelERKNSD_10TensorBaseESH_lENKUlvE_clEvENKUlvE4_clEvEUlS6_S6_E_S6_EEDaPvRmT3_T4_T5_mT6_P12ihipStream_tbENKUlT_T0_E_clISt17integral_constantIbLb1EESX_IbLb0EEEEDaST_SU_EUlST_E0_NS1_11comp_targetILNS1_3genE4ELNS1_11target_archE910ELNS1_3gpuE8ELNS1_3repE0EEENS1_30default_config_static_selectorELNS0_4arch9wavefront6targetE1EEEvT1_
		.amdhsa_group_segment_fixed_size 0
		.amdhsa_private_segment_fixed_size 0
		.amdhsa_kernarg_size 32
		.amdhsa_user_sgpr_count 2
		.amdhsa_user_sgpr_dispatch_ptr 0
		.amdhsa_user_sgpr_queue_ptr 0
		.amdhsa_user_sgpr_kernarg_segment_ptr 1
		.amdhsa_user_sgpr_dispatch_id 0
		.amdhsa_user_sgpr_kernarg_preload_length 0
		.amdhsa_user_sgpr_kernarg_preload_offset 0
		.amdhsa_user_sgpr_private_segment_size 0
		.amdhsa_uses_dynamic_stack 0
		.amdhsa_enable_private_segment 0
		.amdhsa_system_sgpr_workgroup_id_x 1
		.amdhsa_system_sgpr_workgroup_id_y 0
		.amdhsa_system_sgpr_workgroup_id_z 0
		.amdhsa_system_sgpr_workgroup_info 0
		.amdhsa_system_vgpr_workitem_id 0
		.amdhsa_next_free_vgpr 1
		.amdhsa_next_free_sgpr 0
		.amdhsa_accum_offset 4
		.amdhsa_reserve_vcc 0
		.amdhsa_float_round_mode_32 0
		.amdhsa_float_round_mode_16_64 0
		.amdhsa_float_denorm_mode_32 3
		.amdhsa_float_denorm_mode_16_64 3
		.amdhsa_dx10_clamp 1
		.amdhsa_ieee_mode 1
		.amdhsa_fp16_overflow 0
		.amdhsa_tg_split 0
		.amdhsa_exception_fp_ieee_invalid_op 0
		.amdhsa_exception_fp_denorm_src 0
		.amdhsa_exception_fp_ieee_div_zero 0
		.amdhsa_exception_fp_ieee_overflow 0
		.amdhsa_exception_fp_ieee_underflow 0
		.amdhsa_exception_fp_ieee_inexact 0
		.amdhsa_exception_int_div_zero 0
	.end_amdhsa_kernel
	.section	.text._ZN7rocprim17ROCPRIM_400000_NS6detail17trampoline_kernelINS0_14default_configENS1_20scan_config_selectorIN3c108BFloat16EEEZZNS1_9scan_implILNS1_25lookback_scan_determinismE0ELb0ELb0ES3_PKS6_PS6_S6_ZZZN2at6native31launch_logcumsumexp_cuda_kernelERKNSD_10TensorBaseESH_lENKUlvE_clEvENKUlvE4_clEvEUlS6_S6_E_S6_EEDaPvRmT3_T4_T5_mT6_P12ihipStream_tbENKUlT_T0_E_clISt17integral_constantIbLb1EESX_IbLb0EEEEDaST_SU_EUlST_E0_NS1_11comp_targetILNS1_3genE4ELNS1_11target_archE910ELNS1_3gpuE8ELNS1_3repE0EEENS1_30default_config_static_selectorELNS0_4arch9wavefront6targetE1EEEvT1_,"axG",@progbits,_ZN7rocprim17ROCPRIM_400000_NS6detail17trampoline_kernelINS0_14default_configENS1_20scan_config_selectorIN3c108BFloat16EEEZZNS1_9scan_implILNS1_25lookback_scan_determinismE0ELb0ELb0ES3_PKS6_PS6_S6_ZZZN2at6native31launch_logcumsumexp_cuda_kernelERKNSD_10TensorBaseESH_lENKUlvE_clEvENKUlvE4_clEvEUlS6_S6_E_S6_EEDaPvRmT3_T4_T5_mT6_P12ihipStream_tbENKUlT_T0_E_clISt17integral_constantIbLb1EESX_IbLb0EEEEDaST_SU_EUlST_E0_NS1_11comp_targetILNS1_3genE4ELNS1_11target_archE910ELNS1_3gpuE8ELNS1_3repE0EEENS1_30default_config_static_selectorELNS0_4arch9wavefront6targetE1EEEvT1_,comdat
.Lfunc_end510:
	.size	_ZN7rocprim17ROCPRIM_400000_NS6detail17trampoline_kernelINS0_14default_configENS1_20scan_config_selectorIN3c108BFloat16EEEZZNS1_9scan_implILNS1_25lookback_scan_determinismE0ELb0ELb0ES3_PKS6_PS6_S6_ZZZN2at6native31launch_logcumsumexp_cuda_kernelERKNSD_10TensorBaseESH_lENKUlvE_clEvENKUlvE4_clEvEUlS6_S6_E_S6_EEDaPvRmT3_T4_T5_mT6_P12ihipStream_tbENKUlT_T0_E_clISt17integral_constantIbLb1EESX_IbLb0EEEEDaST_SU_EUlST_E0_NS1_11comp_targetILNS1_3genE4ELNS1_11target_archE910ELNS1_3gpuE8ELNS1_3repE0EEENS1_30default_config_static_selectorELNS0_4arch9wavefront6targetE1EEEvT1_, .Lfunc_end510-_ZN7rocprim17ROCPRIM_400000_NS6detail17trampoline_kernelINS0_14default_configENS1_20scan_config_selectorIN3c108BFloat16EEEZZNS1_9scan_implILNS1_25lookback_scan_determinismE0ELb0ELb0ES3_PKS6_PS6_S6_ZZZN2at6native31launch_logcumsumexp_cuda_kernelERKNSD_10TensorBaseESH_lENKUlvE_clEvENKUlvE4_clEvEUlS6_S6_E_S6_EEDaPvRmT3_T4_T5_mT6_P12ihipStream_tbENKUlT_T0_E_clISt17integral_constantIbLb1EESX_IbLb0EEEEDaST_SU_EUlST_E0_NS1_11comp_targetILNS1_3genE4ELNS1_11target_archE910ELNS1_3gpuE8ELNS1_3repE0EEENS1_30default_config_static_selectorELNS0_4arch9wavefront6targetE1EEEvT1_
                                        ; -- End function
	.section	.AMDGPU.csdata,"",@progbits
; Kernel info:
; codeLenInByte = 0
; NumSgprs: 6
; NumVgprs: 0
; NumAgprs: 0
; TotalNumVgprs: 0
; ScratchSize: 0
; MemoryBound: 0
; FloatMode: 240
; IeeeMode: 1
; LDSByteSize: 0 bytes/workgroup (compile time only)
; SGPRBlocks: 0
; VGPRBlocks: 0
; NumSGPRsForWavesPerEU: 6
; NumVGPRsForWavesPerEU: 1
; AccumOffset: 4
; Occupancy: 8
; WaveLimiterHint : 0
; COMPUTE_PGM_RSRC2:SCRATCH_EN: 0
; COMPUTE_PGM_RSRC2:USER_SGPR: 2
; COMPUTE_PGM_RSRC2:TRAP_HANDLER: 0
; COMPUTE_PGM_RSRC2:TGID_X_EN: 1
; COMPUTE_PGM_RSRC2:TGID_Y_EN: 0
; COMPUTE_PGM_RSRC2:TGID_Z_EN: 0
; COMPUTE_PGM_RSRC2:TIDIG_COMP_CNT: 0
; COMPUTE_PGM_RSRC3_GFX90A:ACCUM_OFFSET: 0
; COMPUTE_PGM_RSRC3_GFX90A:TG_SPLIT: 0
	.section	.text._ZN7rocprim17ROCPRIM_400000_NS6detail17trampoline_kernelINS0_14default_configENS1_20scan_config_selectorIN3c108BFloat16EEEZZNS1_9scan_implILNS1_25lookback_scan_determinismE0ELb0ELb0ES3_PKS6_PS6_S6_ZZZN2at6native31launch_logcumsumexp_cuda_kernelERKNSD_10TensorBaseESH_lENKUlvE_clEvENKUlvE4_clEvEUlS6_S6_E_S6_EEDaPvRmT3_T4_T5_mT6_P12ihipStream_tbENKUlT_T0_E_clISt17integral_constantIbLb1EESX_IbLb0EEEEDaST_SU_EUlST_E0_NS1_11comp_targetILNS1_3genE3ELNS1_11target_archE908ELNS1_3gpuE7ELNS1_3repE0EEENS1_30default_config_static_selectorELNS0_4arch9wavefront6targetE1EEEvT1_,"axG",@progbits,_ZN7rocprim17ROCPRIM_400000_NS6detail17trampoline_kernelINS0_14default_configENS1_20scan_config_selectorIN3c108BFloat16EEEZZNS1_9scan_implILNS1_25lookback_scan_determinismE0ELb0ELb0ES3_PKS6_PS6_S6_ZZZN2at6native31launch_logcumsumexp_cuda_kernelERKNSD_10TensorBaseESH_lENKUlvE_clEvENKUlvE4_clEvEUlS6_S6_E_S6_EEDaPvRmT3_T4_T5_mT6_P12ihipStream_tbENKUlT_T0_E_clISt17integral_constantIbLb1EESX_IbLb0EEEEDaST_SU_EUlST_E0_NS1_11comp_targetILNS1_3genE3ELNS1_11target_archE908ELNS1_3gpuE7ELNS1_3repE0EEENS1_30default_config_static_selectorELNS0_4arch9wavefront6targetE1EEEvT1_,comdat
	.globl	_ZN7rocprim17ROCPRIM_400000_NS6detail17trampoline_kernelINS0_14default_configENS1_20scan_config_selectorIN3c108BFloat16EEEZZNS1_9scan_implILNS1_25lookback_scan_determinismE0ELb0ELb0ES3_PKS6_PS6_S6_ZZZN2at6native31launch_logcumsumexp_cuda_kernelERKNSD_10TensorBaseESH_lENKUlvE_clEvENKUlvE4_clEvEUlS6_S6_E_S6_EEDaPvRmT3_T4_T5_mT6_P12ihipStream_tbENKUlT_T0_E_clISt17integral_constantIbLb1EESX_IbLb0EEEEDaST_SU_EUlST_E0_NS1_11comp_targetILNS1_3genE3ELNS1_11target_archE908ELNS1_3gpuE7ELNS1_3repE0EEENS1_30default_config_static_selectorELNS0_4arch9wavefront6targetE1EEEvT1_ ; -- Begin function _ZN7rocprim17ROCPRIM_400000_NS6detail17trampoline_kernelINS0_14default_configENS1_20scan_config_selectorIN3c108BFloat16EEEZZNS1_9scan_implILNS1_25lookback_scan_determinismE0ELb0ELb0ES3_PKS6_PS6_S6_ZZZN2at6native31launch_logcumsumexp_cuda_kernelERKNSD_10TensorBaseESH_lENKUlvE_clEvENKUlvE4_clEvEUlS6_S6_E_S6_EEDaPvRmT3_T4_T5_mT6_P12ihipStream_tbENKUlT_T0_E_clISt17integral_constantIbLb1EESX_IbLb0EEEEDaST_SU_EUlST_E0_NS1_11comp_targetILNS1_3genE3ELNS1_11target_archE908ELNS1_3gpuE7ELNS1_3repE0EEENS1_30default_config_static_selectorELNS0_4arch9wavefront6targetE1EEEvT1_
	.p2align	8
	.type	_ZN7rocprim17ROCPRIM_400000_NS6detail17trampoline_kernelINS0_14default_configENS1_20scan_config_selectorIN3c108BFloat16EEEZZNS1_9scan_implILNS1_25lookback_scan_determinismE0ELb0ELb0ES3_PKS6_PS6_S6_ZZZN2at6native31launch_logcumsumexp_cuda_kernelERKNSD_10TensorBaseESH_lENKUlvE_clEvENKUlvE4_clEvEUlS6_S6_E_S6_EEDaPvRmT3_T4_T5_mT6_P12ihipStream_tbENKUlT_T0_E_clISt17integral_constantIbLb1EESX_IbLb0EEEEDaST_SU_EUlST_E0_NS1_11comp_targetILNS1_3genE3ELNS1_11target_archE908ELNS1_3gpuE7ELNS1_3repE0EEENS1_30default_config_static_selectorELNS0_4arch9wavefront6targetE1EEEvT1_,@function
_ZN7rocprim17ROCPRIM_400000_NS6detail17trampoline_kernelINS0_14default_configENS1_20scan_config_selectorIN3c108BFloat16EEEZZNS1_9scan_implILNS1_25lookback_scan_determinismE0ELb0ELb0ES3_PKS6_PS6_S6_ZZZN2at6native31launch_logcumsumexp_cuda_kernelERKNSD_10TensorBaseESH_lENKUlvE_clEvENKUlvE4_clEvEUlS6_S6_E_S6_EEDaPvRmT3_T4_T5_mT6_P12ihipStream_tbENKUlT_T0_E_clISt17integral_constantIbLb1EESX_IbLb0EEEEDaST_SU_EUlST_E0_NS1_11comp_targetILNS1_3genE3ELNS1_11target_archE908ELNS1_3gpuE7ELNS1_3repE0EEENS1_30default_config_static_selectorELNS0_4arch9wavefront6targetE1EEEvT1_: ; @_ZN7rocprim17ROCPRIM_400000_NS6detail17trampoline_kernelINS0_14default_configENS1_20scan_config_selectorIN3c108BFloat16EEEZZNS1_9scan_implILNS1_25lookback_scan_determinismE0ELb0ELb0ES3_PKS6_PS6_S6_ZZZN2at6native31launch_logcumsumexp_cuda_kernelERKNSD_10TensorBaseESH_lENKUlvE_clEvENKUlvE4_clEvEUlS6_S6_E_S6_EEDaPvRmT3_T4_T5_mT6_P12ihipStream_tbENKUlT_T0_E_clISt17integral_constantIbLb1EESX_IbLb0EEEEDaST_SU_EUlST_E0_NS1_11comp_targetILNS1_3genE3ELNS1_11target_archE908ELNS1_3gpuE7ELNS1_3repE0EEENS1_30default_config_static_selectorELNS0_4arch9wavefront6targetE1EEEvT1_
; %bb.0:
	.section	.rodata,"a",@progbits
	.p2align	6, 0x0
	.amdhsa_kernel _ZN7rocprim17ROCPRIM_400000_NS6detail17trampoline_kernelINS0_14default_configENS1_20scan_config_selectorIN3c108BFloat16EEEZZNS1_9scan_implILNS1_25lookback_scan_determinismE0ELb0ELb0ES3_PKS6_PS6_S6_ZZZN2at6native31launch_logcumsumexp_cuda_kernelERKNSD_10TensorBaseESH_lENKUlvE_clEvENKUlvE4_clEvEUlS6_S6_E_S6_EEDaPvRmT3_T4_T5_mT6_P12ihipStream_tbENKUlT_T0_E_clISt17integral_constantIbLb1EESX_IbLb0EEEEDaST_SU_EUlST_E0_NS1_11comp_targetILNS1_3genE3ELNS1_11target_archE908ELNS1_3gpuE7ELNS1_3repE0EEENS1_30default_config_static_selectorELNS0_4arch9wavefront6targetE1EEEvT1_
		.amdhsa_group_segment_fixed_size 0
		.amdhsa_private_segment_fixed_size 0
		.amdhsa_kernarg_size 32
		.amdhsa_user_sgpr_count 2
		.amdhsa_user_sgpr_dispatch_ptr 0
		.amdhsa_user_sgpr_queue_ptr 0
		.amdhsa_user_sgpr_kernarg_segment_ptr 1
		.amdhsa_user_sgpr_dispatch_id 0
		.amdhsa_user_sgpr_kernarg_preload_length 0
		.amdhsa_user_sgpr_kernarg_preload_offset 0
		.amdhsa_user_sgpr_private_segment_size 0
		.amdhsa_uses_dynamic_stack 0
		.amdhsa_enable_private_segment 0
		.amdhsa_system_sgpr_workgroup_id_x 1
		.amdhsa_system_sgpr_workgroup_id_y 0
		.amdhsa_system_sgpr_workgroup_id_z 0
		.amdhsa_system_sgpr_workgroup_info 0
		.amdhsa_system_vgpr_workitem_id 0
		.amdhsa_next_free_vgpr 1
		.amdhsa_next_free_sgpr 0
		.amdhsa_accum_offset 4
		.amdhsa_reserve_vcc 0
		.amdhsa_float_round_mode_32 0
		.amdhsa_float_round_mode_16_64 0
		.amdhsa_float_denorm_mode_32 3
		.amdhsa_float_denorm_mode_16_64 3
		.amdhsa_dx10_clamp 1
		.amdhsa_ieee_mode 1
		.amdhsa_fp16_overflow 0
		.amdhsa_tg_split 0
		.amdhsa_exception_fp_ieee_invalid_op 0
		.amdhsa_exception_fp_denorm_src 0
		.amdhsa_exception_fp_ieee_div_zero 0
		.amdhsa_exception_fp_ieee_overflow 0
		.amdhsa_exception_fp_ieee_underflow 0
		.amdhsa_exception_fp_ieee_inexact 0
		.amdhsa_exception_int_div_zero 0
	.end_amdhsa_kernel
	.section	.text._ZN7rocprim17ROCPRIM_400000_NS6detail17trampoline_kernelINS0_14default_configENS1_20scan_config_selectorIN3c108BFloat16EEEZZNS1_9scan_implILNS1_25lookback_scan_determinismE0ELb0ELb0ES3_PKS6_PS6_S6_ZZZN2at6native31launch_logcumsumexp_cuda_kernelERKNSD_10TensorBaseESH_lENKUlvE_clEvENKUlvE4_clEvEUlS6_S6_E_S6_EEDaPvRmT3_T4_T5_mT6_P12ihipStream_tbENKUlT_T0_E_clISt17integral_constantIbLb1EESX_IbLb0EEEEDaST_SU_EUlST_E0_NS1_11comp_targetILNS1_3genE3ELNS1_11target_archE908ELNS1_3gpuE7ELNS1_3repE0EEENS1_30default_config_static_selectorELNS0_4arch9wavefront6targetE1EEEvT1_,"axG",@progbits,_ZN7rocprim17ROCPRIM_400000_NS6detail17trampoline_kernelINS0_14default_configENS1_20scan_config_selectorIN3c108BFloat16EEEZZNS1_9scan_implILNS1_25lookback_scan_determinismE0ELb0ELb0ES3_PKS6_PS6_S6_ZZZN2at6native31launch_logcumsumexp_cuda_kernelERKNSD_10TensorBaseESH_lENKUlvE_clEvENKUlvE4_clEvEUlS6_S6_E_S6_EEDaPvRmT3_T4_T5_mT6_P12ihipStream_tbENKUlT_T0_E_clISt17integral_constantIbLb1EESX_IbLb0EEEEDaST_SU_EUlST_E0_NS1_11comp_targetILNS1_3genE3ELNS1_11target_archE908ELNS1_3gpuE7ELNS1_3repE0EEENS1_30default_config_static_selectorELNS0_4arch9wavefront6targetE1EEEvT1_,comdat
.Lfunc_end511:
	.size	_ZN7rocprim17ROCPRIM_400000_NS6detail17trampoline_kernelINS0_14default_configENS1_20scan_config_selectorIN3c108BFloat16EEEZZNS1_9scan_implILNS1_25lookback_scan_determinismE0ELb0ELb0ES3_PKS6_PS6_S6_ZZZN2at6native31launch_logcumsumexp_cuda_kernelERKNSD_10TensorBaseESH_lENKUlvE_clEvENKUlvE4_clEvEUlS6_S6_E_S6_EEDaPvRmT3_T4_T5_mT6_P12ihipStream_tbENKUlT_T0_E_clISt17integral_constantIbLb1EESX_IbLb0EEEEDaST_SU_EUlST_E0_NS1_11comp_targetILNS1_3genE3ELNS1_11target_archE908ELNS1_3gpuE7ELNS1_3repE0EEENS1_30default_config_static_selectorELNS0_4arch9wavefront6targetE1EEEvT1_, .Lfunc_end511-_ZN7rocprim17ROCPRIM_400000_NS6detail17trampoline_kernelINS0_14default_configENS1_20scan_config_selectorIN3c108BFloat16EEEZZNS1_9scan_implILNS1_25lookback_scan_determinismE0ELb0ELb0ES3_PKS6_PS6_S6_ZZZN2at6native31launch_logcumsumexp_cuda_kernelERKNSD_10TensorBaseESH_lENKUlvE_clEvENKUlvE4_clEvEUlS6_S6_E_S6_EEDaPvRmT3_T4_T5_mT6_P12ihipStream_tbENKUlT_T0_E_clISt17integral_constantIbLb1EESX_IbLb0EEEEDaST_SU_EUlST_E0_NS1_11comp_targetILNS1_3genE3ELNS1_11target_archE908ELNS1_3gpuE7ELNS1_3repE0EEENS1_30default_config_static_selectorELNS0_4arch9wavefront6targetE1EEEvT1_
                                        ; -- End function
	.section	.AMDGPU.csdata,"",@progbits
; Kernel info:
; codeLenInByte = 0
; NumSgprs: 6
; NumVgprs: 0
; NumAgprs: 0
; TotalNumVgprs: 0
; ScratchSize: 0
; MemoryBound: 0
; FloatMode: 240
; IeeeMode: 1
; LDSByteSize: 0 bytes/workgroup (compile time only)
; SGPRBlocks: 0
; VGPRBlocks: 0
; NumSGPRsForWavesPerEU: 6
; NumVGPRsForWavesPerEU: 1
; AccumOffset: 4
; Occupancy: 8
; WaveLimiterHint : 0
; COMPUTE_PGM_RSRC2:SCRATCH_EN: 0
; COMPUTE_PGM_RSRC2:USER_SGPR: 2
; COMPUTE_PGM_RSRC2:TRAP_HANDLER: 0
; COMPUTE_PGM_RSRC2:TGID_X_EN: 1
; COMPUTE_PGM_RSRC2:TGID_Y_EN: 0
; COMPUTE_PGM_RSRC2:TGID_Z_EN: 0
; COMPUTE_PGM_RSRC2:TIDIG_COMP_CNT: 0
; COMPUTE_PGM_RSRC3_GFX90A:ACCUM_OFFSET: 0
; COMPUTE_PGM_RSRC3_GFX90A:TG_SPLIT: 0
	.section	.text._ZN7rocprim17ROCPRIM_400000_NS6detail17trampoline_kernelINS0_14default_configENS1_20scan_config_selectorIN3c108BFloat16EEEZZNS1_9scan_implILNS1_25lookback_scan_determinismE0ELb0ELb0ES3_PKS6_PS6_S6_ZZZN2at6native31launch_logcumsumexp_cuda_kernelERKNSD_10TensorBaseESH_lENKUlvE_clEvENKUlvE4_clEvEUlS6_S6_E_S6_EEDaPvRmT3_T4_T5_mT6_P12ihipStream_tbENKUlT_T0_E_clISt17integral_constantIbLb1EESX_IbLb0EEEEDaST_SU_EUlST_E0_NS1_11comp_targetILNS1_3genE2ELNS1_11target_archE906ELNS1_3gpuE6ELNS1_3repE0EEENS1_30default_config_static_selectorELNS0_4arch9wavefront6targetE1EEEvT1_,"axG",@progbits,_ZN7rocprim17ROCPRIM_400000_NS6detail17trampoline_kernelINS0_14default_configENS1_20scan_config_selectorIN3c108BFloat16EEEZZNS1_9scan_implILNS1_25lookback_scan_determinismE0ELb0ELb0ES3_PKS6_PS6_S6_ZZZN2at6native31launch_logcumsumexp_cuda_kernelERKNSD_10TensorBaseESH_lENKUlvE_clEvENKUlvE4_clEvEUlS6_S6_E_S6_EEDaPvRmT3_T4_T5_mT6_P12ihipStream_tbENKUlT_T0_E_clISt17integral_constantIbLb1EESX_IbLb0EEEEDaST_SU_EUlST_E0_NS1_11comp_targetILNS1_3genE2ELNS1_11target_archE906ELNS1_3gpuE6ELNS1_3repE0EEENS1_30default_config_static_selectorELNS0_4arch9wavefront6targetE1EEEvT1_,comdat
	.globl	_ZN7rocprim17ROCPRIM_400000_NS6detail17trampoline_kernelINS0_14default_configENS1_20scan_config_selectorIN3c108BFloat16EEEZZNS1_9scan_implILNS1_25lookback_scan_determinismE0ELb0ELb0ES3_PKS6_PS6_S6_ZZZN2at6native31launch_logcumsumexp_cuda_kernelERKNSD_10TensorBaseESH_lENKUlvE_clEvENKUlvE4_clEvEUlS6_S6_E_S6_EEDaPvRmT3_T4_T5_mT6_P12ihipStream_tbENKUlT_T0_E_clISt17integral_constantIbLb1EESX_IbLb0EEEEDaST_SU_EUlST_E0_NS1_11comp_targetILNS1_3genE2ELNS1_11target_archE906ELNS1_3gpuE6ELNS1_3repE0EEENS1_30default_config_static_selectorELNS0_4arch9wavefront6targetE1EEEvT1_ ; -- Begin function _ZN7rocprim17ROCPRIM_400000_NS6detail17trampoline_kernelINS0_14default_configENS1_20scan_config_selectorIN3c108BFloat16EEEZZNS1_9scan_implILNS1_25lookback_scan_determinismE0ELb0ELb0ES3_PKS6_PS6_S6_ZZZN2at6native31launch_logcumsumexp_cuda_kernelERKNSD_10TensorBaseESH_lENKUlvE_clEvENKUlvE4_clEvEUlS6_S6_E_S6_EEDaPvRmT3_T4_T5_mT6_P12ihipStream_tbENKUlT_T0_E_clISt17integral_constantIbLb1EESX_IbLb0EEEEDaST_SU_EUlST_E0_NS1_11comp_targetILNS1_3genE2ELNS1_11target_archE906ELNS1_3gpuE6ELNS1_3repE0EEENS1_30default_config_static_selectorELNS0_4arch9wavefront6targetE1EEEvT1_
	.p2align	8
	.type	_ZN7rocprim17ROCPRIM_400000_NS6detail17trampoline_kernelINS0_14default_configENS1_20scan_config_selectorIN3c108BFloat16EEEZZNS1_9scan_implILNS1_25lookback_scan_determinismE0ELb0ELb0ES3_PKS6_PS6_S6_ZZZN2at6native31launch_logcumsumexp_cuda_kernelERKNSD_10TensorBaseESH_lENKUlvE_clEvENKUlvE4_clEvEUlS6_S6_E_S6_EEDaPvRmT3_T4_T5_mT6_P12ihipStream_tbENKUlT_T0_E_clISt17integral_constantIbLb1EESX_IbLb0EEEEDaST_SU_EUlST_E0_NS1_11comp_targetILNS1_3genE2ELNS1_11target_archE906ELNS1_3gpuE6ELNS1_3repE0EEENS1_30default_config_static_selectorELNS0_4arch9wavefront6targetE1EEEvT1_,@function
_ZN7rocprim17ROCPRIM_400000_NS6detail17trampoline_kernelINS0_14default_configENS1_20scan_config_selectorIN3c108BFloat16EEEZZNS1_9scan_implILNS1_25lookback_scan_determinismE0ELb0ELb0ES3_PKS6_PS6_S6_ZZZN2at6native31launch_logcumsumexp_cuda_kernelERKNSD_10TensorBaseESH_lENKUlvE_clEvENKUlvE4_clEvEUlS6_S6_E_S6_EEDaPvRmT3_T4_T5_mT6_P12ihipStream_tbENKUlT_T0_E_clISt17integral_constantIbLb1EESX_IbLb0EEEEDaST_SU_EUlST_E0_NS1_11comp_targetILNS1_3genE2ELNS1_11target_archE906ELNS1_3gpuE6ELNS1_3repE0EEENS1_30default_config_static_selectorELNS0_4arch9wavefront6targetE1EEEvT1_: ; @_ZN7rocprim17ROCPRIM_400000_NS6detail17trampoline_kernelINS0_14default_configENS1_20scan_config_selectorIN3c108BFloat16EEEZZNS1_9scan_implILNS1_25lookback_scan_determinismE0ELb0ELb0ES3_PKS6_PS6_S6_ZZZN2at6native31launch_logcumsumexp_cuda_kernelERKNSD_10TensorBaseESH_lENKUlvE_clEvENKUlvE4_clEvEUlS6_S6_E_S6_EEDaPvRmT3_T4_T5_mT6_P12ihipStream_tbENKUlT_T0_E_clISt17integral_constantIbLb1EESX_IbLb0EEEEDaST_SU_EUlST_E0_NS1_11comp_targetILNS1_3genE2ELNS1_11target_archE906ELNS1_3gpuE6ELNS1_3repE0EEENS1_30default_config_static_selectorELNS0_4arch9wavefront6targetE1EEEvT1_
; %bb.0:
	.section	.rodata,"a",@progbits
	.p2align	6, 0x0
	.amdhsa_kernel _ZN7rocprim17ROCPRIM_400000_NS6detail17trampoline_kernelINS0_14default_configENS1_20scan_config_selectorIN3c108BFloat16EEEZZNS1_9scan_implILNS1_25lookback_scan_determinismE0ELb0ELb0ES3_PKS6_PS6_S6_ZZZN2at6native31launch_logcumsumexp_cuda_kernelERKNSD_10TensorBaseESH_lENKUlvE_clEvENKUlvE4_clEvEUlS6_S6_E_S6_EEDaPvRmT3_T4_T5_mT6_P12ihipStream_tbENKUlT_T0_E_clISt17integral_constantIbLb1EESX_IbLb0EEEEDaST_SU_EUlST_E0_NS1_11comp_targetILNS1_3genE2ELNS1_11target_archE906ELNS1_3gpuE6ELNS1_3repE0EEENS1_30default_config_static_selectorELNS0_4arch9wavefront6targetE1EEEvT1_
		.amdhsa_group_segment_fixed_size 0
		.amdhsa_private_segment_fixed_size 0
		.amdhsa_kernarg_size 32
		.amdhsa_user_sgpr_count 2
		.amdhsa_user_sgpr_dispatch_ptr 0
		.amdhsa_user_sgpr_queue_ptr 0
		.amdhsa_user_sgpr_kernarg_segment_ptr 1
		.amdhsa_user_sgpr_dispatch_id 0
		.amdhsa_user_sgpr_kernarg_preload_length 0
		.amdhsa_user_sgpr_kernarg_preload_offset 0
		.amdhsa_user_sgpr_private_segment_size 0
		.amdhsa_uses_dynamic_stack 0
		.amdhsa_enable_private_segment 0
		.amdhsa_system_sgpr_workgroup_id_x 1
		.amdhsa_system_sgpr_workgroup_id_y 0
		.amdhsa_system_sgpr_workgroup_id_z 0
		.amdhsa_system_sgpr_workgroup_info 0
		.amdhsa_system_vgpr_workitem_id 0
		.amdhsa_next_free_vgpr 1
		.amdhsa_next_free_sgpr 0
		.amdhsa_accum_offset 4
		.amdhsa_reserve_vcc 0
		.amdhsa_float_round_mode_32 0
		.amdhsa_float_round_mode_16_64 0
		.amdhsa_float_denorm_mode_32 3
		.amdhsa_float_denorm_mode_16_64 3
		.amdhsa_dx10_clamp 1
		.amdhsa_ieee_mode 1
		.amdhsa_fp16_overflow 0
		.amdhsa_tg_split 0
		.amdhsa_exception_fp_ieee_invalid_op 0
		.amdhsa_exception_fp_denorm_src 0
		.amdhsa_exception_fp_ieee_div_zero 0
		.amdhsa_exception_fp_ieee_overflow 0
		.amdhsa_exception_fp_ieee_underflow 0
		.amdhsa_exception_fp_ieee_inexact 0
		.amdhsa_exception_int_div_zero 0
	.end_amdhsa_kernel
	.section	.text._ZN7rocprim17ROCPRIM_400000_NS6detail17trampoline_kernelINS0_14default_configENS1_20scan_config_selectorIN3c108BFloat16EEEZZNS1_9scan_implILNS1_25lookback_scan_determinismE0ELb0ELb0ES3_PKS6_PS6_S6_ZZZN2at6native31launch_logcumsumexp_cuda_kernelERKNSD_10TensorBaseESH_lENKUlvE_clEvENKUlvE4_clEvEUlS6_S6_E_S6_EEDaPvRmT3_T4_T5_mT6_P12ihipStream_tbENKUlT_T0_E_clISt17integral_constantIbLb1EESX_IbLb0EEEEDaST_SU_EUlST_E0_NS1_11comp_targetILNS1_3genE2ELNS1_11target_archE906ELNS1_3gpuE6ELNS1_3repE0EEENS1_30default_config_static_selectorELNS0_4arch9wavefront6targetE1EEEvT1_,"axG",@progbits,_ZN7rocprim17ROCPRIM_400000_NS6detail17trampoline_kernelINS0_14default_configENS1_20scan_config_selectorIN3c108BFloat16EEEZZNS1_9scan_implILNS1_25lookback_scan_determinismE0ELb0ELb0ES3_PKS6_PS6_S6_ZZZN2at6native31launch_logcumsumexp_cuda_kernelERKNSD_10TensorBaseESH_lENKUlvE_clEvENKUlvE4_clEvEUlS6_S6_E_S6_EEDaPvRmT3_T4_T5_mT6_P12ihipStream_tbENKUlT_T0_E_clISt17integral_constantIbLb1EESX_IbLb0EEEEDaST_SU_EUlST_E0_NS1_11comp_targetILNS1_3genE2ELNS1_11target_archE906ELNS1_3gpuE6ELNS1_3repE0EEENS1_30default_config_static_selectorELNS0_4arch9wavefront6targetE1EEEvT1_,comdat
.Lfunc_end512:
	.size	_ZN7rocprim17ROCPRIM_400000_NS6detail17trampoline_kernelINS0_14default_configENS1_20scan_config_selectorIN3c108BFloat16EEEZZNS1_9scan_implILNS1_25lookback_scan_determinismE0ELb0ELb0ES3_PKS6_PS6_S6_ZZZN2at6native31launch_logcumsumexp_cuda_kernelERKNSD_10TensorBaseESH_lENKUlvE_clEvENKUlvE4_clEvEUlS6_S6_E_S6_EEDaPvRmT3_T4_T5_mT6_P12ihipStream_tbENKUlT_T0_E_clISt17integral_constantIbLb1EESX_IbLb0EEEEDaST_SU_EUlST_E0_NS1_11comp_targetILNS1_3genE2ELNS1_11target_archE906ELNS1_3gpuE6ELNS1_3repE0EEENS1_30default_config_static_selectorELNS0_4arch9wavefront6targetE1EEEvT1_, .Lfunc_end512-_ZN7rocprim17ROCPRIM_400000_NS6detail17trampoline_kernelINS0_14default_configENS1_20scan_config_selectorIN3c108BFloat16EEEZZNS1_9scan_implILNS1_25lookback_scan_determinismE0ELb0ELb0ES3_PKS6_PS6_S6_ZZZN2at6native31launch_logcumsumexp_cuda_kernelERKNSD_10TensorBaseESH_lENKUlvE_clEvENKUlvE4_clEvEUlS6_S6_E_S6_EEDaPvRmT3_T4_T5_mT6_P12ihipStream_tbENKUlT_T0_E_clISt17integral_constantIbLb1EESX_IbLb0EEEEDaST_SU_EUlST_E0_NS1_11comp_targetILNS1_3genE2ELNS1_11target_archE906ELNS1_3gpuE6ELNS1_3repE0EEENS1_30default_config_static_selectorELNS0_4arch9wavefront6targetE1EEEvT1_
                                        ; -- End function
	.section	.AMDGPU.csdata,"",@progbits
; Kernel info:
; codeLenInByte = 0
; NumSgprs: 6
; NumVgprs: 0
; NumAgprs: 0
; TotalNumVgprs: 0
; ScratchSize: 0
; MemoryBound: 0
; FloatMode: 240
; IeeeMode: 1
; LDSByteSize: 0 bytes/workgroup (compile time only)
; SGPRBlocks: 0
; VGPRBlocks: 0
; NumSGPRsForWavesPerEU: 6
; NumVGPRsForWavesPerEU: 1
; AccumOffset: 4
; Occupancy: 8
; WaveLimiterHint : 0
; COMPUTE_PGM_RSRC2:SCRATCH_EN: 0
; COMPUTE_PGM_RSRC2:USER_SGPR: 2
; COMPUTE_PGM_RSRC2:TRAP_HANDLER: 0
; COMPUTE_PGM_RSRC2:TGID_X_EN: 1
; COMPUTE_PGM_RSRC2:TGID_Y_EN: 0
; COMPUTE_PGM_RSRC2:TGID_Z_EN: 0
; COMPUTE_PGM_RSRC2:TIDIG_COMP_CNT: 0
; COMPUTE_PGM_RSRC3_GFX90A:ACCUM_OFFSET: 0
; COMPUTE_PGM_RSRC3_GFX90A:TG_SPLIT: 0
	.section	.text._ZN7rocprim17ROCPRIM_400000_NS6detail17trampoline_kernelINS0_14default_configENS1_20scan_config_selectorIN3c108BFloat16EEEZZNS1_9scan_implILNS1_25lookback_scan_determinismE0ELb0ELb0ES3_PKS6_PS6_S6_ZZZN2at6native31launch_logcumsumexp_cuda_kernelERKNSD_10TensorBaseESH_lENKUlvE_clEvENKUlvE4_clEvEUlS6_S6_E_S6_EEDaPvRmT3_T4_T5_mT6_P12ihipStream_tbENKUlT_T0_E_clISt17integral_constantIbLb1EESX_IbLb0EEEEDaST_SU_EUlST_E0_NS1_11comp_targetILNS1_3genE10ELNS1_11target_archE1201ELNS1_3gpuE5ELNS1_3repE0EEENS1_30default_config_static_selectorELNS0_4arch9wavefront6targetE1EEEvT1_,"axG",@progbits,_ZN7rocprim17ROCPRIM_400000_NS6detail17trampoline_kernelINS0_14default_configENS1_20scan_config_selectorIN3c108BFloat16EEEZZNS1_9scan_implILNS1_25lookback_scan_determinismE0ELb0ELb0ES3_PKS6_PS6_S6_ZZZN2at6native31launch_logcumsumexp_cuda_kernelERKNSD_10TensorBaseESH_lENKUlvE_clEvENKUlvE4_clEvEUlS6_S6_E_S6_EEDaPvRmT3_T4_T5_mT6_P12ihipStream_tbENKUlT_T0_E_clISt17integral_constantIbLb1EESX_IbLb0EEEEDaST_SU_EUlST_E0_NS1_11comp_targetILNS1_3genE10ELNS1_11target_archE1201ELNS1_3gpuE5ELNS1_3repE0EEENS1_30default_config_static_selectorELNS0_4arch9wavefront6targetE1EEEvT1_,comdat
	.globl	_ZN7rocprim17ROCPRIM_400000_NS6detail17trampoline_kernelINS0_14default_configENS1_20scan_config_selectorIN3c108BFloat16EEEZZNS1_9scan_implILNS1_25lookback_scan_determinismE0ELb0ELb0ES3_PKS6_PS6_S6_ZZZN2at6native31launch_logcumsumexp_cuda_kernelERKNSD_10TensorBaseESH_lENKUlvE_clEvENKUlvE4_clEvEUlS6_S6_E_S6_EEDaPvRmT3_T4_T5_mT6_P12ihipStream_tbENKUlT_T0_E_clISt17integral_constantIbLb1EESX_IbLb0EEEEDaST_SU_EUlST_E0_NS1_11comp_targetILNS1_3genE10ELNS1_11target_archE1201ELNS1_3gpuE5ELNS1_3repE0EEENS1_30default_config_static_selectorELNS0_4arch9wavefront6targetE1EEEvT1_ ; -- Begin function _ZN7rocprim17ROCPRIM_400000_NS6detail17trampoline_kernelINS0_14default_configENS1_20scan_config_selectorIN3c108BFloat16EEEZZNS1_9scan_implILNS1_25lookback_scan_determinismE0ELb0ELb0ES3_PKS6_PS6_S6_ZZZN2at6native31launch_logcumsumexp_cuda_kernelERKNSD_10TensorBaseESH_lENKUlvE_clEvENKUlvE4_clEvEUlS6_S6_E_S6_EEDaPvRmT3_T4_T5_mT6_P12ihipStream_tbENKUlT_T0_E_clISt17integral_constantIbLb1EESX_IbLb0EEEEDaST_SU_EUlST_E0_NS1_11comp_targetILNS1_3genE10ELNS1_11target_archE1201ELNS1_3gpuE5ELNS1_3repE0EEENS1_30default_config_static_selectorELNS0_4arch9wavefront6targetE1EEEvT1_
	.p2align	8
	.type	_ZN7rocprim17ROCPRIM_400000_NS6detail17trampoline_kernelINS0_14default_configENS1_20scan_config_selectorIN3c108BFloat16EEEZZNS1_9scan_implILNS1_25lookback_scan_determinismE0ELb0ELb0ES3_PKS6_PS6_S6_ZZZN2at6native31launch_logcumsumexp_cuda_kernelERKNSD_10TensorBaseESH_lENKUlvE_clEvENKUlvE4_clEvEUlS6_S6_E_S6_EEDaPvRmT3_T4_T5_mT6_P12ihipStream_tbENKUlT_T0_E_clISt17integral_constantIbLb1EESX_IbLb0EEEEDaST_SU_EUlST_E0_NS1_11comp_targetILNS1_3genE10ELNS1_11target_archE1201ELNS1_3gpuE5ELNS1_3repE0EEENS1_30default_config_static_selectorELNS0_4arch9wavefront6targetE1EEEvT1_,@function
_ZN7rocprim17ROCPRIM_400000_NS6detail17trampoline_kernelINS0_14default_configENS1_20scan_config_selectorIN3c108BFloat16EEEZZNS1_9scan_implILNS1_25lookback_scan_determinismE0ELb0ELb0ES3_PKS6_PS6_S6_ZZZN2at6native31launch_logcumsumexp_cuda_kernelERKNSD_10TensorBaseESH_lENKUlvE_clEvENKUlvE4_clEvEUlS6_S6_E_S6_EEDaPvRmT3_T4_T5_mT6_P12ihipStream_tbENKUlT_T0_E_clISt17integral_constantIbLb1EESX_IbLb0EEEEDaST_SU_EUlST_E0_NS1_11comp_targetILNS1_3genE10ELNS1_11target_archE1201ELNS1_3gpuE5ELNS1_3repE0EEENS1_30default_config_static_selectorELNS0_4arch9wavefront6targetE1EEEvT1_: ; @_ZN7rocprim17ROCPRIM_400000_NS6detail17trampoline_kernelINS0_14default_configENS1_20scan_config_selectorIN3c108BFloat16EEEZZNS1_9scan_implILNS1_25lookback_scan_determinismE0ELb0ELb0ES3_PKS6_PS6_S6_ZZZN2at6native31launch_logcumsumexp_cuda_kernelERKNSD_10TensorBaseESH_lENKUlvE_clEvENKUlvE4_clEvEUlS6_S6_E_S6_EEDaPvRmT3_T4_T5_mT6_P12ihipStream_tbENKUlT_T0_E_clISt17integral_constantIbLb1EESX_IbLb0EEEEDaST_SU_EUlST_E0_NS1_11comp_targetILNS1_3genE10ELNS1_11target_archE1201ELNS1_3gpuE5ELNS1_3repE0EEENS1_30default_config_static_selectorELNS0_4arch9wavefront6targetE1EEEvT1_
; %bb.0:
	.section	.rodata,"a",@progbits
	.p2align	6, 0x0
	.amdhsa_kernel _ZN7rocprim17ROCPRIM_400000_NS6detail17trampoline_kernelINS0_14default_configENS1_20scan_config_selectorIN3c108BFloat16EEEZZNS1_9scan_implILNS1_25lookback_scan_determinismE0ELb0ELb0ES3_PKS6_PS6_S6_ZZZN2at6native31launch_logcumsumexp_cuda_kernelERKNSD_10TensorBaseESH_lENKUlvE_clEvENKUlvE4_clEvEUlS6_S6_E_S6_EEDaPvRmT3_T4_T5_mT6_P12ihipStream_tbENKUlT_T0_E_clISt17integral_constantIbLb1EESX_IbLb0EEEEDaST_SU_EUlST_E0_NS1_11comp_targetILNS1_3genE10ELNS1_11target_archE1201ELNS1_3gpuE5ELNS1_3repE0EEENS1_30default_config_static_selectorELNS0_4arch9wavefront6targetE1EEEvT1_
		.amdhsa_group_segment_fixed_size 0
		.amdhsa_private_segment_fixed_size 0
		.amdhsa_kernarg_size 32
		.amdhsa_user_sgpr_count 2
		.amdhsa_user_sgpr_dispatch_ptr 0
		.amdhsa_user_sgpr_queue_ptr 0
		.amdhsa_user_sgpr_kernarg_segment_ptr 1
		.amdhsa_user_sgpr_dispatch_id 0
		.amdhsa_user_sgpr_kernarg_preload_length 0
		.amdhsa_user_sgpr_kernarg_preload_offset 0
		.amdhsa_user_sgpr_private_segment_size 0
		.amdhsa_uses_dynamic_stack 0
		.amdhsa_enable_private_segment 0
		.amdhsa_system_sgpr_workgroup_id_x 1
		.amdhsa_system_sgpr_workgroup_id_y 0
		.amdhsa_system_sgpr_workgroup_id_z 0
		.amdhsa_system_sgpr_workgroup_info 0
		.amdhsa_system_vgpr_workitem_id 0
		.amdhsa_next_free_vgpr 1
		.amdhsa_next_free_sgpr 0
		.amdhsa_accum_offset 4
		.amdhsa_reserve_vcc 0
		.amdhsa_float_round_mode_32 0
		.amdhsa_float_round_mode_16_64 0
		.amdhsa_float_denorm_mode_32 3
		.amdhsa_float_denorm_mode_16_64 3
		.amdhsa_dx10_clamp 1
		.amdhsa_ieee_mode 1
		.amdhsa_fp16_overflow 0
		.amdhsa_tg_split 0
		.amdhsa_exception_fp_ieee_invalid_op 0
		.amdhsa_exception_fp_denorm_src 0
		.amdhsa_exception_fp_ieee_div_zero 0
		.amdhsa_exception_fp_ieee_overflow 0
		.amdhsa_exception_fp_ieee_underflow 0
		.amdhsa_exception_fp_ieee_inexact 0
		.amdhsa_exception_int_div_zero 0
	.end_amdhsa_kernel
	.section	.text._ZN7rocprim17ROCPRIM_400000_NS6detail17trampoline_kernelINS0_14default_configENS1_20scan_config_selectorIN3c108BFloat16EEEZZNS1_9scan_implILNS1_25lookback_scan_determinismE0ELb0ELb0ES3_PKS6_PS6_S6_ZZZN2at6native31launch_logcumsumexp_cuda_kernelERKNSD_10TensorBaseESH_lENKUlvE_clEvENKUlvE4_clEvEUlS6_S6_E_S6_EEDaPvRmT3_T4_T5_mT6_P12ihipStream_tbENKUlT_T0_E_clISt17integral_constantIbLb1EESX_IbLb0EEEEDaST_SU_EUlST_E0_NS1_11comp_targetILNS1_3genE10ELNS1_11target_archE1201ELNS1_3gpuE5ELNS1_3repE0EEENS1_30default_config_static_selectorELNS0_4arch9wavefront6targetE1EEEvT1_,"axG",@progbits,_ZN7rocprim17ROCPRIM_400000_NS6detail17trampoline_kernelINS0_14default_configENS1_20scan_config_selectorIN3c108BFloat16EEEZZNS1_9scan_implILNS1_25lookback_scan_determinismE0ELb0ELb0ES3_PKS6_PS6_S6_ZZZN2at6native31launch_logcumsumexp_cuda_kernelERKNSD_10TensorBaseESH_lENKUlvE_clEvENKUlvE4_clEvEUlS6_S6_E_S6_EEDaPvRmT3_T4_T5_mT6_P12ihipStream_tbENKUlT_T0_E_clISt17integral_constantIbLb1EESX_IbLb0EEEEDaST_SU_EUlST_E0_NS1_11comp_targetILNS1_3genE10ELNS1_11target_archE1201ELNS1_3gpuE5ELNS1_3repE0EEENS1_30default_config_static_selectorELNS0_4arch9wavefront6targetE1EEEvT1_,comdat
.Lfunc_end513:
	.size	_ZN7rocprim17ROCPRIM_400000_NS6detail17trampoline_kernelINS0_14default_configENS1_20scan_config_selectorIN3c108BFloat16EEEZZNS1_9scan_implILNS1_25lookback_scan_determinismE0ELb0ELb0ES3_PKS6_PS6_S6_ZZZN2at6native31launch_logcumsumexp_cuda_kernelERKNSD_10TensorBaseESH_lENKUlvE_clEvENKUlvE4_clEvEUlS6_S6_E_S6_EEDaPvRmT3_T4_T5_mT6_P12ihipStream_tbENKUlT_T0_E_clISt17integral_constantIbLb1EESX_IbLb0EEEEDaST_SU_EUlST_E0_NS1_11comp_targetILNS1_3genE10ELNS1_11target_archE1201ELNS1_3gpuE5ELNS1_3repE0EEENS1_30default_config_static_selectorELNS0_4arch9wavefront6targetE1EEEvT1_, .Lfunc_end513-_ZN7rocprim17ROCPRIM_400000_NS6detail17trampoline_kernelINS0_14default_configENS1_20scan_config_selectorIN3c108BFloat16EEEZZNS1_9scan_implILNS1_25lookback_scan_determinismE0ELb0ELb0ES3_PKS6_PS6_S6_ZZZN2at6native31launch_logcumsumexp_cuda_kernelERKNSD_10TensorBaseESH_lENKUlvE_clEvENKUlvE4_clEvEUlS6_S6_E_S6_EEDaPvRmT3_T4_T5_mT6_P12ihipStream_tbENKUlT_T0_E_clISt17integral_constantIbLb1EESX_IbLb0EEEEDaST_SU_EUlST_E0_NS1_11comp_targetILNS1_3genE10ELNS1_11target_archE1201ELNS1_3gpuE5ELNS1_3repE0EEENS1_30default_config_static_selectorELNS0_4arch9wavefront6targetE1EEEvT1_
                                        ; -- End function
	.section	.AMDGPU.csdata,"",@progbits
; Kernel info:
; codeLenInByte = 0
; NumSgprs: 6
; NumVgprs: 0
; NumAgprs: 0
; TotalNumVgprs: 0
; ScratchSize: 0
; MemoryBound: 0
; FloatMode: 240
; IeeeMode: 1
; LDSByteSize: 0 bytes/workgroup (compile time only)
; SGPRBlocks: 0
; VGPRBlocks: 0
; NumSGPRsForWavesPerEU: 6
; NumVGPRsForWavesPerEU: 1
; AccumOffset: 4
; Occupancy: 8
; WaveLimiterHint : 0
; COMPUTE_PGM_RSRC2:SCRATCH_EN: 0
; COMPUTE_PGM_RSRC2:USER_SGPR: 2
; COMPUTE_PGM_RSRC2:TRAP_HANDLER: 0
; COMPUTE_PGM_RSRC2:TGID_X_EN: 1
; COMPUTE_PGM_RSRC2:TGID_Y_EN: 0
; COMPUTE_PGM_RSRC2:TGID_Z_EN: 0
; COMPUTE_PGM_RSRC2:TIDIG_COMP_CNT: 0
; COMPUTE_PGM_RSRC3_GFX90A:ACCUM_OFFSET: 0
; COMPUTE_PGM_RSRC3_GFX90A:TG_SPLIT: 0
	.section	.text._ZN7rocprim17ROCPRIM_400000_NS6detail17trampoline_kernelINS0_14default_configENS1_20scan_config_selectorIN3c108BFloat16EEEZZNS1_9scan_implILNS1_25lookback_scan_determinismE0ELb0ELb0ES3_PKS6_PS6_S6_ZZZN2at6native31launch_logcumsumexp_cuda_kernelERKNSD_10TensorBaseESH_lENKUlvE_clEvENKUlvE4_clEvEUlS6_S6_E_S6_EEDaPvRmT3_T4_T5_mT6_P12ihipStream_tbENKUlT_T0_E_clISt17integral_constantIbLb1EESX_IbLb0EEEEDaST_SU_EUlST_E0_NS1_11comp_targetILNS1_3genE10ELNS1_11target_archE1200ELNS1_3gpuE4ELNS1_3repE0EEENS1_30default_config_static_selectorELNS0_4arch9wavefront6targetE1EEEvT1_,"axG",@progbits,_ZN7rocprim17ROCPRIM_400000_NS6detail17trampoline_kernelINS0_14default_configENS1_20scan_config_selectorIN3c108BFloat16EEEZZNS1_9scan_implILNS1_25lookback_scan_determinismE0ELb0ELb0ES3_PKS6_PS6_S6_ZZZN2at6native31launch_logcumsumexp_cuda_kernelERKNSD_10TensorBaseESH_lENKUlvE_clEvENKUlvE4_clEvEUlS6_S6_E_S6_EEDaPvRmT3_T4_T5_mT6_P12ihipStream_tbENKUlT_T0_E_clISt17integral_constantIbLb1EESX_IbLb0EEEEDaST_SU_EUlST_E0_NS1_11comp_targetILNS1_3genE10ELNS1_11target_archE1200ELNS1_3gpuE4ELNS1_3repE0EEENS1_30default_config_static_selectorELNS0_4arch9wavefront6targetE1EEEvT1_,comdat
	.globl	_ZN7rocprim17ROCPRIM_400000_NS6detail17trampoline_kernelINS0_14default_configENS1_20scan_config_selectorIN3c108BFloat16EEEZZNS1_9scan_implILNS1_25lookback_scan_determinismE0ELb0ELb0ES3_PKS6_PS6_S6_ZZZN2at6native31launch_logcumsumexp_cuda_kernelERKNSD_10TensorBaseESH_lENKUlvE_clEvENKUlvE4_clEvEUlS6_S6_E_S6_EEDaPvRmT3_T4_T5_mT6_P12ihipStream_tbENKUlT_T0_E_clISt17integral_constantIbLb1EESX_IbLb0EEEEDaST_SU_EUlST_E0_NS1_11comp_targetILNS1_3genE10ELNS1_11target_archE1200ELNS1_3gpuE4ELNS1_3repE0EEENS1_30default_config_static_selectorELNS0_4arch9wavefront6targetE1EEEvT1_ ; -- Begin function _ZN7rocprim17ROCPRIM_400000_NS6detail17trampoline_kernelINS0_14default_configENS1_20scan_config_selectorIN3c108BFloat16EEEZZNS1_9scan_implILNS1_25lookback_scan_determinismE0ELb0ELb0ES3_PKS6_PS6_S6_ZZZN2at6native31launch_logcumsumexp_cuda_kernelERKNSD_10TensorBaseESH_lENKUlvE_clEvENKUlvE4_clEvEUlS6_S6_E_S6_EEDaPvRmT3_T4_T5_mT6_P12ihipStream_tbENKUlT_T0_E_clISt17integral_constantIbLb1EESX_IbLb0EEEEDaST_SU_EUlST_E0_NS1_11comp_targetILNS1_3genE10ELNS1_11target_archE1200ELNS1_3gpuE4ELNS1_3repE0EEENS1_30default_config_static_selectorELNS0_4arch9wavefront6targetE1EEEvT1_
	.p2align	8
	.type	_ZN7rocprim17ROCPRIM_400000_NS6detail17trampoline_kernelINS0_14default_configENS1_20scan_config_selectorIN3c108BFloat16EEEZZNS1_9scan_implILNS1_25lookback_scan_determinismE0ELb0ELb0ES3_PKS6_PS6_S6_ZZZN2at6native31launch_logcumsumexp_cuda_kernelERKNSD_10TensorBaseESH_lENKUlvE_clEvENKUlvE4_clEvEUlS6_S6_E_S6_EEDaPvRmT3_T4_T5_mT6_P12ihipStream_tbENKUlT_T0_E_clISt17integral_constantIbLb1EESX_IbLb0EEEEDaST_SU_EUlST_E0_NS1_11comp_targetILNS1_3genE10ELNS1_11target_archE1200ELNS1_3gpuE4ELNS1_3repE0EEENS1_30default_config_static_selectorELNS0_4arch9wavefront6targetE1EEEvT1_,@function
_ZN7rocprim17ROCPRIM_400000_NS6detail17trampoline_kernelINS0_14default_configENS1_20scan_config_selectorIN3c108BFloat16EEEZZNS1_9scan_implILNS1_25lookback_scan_determinismE0ELb0ELb0ES3_PKS6_PS6_S6_ZZZN2at6native31launch_logcumsumexp_cuda_kernelERKNSD_10TensorBaseESH_lENKUlvE_clEvENKUlvE4_clEvEUlS6_S6_E_S6_EEDaPvRmT3_T4_T5_mT6_P12ihipStream_tbENKUlT_T0_E_clISt17integral_constantIbLb1EESX_IbLb0EEEEDaST_SU_EUlST_E0_NS1_11comp_targetILNS1_3genE10ELNS1_11target_archE1200ELNS1_3gpuE4ELNS1_3repE0EEENS1_30default_config_static_selectorELNS0_4arch9wavefront6targetE1EEEvT1_: ; @_ZN7rocprim17ROCPRIM_400000_NS6detail17trampoline_kernelINS0_14default_configENS1_20scan_config_selectorIN3c108BFloat16EEEZZNS1_9scan_implILNS1_25lookback_scan_determinismE0ELb0ELb0ES3_PKS6_PS6_S6_ZZZN2at6native31launch_logcumsumexp_cuda_kernelERKNSD_10TensorBaseESH_lENKUlvE_clEvENKUlvE4_clEvEUlS6_S6_E_S6_EEDaPvRmT3_T4_T5_mT6_P12ihipStream_tbENKUlT_T0_E_clISt17integral_constantIbLb1EESX_IbLb0EEEEDaST_SU_EUlST_E0_NS1_11comp_targetILNS1_3genE10ELNS1_11target_archE1200ELNS1_3gpuE4ELNS1_3repE0EEENS1_30default_config_static_selectorELNS0_4arch9wavefront6targetE1EEEvT1_
; %bb.0:
	.section	.rodata,"a",@progbits
	.p2align	6, 0x0
	.amdhsa_kernel _ZN7rocprim17ROCPRIM_400000_NS6detail17trampoline_kernelINS0_14default_configENS1_20scan_config_selectorIN3c108BFloat16EEEZZNS1_9scan_implILNS1_25lookback_scan_determinismE0ELb0ELb0ES3_PKS6_PS6_S6_ZZZN2at6native31launch_logcumsumexp_cuda_kernelERKNSD_10TensorBaseESH_lENKUlvE_clEvENKUlvE4_clEvEUlS6_S6_E_S6_EEDaPvRmT3_T4_T5_mT6_P12ihipStream_tbENKUlT_T0_E_clISt17integral_constantIbLb1EESX_IbLb0EEEEDaST_SU_EUlST_E0_NS1_11comp_targetILNS1_3genE10ELNS1_11target_archE1200ELNS1_3gpuE4ELNS1_3repE0EEENS1_30default_config_static_selectorELNS0_4arch9wavefront6targetE1EEEvT1_
		.amdhsa_group_segment_fixed_size 0
		.amdhsa_private_segment_fixed_size 0
		.amdhsa_kernarg_size 32
		.amdhsa_user_sgpr_count 2
		.amdhsa_user_sgpr_dispatch_ptr 0
		.amdhsa_user_sgpr_queue_ptr 0
		.amdhsa_user_sgpr_kernarg_segment_ptr 1
		.amdhsa_user_sgpr_dispatch_id 0
		.amdhsa_user_sgpr_kernarg_preload_length 0
		.amdhsa_user_sgpr_kernarg_preload_offset 0
		.amdhsa_user_sgpr_private_segment_size 0
		.amdhsa_uses_dynamic_stack 0
		.amdhsa_enable_private_segment 0
		.amdhsa_system_sgpr_workgroup_id_x 1
		.amdhsa_system_sgpr_workgroup_id_y 0
		.amdhsa_system_sgpr_workgroup_id_z 0
		.amdhsa_system_sgpr_workgroup_info 0
		.amdhsa_system_vgpr_workitem_id 0
		.amdhsa_next_free_vgpr 1
		.amdhsa_next_free_sgpr 0
		.amdhsa_accum_offset 4
		.amdhsa_reserve_vcc 0
		.amdhsa_float_round_mode_32 0
		.amdhsa_float_round_mode_16_64 0
		.amdhsa_float_denorm_mode_32 3
		.amdhsa_float_denorm_mode_16_64 3
		.amdhsa_dx10_clamp 1
		.amdhsa_ieee_mode 1
		.amdhsa_fp16_overflow 0
		.amdhsa_tg_split 0
		.amdhsa_exception_fp_ieee_invalid_op 0
		.amdhsa_exception_fp_denorm_src 0
		.amdhsa_exception_fp_ieee_div_zero 0
		.amdhsa_exception_fp_ieee_overflow 0
		.amdhsa_exception_fp_ieee_underflow 0
		.amdhsa_exception_fp_ieee_inexact 0
		.amdhsa_exception_int_div_zero 0
	.end_amdhsa_kernel
	.section	.text._ZN7rocprim17ROCPRIM_400000_NS6detail17trampoline_kernelINS0_14default_configENS1_20scan_config_selectorIN3c108BFloat16EEEZZNS1_9scan_implILNS1_25lookback_scan_determinismE0ELb0ELb0ES3_PKS6_PS6_S6_ZZZN2at6native31launch_logcumsumexp_cuda_kernelERKNSD_10TensorBaseESH_lENKUlvE_clEvENKUlvE4_clEvEUlS6_S6_E_S6_EEDaPvRmT3_T4_T5_mT6_P12ihipStream_tbENKUlT_T0_E_clISt17integral_constantIbLb1EESX_IbLb0EEEEDaST_SU_EUlST_E0_NS1_11comp_targetILNS1_3genE10ELNS1_11target_archE1200ELNS1_3gpuE4ELNS1_3repE0EEENS1_30default_config_static_selectorELNS0_4arch9wavefront6targetE1EEEvT1_,"axG",@progbits,_ZN7rocprim17ROCPRIM_400000_NS6detail17trampoline_kernelINS0_14default_configENS1_20scan_config_selectorIN3c108BFloat16EEEZZNS1_9scan_implILNS1_25lookback_scan_determinismE0ELb0ELb0ES3_PKS6_PS6_S6_ZZZN2at6native31launch_logcumsumexp_cuda_kernelERKNSD_10TensorBaseESH_lENKUlvE_clEvENKUlvE4_clEvEUlS6_S6_E_S6_EEDaPvRmT3_T4_T5_mT6_P12ihipStream_tbENKUlT_T0_E_clISt17integral_constantIbLb1EESX_IbLb0EEEEDaST_SU_EUlST_E0_NS1_11comp_targetILNS1_3genE10ELNS1_11target_archE1200ELNS1_3gpuE4ELNS1_3repE0EEENS1_30default_config_static_selectorELNS0_4arch9wavefront6targetE1EEEvT1_,comdat
.Lfunc_end514:
	.size	_ZN7rocprim17ROCPRIM_400000_NS6detail17trampoline_kernelINS0_14default_configENS1_20scan_config_selectorIN3c108BFloat16EEEZZNS1_9scan_implILNS1_25lookback_scan_determinismE0ELb0ELb0ES3_PKS6_PS6_S6_ZZZN2at6native31launch_logcumsumexp_cuda_kernelERKNSD_10TensorBaseESH_lENKUlvE_clEvENKUlvE4_clEvEUlS6_S6_E_S6_EEDaPvRmT3_T4_T5_mT6_P12ihipStream_tbENKUlT_T0_E_clISt17integral_constantIbLb1EESX_IbLb0EEEEDaST_SU_EUlST_E0_NS1_11comp_targetILNS1_3genE10ELNS1_11target_archE1200ELNS1_3gpuE4ELNS1_3repE0EEENS1_30default_config_static_selectorELNS0_4arch9wavefront6targetE1EEEvT1_, .Lfunc_end514-_ZN7rocprim17ROCPRIM_400000_NS6detail17trampoline_kernelINS0_14default_configENS1_20scan_config_selectorIN3c108BFloat16EEEZZNS1_9scan_implILNS1_25lookback_scan_determinismE0ELb0ELb0ES3_PKS6_PS6_S6_ZZZN2at6native31launch_logcumsumexp_cuda_kernelERKNSD_10TensorBaseESH_lENKUlvE_clEvENKUlvE4_clEvEUlS6_S6_E_S6_EEDaPvRmT3_T4_T5_mT6_P12ihipStream_tbENKUlT_T0_E_clISt17integral_constantIbLb1EESX_IbLb0EEEEDaST_SU_EUlST_E0_NS1_11comp_targetILNS1_3genE10ELNS1_11target_archE1200ELNS1_3gpuE4ELNS1_3repE0EEENS1_30default_config_static_selectorELNS0_4arch9wavefront6targetE1EEEvT1_
                                        ; -- End function
	.section	.AMDGPU.csdata,"",@progbits
; Kernel info:
; codeLenInByte = 0
; NumSgprs: 6
; NumVgprs: 0
; NumAgprs: 0
; TotalNumVgprs: 0
; ScratchSize: 0
; MemoryBound: 0
; FloatMode: 240
; IeeeMode: 1
; LDSByteSize: 0 bytes/workgroup (compile time only)
; SGPRBlocks: 0
; VGPRBlocks: 0
; NumSGPRsForWavesPerEU: 6
; NumVGPRsForWavesPerEU: 1
; AccumOffset: 4
; Occupancy: 8
; WaveLimiterHint : 0
; COMPUTE_PGM_RSRC2:SCRATCH_EN: 0
; COMPUTE_PGM_RSRC2:USER_SGPR: 2
; COMPUTE_PGM_RSRC2:TRAP_HANDLER: 0
; COMPUTE_PGM_RSRC2:TGID_X_EN: 1
; COMPUTE_PGM_RSRC2:TGID_Y_EN: 0
; COMPUTE_PGM_RSRC2:TGID_Z_EN: 0
; COMPUTE_PGM_RSRC2:TIDIG_COMP_CNT: 0
; COMPUTE_PGM_RSRC3_GFX90A:ACCUM_OFFSET: 0
; COMPUTE_PGM_RSRC3_GFX90A:TG_SPLIT: 0
	.section	.text._ZN7rocprim17ROCPRIM_400000_NS6detail17trampoline_kernelINS0_14default_configENS1_20scan_config_selectorIN3c108BFloat16EEEZZNS1_9scan_implILNS1_25lookback_scan_determinismE0ELb0ELb0ES3_PKS6_PS6_S6_ZZZN2at6native31launch_logcumsumexp_cuda_kernelERKNSD_10TensorBaseESH_lENKUlvE_clEvENKUlvE4_clEvEUlS6_S6_E_S6_EEDaPvRmT3_T4_T5_mT6_P12ihipStream_tbENKUlT_T0_E_clISt17integral_constantIbLb1EESX_IbLb0EEEEDaST_SU_EUlST_E0_NS1_11comp_targetILNS1_3genE9ELNS1_11target_archE1100ELNS1_3gpuE3ELNS1_3repE0EEENS1_30default_config_static_selectorELNS0_4arch9wavefront6targetE1EEEvT1_,"axG",@progbits,_ZN7rocprim17ROCPRIM_400000_NS6detail17trampoline_kernelINS0_14default_configENS1_20scan_config_selectorIN3c108BFloat16EEEZZNS1_9scan_implILNS1_25lookback_scan_determinismE0ELb0ELb0ES3_PKS6_PS6_S6_ZZZN2at6native31launch_logcumsumexp_cuda_kernelERKNSD_10TensorBaseESH_lENKUlvE_clEvENKUlvE4_clEvEUlS6_S6_E_S6_EEDaPvRmT3_T4_T5_mT6_P12ihipStream_tbENKUlT_T0_E_clISt17integral_constantIbLb1EESX_IbLb0EEEEDaST_SU_EUlST_E0_NS1_11comp_targetILNS1_3genE9ELNS1_11target_archE1100ELNS1_3gpuE3ELNS1_3repE0EEENS1_30default_config_static_selectorELNS0_4arch9wavefront6targetE1EEEvT1_,comdat
	.globl	_ZN7rocprim17ROCPRIM_400000_NS6detail17trampoline_kernelINS0_14default_configENS1_20scan_config_selectorIN3c108BFloat16EEEZZNS1_9scan_implILNS1_25lookback_scan_determinismE0ELb0ELb0ES3_PKS6_PS6_S6_ZZZN2at6native31launch_logcumsumexp_cuda_kernelERKNSD_10TensorBaseESH_lENKUlvE_clEvENKUlvE4_clEvEUlS6_S6_E_S6_EEDaPvRmT3_T4_T5_mT6_P12ihipStream_tbENKUlT_T0_E_clISt17integral_constantIbLb1EESX_IbLb0EEEEDaST_SU_EUlST_E0_NS1_11comp_targetILNS1_3genE9ELNS1_11target_archE1100ELNS1_3gpuE3ELNS1_3repE0EEENS1_30default_config_static_selectorELNS0_4arch9wavefront6targetE1EEEvT1_ ; -- Begin function _ZN7rocprim17ROCPRIM_400000_NS6detail17trampoline_kernelINS0_14default_configENS1_20scan_config_selectorIN3c108BFloat16EEEZZNS1_9scan_implILNS1_25lookback_scan_determinismE0ELb0ELb0ES3_PKS6_PS6_S6_ZZZN2at6native31launch_logcumsumexp_cuda_kernelERKNSD_10TensorBaseESH_lENKUlvE_clEvENKUlvE4_clEvEUlS6_S6_E_S6_EEDaPvRmT3_T4_T5_mT6_P12ihipStream_tbENKUlT_T0_E_clISt17integral_constantIbLb1EESX_IbLb0EEEEDaST_SU_EUlST_E0_NS1_11comp_targetILNS1_3genE9ELNS1_11target_archE1100ELNS1_3gpuE3ELNS1_3repE0EEENS1_30default_config_static_selectorELNS0_4arch9wavefront6targetE1EEEvT1_
	.p2align	8
	.type	_ZN7rocprim17ROCPRIM_400000_NS6detail17trampoline_kernelINS0_14default_configENS1_20scan_config_selectorIN3c108BFloat16EEEZZNS1_9scan_implILNS1_25lookback_scan_determinismE0ELb0ELb0ES3_PKS6_PS6_S6_ZZZN2at6native31launch_logcumsumexp_cuda_kernelERKNSD_10TensorBaseESH_lENKUlvE_clEvENKUlvE4_clEvEUlS6_S6_E_S6_EEDaPvRmT3_T4_T5_mT6_P12ihipStream_tbENKUlT_T0_E_clISt17integral_constantIbLb1EESX_IbLb0EEEEDaST_SU_EUlST_E0_NS1_11comp_targetILNS1_3genE9ELNS1_11target_archE1100ELNS1_3gpuE3ELNS1_3repE0EEENS1_30default_config_static_selectorELNS0_4arch9wavefront6targetE1EEEvT1_,@function
_ZN7rocprim17ROCPRIM_400000_NS6detail17trampoline_kernelINS0_14default_configENS1_20scan_config_selectorIN3c108BFloat16EEEZZNS1_9scan_implILNS1_25lookback_scan_determinismE0ELb0ELb0ES3_PKS6_PS6_S6_ZZZN2at6native31launch_logcumsumexp_cuda_kernelERKNSD_10TensorBaseESH_lENKUlvE_clEvENKUlvE4_clEvEUlS6_S6_E_S6_EEDaPvRmT3_T4_T5_mT6_P12ihipStream_tbENKUlT_T0_E_clISt17integral_constantIbLb1EESX_IbLb0EEEEDaST_SU_EUlST_E0_NS1_11comp_targetILNS1_3genE9ELNS1_11target_archE1100ELNS1_3gpuE3ELNS1_3repE0EEENS1_30default_config_static_selectorELNS0_4arch9wavefront6targetE1EEEvT1_: ; @_ZN7rocprim17ROCPRIM_400000_NS6detail17trampoline_kernelINS0_14default_configENS1_20scan_config_selectorIN3c108BFloat16EEEZZNS1_9scan_implILNS1_25lookback_scan_determinismE0ELb0ELb0ES3_PKS6_PS6_S6_ZZZN2at6native31launch_logcumsumexp_cuda_kernelERKNSD_10TensorBaseESH_lENKUlvE_clEvENKUlvE4_clEvEUlS6_S6_E_S6_EEDaPvRmT3_T4_T5_mT6_P12ihipStream_tbENKUlT_T0_E_clISt17integral_constantIbLb1EESX_IbLb0EEEEDaST_SU_EUlST_E0_NS1_11comp_targetILNS1_3genE9ELNS1_11target_archE1100ELNS1_3gpuE3ELNS1_3repE0EEENS1_30default_config_static_selectorELNS0_4arch9wavefront6targetE1EEEvT1_
; %bb.0:
	.section	.rodata,"a",@progbits
	.p2align	6, 0x0
	.amdhsa_kernel _ZN7rocprim17ROCPRIM_400000_NS6detail17trampoline_kernelINS0_14default_configENS1_20scan_config_selectorIN3c108BFloat16EEEZZNS1_9scan_implILNS1_25lookback_scan_determinismE0ELb0ELb0ES3_PKS6_PS6_S6_ZZZN2at6native31launch_logcumsumexp_cuda_kernelERKNSD_10TensorBaseESH_lENKUlvE_clEvENKUlvE4_clEvEUlS6_S6_E_S6_EEDaPvRmT3_T4_T5_mT6_P12ihipStream_tbENKUlT_T0_E_clISt17integral_constantIbLb1EESX_IbLb0EEEEDaST_SU_EUlST_E0_NS1_11comp_targetILNS1_3genE9ELNS1_11target_archE1100ELNS1_3gpuE3ELNS1_3repE0EEENS1_30default_config_static_selectorELNS0_4arch9wavefront6targetE1EEEvT1_
		.amdhsa_group_segment_fixed_size 0
		.amdhsa_private_segment_fixed_size 0
		.amdhsa_kernarg_size 32
		.amdhsa_user_sgpr_count 2
		.amdhsa_user_sgpr_dispatch_ptr 0
		.amdhsa_user_sgpr_queue_ptr 0
		.amdhsa_user_sgpr_kernarg_segment_ptr 1
		.amdhsa_user_sgpr_dispatch_id 0
		.amdhsa_user_sgpr_kernarg_preload_length 0
		.amdhsa_user_sgpr_kernarg_preload_offset 0
		.amdhsa_user_sgpr_private_segment_size 0
		.amdhsa_uses_dynamic_stack 0
		.amdhsa_enable_private_segment 0
		.amdhsa_system_sgpr_workgroup_id_x 1
		.amdhsa_system_sgpr_workgroup_id_y 0
		.amdhsa_system_sgpr_workgroup_id_z 0
		.amdhsa_system_sgpr_workgroup_info 0
		.amdhsa_system_vgpr_workitem_id 0
		.amdhsa_next_free_vgpr 1
		.amdhsa_next_free_sgpr 0
		.amdhsa_accum_offset 4
		.amdhsa_reserve_vcc 0
		.amdhsa_float_round_mode_32 0
		.amdhsa_float_round_mode_16_64 0
		.amdhsa_float_denorm_mode_32 3
		.amdhsa_float_denorm_mode_16_64 3
		.amdhsa_dx10_clamp 1
		.amdhsa_ieee_mode 1
		.amdhsa_fp16_overflow 0
		.amdhsa_tg_split 0
		.amdhsa_exception_fp_ieee_invalid_op 0
		.amdhsa_exception_fp_denorm_src 0
		.amdhsa_exception_fp_ieee_div_zero 0
		.amdhsa_exception_fp_ieee_overflow 0
		.amdhsa_exception_fp_ieee_underflow 0
		.amdhsa_exception_fp_ieee_inexact 0
		.amdhsa_exception_int_div_zero 0
	.end_amdhsa_kernel
	.section	.text._ZN7rocprim17ROCPRIM_400000_NS6detail17trampoline_kernelINS0_14default_configENS1_20scan_config_selectorIN3c108BFloat16EEEZZNS1_9scan_implILNS1_25lookback_scan_determinismE0ELb0ELb0ES3_PKS6_PS6_S6_ZZZN2at6native31launch_logcumsumexp_cuda_kernelERKNSD_10TensorBaseESH_lENKUlvE_clEvENKUlvE4_clEvEUlS6_S6_E_S6_EEDaPvRmT3_T4_T5_mT6_P12ihipStream_tbENKUlT_T0_E_clISt17integral_constantIbLb1EESX_IbLb0EEEEDaST_SU_EUlST_E0_NS1_11comp_targetILNS1_3genE9ELNS1_11target_archE1100ELNS1_3gpuE3ELNS1_3repE0EEENS1_30default_config_static_selectorELNS0_4arch9wavefront6targetE1EEEvT1_,"axG",@progbits,_ZN7rocprim17ROCPRIM_400000_NS6detail17trampoline_kernelINS0_14default_configENS1_20scan_config_selectorIN3c108BFloat16EEEZZNS1_9scan_implILNS1_25lookback_scan_determinismE0ELb0ELb0ES3_PKS6_PS6_S6_ZZZN2at6native31launch_logcumsumexp_cuda_kernelERKNSD_10TensorBaseESH_lENKUlvE_clEvENKUlvE4_clEvEUlS6_S6_E_S6_EEDaPvRmT3_T4_T5_mT6_P12ihipStream_tbENKUlT_T0_E_clISt17integral_constantIbLb1EESX_IbLb0EEEEDaST_SU_EUlST_E0_NS1_11comp_targetILNS1_3genE9ELNS1_11target_archE1100ELNS1_3gpuE3ELNS1_3repE0EEENS1_30default_config_static_selectorELNS0_4arch9wavefront6targetE1EEEvT1_,comdat
.Lfunc_end515:
	.size	_ZN7rocprim17ROCPRIM_400000_NS6detail17trampoline_kernelINS0_14default_configENS1_20scan_config_selectorIN3c108BFloat16EEEZZNS1_9scan_implILNS1_25lookback_scan_determinismE0ELb0ELb0ES3_PKS6_PS6_S6_ZZZN2at6native31launch_logcumsumexp_cuda_kernelERKNSD_10TensorBaseESH_lENKUlvE_clEvENKUlvE4_clEvEUlS6_S6_E_S6_EEDaPvRmT3_T4_T5_mT6_P12ihipStream_tbENKUlT_T0_E_clISt17integral_constantIbLb1EESX_IbLb0EEEEDaST_SU_EUlST_E0_NS1_11comp_targetILNS1_3genE9ELNS1_11target_archE1100ELNS1_3gpuE3ELNS1_3repE0EEENS1_30default_config_static_selectorELNS0_4arch9wavefront6targetE1EEEvT1_, .Lfunc_end515-_ZN7rocprim17ROCPRIM_400000_NS6detail17trampoline_kernelINS0_14default_configENS1_20scan_config_selectorIN3c108BFloat16EEEZZNS1_9scan_implILNS1_25lookback_scan_determinismE0ELb0ELb0ES3_PKS6_PS6_S6_ZZZN2at6native31launch_logcumsumexp_cuda_kernelERKNSD_10TensorBaseESH_lENKUlvE_clEvENKUlvE4_clEvEUlS6_S6_E_S6_EEDaPvRmT3_T4_T5_mT6_P12ihipStream_tbENKUlT_T0_E_clISt17integral_constantIbLb1EESX_IbLb0EEEEDaST_SU_EUlST_E0_NS1_11comp_targetILNS1_3genE9ELNS1_11target_archE1100ELNS1_3gpuE3ELNS1_3repE0EEENS1_30default_config_static_selectorELNS0_4arch9wavefront6targetE1EEEvT1_
                                        ; -- End function
	.section	.AMDGPU.csdata,"",@progbits
; Kernel info:
; codeLenInByte = 0
; NumSgprs: 6
; NumVgprs: 0
; NumAgprs: 0
; TotalNumVgprs: 0
; ScratchSize: 0
; MemoryBound: 0
; FloatMode: 240
; IeeeMode: 1
; LDSByteSize: 0 bytes/workgroup (compile time only)
; SGPRBlocks: 0
; VGPRBlocks: 0
; NumSGPRsForWavesPerEU: 6
; NumVGPRsForWavesPerEU: 1
; AccumOffset: 4
; Occupancy: 8
; WaveLimiterHint : 0
; COMPUTE_PGM_RSRC2:SCRATCH_EN: 0
; COMPUTE_PGM_RSRC2:USER_SGPR: 2
; COMPUTE_PGM_RSRC2:TRAP_HANDLER: 0
; COMPUTE_PGM_RSRC2:TGID_X_EN: 1
; COMPUTE_PGM_RSRC2:TGID_Y_EN: 0
; COMPUTE_PGM_RSRC2:TGID_Z_EN: 0
; COMPUTE_PGM_RSRC2:TIDIG_COMP_CNT: 0
; COMPUTE_PGM_RSRC3_GFX90A:ACCUM_OFFSET: 0
; COMPUTE_PGM_RSRC3_GFX90A:TG_SPLIT: 0
	.section	.text._ZN7rocprim17ROCPRIM_400000_NS6detail17trampoline_kernelINS0_14default_configENS1_20scan_config_selectorIN3c108BFloat16EEEZZNS1_9scan_implILNS1_25lookback_scan_determinismE0ELb0ELb0ES3_PKS6_PS6_S6_ZZZN2at6native31launch_logcumsumexp_cuda_kernelERKNSD_10TensorBaseESH_lENKUlvE_clEvENKUlvE4_clEvEUlS6_S6_E_S6_EEDaPvRmT3_T4_T5_mT6_P12ihipStream_tbENKUlT_T0_E_clISt17integral_constantIbLb1EESX_IbLb0EEEEDaST_SU_EUlST_E0_NS1_11comp_targetILNS1_3genE8ELNS1_11target_archE1030ELNS1_3gpuE2ELNS1_3repE0EEENS1_30default_config_static_selectorELNS0_4arch9wavefront6targetE1EEEvT1_,"axG",@progbits,_ZN7rocprim17ROCPRIM_400000_NS6detail17trampoline_kernelINS0_14default_configENS1_20scan_config_selectorIN3c108BFloat16EEEZZNS1_9scan_implILNS1_25lookback_scan_determinismE0ELb0ELb0ES3_PKS6_PS6_S6_ZZZN2at6native31launch_logcumsumexp_cuda_kernelERKNSD_10TensorBaseESH_lENKUlvE_clEvENKUlvE4_clEvEUlS6_S6_E_S6_EEDaPvRmT3_T4_T5_mT6_P12ihipStream_tbENKUlT_T0_E_clISt17integral_constantIbLb1EESX_IbLb0EEEEDaST_SU_EUlST_E0_NS1_11comp_targetILNS1_3genE8ELNS1_11target_archE1030ELNS1_3gpuE2ELNS1_3repE0EEENS1_30default_config_static_selectorELNS0_4arch9wavefront6targetE1EEEvT1_,comdat
	.globl	_ZN7rocprim17ROCPRIM_400000_NS6detail17trampoline_kernelINS0_14default_configENS1_20scan_config_selectorIN3c108BFloat16EEEZZNS1_9scan_implILNS1_25lookback_scan_determinismE0ELb0ELb0ES3_PKS6_PS6_S6_ZZZN2at6native31launch_logcumsumexp_cuda_kernelERKNSD_10TensorBaseESH_lENKUlvE_clEvENKUlvE4_clEvEUlS6_S6_E_S6_EEDaPvRmT3_T4_T5_mT6_P12ihipStream_tbENKUlT_T0_E_clISt17integral_constantIbLb1EESX_IbLb0EEEEDaST_SU_EUlST_E0_NS1_11comp_targetILNS1_3genE8ELNS1_11target_archE1030ELNS1_3gpuE2ELNS1_3repE0EEENS1_30default_config_static_selectorELNS0_4arch9wavefront6targetE1EEEvT1_ ; -- Begin function _ZN7rocprim17ROCPRIM_400000_NS6detail17trampoline_kernelINS0_14default_configENS1_20scan_config_selectorIN3c108BFloat16EEEZZNS1_9scan_implILNS1_25lookback_scan_determinismE0ELb0ELb0ES3_PKS6_PS6_S6_ZZZN2at6native31launch_logcumsumexp_cuda_kernelERKNSD_10TensorBaseESH_lENKUlvE_clEvENKUlvE4_clEvEUlS6_S6_E_S6_EEDaPvRmT3_T4_T5_mT6_P12ihipStream_tbENKUlT_T0_E_clISt17integral_constantIbLb1EESX_IbLb0EEEEDaST_SU_EUlST_E0_NS1_11comp_targetILNS1_3genE8ELNS1_11target_archE1030ELNS1_3gpuE2ELNS1_3repE0EEENS1_30default_config_static_selectorELNS0_4arch9wavefront6targetE1EEEvT1_
	.p2align	8
	.type	_ZN7rocprim17ROCPRIM_400000_NS6detail17trampoline_kernelINS0_14default_configENS1_20scan_config_selectorIN3c108BFloat16EEEZZNS1_9scan_implILNS1_25lookback_scan_determinismE0ELb0ELb0ES3_PKS6_PS6_S6_ZZZN2at6native31launch_logcumsumexp_cuda_kernelERKNSD_10TensorBaseESH_lENKUlvE_clEvENKUlvE4_clEvEUlS6_S6_E_S6_EEDaPvRmT3_T4_T5_mT6_P12ihipStream_tbENKUlT_T0_E_clISt17integral_constantIbLb1EESX_IbLb0EEEEDaST_SU_EUlST_E0_NS1_11comp_targetILNS1_3genE8ELNS1_11target_archE1030ELNS1_3gpuE2ELNS1_3repE0EEENS1_30default_config_static_selectorELNS0_4arch9wavefront6targetE1EEEvT1_,@function
_ZN7rocprim17ROCPRIM_400000_NS6detail17trampoline_kernelINS0_14default_configENS1_20scan_config_selectorIN3c108BFloat16EEEZZNS1_9scan_implILNS1_25lookback_scan_determinismE0ELb0ELb0ES3_PKS6_PS6_S6_ZZZN2at6native31launch_logcumsumexp_cuda_kernelERKNSD_10TensorBaseESH_lENKUlvE_clEvENKUlvE4_clEvEUlS6_S6_E_S6_EEDaPvRmT3_T4_T5_mT6_P12ihipStream_tbENKUlT_T0_E_clISt17integral_constantIbLb1EESX_IbLb0EEEEDaST_SU_EUlST_E0_NS1_11comp_targetILNS1_3genE8ELNS1_11target_archE1030ELNS1_3gpuE2ELNS1_3repE0EEENS1_30default_config_static_selectorELNS0_4arch9wavefront6targetE1EEEvT1_: ; @_ZN7rocprim17ROCPRIM_400000_NS6detail17trampoline_kernelINS0_14default_configENS1_20scan_config_selectorIN3c108BFloat16EEEZZNS1_9scan_implILNS1_25lookback_scan_determinismE0ELb0ELb0ES3_PKS6_PS6_S6_ZZZN2at6native31launch_logcumsumexp_cuda_kernelERKNSD_10TensorBaseESH_lENKUlvE_clEvENKUlvE4_clEvEUlS6_S6_E_S6_EEDaPvRmT3_T4_T5_mT6_P12ihipStream_tbENKUlT_T0_E_clISt17integral_constantIbLb1EESX_IbLb0EEEEDaST_SU_EUlST_E0_NS1_11comp_targetILNS1_3genE8ELNS1_11target_archE1030ELNS1_3gpuE2ELNS1_3repE0EEENS1_30default_config_static_selectorELNS0_4arch9wavefront6targetE1EEEvT1_
; %bb.0:
	.section	.rodata,"a",@progbits
	.p2align	6, 0x0
	.amdhsa_kernel _ZN7rocprim17ROCPRIM_400000_NS6detail17trampoline_kernelINS0_14default_configENS1_20scan_config_selectorIN3c108BFloat16EEEZZNS1_9scan_implILNS1_25lookback_scan_determinismE0ELb0ELb0ES3_PKS6_PS6_S6_ZZZN2at6native31launch_logcumsumexp_cuda_kernelERKNSD_10TensorBaseESH_lENKUlvE_clEvENKUlvE4_clEvEUlS6_S6_E_S6_EEDaPvRmT3_T4_T5_mT6_P12ihipStream_tbENKUlT_T0_E_clISt17integral_constantIbLb1EESX_IbLb0EEEEDaST_SU_EUlST_E0_NS1_11comp_targetILNS1_3genE8ELNS1_11target_archE1030ELNS1_3gpuE2ELNS1_3repE0EEENS1_30default_config_static_selectorELNS0_4arch9wavefront6targetE1EEEvT1_
		.amdhsa_group_segment_fixed_size 0
		.amdhsa_private_segment_fixed_size 0
		.amdhsa_kernarg_size 32
		.amdhsa_user_sgpr_count 2
		.amdhsa_user_sgpr_dispatch_ptr 0
		.amdhsa_user_sgpr_queue_ptr 0
		.amdhsa_user_sgpr_kernarg_segment_ptr 1
		.amdhsa_user_sgpr_dispatch_id 0
		.amdhsa_user_sgpr_kernarg_preload_length 0
		.amdhsa_user_sgpr_kernarg_preload_offset 0
		.amdhsa_user_sgpr_private_segment_size 0
		.amdhsa_uses_dynamic_stack 0
		.amdhsa_enable_private_segment 0
		.amdhsa_system_sgpr_workgroup_id_x 1
		.amdhsa_system_sgpr_workgroup_id_y 0
		.amdhsa_system_sgpr_workgroup_id_z 0
		.amdhsa_system_sgpr_workgroup_info 0
		.amdhsa_system_vgpr_workitem_id 0
		.amdhsa_next_free_vgpr 1
		.amdhsa_next_free_sgpr 0
		.amdhsa_accum_offset 4
		.amdhsa_reserve_vcc 0
		.amdhsa_float_round_mode_32 0
		.amdhsa_float_round_mode_16_64 0
		.amdhsa_float_denorm_mode_32 3
		.amdhsa_float_denorm_mode_16_64 3
		.amdhsa_dx10_clamp 1
		.amdhsa_ieee_mode 1
		.amdhsa_fp16_overflow 0
		.amdhsa_tg_split 0
		.amdhsa_exception_fp_ieee_invalid_op 0
		.amdhsa_exception_fp_denorm_src 0
		.amdhsa_exception_fp_ieee_div_zero 0
		.amdhsa_exception_fp_ieee_overflow 0
		.amdhsa_exception_fp_ieee_underflow 0
		.amdhsa_exception_fp_ieee_inexact 0
		.amdhsa_exception_int_div_zero 0
	.end_amdhsa_kernel
	.section	.text._ZN7rocprim17ROCPRIM_400000_NS6detail17trampoline_kernelINS0_14default_configENS1_20scan_config_selectorIN3c108BFloat16EEEZZNS1_9scan_implILNS1_25lookback_scan_determinismE0ELb0ELb0ES3_PKS6_PS6_S6_ZZZN2at6native31launch_logcumsumexp_cuda_kernelERKNSD_10TensorBaseESH_lENKUlvE_clEvENKUlvE4_clEvEUlS6_S6_E_S6_EEDaPvRmT3_T4_T5_mT6_P12ihipStream_tbENKUlT_T0_E_clISt17integral_constantIbLb1EESX_IbLb0EEEEDaST_SU_EUlST_E0_NS1_11comp_targetILNS1_3genE8ELNS1_11target_archE1030ELNS1_3gpuE2ELNS1_3repE0EEENS1_30default_config_static_selectorELNS0_4arch9wavefront6targetE1EEEvT1_,"axG",@progbits,_ZN7rocprim17ROCPRIM_400000_NS6detail17trampoline_kernelINS0_14default_configENS1_20scan_config_selectorIN3c108BFloat16EEEZZNS1_9scan_implILNS1_25lookback_scan_determinismE0ELb0ELb0ES3_PKS6_PS6_S6_ZZZN2at6native31launch_logcumsumexp_cuda_kernelERKNSD_10TensorBaseESH_lENKUlvE_clEvENKUlvE4_clEvEUlS6_S6_E_S6_EEDaPvRmT3_T4_T5_mT6_P12ihipStream_tbENKUlT_T0_E_clISt17integral_constantIbLb1EESX_IbLb0EEEEDaST_SU_EUlST_E0_NS1_11comp_targetILNS1_3genE8ELNS1_11target_archE1030ELNS1_3gpuE2ELNS1_3repE0EEENS1_30default_config_static_selectorELNS0_4arch9wavefront6targetE1EEEvT1_,comdat
.Lfunc_end516:
	.size	_ZN7rocprim17ROCPRIM_400000_NS6detail17trampoline_kernelINS0_14default_configENS1_20scan_config_selectorIN3c108BFloat16EEEZZNS1_9scan_implILNS1_25lookback_scan_determinismE0ELb0ELb0ES3_PKS6_PS6_S6_ZZZN2at6native31launch_logcumsumexp_cuda_kernelERKNSD_10TensorBaseESH_lENKUlvE_clEvENKUlvE4_clEvEUlS6_S6_E_S6_EEDaPvRmT3_T4_T5_mT6_P12ihipStream_tbENKUlT_T0_E_clISt17integral_constantIbLb1EESX_IbLb0EEEEDaST_SU_EUlST_E0_NS1_11comp_targetILNS1_3genE8ELNS1_11target_archE1030ELNS1_3gpuE2ELNS1_3repE0EEENS1_30default_config_static_selectorELNS0_4arch9wavefront6targetE1EEEvT1_, .Lfunc_end516-_ZN7rocprim17ROCPRIM_400000_NS6detail17trampoline_kernelINS0_14default_configENS1_20scan_config_selectorIN3c108BFloat16EEEZZNS1_9scan_implILNS1_25lookback_scan_determinismE0ELb0ELb0ES3_PKS6_PS6_S6_ZZZN2at6native31launch_logcumsumexp_cuda_kernelERKNSD_10TensorBaseESH_lENKUlvE_clEvENKUlvE4_clEvEUlS6_S6_E_S6_EEDaPvRmT3_T4_T5_mT6_P12ihipStream_tbENKUlT_T0_E_clISt17integral_constantIbLb1EESX_IbLb0EEEEDaST_SU_EUlST_E0_NS1_11comp_targetILNS1_3genE8ELNS1_11target_archE1030ELNS1_3gpuE2ELNS1_3repE0EEENS1_30default_config_static_selectorELNS0_4arch9wavefront6targetE1EEEvT1_
                                        ; -- End function
	.section	.AMDGPU.csdata,"",@progbits
; Kernel info:
; codeLenInByte = 0
; NumSgprs: 6
; NumVgprs: 0
; NumAgprs: 0
; TotalNumVgprs: 0
; ScratchSize: 0
; MemoryBound: 0
; FloatMode: 240
; IeeeMode: 1
; LDSByteSize: 0 bytes/workgroup (compile time only)
; SGPRBlocks: 0
; VGPRBlocks: 0
; NumSGPRsForWavesPerEU: 6
; NumVGPRsForWavesPerEU: 1
; AccumOffset: 4
; Occupancy: 8
; WaveLimiterHint : 0
; COMPUTE_PGM_RSRC2:SCRATCH_EN: 0
; COMPUTE_PGM_RSRC2:USER_SGPR: 2
; COMPUTE_PGM_RSRC2:TRAP_HANDLER: 0
; COMPUTE_PGM_RSRC2:TGID_X_EN: 1
; COMPUTE_PGM_RSRC2:TGID_Y_EN: 0
; COMPUTE_PGM_RSRC2:TGID_Z_EN: 0
; COMPUTE_PGM_RSRC2:TIDIG_COMP_CNT: 0
; COMPUTE_PGM_RSRC3_GFX90A:ACCUM_OFFSET: 0
; COMPUTE_PGM_RSRC3_GFX90A:TG_SPLIT: 0
	.section	.text._ZN7rocprim17ROCPRIM_400000_NS6detail31init_lookback_scan_state_kernelINS1_19lookback_scan_stateIN3c108BFloat16ELb0ELb1EEENS1_16block_id_wrapperIjLb1EEEEEvT_jT0_jPNS9_10value_typeE,"axG",@progbits,_ZN7rocprim17ROCPRIM_400000_NS6detail31init_lookback_scan_state_kernelINS1_19lookback_scan_stateIN3c108BFloat16ELb0ELb1EEENS1_16block_id_wrapperIjLb1EEEEEvT_jT0_jPNS9_10value_typeE,comdat
	.protected	_ZN7rocprim17ROCPRIM_400000_NS6detail31init_lookback_scan_state_kernelINS1_19lookback_scan_stateIN3c108BFloat16ELb0ELb1EEENS1_16block_id_wrapperIjLb1EEEEEvT_jT0_jPNS9_10value_typeE ; -- Begin function _ZN7rocprim17ROCPRIM_400000_NS6detail31init_lookback_scan_state_kernelINS1_19lookback_scan_stateIN3c108BFloat16ELb0ELb1EEENS1_16block_id_wrapperIjLb1EEEEEvT_jT0_jPNS9_10value_typeE
	.globl	_ZN7rocprim17ROCPRIM_400000_NS6detail31init_lookback_scan_state_kernelINS1_19lookback_scan_stateIN3c108BFloat16ELb0ELb1EEENS1_16block_id_wrapperIjLb1EEEEEvT_jT0_jPNS9_10value_typeE
	.p2align	8
	.type	_ZN7rocprim17ROCPRIM_400000_NS6detail31init_lookback_scan_state_kernelINS1_19lookback_scan_stateIN3c108BFloat16ELb0ELb1EEENS1_16block_id_wrapperIjLb1EEEEEvT_jT0_jPNS9_10value_typeE,@function
_ZN7rocprim17ROCPRIM_400000_NS6detail31init_lookback_scan_state_kernelINS1_19lookback_scan_stateIN3c108BFloat16ELb0ELb1EEENS1_16block_id_wrapperIjLb1EEEEEvT_jT0_jPNS9_10value_typeE: ; @_ZN7rocprim17ROCPRIM_400000_NS6detail31init_lookback_scan_state_kernelINS1_19lookback_scan_stateIN3c108BFloat16ELb0ELb1EEENS1_16block_id_wrapperIjLb1EEEEEvT_jT0_jPNS9_10value_typeE
; %bb.0:
	s_load_dword s3, s[0:1], 0x34
	s_load_dwordx2 s[6:7], s[0:1], 0x20
	s_load_dwordx2 s[4:5], s[0:1], 0x0
	s_load_dword s10, s[0:1], 0x8
	s_waitcnt lgkmcnt(0)
	s_and_b32 s3, s3, 0xffff
	s_mul_i32 s2, s2, s3
	s_cmp_eq_u64 s[6:7], 0
	v_add_u32_e32 v0, s2, v0
	s_cbranch_scc1 .LBB517_6
; %bb.1:
	s_load_dword s8, s[0:1], 0x18
	s_mov_b32 s9, 0
	s_waitcnt lgkmcnt(0)
	s_cmp_lt_u32 s8, s10
	s_cselect_b32 s2, s8, 0
	v_cmp_eq_u32_e32 vcc, s2, v0
	s_and_saveexec_b64 s[2:3], vcc
	s_cbranch_execz .LBB517_5
; %bb.2:
	s_add_i32 s8, s8, 64
	s_lshl_b64 s[8:9], s[8:9], 2
	s_add_u32 s8, s4, s8
	s_addc_u32 s9, s5, s9
	v_mov_b32_e32 v2, 0
	global_load_dword v1, v2, s[8:9] sc1
	s_waitcnt vmcnt(0)
	v_and_b32_e32 v3, 0xff0000, v1
	v_cmp_ne_u32_e32 vcc, 0, v3
	s_cbranch_vccnz .LBB517_4
.LBB517_3:                              ; =>This Inner Loop Header: Depth=1
	global_load_dword v1, v2, s[8:9] sc1
	s_waitcnt vmcnt(0)
	v_and_b32_e32 v3, 0xff0000, v1
	v_cmp_eq_u32_e32 vcc, 0, v3
	s_cbranch_vccnz .LBB517_3
.LBB517_4:
	v_mov_b32_e32 v2, 0
	global_store_short v2, v1, s[6:7]
.LBB517_5:
	s_or_b64 exec, exec, s[2:3]
.LBB517_6:
	v_cmp_eq_u32_e32 vcc, 0, v0
	s_and_saveexec_b64 s[2:3], vcc
	s_cbranch_execnz .LBB517_10
; %bb.7:
	s_or_b64 exec, exec, s[2:3]
	v_cmp_gt_u32_e32 vcc, s10, v0
	s_and_saveexec_b64 s[0:1], vcc
	s_cbranch_execnz .LBB517_11
.LBB517_8:
	s_or_b64 exec, exec, s[0:1]
	v_cmp_gt_u32_e32 vcc, 64, v0
	s_and_saveexec_b64 s[0:1], vcc
	s_cbranch_execnz .LBB517_12
.LBB517_9:
	s_endpgm
.LBB517_10:
	s_load_dwordx2 s[0:1], s[0:1], 0x10
	v_mov_b32_e32 v1, 0
	s_waitcnt lgkmcnt(0)
	global_store_dword v1, v1, s[0:1]
	s_or_b64 exec, exec, s[2:3]
	v_cmp_gt_u32_e32 vcc, s10, v0
	s_and_saveexec_b64 s[0:1], vcc
	s_cbranch_execz .LBB517_8
.LBB517_11:
	v_add_u32_e32 v2, 64, v0
	v_mov_b32_e32 v3, 0
	v_lshl_add_u64 v[4:5], v[2:3], 2, s[4:5]
	global_store_dword v[4:5], v3, off
	s_or_b64 exec, exec, s[0:1]
	v_cmp_gt_u32_e32 vcc, 64, v0
	s_and_saveexec_b64 s[0:1], vcc
	s_cbranch_execz .LBB517_9
.LBB517_12:
	v_mov_b32_e32 v1, 0
	v_lshl_add_u64 v[0:1], v[0:1], 2, s[4:5]
	v_mov_b32_e32 v2, 0xff0000
	global_store_dword v[0:1], v2, off
	s_endpgm
	.section	.rodata,"a",@progbits
	.p2align	6, 0x0
	.amdhsa_kernel _ZN7rocprim17ROCPRIM_400000_NS6detail31init_lookback_scan_state_kernelINS1_19lookback_scan_stateIN3c108BFloat16ELb0ELb1EEENS1_16block_id_wrapperIjLb1EEEEEvT_jT0_jPNS9_10value_typeE
		.amdhsa_group_segment_fixed_size 0
		.amdhsa_private_segment_fixed_size 0
		.amdhsa_kernarg_size 296
		.amdhsa_user_sgpr_count 2
		.amdhsa_user_sgpr_dispatch_ptr 0
		.amdhsa_user_sgpr_queue_ptr 0
		.amdhsa_user_sgpr_kernarg_segment_ptr 1
		.amdhsa_user_sgpr_dispatch_id 0
		.amdhsa_user_sgpr_kernarg_preload_length 0
		.amdhsa_user_sgpr_kernarg_preload_offset 0
		.amdhsa_user_sgpr_private_segment_size 0
		.amdhsa_uses_dynamic_stack 0
		.amdhsa_enable_private_segment 0
		.amdhsa_system_sgpr_workgroup_id_x 1
		.amdhsa_system_sgpr_workgroup_id_y 0
		.amdhsa_system_sgpr_workgroup_id_z 0
		.amdhsa_system_sgpr_workgroup_info 0
		.amdhsa_system_vgpr_workitem_id 0
		.amdhsa_next_free_vgpr 6
		.amdhsa_next_free_sgpr 11
		.amdhsa_accum_offset 8
		.amdhsa_reserve_vcc 1
		.amdhsa_float_round_mode_32 0
		.amdhsa_float_round_mode_16_64 0
		.amdhsa_float_denorm_mode_32 3
		.amdhsa_float_denorm_mode_16_64 3
		.amdhsa_dx10_clamp 1
		.amdhsa_ieee_mode 1
		.amdhsa_fp16_overflow 0
		.amdhsa_tg_split 0
		.amdhsa_exception_fp_ieee_invalid_op 0
		.amdhsa_exception_fp_denorm_src 0
		.amdhsa_exception_fp_ieee_div_zero 0
		.amdhsa_exception_fp_ieee_overflow 0
		.amdhsa_exception_fp_ieee_underflow 0
		.amdhsa_exception_fp_ieee_inexact 0
		.amdhsa_exception_int_div_zero 0
	.end_amdhsa_kernel
	.section	.text._ZN7rocprim17ROCPRIM_400000_NS6detail31init_lookback_scan_state_kernelINS1_19lookback_scan_stateIN3c108BFloat16ELb0ELb1EEENS1_16block_id_wrapperIjLb1EEEEEvT_jT0_jPNS9_10value_typeE,"axG",@progbits,_ZN7rocprim17ROCPRIM_400000_NS6detail31init_lookback_scan_state_kernelINS1_19lookback_scan_stateIN3c108BFloat16ELb0ELb1EEENS1_16block_id_wrapperIjLb1EEEEEvT_jT0_jPNS9_10value_typeE,comdat
.Lfunc_end517:
	.size	_ZN7rocprim17ROCPRIM_400000_NS6detail31init_lookback_scan_state_kernelINS1_19lookback_scan_stateIN3c108BFloat16ELb0ELb1EEENS1_16block_id_wrapperIjLb1EEEEEvT_jT0_jPNS9_10value_typeE, .Lfunc_end517-_ZN7rocprim17ROCPRIM_400000_NS6detail31init_lookback_scan_state_kernelINS1_19lookback_scan_stateIN3c108BFloat16ELb0ELb1EEENS1_16block_id_wrapperIjLb1EEEEEvT_jT0_jPNS9_10value_typeE
                                        ; -- End function
	.section	.AMDGPU.csdata,"",@progbits
; Kernel info:
; codeLenInByte = 348
; NumSgprs: 17
; NumVgprs: 6
; NumAgprs: 0
; TotalNumVgprs: 6
; ScratchSize: 0
; MemoryBound: 0
; FloatMode: 240
; IeeeMode: 1
; LDSByteSize: 0 bytes/workgroup (compile time only)
; SGPRBlocks: 2
; VGPRBlocks: 0
; NumSGPRsForWavesPerEU: 17
; NumVGPRsForWavesPerEU: 6
; AccumOffset: 8
; Occupancy: 8
; WaveLimiterHint : 0
; COMPUTE_PGM_RSRC2:SCRATCH_EN: 0
; COMPUTE_PGM_RSRC2:USER_SGPR: 2
; COMPUTE_PGM_RSRC2:TRAP_HANDLER: 0
; COMPUTE_PGM_RSRC2:TGID_X_EN: 1
; COMPUTE_PGM_RSRC2:TGID_Y_EN: 0
; COMPUTE_PGM_RSRC2:TGID_Z_EN: 0
; COMPUTE_PGM_RSRC2:TIDIG_COMP_CNT: 0
; COMPUTE_PGM_RSRC3_GFX90A:ACCUM_OFFSET: 1
; COMPUTE_PGM_RSRC3_GFX90A:TG_SPLIT: 0
	.section	.text._ZN7rocprim17ROCPRIM_400000_NS6detail17trampoline_kernelINS0_14default_configENS1_20scan_config_selectorIN3c108BFloat16EEEZZNS1_9scan_implILNS1_25lookback_scan_determinismE0ELb0ELb0ES3_PKS6_PS6_S6_ZZZN2at6native31launch_logcumsumexp_cuda_kernelERKNSD_10TensorBaseESH_lENKUlvE_clEvENKUlvE4_clEvEUlS6_S6_E_S6_EEDaPvRmT3_T4_T5_mT6_P12ihipStream_tbENKUlT_T0_E_clISt17integral_constantIbLb0EESX_IbLb1EEEEDaST_SU_EUlST_E_NS1_11comp_targetILNS1_3genE0ELNS1_11target_archE4294967295ELNS1_3gpuE0ELNS1_3repE0EEENS1_30default_config_static_selectorELNS0_4arch9wavefront6targetE1EEEvT1_,"axG",@progbits,_ZN7rocprim17ROCPRIM_400000_NS6detail17trampoline_kernelINS0_14default_configENS1_20scan_config_selectorIN3c108BFloat16EEEZZNS1_9scan_implILNS1_25lookback_scan_determinismE0ELb0ELb0ES3_PKS6_PS6_S6_ZZZN2at6native31launch_logcumsumexp_cuda_kernelERKNSD_10TensorBaseESH_lENKUlvE_clEvENKUlvE4_clEvEUlS6_S6_E_S6_EEDaPvRmT3_T4_T5_mT6_P12ihipStream_tbENKUlT_T0_E_clISt17integral_constantIbLb0EESX_IbLb1EEEEDaST_SU_EUlST_E_NS1_11comp_targetILNS1_3genE0ELNS1_11target_archE4294967295ELNS1_3gpuE0ELNS1_3repE0EEENS1_30default_config_static_selectorELNS0_4arch9wavefront6targetE1EEEvT1_,comdat
	.globl	_ZN7rocprim17ROCPRIM_400000_NS6detail17trampoline_kernelINS0_14default_configENS1_20scan_config_selectorIN3c108BFloat16EEEZZNS1_9scan_implILNS1_25lookback_scan_determinismE0ELb0ELb0ES3_PKS6_PS6_S6_ZZZN2at6native31launch_logcumsumexp_cuda_kernelERKNSD_10TensorBaseESH_lENKUlvE_clEvENKUlvE4_clEvEUlS6_S6_E_S6_EEDaPvRmT3_T4_T5_mT6_P12ihipStream_tbENKUlT_T0_E_clISt17integral_constantIbLb0EESX_IbLb1EEEEDaST_SU_EUlST_E_NS1_11comp_targetILNS1_3genE0ELNS1_11target_archE4294967295ELNS1_3gpuE0ELNS1_3repE0EEENS1_30default_config_static_selectorELNS0_4arch9wavefront6targetE1EEEvT1_ ; -- Begin function _ZN7rocprim17ROCPRIM_400000_NS6detail17trampoline_kernelINS0_14default_configENS1_20scan_config_selectorIN3c108BFloat16EEEZZNS1_9scan_implILNS1_25lookback_scan_determinismE0ELb0ELb0ES3_PKS6_PS6_S6_ZZZN2at6native31launch_logcumsumexp_cuda_kernelERKNSD_10TensorBaseESH_lENKUlvE_clEvENKUlvE4_clEvEUlS6_S6_E_S6_EEDaPvRmT3_T4_T5_mT6_P12ihipStream_tbENKUlT_T0_E_clISt17integral_constantIbLb0EESX_IbLb1EEEEDaST_SU_EUlST_E_NS1_11comp_targetILNS1_3genE0ELNS1_11target_archE4294967295ELNS1_3gpuE0ELNS1_3repE0EEENS1_30default_config_static_selectorELNS0_4arch9wavefront6targetE1EEEvT1_
	.p2align	8
	.type	_ZN7rocprim17ROCPRIM_400000_NS6detail17trampoline_kernelINS0_14default_configENS1_20scan_config_selectorIN3c108BFloat16EEEZZNS1_9scan_implILNS1_25lookback_scan_determinismE0ELb0ELb0ES3_PKS6_PS6_S6_ZZZN2at6native31launch_logcumsumexp_cuda_kernelERKNSD_10TensorBaseESH_lENKUlvE_clEvENKUlvE4_clEvEUlS6_S6_E_S6_EEDaPvRmT3_T4_T5_mT6_P12ihipStream_tbENKUlT_T0_E_clISt17integral_constantIbLb0EESX_IbLb1EEEEDaST_SU_EUlST_E_NS1_11comp_targetILNS1_3genE0ELNS1_11target_archE4294967295ELNS1_3gpuE0ELNS1_3repE0EEENS1_30default_config_static_selectorELNS0_4arch9wavefront6targetE1EEEvT1_,@function
_ZN7rocprim17ROCPRIM_400000_NS6detail17trampoline_kernelINS0_14default_configENS1_20scan_config_selectorIN3c108BFloat16EEEZZNS1_9scan_implILNS1_25lookback_scan_determinismE0ELb0ELb0ES3_PKS6_PS6_S6_ZZZN2at6native31launch_logcumsumexp_cuda_kernelERKNSD_10TensorBaseESH_lENKUlvE_clEvENKUlvE4_clEvEUlS6_S6_E_S6_EEDaPvRmT3_T4_T5_mT6_P12ihipStream_tbENKUlT_T0_E_clISt17integral_constantIbLb0EESX_IbLb1EEEEDaST_SU_EUlST_E_NS1_11comp_targetILNS1_3genE0ELNS1_11target_archE4294967295ELNS1_3gpuE0ELNS1_3repE0EEENS1_30default_config_static_selectorELNS0_4arch9wavefront6targetE1EEEvT1_: ; @_ZN7rocprim17ROCPRIM_400000_NS6detail17trampoline_kernelINS0_14default_configENS1_20scan_config_selectorIN3c108BFloat16EEEZZNS1_9scan_implILNS1_25lookback_scan_determinismE0ELb0ELb0ES3_PKS6_PS6_S6_ZZZN2at6native31launch_logcumsumexp_cuda_kernelERKNSD_10TensorBaseESH_lENKUlvE_clEvENKUlvE4_clEvEUlS6_S6_E_S6_EEDaPvRmT3_T4_T5_mT6_P12ihipStream_tbENKUlT_T0_E_clISt17integral_constantIbLb0EESX_IbLb1EEEEDaST_SU_EUlST_E_NS1_11comp_targetILNS1_3genE0ELNS1_11target_archE4294967295ELNS1_3gpuE0ELNS1_3repE0EEENS1_30default_config_static_selectorELNS0_4arch9wavefront6targetE1EEEvT1_
; %bb.0:
	.section	.rodata,"a",@progbits
	.p2align	6, 0x0
	.amdhsa_kernel _ZN7rocprim17ROCPRIM_400000_NS6detail17trampoline_kernelINS0_14default_configENS1_20scan_config_selectorIN3c108BFloat16EEEZZNS1_9scan_implILNS1_25lookback_scan_determinismE0ELb0ELb0ES3_PKS6_PS6_S6_ZZZN2at6native31launch_logcumsumexp_cuda_kernelERKNSD_10TensorBaseESH_lENKUlvE_clEvENKUlvE4_clEvEUlS6_S6_E_S6_EEDaPvRmT3_T4_T5_mT6_P12ihipStream_tbENKUlT_T0_E_clISt17integral_constantIbLb0EESX_IbLb1EEEEDaST_SU_EUlST_E_NS1_11comp_targetILNS1_3genE0ELNS1_11target_archE4294967295ELNS1_3gpuE0ELNS1_3repE0EEENS1_30default_config_static_selectorELNS0_4arch9wavefront6targetE1EEEvT1_
		.amdhsa_group_segment_fixed_size 0
		.amdhsa_private_segment_fixed_size 0
		.amdhsa_kernarg_size 96
		.amdhsa_user_sgpr_count 2
		.amdhsa_user_sgpr_dispatch_ptr 0
		.amdhsa_user_sgpr_queue_ptr 0
		.amdhsa_user_sgpr_kernarg_segment_ptr 1
		.amdhsa_user_sgpr_dispatch_id 0
		.amdhsa_user_sgpr_kernarg_preload_length 0
		.amdhsa_user_sgpr_kernarg_preload_offset 0
		.amdhsa_user_sgpr_private_segment_size 0
		.amdhsa_uses_dynamic_stack 0
		.amdhsa_enable_private_segment 0
		.amdhsa_system_sgpr_workgroup_id_x 1
		.amdhsa_system_sgpr_workgroup_id_y 0
		.amdhsa_system_sgpr_workgroup_id_z 0
		.amdhsa_system_sgpr_workgroup_info 0
		.amdhsa_system_vgpr_workitem_id 0
		.amdhsa_next_free_vgpr 1
		.amdhsa_next_free_sgpr 0
		.amdhsa_accum_offset 4
		.amdhsa_reserve_vcc 0
		.amdhsa_float_round_mode_32 0
		.amdhsa_float_round_mode_16_64 0
		.amdhsa_float_denorm_mode_32 3
		.amdhsa_float_denorm_mode_16_64 3
		.amdhsa_dx10_clamp 1
		.amdhsa_ieee_mode 1
		.amdhsa_fp16_overflow 0
		.amdhsa_tg_split 0
		.amdhsa_exception_fp_ieee_invalid_op 0
		.amdhsa_exception_fp_denorm_src 0
		.amdhsa_exception_fp_ieee_div_zero 0
		.amdhsa_exception_fp_ieee_overflow 0
		.amdhsa_exception_fp_ieee_underflow 0
		.amdhsa_exception_fp_ieee_inexact 0
		.amdhsa_exception_int_div_zero 0
	.end_amdhsa_kernel
	.section	.text._ZN7rocprim17ROCPRIM_400000_NS6detail17trampoline_kernelINS0_14default_configENS1_20scan_config_selectorIN3c108BFloat16EEEZZNS1_9scan_implILNS1_25lookback_scan_determinismE0ELb0ELb0ES3_PKS6_PS6_S6_ZZZN2at6native31launch_logcumsumexp_cuda_kernelERKNSD_10TensorBaseESH_lENKUlvE_clEvENKUlvE4_clEvEUlS6_S6_E_S6_EEDaPvRmT3_T4_T5_mT6_P12ihipStream_tbENKUlT_T0_E_clISt17integral_constantIbLb0EESX_IbLb1EEEEDaST_SU_EUlST_E_NS1_11comp_targetILNS1_3genE0ELNS1_11target_archE4294967295ELNS1_3gpuE0ELNS1_3repE0EEENS1_30default_config_static_selectorELNS0_4arch9wavefront6targetE1EEEvT1_,"axG",@progbits,_ZN7rocprim17ROCPRIM_400000_NS6detail17trampoline_kernelINS0_14default_configENS1_20scan_config_selectorIN3c108BFloat16EEEZZNS1_9scan_implILNS1_25lookback_scan_determinismE0ELb0ELb0ES3_PKS6_PS6_S6_ZZZN2at6native31launch_logcumsumexp_cuda_kernelERKNSD_10TensorBaseESH_lENKUlvE_clEvENKUlvE4_clEvEUlS6_S6_E_S6_EEDaPvRmT3_T4_T5_mT6_P12ihipStream_tbENKUlT_T0_E_clISt17integral_constantIbLb0EESX_IbLb1EEEEDaST_SU_EUlST_E_NS1_11comp_targetILNS1_3genE0ELNS1_11target_archE4294967295ELNS1_3gpuE0ELNS1_3repE0EEENS1_30default_config_static_selectorELNS0_4arch9wavefront6targetE1EEEvT1_,comdat
.Lfunc_end518:
	.size	_ZN7rocprim17ROCPRIM_400000_NS6detail17trampoline_kernelINS0_14default_configENS1_20scan_config_selectorIN3c108BFloat16EEEZZNS1_9scan_implILNS1_25lookback_scan_determinismE0ELb0ELb0ES3_PKS6_PS6_S6_ZZZN2at6native31launch_logcumsumexp_cuda_kernelERKNSD_10TensorBaseESH_lENKUlvE_clEvENKUlvE4_clEvEUlS6_S6_E_S6_EEDaPvRmT3_T4_T5_mT6_P12ihipStream_tbENKUlT_T0_E_clISt17integral_constantIbLb0EESX_IbLb1EEEEDaST_SU_EUlST_E_NS1_11comp_targetILNS1_3genE0ELNS1_11target_archE4294967295ELNS1_3gpuE0ELNS1_3repE0EEENS1_30default_config_static_selectorELNS0_4arch9wavefront6targetE1EEEvT1_, .Lfunc_end518-_ZN7rocprim17ROCPRIM_400000_NS6detail17trampoline_kernelINS0_14default_configENS1_20scan_config_selectorIN3c108BFloat16EEEZZNS1_9scan_implILNS1_25lookback_scan_determinismE0ELb0ELb0ES3_PKS6_PS6_S6_ZZZN2at6native31launch_logcumsumexp_cuda_kernelERKNSD_10TensorBaseESH_lENKUlvE_clEvENKUlvE4_clEvEUlS6_S6_E_S6_EEDaPvRmT3_T4_T5_mT6_P12ihipStream_tbENKUlT_T0_E_clISt17integral_constantIbLb0EESX_IbLb1EEEEDaST_SU_EUlST_E_NS1_11comp_targetILNS1_3genE0ELNS1_11target_archE4294967295ELNS1_3gpuE0ELNS1_3repE0EEENS1_30default_config_static_selectorELNS0_4arch9wavefront6targetE1EEEvT1_
                                        ; -- End function
	.section	.AMDGPU.csdata,"",@progbits
; Kernel info:
; codeLenInByte = 0
; NumSgprs: 6
; NumVgprs: 0
; NumAgprs: 0
; TotalNumVgprs: 0
; ScratchSize: 0
; MemoryBound: 0
; FloatMode: 240
; IeeeMode: 1
; LDSByteSize: 0 bytes/workgroup (compile time only)
; SGPRBlocks: 0
; VGPRBlocks: 0
; NumSGPRsForWavesPerEU: 6
; NumVGPRsForWavesPerEU: 1
; AccumOffset: 4
; Occupancy: 8
; WaveLimiterHint : 0
; COMPUTE_PGM_RSRC2:SCRATCH_EN: 0
; COMPUTE_PGM_RSRC2:USER_SGPR: 2
; COMPUTE_PGM_RSRC2:TRAP_HANDLER: 0
; COMPUTE_PGM_RSRC2:TGID_X_EN: 1
; COMPUTE_PGM_RSRC2:TGID_Y_EN: 0
; COMPUTE_PGM_RSRC2:TGID_Z_EN: 0
; COMPUTE_PGM_RSRC2:TIDIG_COMP_CNT: 0
; COMPUTE_PGM_RSRC3_GFX90A:ACCUM_OFFSET: 0
; COMPUTE_PGM_RSRC3_GFX90A:TG_SPLIT: 0
	.text
	.p2align	2                               ; -- Begin function _ZZZN7rocprim17ROCPRIM_400000_NS6detail9scan_implILNS1_25lookback_scan_determinismE0ELb0ELb0ENS0_14default_configEPKN3c108BFloat16EPS6_S6_ZZZN2at6native31launch_logcumsumexp_cuda_kernelERKNSA_10TensorBaseESE_lENKUlvE_clEvENKUlvE4_clEvEUlS6_S6_E_S6_EEDaPvRmT3_T4_T5_mT6_P12ihipStream_tbENKUlT_T0_E_clISt17integral_constantIbLb0EESU_IbLb1EEEEDaSQ_SR_ENKUlSQ_E_clINS1_13target_configIS4_NS1_20scan_config_selectorIS6_EENS1_11comp_targetILNS1_3genE5ELNS1_11target_archE942ELNS1_3gpuE9ELNS1_3repE0EEELNS0_4arch9wavefront6targetE1EEEEEDaSQ_
	.type	_ZZZN7rocprim17ROCPRIM_400000_NS6detail9scan_implILNS1_25lookback_scan_determinismE0ELb0ELb0ENS0_14default_configEPKN3c108BFloat16EPS6_S6_ZZZN2at6native31launch_logcumsumexp_cuda_kernelERKNSA_10TensorBaseESE_lENKUlvE_clEvENKUlvE4_clEvEUlS6_S6_E_S6_EEDaPvRmT3_T4_T5_mT6_P12ihipStream_tbENKUlT_T0_E_clISt17integral_constantIbLb0EESU_IbLb1EEEEDaSQ_SR_ENKUlSQ_E_clINS1_13target_configIS4_NS1_20scan_config_selectorIS6_EENS1_11comp_targetILNS1_3genE5ELNS1_11target_archE942ELNS1_3gpuE9ELNS1_3repE0EEELNS0_4arch9wavefront6targetE1EEEEEDaSQ_,@function
_ZZZN7rocprim17ROCPRIM_400000_NS6detail9scan_implILNS1_25lookback_scan_determinismE0ELb0ELb0ENS0_14default_configEPKN3c108BFloat16EPS6_S6_ZZZN2at6native31launch_logcumsumexp_cuda_kernelERKNSA_10TensorBaseESE_lENKUlvE_clEvENKUlvE4_clEvEUlS6_S6_E_S6_EEDaPvRmT3_T4_T5_mT6_P12ihipStream_tbENKUlT_T0_E_clISt17integral_constantIbLb0EESU_IbLb1EEEEDaSQ_SR_ENKUlSQ_E_clINS1_13target_configIS4_NS1_20scan_config_selectorIS6_EENS1_11comp_targetILNS1_3genE5ELNS1_11target_archE942ELNS1_3gpuE9ELNS1_3repE0EEELNS0_4arch9wavefront6targetE1EEEEEDaSQ_: ; @_ZZZN7rocprim17ROCPRIM_400000_NS6detail9scan_implILNS1_25lookback_scan_determinismE0ELb0ELb0ENS0_14default_configEPKN3c108BFloat16EPS6_S6_ZZZN2at6native31launch_logcumsumexp_cuda_kernelERKNSA_10TensorBaseESE_lENKUlvE_clEvENKUlvE4_clEvEUlS6_S6_E_S6_EEDaPvRmT3_T4_T5_mT6_P12ihipStream_tbENKUlT_T0_E_clISt17integral_constantIbLb0EESU_IbLb1EEEEDaSQ_SR_ENKUlSQ_E_clINS1_13target_configIS4_NS1_20scan_config_selectorIS6_EENS1_11comp_targetILNS1_3genE5ELNS1_11target_archE942ELNS1_3gpuE9ELNS1_3repE0EEELNS0_4arch9wavefront6targetE1EEEEEDaSQ_
; %bb.0:
	s_waitcnt vmcnt(0) expcnt(0) lgkmcnt(0)
	s_or_saveexec_b64 s[0:1], -1
	scratch_store_dword off, v40, s32       ; 4-byte Folded Spill
	s_mov_b64 exec, s[0:1]
	v_writelane_b32 v40, s30, 0
	s_nop 1
	v_writelane_b32 v40, s31, 1
	flat_load_dwordx4 v[10:13], v[0:1]
	flat_load_dwordx4 v[14:17], v[0:1] offset:16
	flat_load_dwordx3 v[28:30], v[0:1] offset:40
	flat_load_dwordx4 v[2:5], v[0:1] offset:56
	flat_load_dwordx4 v[6:9], v[0:1] offset:72
	v_and_b32_e32 v32, 0x3ff, v31
	v_cmp_ne_u32_e64 s[2:3], 0, v32
	v_cmp_eq_u32_e64 s[4:5], 0, v32
	s_and_saveexec_b64 s[0:1], s[4:5]
	s_cbranch_execz .LBB519_2
; %bb.1:
	flat_load_dwordx2 v[0:1], v[0:1] offset:88
	v_mov_b32_e32 v18, 1
	s_waitcnt vmcnt(0) lgkmcnt(0)
	flat_atomic_add v0, v[0:1], v18 sc0
	v_mov_b32_e32 v1, 0
	s_waitcnt vmcnt(0) lgkmcnt(0)
	ds_write_b32 v1, v0
.LBB519_2:
	s_or_b64 exec, exec, s[0:1]
	v_mov_b32_e32 v35, 0
	s_waitcnt lgkmcnt(0)
	s_barrier
	ds_read_b32 v36, v35
	s_movk_i32 s0, 0x1800
	s_waitcnt vmcnt(0)
	v_add_u32_e32 v18, -1, v30
	v_lshl_add_u64 v[0:1], v[12:13], 1, v[10:11]
	v_mul_lo_u32 v10, v18, s0
	s_waitcnt lgkmcnt(0)
	v_mul_lo_u32 v34, v36, s0
	v_sub_co_u32_e32 v10, vcc, v16, v10
	v_cmp_ne_u32_e64 s[0:1], v36, v18
	s_nop 0
	v_subbrev_co_u32_e32 v11, vcc, 0, v17, vcc
	v_lshl_add_u64 v[16:17], v[34:35], 1, v[0:1]
	v_lshlrev_b32_e32 v0, 1, v32
	s_barrier
	s_and_saveexec_b64 s[6:7], s[0:1]
	s_xor_b64 s[6:7], exec, s[6:7]
	s_cbranch_execz .LBB519_4
; %bb.3:
	v_mov_b32_e32 v1, v35
	v_lshl_add_u64 v[16:17], v[16:17], 0, v[0:1]
	v_add_co_u32_e32 v18, vcc, 0x1000, v16
	flat_load_ushort v1, v[16:17]
	flat_load_ushort v20, v[16:17] offset:512
	flat_load_ushort v21, v[16:17] offset:1024
	;; [unrolled: 1-line block ×7, first 2 shown]
	v_addc_co_u32_e32 v19, vcc, 0, v17, vcc
	v_add_co_u32_e32 v16, vcc, 0x2000, v16
	flat_load_ushort v27, v[18:19]
	flat_load_ushort v30, v[18:19] offset:512
	flat_load_ushort v31, v[18:19] offset:1024
	;; [unrolled: 1-line block ×7, first 2 shown]
	v_addc_co_u32_e32 v17, vcc, 0, v17, vcc
	flat_load_ushort v18, v[16:17]
	flat_load_ushort v19, v[16:17] offset:512
	flat_load_ushort v49, v[16:17] offset:1024
	;; [unrolled: 1-line block ×7, first 2 shown]
                                        ; implicit-def: $vgpr16_vgpr17
	s_waitcnt vmcnt(0) lgkmcnt(0)
	ds_write_b16 v0, v1
	ds_write_b16 v0, v20 offset:512
	ds_write_b16 v0, v21 offset:1024
	;; [unrolled: 1-line block ×23, first 2 shown]
	s_waitcnt lgkmcnt(0)
	s_barrier
.LBB519_4:
	s_andn2_saveexec_b64 s[6:7], s[6:7]
	s_cbranch_execz .LBB519_54
; %bb.5:
	flat_load_ushort v18, v[16:17]
	v_cmp_lt_u32_e32 vcc, v32, v10
	s_waitcnt vmcnt(0) lgkmcnt(0)
	v_mov_b32_e32 v19, v18
	s_and_saveexec_b64 s[8:9], vcc
	s_cbranch_execz .LBB519_7
; %bb.6:
	v_mov_b32_e32 v1, 0
	v_lshl_add_u64 v[20:21], v[16:17], 0, v[0:1]
	flat_load_ushort v19, v[20:21]
.LBB519_7:
	s_or_b64 exec, exec, s[8:9]
	v_add_u32_e32 v1, 0x100, v32
	v_cmp_lt_u32_e32 vcc, v1, v10
	v_mov_b32_e32 v20, v18
	s_and_saveexec_b64 s[8:9], vcc
	s_cbranch_execz .LBB519_9
; %bb.8:
	v_mov_b32_e32 v1, 0
	v_lshl_add_u64 v[20:21], v[16:17], 0, v[0:1]
	flat_load_ushort v20, v[20:21] offset:512
.LBB519_9:
	s_or_b64 exec, exec, s[8:9]
	v_add_u32_e32 v1, 0x200, v32
	v_cmp_lt_u32_e32 vcc, v1, v10
	v_mov_b32_e32 v21, v18
	s_and_saveexec_b64 s[8:9], vcc
	s_cbranch_execz .LBB519_11
; %bb.10:
	v_mov_b32_e32 v1, 0
	v_lshl_add_u64 v[22:23], v[16:17], 0, v[0:1]
	flat_load_ushort v21, v[22:23] offset:1024
.LBB519_11:
	;; [unrolled: 11-line block ×3, first 2 shown]
	s_or_b64 exec, exec, s[8:9]
	v_or_b32_e32 v1, 0x400, v32
	v_cmp_lt_u32_e32 vcc, v1, v10
	v_mov_b32_e32 v23, v18
	s_and_saveexec_b64 s[8:9], vcc
	s_cbranch_execz .LBB519_15
; %bb.14:
	v_mov_b32_e32 v1, 0
	v_lshl_add_u64 v[24:25], v[16:17], 0, v[0:1]
	flat_load_ushort v23, v[24:25] offset:2048
.LBB519_15:
	s_or_b64 exec, exec, s[8:9]
	v_add_u32_e32 v1, 0x500, v32
	v_cmp_lt_u32_e32 vcc, v1, v10
	v_mov_b32_e32 v24, v18
	s_and_saveexec_b64 s[8:9], vcc
	s_cbranch_execz .LBB519_17
; %bb.16:
	v_mov_b32_e32 v1, 0
	v_lshl_add_u64 v[24:25], v[16:17], 0, v[0:1]
	flat_load_ushort v24, v[24:25] offset:2560
.LBB519_17:
	s_or_b64 exec, exec, s[8:9]
	v_add_u32_e32 v1, 0x600, v32
	;; [unrolled: 11-line block ×3, first 2 shown]
	v_cmp_lt_u32_e32 vcc, v1, v10
	v_mov_b32_e32 v1, v18
	s_and_saveexec_b64 s[8:9], vcc
	s_cbranch_execz .LBB519_21
; %bb.20:
	v_mov_b32_e32 v1, 0
	v_lshl_add_u64 v[26:27], v[16:17], 0, v[0:1]
	flat_load_ushort v1, v[26:27] offset:3584
.LBB519_21:
	s_or_b64 exec, exec, s[8:9]
	v_or_b32_e32 v27, 0x800, v32
	v_cmp_lt_u32_e32 vcc, v27, v10
	v_mov_b32_e32 v26, v18
	s_and_saveexec_b64 s[8:9], vcc
	s_cbranch_execz .LBB519_23
; %bb.22:
	v_lshlrev_b32_e32 v26, 1, v27
	v_mov_b32_e32 v27, 0
	v_lshl_add_u64 v[26:27], v[16:17], 0, v[26:27]
	flat_load_ushort v26, v[26:27]
.LBB519_23:
	s_or_b64 exec, exec, s[8:9]
	v_add_u32_e32 v30, 0x900, v32
	v_cmp_lt_u32_e32 vcc, v30, v10
	v_mov_b32_e32 v27, v18
	s_and_saveexec_b64 s[8:9], vcc
	s_cbranch_execz .LBB519_25
; %bb.24:
	v_lshlrev_b32_e32 v30, 1, v30
	v_mov_b32_e32 v31, 0
	v_lshl_add_u64 v[30:31], v[16:17], 0, v[30:31]
	flat_load_ushort v27, v[30:31]
.LBB519_25:
	s_or_b64 exec, exec, s[8:9]
	v_add_u32_e32 v31, 0xa00, v32
	v_cmp_lt_u32_e32 vcc, v31, v10
	v_mov_b32_e32 v30, v18
	s_and_saveexec_b64 s[8:9], vcc
	s_cbranch_execz .LBB519_27
; %bb.26:
	v_lshlrev_b32_e32 v30, 1, v31
	v_mov_b32_e32 v31, 0
	v_lshl_add_u64 v[30:31], v[16:17], 0, v[30:31]
	flat_load_ushort v30, v[30:31]
.LBB519_27:
	s_or_b64 exec, exec, s[8:9]
	v_add_u32_e32 v33, 0xb00, v32
	v_cmp_lt_u32_e32 vcc, v33, v10
	v_mov_b32_e32 v31, v18
	s_and_saveexec_b64 s[8:9], vcc
	s_cbranch_execz .LBB519_29
; %bb.28:
	v_lshlrev_b32_e32 v38, 1, v33
	v_mov_b32_e32 v39, 0
	v_lshl_add_u64 v[38:39], v[16:17], 0, v[38:39]
	flat_load_ushort v31, v[38:39]
.LBB519_29:
	s_or_b64 exec, exec, s[8:9]
	v_or_b32_e32 v37, 0xc00, v32
	v_cmp_lt_u32_e32 vcc, v37, v10
	v_mov_b32_e32 v33, v18
	s_and_saveexec_b64 s[8:9], vcc
	s_cbranch_execz .LBB519_31
; %bb.30:
	v_lshlrev_b32_e32 v38, 1, v37
	v_mov_b32_e32 v39, 0
	v_lshl_add_u64 v[38:39], v[16:17], 0, v[38:39]
	flat_load_ushort v33, v[38:39]
.LBB519_31:
	s_or_b64 exec, exec, s[8:9]
	v_add_u32_e32 v38, 0xd00, v32
	v_cmp_lt_u32_e32 vcc, v38, v10
	v_mov_b32_e32 v37, v18
	s_and_saveexec_b64 s[8:9], vcc
	s_cbranch_execz .LBB519_33
; %bb.32:
	v_lshlrev_b32_e32 v38, 1, v38
	v_mov_b32_e32 v39, 0
	v_lshl_add_u64 v[38:39], v[16:17], 0, v[38:39]
	flat_load_ushort v37, v[38:39]
.LBB519_33:
	s_or_b64 exec, exec, s[8:9]
	v_add_u32_e32 v39, 0xe00, v32
	v_cmp_lt_u32_e32 vcc, v39, v10
	v_mov_b32_e32 v38, v18
	s_and_saveexec_b64 s[8:9], vcc
	s_cbranch_execz .LBB519_35
; %bb.34:
	v_lshlrev_b32_e32 v38, 1, v39
	v_mov_b32_e32 v39, 0
	v_lshl_add_u64 v[38:39], v[16:17], 0, v[38:39]
	flat_load_ushort v38, v[38:39]
.LBB519_35:
	s_or_b64 exec, exec, s[8:9]
	v_add_u32_e32 v48, 0xf00, v32
	v_cmp_lt_u32_e32 vcc, v48, v10
	v_mov_b32_e32 v39, v18
	s_and_saveexec_b64 s[8:9], vcc
	s_cbranch_execz .LBB519_37
; %bb.36:
	v_lshlrev_b32_e32 v48, 1, v48
	v_mov_b32_e32 v49, 0
	v_lshl_add_u64 v[48:49], v[16:17], 0, v[48:49]
	flat_load_ushort v39, v[48:49]
.LBB519_37:
	;; [unrolled: 48-line block ×3, first 2 shown]
	s_or_b64 exec, exec, s[8:9]
	v_or_b32_e32 v53, 0x1400, v32
	v_cmp_lt_u32_e32 vcc, v53, v10
	v_mov_b32_e32 v52, v18
	s_and_saveexec_b64 s[8:9], vcc
	s_cbranch_execz .LBB519_47
; %bb.46:
	v_lshlrev_b32_e32 v52, 1, v53
	v_mov_b32_e32 v53, 0
	v_lshl_add_u64 v[52:53], v[16:17], 0, v[52:53]
	flat_load_ushort v52, v[52:53]
.LBB519_47:
	s_or_b64 exec, exec, s[8:9]
	v_add_u32_e32 v54, 0x1500, v32
	v_cmp_lt_u32_e32 vcc, v54, v10
	v_mov_b32_e32 v53, v18
	s_and_saveexec_b64 s[8:9], vcc
	s_cbranch_execz .LBB519_49
; %bb.48:
	v_lshlrev_b32_e32 v54, 1, v54
	v_mov_b32_e32 v55, 0
	v_lshl_add_u64 v[54:55], v[16:17], 0, v[54:55]
	flat_load_ushort v53, v[54:55]
.LBB519_49:
	s_or_b64 exec, exec, s[8:9]
	v_add_u32_e32 v55, 0x1600, v32
	;; [unrolled: 12-line block ×3, first 2 shown]
	v_cmp_lt_u32_e32 vcc, v55, v10
	s_and_saveexec_b64 s[8:9], vcc
	s_cbranch_execz .LBB519_53
; %bb.52:
	v_lshlrev_b32_e32 v64, 1, v55
	v_mov_b32_e32 v65, 0
	v_lshl_add_u64 v[16:17], v[16:17], 0, v[64:65]
	flat_load_ushort v18, v[16:17]
.LBB519_53:
	s_or_b64 exec, exec, s[8:9]
	s_waitcnt vmcnt(0) lgkmcnt(0)
	ds_write_b16 v0, v19
	ds_write_b16 v0, v20 offset:512
	ds_write_b16 v0, v21 offset:1024
	;; [unrolled: 1-line block ×23, first 2 shown]
	s_waitcnt lgkmcnt(0)
	s_barrier
.LBB519_54:
	s_or_b64 exec, exec, s[6:7]
	v_mul_u32_u24_e32 v52, 24, v32
	v_lshlrev_b32_e32 v1, 1, v52
	ds_read_b128 v[24:27], v1
	ds_read_b128 v[20:23], v1 offset:16
	ds_read_b128 v[16:19], v1 offset:32
	v_cmp_ne_u32_e32 vcc, 0, v36
	s_waitcnt lgkmcnt(0)
	s_barrier
	s_cbranch_vccz .LBB519_265
; %bb.55:
	v_mov_b32_e32 v30, 16
	v_lshlrev_b32_e32 v146, 16, v24
	v_lshlrev_b32_sdwa v33, v30, v24 dst_sel:DWORD dst_unused:UNUSED_PAD src0_sel:DWORD src1_sel:WORD_1
	v_max_f32_e32 v53, v33, v33
	v_max_f32_e32 v147, v146, v146
	v_min_f32_e32 v31, v147, v53
	v_cmp_u_f32_e64 s[54:55], v146, v146
	v_cmp_u_f32_e64 s[6:7], v33, v33
	s_movk_i32 s10, 0x1f8
	v_cndmask_b32_e64 v31, v31, v146, s[54:55]
	v_cndmask_b32_e64 v38, v31, v33, s[6:7]
	v_max_f32_e32 v31, v147, v53
	v_cndmask_b32_e64 v31, v31, v146, s[54:55]
	v_cndmask_b32_e64 v31, v31, v33, s[6:7]
	v_cmp_neq_f32_e32 vcc, v38, v31
	v_cmp_class_f32_e64 s[8:9], v38, s10
	s_or_b64 s[12:13], vcc, s[8:9]
	v_mov_b32_e32 v37, v146
	s_and_saveexec_b64 s[8:9], s[12:13]
	s_cbranch_execz .LBB519_57
; %bb.56:
	v_sub_f32_e32 v37, v38, v31
	s_mov_b32 s11, 0x3fb8aa3b
	v_mul_f32_e32 v38, 0x3fb8aa3b, v37
	v_fma_f32 v39, v37, s11, -v38
	v_rndne_f32_e32 v48, v38
	v_fmamk_f32 v39, v37, 0x32a5705f, v39
	v_sub_f32_e32 v38, v38, v48
	v_add_f32_e32 v38, v38, v39
	v_exp_f32_e32 v38, v38
	v_cvt_i32_f32_e32 v39, v48
	s_mov_b32 s11, 0xc2ce8ed0
	v_cmp_ngt_f32_e32 vcc, s11, v37
	s_mov_b32 s11, 0x42b17218
	v_ldexp_f32 v38, v38, v39
	v_cndmask_b32_e32 v38, 0, v38, vcc
	v_mov_b32_e32 v39, 0x7f800000
	v_cmp_nlt_f32_e32 vcc, s11, v37
	s_mov_b32 s11, 0x3f2aaaab
	s_mov_b32 s12, 0x7f800000
	v_cndmask_b32_e32 v80, v39, v38, vcc
	v_add_f32_e32 v37, 1.0, v80
	v_add_f32_e32 v38, -1.0, v37
	v_sub_f32_e32 v39, v38, v37
	v_add_f32_e32 v39, 1.0, v39
	v_sub_f32_e32 v38, v80, v38
	v_add_f32_e32 v48, v38, v39
	v_frexp_mant_f32_e32 v49, v37
	v_cvt_f64_f32_e32 v[38:39], v37
	v_frexp_exp_i32_f64_e32 v38, v[38:39]
	v_cmp_gt_f32_e32 vcc, s11, v49
	s_mov_b32 s11, 0x3f317218
	s_nop 0
	v_subbrev_co_u32_e32 v64, vcc, 0, v38, vcc
	v_sub_u32_e32 v38, 0, v64
	v_ldexp_f32 v37, v37, v38
	v_ldexp_f32 v38, v48, v38
	v_add_f32_e32 v48, -1.0, v37
	v_add_f32_e32 v39, 1.0, v48
	v_sub_f32_e32 v39, v37, v39
	v_add_f32_e32 v49, v38, v39
	v_add_f32_e32 v39, 1.0, v37
	v_add_f32_e32 v50, -1.0, v39
	v_sub_f32_e32 v37, v37, v50
	v_add_f32_e32 v37, v38, v37
	v_add_f32_e32 v65, v39, v37
	v_rcp_f32_e32 v66, v65
	v_sub_f32_e32 v38, v39, v65
	v_add_f32_e32 v39, v48, v49
	v_add_f32_e32 v37, v37, v38
	v_mul_f32_e32 v68, v39, v66
	v_sub_f32_e32 v38, v48, v39
	v_mul_f32_e32 v48, v65, v68
	v_fma_f32 v50, v68, v65, -v48
	v_fmac_f32_e32 v50, v68, v37
	v_add_f32_e32 v67, v49, v38
	v_add_f32_e32 v38, v48, v50
	v_sub_f32_e32 v49, v39, v38
	v_pk_add_f32 v[54:55], v[38:39], v[48:49] neg_lo:[0,1] neg_hi:[0,1]
	v_mov_b32_e32 v51, v38
	v_pk_add_f32 v[38:39], v[54:55], v[50:51] neg_lo:[0,1] neg_hi:[0,1]
	v_cmp_eq_f32_e32 vcc, s12, v80
	v_add_f32_e32 v39, v67, v39
	v_add_f32_e32 v38, v38, v39
	;; [unrolled: 1-line block ×3, first 2 shown]
	v_mul_f32_e32 v67, v66, v39
	v_mul_f32_e32 v48, v65, v67
	v_fma_f32 v50, v67, v65, -v48
	v_fmac_f32_e32 v50, v67, v37
	v_sub_f32_e32 v37, v49, v39
	v_add_f32_e32 v37, v38, v37
	v_add_f32_e32 v38, v48, v50
	v_sub_f32_e32 v49, v39, v38
	v_pk_add_f32 v[54:55], v[38:39], v[48:49] neg_lo:[0,1] neg_hi:[0,1]
	v_mov_b32_e32 v51, v38
	v_pk_add_f32 v[38:39], v[54:55], v[50:51] neg_lo:[0,1] neg_hi:[0,1]
	v_cvt_f32_i32_e32 v48, v64
	v_add_f32_e32 v37, v37, v39
	v_add_f32_e32 v37, v38, v37
	;; [unrolled: 1-line block ×4, first 2 shown]
	v_sub_f32_e32 v39, v38, v68
	v_mul_f32_e32 v37, v66, v37
	v_sub_f32_e32 v39, v67, v39
	v_add_f32_e32 v37, v39, v37
	v_add_f32_e32 v49, v38, v37
	v_mul_f32_e32 v50, v49, v49
	v_mov_b32_e32 v39, 0x3ecc95a3
	v_fmac_f32_e32 v39, 0x3e9b6dac, v50
	v_sub_f32_e32 v38, v49, v38
	v_fmaak_f32 v39, v50, v39, 0x3f2aaada
	v_sub_f32_e32 v37, v37, v38
	v_ldexp_f32 v51, v49, 1
	v_mul_f32_e32 v49, v49, v50
	v_mov_b32_e32 v38, 0x3f317218
	v_pk_mul_f32 v[38:39], v[48:49], v[38:39]
	v_ldexp_f32 v37, v37, 1
	v_fma_f32 v49, v48, s11, -v38
	v_fmamk_f32 v50, v48, 0xb102e308, v49
	v_pk_add_f32 v[48:49], v[38:39], v[50:51]
	v_mov_b32_e32 v54, v38
	v_sub_f32_e32 v51, v49, v51
	v_sub_f32_e32 v51, v39, v51
	v_add_f32_e32 v55, v37, v51
	v_pk_add_f32 v[38:39], v[48:49], v[38:39] neg_lo:[0,1] neg_hi:[0,1]
	v_pk_add_f32 v[64:65], v[48:49], v[54:55]
	v_mov_b32_e32 v51, v48
	v_mov_b32_e32 v39, v65
	v_pk_add_f32 v[66:67], v[50:51], v[38:39] neg_lo:[0,1] neg_hi:[0,1]
	v_pk_add_f32 v[38:39], v[50:51], v[38:39]
	v_mov_b32_e32 v54, v55
	v_mov_b32_e32 v50, v39
	v_pk_add_f32 v[68:69], v[50:51], v[48:49] neg_lo:[0,1] neg_hi:[0,1]
	v_mov_b32_e32 v38, v65
	v_mov_b32_e32 v37, v68
	v_pk_add_f32 v[70:71], v[64:65], v[36:37] neg_lo:[0,1] neg_hi:[0,1]
	v_mov_b32_e32 v64, v49
	v_mov_b32_e32 v65, v68
	;; [unrolled: 1-line block ×3, first 2 shown]
	v_pk_add_f32 v[38:39], v[38:39], v[64:65] neg_lo:[0,1] neg_hi:[0,1]
	v_mov_b32_e32 v55, v48
	v_pk_add_f32 v[38:39], v[54:55], v[38:39] neg_lo:[0,1] neg_hi:[0,1]
	v_mov_b32_e32 v70, v66
	v_pk_add_f32 v[48:49], v[70:71], v[38:39]
	s_mov_b32 s11, 0x33800000
	v_mov_b32_e32 v54, v49
	v_pk_add_f32 v[54:55], v[48:49], v[54:55]
	v_cmp_lt_f32_e64 s[12:13], |v80|, s11
	v_pk_add_f32 v[50:51], v[50:51], v[54:55]
	v_mov_b32_e32 v39, v54
	v_mov_b32_e32 v49, v50
	v_pk_add_f32 v[64:65], v[48:49], v[66:67] neg_lo:[0,1] neg_hi:[0,1]
	s_or_b64 vcc, vcc, s[12:13]
	v_sub_f32_e32 v37, v48, v64
	v_pk_add_f32 v[38:39], v[38:39], v[64:65] neg_lo:[0,1] neg_hi:[0,1]
	v_sub_f32_e32 v37, v66, v37
	v_add_f32_e32 v37, v38, v37
	v_add_f32_e32 v37, v37, v39
	;; [unrolled: 1-line block ×3, first 2 shown]
	v_cndmask_b32_e32 v37, v37, v80, vcc
	v_add_f32_e32 v37, v31, v37
.LBB519_57:
	s_or_b64 exec, exec, s[8:9]
	v_bfe_u32 v31, v37, 16, 1
	s_movk_i32 s12, 0x7fff
	v_add3_u32 v31, v37, v31, s12
	v_and_b32_e32 v38, 0xffff0000, v31
	v_mov_b32_e32 v31, 0x7fc00000
	v_cmp_o_f32_e32 vcc, v37, v37
	v_lshlrev_b32_sdwa v54, v30, v25 dst_sel:DWORD dst_unused:UNUSED_PAD src0_sel:DWORD src1_sel:WORD_0
	v_max_f32_e32 v66, v54, v54
	v_cndmask_b32_e32 v37, v31, v38, vcc
	v_max_f32_e32 v30, v37, v37
	v_min_f32_e32 v38, v30, v66
	v_cmp_u_f32_e32 vcc, v37, v37
	v_max_f32_e32 v30, v30, v66
	v_cmp_u_f32_e64 s[8:9], v54, v54
	v_cndmask_b32_e32 v38, v38, v37, vcc
	v_cndmask_b32_e32 v30, v30, v37, vcc
	v_cndmask_b32_e64 v38, v38, v54, s[8:9]
	v_cndmask_b32_e64 v30, v30, v54, s[8:9]
	v_cmp_neq_f32_e32 vcc, v38, v30
	v_cmp_class_f32_e64 s[10:11], v38, s10
	s_or_b64 s[14:15], vcc, s[10:11]
	s_and_saveexec_b64 s[10:11], s[14:15]
	s_cbranch_execz .LBB519_59
; %bb.58:
	v_sub_f32_e32 v37, v38, v30
	s_mov_b32 s13, 0x3fb8aa3b
	v_mul_f32_e32 v38, 0x3fb8aa3b, v37
	v_fma_f32 v39, v37, s13, -v38
	v_rndne_f32_e32 v48, v38
	v_fmamk_f32 v39, v37, 0x32a5705f, v39
	v_sub_f32_e32 v38, v38, v48
	v_add_f32_e32 v38, v38, v39
	v_exp_f32_e32 v38, v38
	v_cvt_i32_f32_e32 v39, v48
	s_mov_b32 s13, 0xc2ce8ed0
	v_cmp_ngt_f32_e32 vcc, s13, v37
	s_mov_b32 s13, 0x42b17218
	v_ldexp_f32 v38, v38, v39
	v_cndmask_b32_e32 v38, 0, v38, vcc
	v_mov_b32_e32 v39, 0x7f800000
	v_cmp_nlt_f32_e32 vcc, s13, v37
	s_mov_b32 s13, 0x3f2aaaab
	s_mov_b32 s14, 0x7f800000
	v_cndmask_b32_e32 v55, v39, v38, vcc
	v_add_f32_e32 v37, 1.0, v55
	v_add_f32_e32 v38, -1.0, v37
	v_sub_f32_e32 v39, v38, v37
	v_add_f32_e32 v39, 1.0, v39
	v_sub_f32_e32 v38, v55, v38
	v_add_f32_e32 v48, v38, v39
	v_frexp_mant_f32_e32 v49, v37
	v_cvt_f64_f32_e32 v[38:39], v37
	v_frexp_exp_i32_f64_e32 v38, v[38:39]
	v_cmp_gt_f32_e32 vcc, s13, v49
	s_mov_b32 s13, 0x3f317218
	s_nop 0
	v_subbrev_co_u32_e32 v67, vcc, 0, v38, vcc
	v_sub_u32_e32 v38, 0, v67
	v_ldexp_f32 v37, v37, v38
	v_ldexp_f32 v38, v48, v38
	v_add_f32_e32 v48, -1.0, v37
	v_add_f32_e32 v39, 1.0, v48
	v_sub_f32_e32 v39, v37, v39
	v_add_f32_e32 v49, v38, v39
	v_add_f32_e32 v39, 1.0, v37
	v_add_f32_e32 v50, -1.0, v39
	v_sub_f32_e32 v37, v37, v50
	v_add_f32_e32 v37, v38, v37
	v_add_f32_e32 v68, v39, v37
	v_rcp_f32_e32 v69, v68
	v_sub_f32_e32 v38, v39, v68
	v_add_f32_e32 v39, v48, v49
	v_add_f32_e32 v37, v37, v38
	v_mul_f32_e32 v71, v39, v69
	v_sub_f32_e32 v38, v48, v39
	v_mul_f32_e32 v48, v68, v71
	v_fma_f32 v50, v71, v68, -v48
	v_fmac_f32_e32 v50, v71, v37
	v_add_f32_e32 v70, v49, v38
	v_add_f32_e32 v38, v48, v50
	v_sub_f32_e32 v49, v39, v38
	v_pk_add_f32 v[64:65], v[38:39], v[48:49] neg_lo:[0,1] neg_hi:[0,1]
	v_mov_b32_e32 v51, v38
	v_pk_add_f32 v[38:39], v[64:65], v[50:51] neg_lo:[0,1] neg_hi:[0,1]
	v_cmp_eq_f32_e32 vcc, s14, v55
	v_add_f32_e32 v39, v70, v39
	v_add_f32_e32 v38, v38, v39
	;; [unrolled: 1-line block ×3, first 2 shown]
	v_mul_f32_e32 v70, v69, v39
	v_mul_f32_e32 v48, v68, v70
	v_fma_f32 v50, v70, v68, -v48
	v_fmac_f32_e32 v50, v70, v37
	v_sub_f32_e32 v37, v49, v39
	v_add_f32_e32 v37, v38, v37
	v_add_f32_e32 v38, v48, v50
	v_sub_f32_e32 v49, v39, v38
	v_pk_add_f32 v[64:65], v[38:39], v[48:49] neg_lo:[0,1] neg_hi:[0,1]
	v_mov_b32_e32 v51, v38
	v_pk_add_f32 v[38:39], v[64:65], v[50:51] neg_lo:[0,1] neg_hi:[0,1]
	v_cvt_f32_i32_e32 v48, v67
	v_add_f32_e32 v37, v37, v39
	v_add_f32_e32 v37, v38, v37
	;; [unrolled: 1-line block ×4, first 2 shown]
	v_sub_f32_e32 v39, v38, v71
	v_mul_f32_e32 v37, v69, v37
	v_sub_f32_e32 v39, v70, v39
	v_add_f32_e32 v37, v39, v37
	v_add_f32_e32 v49, v38, v37
	v_mul_f32_e32 v50, v49, v49
	v_mov_b32_e32 v39, 0x3ecc95a3
	v_fmac_f32_e32 v39, 0x3e9b6dac, v50
	v_sub_f32_e32 v38, v49, v38
	v_fmaak_f32 v39, v50, v39, 0x3f2aaada
	v_sub_f32_e32 v37, v37, v38
	v_ldexp_f32 v51, v49, 1
	v_mul_f32_e32 v49, v49, v50
	v_mov_b32_e32 v38, 0x3f317218
	v_pk_mul_f32 v[38:39], v[48:49], v[38:39]
	v_ldexp_f32 v37, v37, 1
	v_fma_f32 v49, v48, s13, -v38
	v_fmamk_f32 v50, v48, 0xb102e308, v49
	v_pk_add_f32 v[48:49], v[38:39], v[50:51]
	v_mov_b32_e32 v64, v38
	v_sub_f32_e32 v51, v49, v51
	v_sub_f32_e32 v51, v39, v51
	v_add_f32_e32 v65, v37, v51
	v_pk_add_f32 v[38:39], v[48:49], v[38:39] neg_lo:[0,1] neg_hi:[0,1]
	v_pk_add_f32 v[68:69], v[48:49], v[64:65]
	v_mov_b32_e32 v51, v48
	v_mov_b32_e32 v39, v69
	v_pk_add_f32 v[70:71], v[50:51], v[38:39] neg_lo:[0,1] neg_hi:[0,1]
	v_pk_add_f32 v[38:39], v[50:51], v[38:39]
	v_mov_b32_e32 v64, v65
	v_mov_b32_e32 v50, v39
	v_pk_add_f32 v[80:81], v[50:51], v[48:49] neg_lo:[0,1] neg_hi:[0,1]
	v_mov_b32_e32 v38, v69
	v_mov_b32_e32 v37, v80
	v_pk_add_f32 v[82:83], v[68:69], v[36:37] neg_lo:[0,1] neg_hi:[0,1]
	v_mov_b32_e32 v68, v49
	v_mov_b32_e32 v69, v80
	;; [unrolled: 1-line block ×3, first 2 shown]
	v_pk_add_f32 v[38:39], v[38:39], v[68:69] neg_lo:[0,1] neg_hi:[0,1]
	v_mov_b32_e32 v65, v48
	v_pk_add_f32 v[38:39], v[64:65], v[38:39] neg_lo:[0,1] neg_hi:[0,1]
	v_mov_b32_e32 v82, v70
	v_pk_add_f32 v[48:49], v[82:83], v[38:39]
	s_mov_b32 s13, 0x33800000
	v_mov_b32_e32 v64, v49
	v_pk_add_f32 v[64:65], v[48:49], v[64:65]
	v_cmp_lt_f32_e64 s[14:15], |v55|, s13
	v_pk_add_f32 v[50:51], v[50:51], v[64:65]
	v_mov_b32_e32 v39, v64
	v_mov_b32_e32 v49, v50
	v_pk_add_f32 v[68:69], v[48:49], v[70:71] neg_lo:[0,1] neg_hi:[0,1]
	s_or_b64 vcc, vcc, s[14:15]
	v_sub_f32_e32 v37, v48, v68
	v_pk_add_f32 v[38:39], v[38:39], v[68:69] neg_lo:[0,1] neg_hi:[0,1]
	v_sub_f32_e32 v37, v70, v37
	v_add_f32_e32 v37, v38, v37
	v_add_f32_e32 v37, v37, v39
	;; [unrolled: 1-line block ×3, first 2 shown]
	v_cndmask_b32_e32 v37, v37, v55, vcc
	v_add_f32_e32 v37, v30, v37
.LBB519_59:
	s_or_b64 exec, exec, s[10:11]
	v_bfe_u32 v30, v37, 16, 1
	v_add3_u32 v30, v37, v30, s12
	v_and_b32_e32 v30, 0xffff0000, v30
	v_cmp_o_f32_e32 vcc, v37, v37
	s_movk_i32 s14, 0x1f8
	s_nop 0
	v_cndmask_b32_e32 v37, v31, v30, vcc
	v_mov_b32_e32 v30, 16
	v_lshlrev_b32_sdwa v55, v30, v25 dst_sel:DWORD dst_unused:UNUSED_PAD src0_sel:DWORD src1_sel:WORD_1
	v_max_f32_e32 v31, v37, v37
	v_max_f32_e32 v67, v55, v55
	v_min_f32_e32 v38, v31, v67
	v_cmp_u_f32_e32 vcc, v37, v37
	v_max_f32_e32 v31, v31, v67
	v_cmp_u_f32_e64 s[10:11], v55, v55
	v_cndmask_b32_e32 v38, v38, v37, vcc
	v_cndmask_b32_e32 v31, v31, v37, vcc
	v_cndmask_b32_e64 v38, v38, v55, s[10:11]
	v_cndmask_b32_e64 v31, v31, v55, s[10:11]
	v_cmp_neq_f32_e32 vcc, v38, v31
	v_cmp_class_f32_e64 s[12:13], v38, s14
	s_or_b64 s[16:17], vcc, s[12:13]
	s_and_saveexec_b64 s[12:13], s[16:17]
	s_cbranch_execz .LBB519_61
; %bb.60:
	v_sub_f32_e32 v37, v38, v31
	s_mov_b32 s15, 0x3fb8aa3b
	v_mul_f32_e32 v38, 0x3fb8aa3b, v37
	v_fma_f32 v39, v37, s15, -v38
	v_rndne_f32_e32 v48, v38
	v_fmamk_f32 v39, v37, 0x32a5705f, v39
	v_sub_f32_e32 v38, v38, v48
	v_add_f32_e32 v38, v38, v39
	v_exp_f32_e32 v38, v38
	v_cvt_i32_f32_e32 v39, v48
	s_mov_b32 s15, 0xc2ce8ed0
	v_cmp_ngt_f32_e32 vcc, s15, v37
	s_mov_b32 s15, 0x42b17218
	v_ldexp_f32 v38, v38, v39
	v_cndmask_b32_e32 v38, 0, v38, vcc
	v_mov_b32_e32 v39, 0x7f800000
	v_cmp_nlt_f32_e32 vcc, s15, v37
	s_mov_b32 s15, 0x3f2aaaab
	s_mov_b32 s16, 0x7f800000
	v_cndmask_b32_e32 v84, v39, v38, vcc
	v_add_f32_e32 v37, 1.0, v84
	v_add_f32_e32 v38, -1.0, v37
	v_sub_f32_e32 v39, v38, v37
	v_add_f32_e32 v39, 1.0, v39
	v_sub_f32_e32 v38, v84, v38
	v_add_f32_e32 v48, v38, v39
	v_frexp_mant_f32_e32 v49, v37
	v_cvt_f64_f32_e32 v[38:39], v37
	v_frexp_exp_i32_f64_e32 v38, v[38:39]
	v_cmp_gt_f32_e32 vcc, s15, v49
	s_mov_b32 s15, 0x3f317218
	s_nop 0
	v_subbrev_co_u32_e32 v68, vcc, 0, v38, vcc
	v_sub_u32_e32 v38, 0, v68
	v_ldexp_f32 v37, v37, v38
	v_ldexp_f32 v38, v48, v38
	v_add_f32_e32 v48, -1.0, v37
	v_add_f32_e32 v39, 1.0, v48
	v_sub_f32_e32 v39, v37, v39
	v_add_f32_e32 v49, v38, v39
	v_add_f32_e32 v39, 1.0, v37
	v_add_f32_e32 v50, -1.0, v39
	v_sub_f32_e32 v37, v37, v50
	v_add_f32_e32 v37, v38, v37
	v_add_f32_e32 v69, v39, v37
	v_rcp_f32_e32 v70, v69
	v_sub_f32_e32 v38, v39, v69
	v_add_f32_e32 v39, v48, v49
	v_add_f32_e32 v37, v37, v38
	v_mul_f32_e32 v80, v39, v70
	v_sub_f32_e32 v38, v48, v39
	v_mul_f32_e32 v48, v69, v80
	v_fma_f32 v50, v80, v69, -v48
	v_fmac_f32_e32 v50, v80, v37
	v_add_f32_e32 v71, v49, v38
	v_add_f32_e32 v38, v48, v50
	v_sub_f32_e32 v49, v39, v38
	v_pk_add_f32 v[64:65], v[38:39], v[48:49] neg_lo:[0,1] neg_hi:[0,1]
	v_mov_b32_e32 v51, v38
	v_pk_add_f32 v[38:39], v[64:65], v[50:51] neg_lo:[0,1] neg_hi:[0,1]
	v_cmp_eq_f32_e32 vcc, s16, v84
	v_add_f32_e32 v39, v71, v39
	v_add_f32_e32 v38, v38, v39
	;; [unrolled: 1-line block ×3, first 2 shown]
	v_mul_f32_e32 v71, v70, v39
	v_mul_f32_e32 v48, v69, v71
	v_fma_f32 v50, v71, v69, -v48
	v_fmac_f32_e32 v50, v71, v37
	v_sub_f32_e32 v37, v49, v39
	v_add_f32_e32 v37, v38, v37
	v_add_f32_e32 v38, v48, v50
	v_sub_f32_e32 v49, v39, v38
	v_pk_add_f32 v[64:65], v[38:39], v[48:49] neg_lo:[0,1] neg_hi:[0,1]
	v_mov_b32_e32 v51, v38
	v_pk_add_f32 v[38:39], v[64:65], v[50:51] neg_lo:[0,1] neg_hi:[0,1]
	v_cvt_f32_i32_e32 v48, v68
	v_add_f32_e32 v37, v37, v39
	v_add_f32_e32 v37, v38, v37
	;; [unrolled: 1-line block ×4, first 2 shown]
	v_sub_f32_e32 v39, v38, v80
	v_mul_f32_e32 v37, v70, v37
	v_sub_f32_e32 v39, v71, v39
	v_add_f32_e32 v37, v39, v37
	v_add_f32_e32 v49, v38, v37
	v_mul_f32_e32 v50, v49, v49
	v_mov_b32_e32 v39, 0x3ecc95a3
	v_fmac_f32_e32 v39, 0x3e9b6dac, v50
	v_sub_f32_e32 v38, v49, v38
	v_fmaak_f32 v39, v50, v39, 0x3f2aaada
	v_sub_f32_e32 v37, v37, v38
	v_ldexp_f32 v51, v49, 1
	v_mul_f32_e32 v49, v49, v50
	v_mov_b32_e32 v38, 0x3f317218
	v_pk_mul_f32 v[38:39], v[48:49], v[38:39]
	v_ldexp_f32 v37, v37, 1
	v_fma_f32 v49, v48, s15, -v38
	v_fmamk_f32 v50, v48, 0xb102e308, v49
	v_pk_add_f32 v[48:49], v[38:39], v[50:51]
	v_mov_b32_e32 v64, v38
	v_sub_f32_e32 v51, v49, v51
	v_sub_f32_e32 v51, v39, v51
	v_add_f32_e32 v65, v37, v51
	v_pk_add_f32 v[38:39], v[48:49], v[38:39] neg_lo:[0,1] neg_hi:[0,1]
	v_pk_add_f32 v[68:69], v[48:49], v[64:65]
	v_mov_b32_e32 v51, v48
	v_mov_b32_e32 v39, v69
	v_pk_add_f32 v[70:71], v[50:51], v[38:39] neg_lo:[0,1] neg_hi:[0,1]
	v_pk_add_f32 v[38:39], v[50:51], v[38:39]
	v_mov_b32_e32 v64, v65
	v_mov_b32_e32 v50, v39
	v_pk_add_f32 v[80:81], v[50:51], v[48:49] neg_lo:[0,1] neg_hi:[0,1]
	v_mov_b32_e32 v38, v69
	v_mov_b32_e32 v37, v80
	v_pk_add_f32 v[82:83], v[68:69], v[36:37] neg_lo:[0,1] neg_hi:[0,1]
	v_mov_b32_e32 v68, v49
	v_mov_b32_e32 v69, v80
	;; [unrolled: 1-line block ×3, first 2 shown]
	v_pk_add_f32 v[38:39], v[38:39], v[68:69] neg_lo:[0,1] neg_hi:[0,1]
	v_mov_b32_e32 v65, v48
	v_pk_add_f32 v[38:39], v[64:65], v[38:39] neg_lo:[0,1] neg_hi:[0,1]
	v_mov_b32_e32 v82, v70
	v_pk_add_f32 v[48:49], v[82:83], v[38:39]
	s_mov_b32 s15, 0x33800000
	v_mov_b32_e32 v64, v49
	v_pk_add_f32 v[64:65], v[48:49], v[64:65]
	v_cmp_lt_f32_e64 s[16:17], |v84|, s15
	v_pk_add_f32 v[50:51], v[50:51], v[64:65]
	v_mov_b32_e32 v39, v64
	v_mov_b32_e32 v49, v50
	v_pk_add_f32 v[68:69], v[48:49], v[70:71] neg_lo:[0,1] neg_hi:[0,1]
	s_or_b64 vcc, vcc, s[16:17]
	v_sub_f32_e32 v37, v48, v68
	v_pk_add_f32 v[38:39], v[38:39], v[68:69] neg_lo:[0,1] neg_hi:[0,1]
	v_sub_f32_e32 v37, v70, v37
	v_add_f32_e32 v37, v38, v37
	v_add_f32_e32 v37, v37, v39
	;; [unrolled: 1-line block ×3, first 2 shown]
	v_cndmask_b32_e32 v37, v37, v84, vcc
	v_add_f32_e32 v37, v31, v37
.LBB519_61:
	s_or_b64 exec, exec, s[12:13]
	v_bfe_u32 v31, v37, 16, 1
	s_movk_i32 s16, 0x7fff
	v_add3_u32 v31, v37, v31, s16
	v_and_b32_e32 v38, 0xffff0000, v31
	v_mov_b32_e32 v31, 0x7fc00000
	v_cmp_o_f32_e32 vcc, v37, v37
	v_lshlrev_b32_sdwa v64, v30, v26 dst_sel:DWORD dst_unused:UNUSED_PAD src0_sel:DWORD src1_sel:WORD_0
	v_max_f32_e32 v70, v64, v64
	v_cndmask_b32_e32 v37, v31, v38, vcc
	v_max_f32_e32 v30, v37, v37
	v_min_f32_e32 v38, v30, v70
	v_cmp_u_f32_e32 vcc, v37, v37
	v_max_f32_e32 v30, v30, v70
	v_cmp_u_f32_e64 s[12:13], v64, v64
	v_cndmask_b32_e32 v38, v38, v37, vcc
	v_cndmask_b32_e32 v30, v30, v37, vcc
	v_cndmask_b32_e64 v38, v38, v64, s[12:13]
	v_cndmask_b32_e64 v30, v30, v64, s[12:13]
	v_cmp_neq_f32_e32 vcc, v38, v30
	v_cmp_class_f32_e64 s[14:15], v38, s14
	s_or_b64 s[18:19], vcc, s[14:15]
	s_and_saveexec_b64 s[14:15], s[18:19]
	s_cbranch_execz .LBB519_63
; %bb.62:
	v_sub_f32_e32 v37, v38, v30
	s_mov_b32 s17, 0x3fb8aa3b
	v_mul_f32_e32 v38, 0x3fb8aa3b, v37
	v_fma_f32 v39, v37, s17, -v38
	v_rndne_f32_e32 v48, v38
	v_fmamk_f32 v39, v37, 0x32a5705f, v39
	v_sub_f32_e32 v38, v38, v48
	v_add_f32_e32 v38, v38, v39
	v_exp_f32_e32 v38, v38
	v_cvt_i32_f32_e32 v39, v48
	s_mov_b32 s17, 0xc2ce8ed0
	v_cmp_ngt_f32_e32 vcc, s17, v37
	s_mov_b32 s17, 0x42b17218
	v_ldexp_f32 v38, v38, v39
	v_cndmask_b32_e32 v38, 0, v38, vcc
	v_mov_b32_e32 v39, 0x7f800000
	v_cmp_nlt_f32_e32 vcc, s17, v37
	s_mov_b32 s17, 0x3f2aaaab
	s_mov_b32 s18, 0x7f800000
	v_cndmask_b32_e32 v65, v39, v38, vcc
	v_add_f32_e32 v37, 1.0, v65
	v_add_f32_e32 v38, -1.0, v37
	v_sub_f32_e32 v39, v38, v37
	v_add_f32_e32 v39, 1.0, v39
	v_sub_f32_e32 v38, v65, v38
	v_add_f32_e32 v48, v38, v39
	v_frexp_mant_f32_e32 v49, v37
	v_cvt_f64_f32_e32 v[38:39], v37
	v_frexp_exp_i32_f64_e32 v38, v[38:39]
	v_cmp_gt_f32_e32 vcc, s17, v49
	s_mov_b32 s17, 0x3f317218
	s_nop 0
	v_subbrev_co_u32_e32 v71, vcc, 0, v38, vcc
	v_sub_u32_e32 v38, 0, v71
	v_ldexp_f32 v37, v37, v38
	v_ldexp_f32 v38, v48, v38
	v_add_f32_e32 v48, -1.0, v37
	v_add_f32_e32 v39, 1.0, v48
	v_sub_f32_e32 v39, v37, v39
	v_add_f32_e32 v49, v38, v39
	v_add_f32_e32 v39, 1.0, v37
	v_add_f32_e32 v50, -1.0, v39
	v_sub_f32_e32 v37, v37, v50
	v_add_f32_e32 v37, v38, v37
	v_add_f32_e32 v80, v39, v37
	v_rcp_f32_e32 v81, v80
	v_sub_f32_e32 v38, v39, v80
	v_add_f32_e32 v39, v48, v49
	v_add_f32_e32 v37, v37, v38
	v_mul_f32_e32 v83, v39, v81
	v_sub_f32_e32 v38, v48, v39
	v_mul_f32_e32 v48, v80, v83
	v_fma_f32 v50, v83, v80, -v48
	v_fmac_f32_e32 v50, v83, v37
	v_add_f32_e32 v82, v49, v38
	v_add_f32_e32 v38, v48, v50
	v_sub_f32_e32 v49, v39, v38
	v_pk_add_f32 v[68:69], v[38:39], v[48:49] neg_lo:[0,1] neg_hi:[0,1]
	v_mov_b32_e32 v51, v38
	v_pk_add_f32 v[38:39], v[68:69], v[50:51] neg_lo:[0,1] neg_hi:[0,1]
	v_cmp_eq_f32_e32 vcc, s18, v65
	v_add_f32_e32 v39, v82, v39
	v_add_f32_e32 v38, v38, v39
	;; [unrolled: 1-line block ×3, first 2 shown]
	v_mul_f32_e32 v82, v81, v39
	v_mul_f32_e32 v48, v80, v82
	v_fma_f32 v50, v82, v80, -v48
	v_fmac_f32_e32 v50, v82, v37
	v_sub_f32_e32 v37, v49, v39
	v_add_f32_e32 v37, v38, v37
	v_add_f32_e32 v38, v48, v50
	v_sub_f32_e32 v49, v39, v38
	v_pk_add_f32 v[68:69], v[38:39], v[48:49] neg_lo:[0,1] neg_hi:[0,1]
	v_mov_b32_e32 v51, v38
	v_pk_add_f32 v[38:39], v[68:69], v[50:51] neg_lo:[0,1] neg_hi:[0,1]
	v_cvt_f32_i32_e32 v48, v71
	v_add_f32_e32 v37, v37, v39
	v_add_f32_e32 v37, v38, v37
	;; [unrolled: 1-line block ×4, first 2 shown]
	v_sub_f32_e32 v39, v38, v83
	v_mul_f32_e32 v37, v81, v37
	v_sub_f32_e32 v39, v82, v39
	v_add_f32_e32 v37, v39, v37
	v_add_f32_e32 v49, v38, v37
	v_mul_f32_e32 v50, v49, v49
	v_mov_b32_e32 v39, 0x3ecc95a3
	v_fmac_f32_e32 v39, 0x3e9b6dac, v50
	v_sub_f32_e32 v38, v49, v38
	v_fmaak_f32 v39, v50, v39, 0x3f2aaada
	v_sub_f32_e32 v37, v37, v38
	v_ldexp_f32 v51, v49, 1
	v_mul_f32_e32 v49, v49, v50
	v_mov_b32_e32 v38, 0x3f317218
	v_pk_mul_f32 v[38:39], v[48:49], v[38:39]
	v_ldexp_f32 v37, v37, 1
	v_fma_f32 v49, v48, s17, -v38
	v_fmamk_f32 v50, v48, 0xb102e308, v49
	v_pk_add_f32 v[48:49], v[38:39], v[50:51]
	v_mov_b32_e32 v68, v38
	v_sub_f32_e32 v51, v49, v51
	v_sub_f32_e32 v51, v39, v51
	v_add_f32_e32 v69, v37, v51
	v_pk_add_f32 v[38:39], v[48:49], v[38:39] neg_lo:[0,1] neg_hi:[0,1]
	v_pk_add_f32 v[80:81], v[48:49], v[68:69]
	v_mov_b32_e32 v51, v48
	v_mov_b32_e32 v39, v81
	v_pk_add_f32 v[82:83], v[50:51], v[38:39] neg_lo:[0,1] neg_hi:[0,1]
	v_pk_add_f32 v[38:39], v[50:51], v[38:39]
	v_mov_b32_e32 v68, v69
	v_mov_b32_e32 v50, v39
	v_pk_add_f32 v[84:85], v[50:51], v[48:49] neg_lo:[0,1] neg_hi:[0,1]
	v_mov_b32_e32 v38, v81
	v_mov_b32_e32 v37, v84
	v_pk_add_f32 v[86:87], v[80:81], v[36:37] neg_lo:[0,1] neg_hi:[0,1]
	v_mov_b32_e32 v80, v49
	v_mov_b32_e32 v81, v84
	;; [unrolled: 1-line block ×3, first 2 shown]
	v_pk_add_f32 v[38:39], v[38:39], v[80:81] neg_lo:[0,1] neg_hi:[0,1]
	v_mov_b32_e32 v69, v48
	v_pk_add_f32 v[38:39], v[68:69], v[38:39] neg_lo:[0,1] neg_hi:[0,1]
	v_mov_b32_e32 v86, v82
	v_pk_add_f32 v[48:49], v[86:87], v[38:39]
	s_mov_b32 s17, 0x33800000
	v_mov_b32_e32 v68, v49
	v_pk_add_f32 v[68:69], v[48:49], v[68:69]
	v_cmp_lt_f32_e64 s[18:19], |v65|, s17
	v_pk_add_f32 v[50:51], v[50:51], v[68:69]
	v_mov_b32_e32 v39, v68
	v_mov_b32_e32 v49, v50
	v_pk_add_f32 v[80:81], v[48:49], v[82:83] neg_lo:[0,1] neg_hi:[0,1]
	s_or_b64 vcc, vcc, s[18:19]
	v_sub_f32_e32 v37, v48, v80
	v_pk_add_f32 v[38:39], v[38:39], v[80:81] neg_lo:[0,1] neg_hi:[0,1]
	v_sub_f32_e32 v37, v82, v37
	v_add_f32_e32 v37, v38, v37
	v_add_f32_e32 v37, v37, v39
	;; [unrolled: 1-line block ×3, first 2 shown]
	v_cndmask_b32_e32 v37, v37, v65, vcc
	v_add_f32_e32 v37, v30, v37
.LBB519_63:
	s_or_b64 exec, exec, s[14:15]
	v_bfe_u32 v30, v37, 16, 1
	v_add3_u32 v30, v37, v30, s16
	v_and_b32_e32 v30, 0xffff0000, v30
	v_cmp_o_f32_e32 vcc, v37, v37
	s_movk_i32 s18, 0x1f8
	s_nop 0
	v_cndmask_b32_e32 v37, v31, v30, vcc
	v_mov_b32_e32 v30, 16
	v_lshlrev_b32_sdwa v65, v30, v26 dst_sel:DWORD dst_unused:UNUSED_PAD src0_sel:DWORD src1_sel:WORD_1
	v_max_f32_e32 v31, v37, v37
	v_max_f32_e32 v71, v65, v65
	v_min_f32_e32 v38, v31, v71
	v_cmp_u_f32_e32 vcc, v37, v37
	v_max_f32_e32 v31, v31, v71
	v_cmp_u_f32_e64 s[14:15], v65, v65
	v_cndmask_b32_e32 v38, v38, v37, vcc
	v_cndmask_b32_e32 v31, v31, v37, vcc
	v_cndmask_b32_e64 v38, v38, v65, s[14:15]
	v_cndmask_b32_e64 v31, v31, v65, s[14:15]
	v_cmp_neq_f32_e32 vcc, v38, v31
	v_cmp_class_f32_e64 s[16:17], v38, s18
	s_or_b64 s[20:21], vcc, s[16:17]
	s_and_saveexec_b64 s[16:17], s[20:21]
	s_cbranch_execz .LBB519_65
; %bb.64:
	v_sub_f32_e32 v37, v38, v31
	s_mov_b32 s19, 0x3fb8aa3b
	v_mul_f32_e32 v38, 0x3fb8aa3b, v37
	v_fma_f32 v39, v37, s19, -v38
	v_rndne_f32_e32 v48, v38
	v_fmamk_f32 v39, v37, 0x32a5705f, v39
	v_sub_f32_e32 v38, v38, v48
	v_add_f32_e32 v38, v38, v39
	v_exp_f32_e32 v38, v38
	v_cvt_i32_f32_e32 v39, v48
	s_mov_b32 s19, 0xc2ce8ed0
	v_cmp_ngt_f32_e32 vcc, s19, v37
	s_mov_b32 s19, 0x42b17218
	v_ldexp_f32 v38, v38, v39
	v_cndmask_b32_e32 v38, 0, v38, vcc
	v_mov_b32_e32 v39, 0x7f800000
	v_cmp_nlt_f32_e32 vcc, s19, v37
	s_mov_b32 s19, 0x3f2aaaab
	s_mov_b32 s20, 0x7f800000
	v_cndmask_b32_e32 v96, v39, v38, vcc
	v_add_f32_e32 v37, 1.0, v96
	v_add_f32_e32 v38, -1.0, v37
	v_sub_f32_e32 v39, v38, v37
	v_add_f32_e32 v39, 1.0, v39
	v_sub_f32_e32 v38, v96, v38
	v_add_f32_e32 v48, v38, v39
	v_frexp_mant_f32_e32 v49, v37
	v_cvt_f64_f32_e32 v[38:39], v37
	v_frexp_exp_i32_f64_e32 v38, v[38:39]
	v_cmp_gt_f32_e32 vcc, s19, v49
	s_mov_b32 s19, 0x3f317218
	s_nop 0
	v_subbrev_co_u32_e32 v80, vcc, 0, v38, vcc
	v_sub_u32_e32 v38, 0, v80
	v_ldexp_f32 v37, v37, v38
	v_ldexp_f32 v38, v48, v38
	v_add_f32_e32 v48, -1.0, v37
	v_add_f32_e32 v39, 1.0, v48
	v_sub_f32_e32 v39, v37, v39
	v_add_f32_e32 v49, v38, v39
	v_add_f32_e32 v39, 1.0, v37
	v_add_f32_e32 v50, -1.0, v39
	v_sub_f32_e32 v37, v37, v50
	v_add_f32_e32 v37, v38, v37
	v_add_f32_e32 v81, v39, v37
	v_rcp_f32_e32 v82, v81
	v_sub_f32_e32 v38, v39, v81
	v_add_f32_e32 v39, v48, v49
	v_add_f32_e32 v37, v37, v38
	v_mul_f32_e32 v84, v39, v82
	v_sub_f32_e32 v38, v48, v39
	v_mul_f32_e32 v48, v81, v84
	v_fma_f32 v50, v84, v81, -v48
	v_fmac_f32_e32 v50, v84, v37
	v_add_f32_e32 v83, v49, v38
	v_add_f32_e32 v38, v48, v50
	v_sub_f32_e32 v49, v39, v38
	v_pk_add_f32 v[68:69], v[38:39], v[48:49] neg_lo:[0,1] neg_hi:[0,1]
	v_mov_b32_e32 v51, v38
	v_pk_add_f32 v[38:39], v[68:69], v[50:51] neg_lo:[0,1] neg_hi:[0,1]
	v_cmp_eq_f32_e32 vcc, s20, v96
	v_add_f32_e32 v39, v83, v39
	v_add_f32_e32 v38, v38, v39
	;; [unrolled: 1-line block ×3, first 2 shown]
	v_mul_f32_e32 v83, v82, v39
	v_mul_f32_e32 v48, v81, v83
	v_fma_f32 v50, v83, v81, -v48
	v_fmac_f32_e32 v50, v83, v37
	v_sub_f32_e32 v37, v49, v39
	v_add_f32_e32 v37, v38, v37
	v_add_f32_e32 v38, v48, v50
	v_sub_f32_e32 v49, v39, v38
	v_pk_add_f32 v[68:69], v[38:39], v[48:49] neg_lo:[0,1] neg_hi:[0,1]
	v_mov_b32_e32 v51, v38
	v_pk_add_f32 v[38:39], v[68:69], v[50:51] neg_lo:[0,1] neg_hi:[0,1]
	v_cvt_f32_i32_e32 v48, v80
	v_add_f32_e32 v37, v37, v39
	v_add_f32_e32 v37, v38, v37
	;; [unrolled: 1-line block ×4, first 2 shown]
	v_sub_f32_e32 v39, v38, v84
	v_mul_f32_e32 v37, v82, v37
	v_sub_f32_e32 v39, v83, v39
	v_add_f32_e32 v37, v39, v37
	v_add_f32_e32 v49, v38, v37
	v_mul_f32_e32 v50, v49, v49
	v_mov_b32_e32 v39, 0x3ecc95a3
	v_fmac_f32_e32 v39, 0x3e9b6dac, v50
	v_sub_f32_e32 v38, v49, v38
	v_fmaak_f32 v39, v50, v39, 0x3f2aaada
	v_sub_f32_e32 v37, v37, v38
	v_ldexp_f32 v51, v49, 1
	v_mul_f32_e32 v49, v49, v50
	v_mov_b32_e32 v38, 0x3f317218
	v_pk_mul_f32 v[38:39], v[48:49], v[38:39]
	v_ldexp_f32 v37, v37, 1
	v_fma_f32 v49, v48, s19, -v38
	v_fmamk_f32 v50, v48, 0xb102e308, v49
	v_pk_add_f32 v[48:49], v[38:39], v[50:51]
	v_mov_b32_e32 v68, v38
	v_sub_f32_e32 v51, v49, v51
	v_sub_f32_e32 v51, v39, v51
	v_add_f32_e32 v69, v37, v51
	v_pk_add_f32 v[38:39], v[48:49], v[38:39] neg_lo:[0,1] neg_hi:[0,1]
	v_pk_add_f32 v[80:81], v[48:49], v[68:69]
	v_mov_b32_e32 v51, v48
	v_mov_b32_e32 v39, v81
	v_pk_add_f32 v[82:83], v[50:51], v[38:39] neg_lo:[0,1] neg_hi:[0,1]
	v_pk_add_f32 v[38:39], v[50:51], v[38:39]
	v_mov_b32_e32 v68, v69
	v_mov_b32_e32 v50, v39
	v_pk_add_f32 v[84:85], v[50:51], v[48:49] neg_lo:[0,1] neg_hi:[0,1]
	v_mov_b32_e32 v38, v81
	v_mov_b32_e32 v37, v84
	v_pk_add_f32 v[86:87], v[80:81], v[36:37] neg_lo:[0,1] neg_hi:[0,1]
	v_mov_b32_e32 v80, v49
	v_mov_b32_e32 v81, v84
	;; [unrolled: 1-line block ×3, first 2 shown]
	v_pk_add_f32 v[38:39], v[38:39], v[80:81] neg_lo:[0,1] neg_hi:[0,1]
	v_mov_b32_e32 v69, v48
	v_pk_add_f32 v[38:39], v[68:69], v[38:39] neg_lo:[0,1] neg_hi:[0,1]
	v_mov_b32_e32 v86, v82
	v_pk_add_f32 v[48:49], v[86:87], v[38:39]
	s_mov_b32 s19, 0x33800000
	v_mov_b32_e32 v68, v49
	v_pk_add_f32 v[68:69], v[48:49], v[68:69]
	v_cmp_lt_f32_e64 s[20:21], |v96|, s19
	v_pk_add_f32 v[50:51], v[50:51], v[68:69]
	v_mov_b32_e32 v39, v68
	v_mov_b32_e32 v49, v50
	v_pk_add_f32 v[80:81], v[48:49], v[82:83] neg_lo:[0,1] neg_hi:[0,1]
	s_or_b64 vcc, vcc, s[20:21]
	v_sub_f32_e32 v37, v48, v80
	v_pk_add_f32 v[38:39], v[38:39], v[80:81] neg_lo:[0,1] neg_hi:[0,1]
	v_sub_f32_e32 v37, v82, v37
	v_add_f32_e32 v37, v38, v37
	v_add_f32_e32 v37, v37, v39
	;; [unrolled: 1-line block ×3, first 2 shown]
	v_cndmask_b32_e32 v37, v37, v96, vcc
	v_add_f32_e32 v37, v31, v37
.LBB519_65:
	s_or_b64 exec, exec, s[16:17]
	v_bfe_u32 v31, v37, 16, 1
	s_movk_i32 s20, 0x7fff
	v_add3_u32 v31, v37, v31, s20
	v_and_b32_e32 v38, 0xffff0000, v31
	v_mov_b32_e32 v31, 0x7fc00000
	v_cmp_o_f32_e32 vcc, v37, v37
	v_lshlrev_b32_sdwa v68, v30, v27 dst_sel:DWORD dst_unused:UNUSED_PAD src0_sel:DWORD src1_sel:WORD_0
	v_max_f32_e32 v82, v68, v68
	v_cndmask_b32_e32 v37, v31, v38, vcc
	v_max_f32_e32 v30, v37, v37
	v_min_f32_e32 v38, v30, v82
	v_cmp_u_f32_e32 vcc, v37, v37
	v_max_f32_e32 v30, v30, v82
	v_cmp_u_f32_e64 s[16:17], v68, v68
	v_cndmask_b32_e32 v38, v38, v37, vcc
	v_cndmask_b32_e32 v30, v30, v37, vcc
	v_cndmask_b32_e64 v38, v38, v68, s[16:17]
	v_cndmask_b32_e64 v30, v30, v68, s[16:17]
	v_cmp_neq_f32_e32 vcc, v38, v30
	v_cmp_class_f32_e64 s[18:19], v38, s18
	s_or_b64 s[22:23], vcc, s[18:19]
	s_and_saveexec_b64 s[18:19], s[22:23]
	s_cbranch_execz .LBB519_67
; %bb.66:
	v_sub_f32_e32 v37, v38, v30
	s_mov_b32 s21, 0x3fb8aa3b
	v_mul_f32_e32 v38, 0x3fb8aa3b, v37
	v_fma_f32 v39, v37, s21, -v38
	v_rndne_f32_e32 v48, v38
	v_fmamk_f32 v39, v37, 0x32a5705f, v39
	v_sub_f32_e32 v38, v38, v48
	v_add_f32_e32 v38, v38, v39
	v_exp_f32_e32 v38, v38
	v_cvt_i32_f32_e32 v39, v48
	s_mov_b32 s21, 0xc2ce8ed0
	v_cmp_ngt_f32_e32 vcc, s21, v37
	s_mov_b32 s21, 0x42b17218
	v_ldexp_f32 v38, v38, v39
	v_cndmask_b32_e32 v38, 0, v38, vcc
	v_mov_b32_e32 v39, 0x7f800000
	v_cmp_nlt_f32_e32 vcc, s21, v37
	s_mov_b32 s21, 0x3f2aaaab
	s_mov_b32 s22, 0x7f800000
	v_cndmask_b32_e32 v69, v39, v38, vcc
	v_add_f32_e32 v37, 1.0, v69
	v_add_f32_e32 v38, -1.0, v37
	v_sub_f32_e32 v39, v38, v37
	v_add_f32_e32 v39, 1.0, v39
	v_sub_f32_e32 v38, v69, v38
	v_add_f32_e32 v48, v38, v39
	v_frexp_mant_f32_e32 v49, v37
	v_cvt_f64_f32_e32 v[38:39], v37
	v_frexp_exp_i32_f64_e32 v38, v[38:39]
	v_cmp_gt_f32_e32 vcc, s21, v49
	s_mov_b32 s21, 0x3f317218
	s_nop 0
	v_subbrev_co_u32_e32 v83, vcc, 0, v38, vcc
	v_sub_u32_e32 v38, 0, v83
	v_ldexp_f32 v37, v37, v38
	v_ldexp_f32 v38, v48, v38
	v_add_f32_e32 v48, -1.0, v37
	v_add_f32_e32 v39, 1.0, v48
	v_sub_f32_e32 v39, v37, v39
	v_add_f32_e32 v49, v38, v39
	v_add_f32_e32 v39, 1.0, v37
	v_add_f32_e32 v50, -1.0, v39
	v_sub_f32_e32 v37, v37, v50
	v_add_f32_e32 v37, v38, v37
	v_add_f32_e32 v84, v39, v37
	v_rcp_f32_e32 v85, v84
	v_sub_f32_e32 v38, v39, v84
	v_add_f32_e32 v39, v48, v49
	v_add_f32_e32 v37, v37, v38
	v_mul_f32_e32 v87, v39, v85
	v_sub_f32_e32 v38, v48, v39
	v_mul_f32_e32 v48, v84, v87
	v_fma_f32 v50, v87, v84, -v48
	v_fmac_f32_e32 v50, v87, v37
	v_add_f32_e32 v86, v49, v38
	v_add_f32_e32 v38, v48, v50
	v_sub_f32_e32 v49, v39, v38
	v_pk_add_f32 v[80:81], v[38:39], v[48:49] neg_lo:[0,1] neg_hi:[0,1]
	v_mov_b32_e32 v51, v38
	v_pk_add_f32 v[38:39], v[80:81], v[50:51] neg_lo:[0,1] neg_hi:[0,1]
	v_cmp_eq_f32_e32 vcc, s22, v69
	v_add_f32_e32 v39, v86, v39
	v_add_f32_e32 v38, v38, v39
	;; [unrolled: 1-line block ×3, first 2 shown]
	v_mul_f32_e32 v86, v85, v39
	v_mul_f32_e32 v48, v84, v86
	v_fma_f32 v50, v86, v84, -v48
	v_fmac_f32_e32 v50, v86, v37
	v_sub_f32_e32 v37, v49, v39
	v_add_f32_e32 v37, v38, v37
	v_add_f32_e32 v38, v48, v50
	v_sub_f32_e32 v49, v39, v38
	v_pk_add_f32 v[80:81], v[38:39], v[48:49] neg_lo:[0,1] neg_hi:[0,1]
	v_mov_b32_e32 v51, v38
	v_pk_add_f32 v[38:39], v[80:81], v[50:51] neg_lo:[0,1] neg_hi:[0,1]
	v_cvt_f32_i32_e32 v48, v83
	v_add_f32_e32 v37, v37, v39
	v_add_f32_e32 v37, v38, v37
	;; [unrolled: 1-line block ×4, first 2 shown]
	v_sub_f32_e32 v39, v38, v87
	v_mul_f32_e32 v37, v85, v37
	v_sub_f32_e32 v39, v86, v39
	v_add_f32_e32 v37, v39, v37
	v_add_f32_e32 v49, v38, v37
	v_mul_f32_e32 v50, v49, v49
	v_mov_b32_e32 v39, 0x3ecc95a3
	v_fmac_f32_e32 v39, 0x3e9b6dac, v50
	v_sub_f32_e32 v38, v49, v38
	v_fmaak_f32 v39, v50, v39, 0x3f2aaada
	v_sub_f32_e32 v37, v37, v38
	v_ldexp_f32 v51, v49, 1
	v_mul_f32_e32 v49, v49, v50
	v_mov_b32_e32 v38, 0x3f317218
	v_pk_mul_f32 v[38:39], v[48:49], v[38:39]
	v_ldexp_f32 v37, v37, 1
	v_fma_f32 v49, v48, s21, -v38
	v_fmamk_f32 v50, v48, 0xb102e308, v49
	v_pk_add_f32 v[48:49], v[38:39], v[50:51]
	v_mov_b32_e32 v80, v38
	v_sub_f32_e32 v51, v49, v51
	v_sub_f32_e32 v51, v39, v51
	v_add_f32_e32 v81, v37, v51
	v_pk_add_f32 v[38:39], v[48:49], v[38:39] neg_lo:[0,1] neg_hi:[0,1]
	v_pk_add_f32 v[84:85], v[48:49], v[80:81]
	v_mov_b32_e32 v51, v48
	v_mov_b32_e32 v39, v85
	v_pk_add_f32 v[86:87], v[50:51], v[38:39] neg_lo:[0,1] neg_hi:[0,1]
	v_pk_add_f32 v[38:39], v[50:51], v[38:39]
	v_mov_b32_e32 v80, v81
	v_mov_b32_e32 v50, v39
	v_pk_add_f32 v[96:97], v[50:51], v[48:49] neg_lo:[0,1] neg_hi:[0,1]
	v_mov_b32_e32 v38, v85
	v_mov_b32_e32 v37, v96
	v_pk_add_f32 v[98:99], v[84:85], v[36:37] neg_lo:[0,1] neg_hi:[0,1]
	v_mov_b32_e32 v84, v49
	v_mov_b32_e32 v85, v96
	;; [unrolled: 1-line block ×3, first 2 shown]
	v_pk_add_f32 v[38:39], v[38:39], v[84:85] neg_lo:[0,1] neg_hi:[0,1]
	v_mov_b32_e32 v81, v48
	v_pk_add_f32 v[38:39], v[80:81], v[38:39] neg_lo:[0,1] neg_hi:[0,1]
	v_mov_b32_e32 v98, v86
	v_pk_add_f32 v[48:49], v[98:99], v[38:39]
	s_mov_b32 s21, 0x33800000
	v_mov_b32_e32 v80, v49
	v_pk_add_f32 v[80:81], v[48:49], v[80:81]
	v_cmp_lt_f32_e64 s[22:23], |v69|, s21
	v_pk_add_f32 v[50:51], v[50:51], v[80:81]
	v_mov_b32_e32 v39, v80
	v_mov_b32_e32 v49, v50
	v_pk_add_f32 v[84:85], v[48:49], v[86:87] neg_lo:[0,1] neg_hi:[0,1]
	s_or_b64 vcc, vcc, s[22:23]
	v_sub_f32_e32 v37, v48, v84
	v_pk_add_f32 v[38:39], v[38:39], v[84:85] neg_lo:[0,1] neg_hi:[0,1]
	v_sub_f32_e32 v37, v86, v37
	v_add_f32_e32 v37, v38, v37
	v_add_f32_e32 v37, v37, v39
	;; [unrolled: 1-line block ×3, first 2 shown]
	v_cndmask_b32_e32 v37, v37, v69, vcc
	v_add_f32_e32 v37, v30, v37
.LBB519_67:
	s_or_b64 exec, exec, s[18:19]
	v_bfe_u32 v30, v37, 16, 1
	v_add3_u32 v30, v37, v30, s20
	v_and_b32_e32 v30, 0xffff0000, v30
	v_cmp_o_f32_e32 vcc, v37, v37
	s_movk_i32 s22, 0x1f8
	s_nop 0
	v_cndmask_b32_e32 v37, v31, v30, vcc
	v_mov_b32_e32 v30, 16
	v_lshlrev_b32_sdwa v69, v30, v27 dst_sel:DWORD dst_unused:UNUSED_PAD src0_sel:DWORD src1_sel:WORD_1
	v_max_f32_e32 v31, v37, v37
	v_max_f32_e32 v83, v69, v69
	v_min_f32_e32 v38, v31, v83
	v_cmp_u_f32_e32 vcc, v37, v37
	v_max_f32_e32 v31, v31, v83
	v_cmp_u_f32_e64 s[18:19], v69, v69
	v_cndmask_b32_e32 v38, v38, v37, vcc
	v_cndmask_b32_e32 v31, v31, v37, vcc
	v_cndmask_b32_e64 v38, v38, v69, s[18:19]
	v_cndmask_b32_e64 v31, v31, v69, s[18:19]
	v_cmp_neq_f32_e32 vcc, v38, v31
	v_cmp_class_f32_e64 s[20:21], v38, s22
	s_or_b64 s[24:25], vcc, s[20:21]
	s_and_saveexec_b64 s[20:21], s[24:25]
	s_cbranch_execz .LBB519_69
; %bb.68:
	v_sub_f32_e32 v37, v38, v31
	s_mov_b32 s23, 0x3fb8aa3b
	v_mul_f32_e32 v38, 0x3fb8aa3b, v37
	v_fma_f32 v39, v37, s23, -v38
	v_rndne_f32_e32 v48, v38
	v_fmamk_f32 v39, v37, 0x32a5705f, v39
	v_sub_f32_e32 v38, v38, v48
	v_add_f32_e32 v38, v38, v39
	v_exp_f32_e32 v38, v38
	v_cvt_i32_f32_e32 v39, v48
	s_mov_b32 s23, 0xc2ce8ed0
	v_cmp_ngt_f32_e32 vcc, s23, v37
	s_mov_b32 s23, 0x42b17218
	v_ldexp_f32 v38, v38, v39
	v_cndmask_b32_e32 v38, 0, v38, vcc
	v_mov_b32_e32 v39, 0x7f800000
	v_cmp_nlt_f32_e32 vcc, s23, v37
	s_mov_b32 s23, 0x3f2aaaab
	s_mov_b32 s24, 0x7f800000
	v_cndmask_b32_e32 v100, v39, v38, vcc
	v_add_f32_e32 v37, 1.0, v100
	v_add_f32_e32 v38, -1.0, v37
	v_sub_f32_e32 v39, v38, v37
	v_add_f32_e32 v39, 1.0, v39
	v_sub_f32_e32 v38, v100, v38
	v_add_f32_e32 v48, v38, v39
	v_frexp_mant_f32_e32 v49, v37
	v_cvt_f64_f32_e32 v[38:39], v37
	v_frexp_exp_i32_f64_e32 v38, v[38:39]
	v_cmp_gt_f32_e32 vcc, s23, v49
	s_mov_b32 s23, 0x3f317218
	s_nop 0
	v_subbrev_co_u32_e32 v84, vcc, 0, v38, vcc
	v_sub_u32_e32 v38, 0, v84
	v_ldexp_f32 v37, v37, v38
	v_ldexp_f32 v38, v48, v38
	v_add_f32_e32 v48, -1.0, v37
	v_add_f32_e32 v39, 1.0, v48
	v_sub_f32_e32 v39, v37, v39
	v_add_f32_e32 v49, v38, v39
	v_add_f32_e32 v39, 1.0, v37
	v_add_f32_e32 v50, -1.0, v39
	v_sub_f32_e32 v37, v37, v50
	v_add_f32_e32 v37, v38, v37
	v_add_f32_e32 v85, v39, v37
	v_rcp_f32_e32 v86, v85
	v_sub_f32_e32 v38, v39, v85
	v_add_f32_e32 v39, v48, v49
	v_add_f32_e32 v37, v37, v38
	v_mul_f32_e32 v96, v39, v86
	v_sub_f32_e32 v38, v48, v39
	v_mul_f32_e32 v48, v85, v96
	v_fma_f32 v50, v96, v85, -v48
	v_fmac_f32_e32 v50, v96, v37
	v_add_f32_e32 v87, v49, v38
	v_add_f32_e32 v38, v48, v50
	v_sub_f32_e32 v49, v39, v38
	v_pk_add_f32 v[80:81], v[38:39], v[48:49] neg_lo:[0,1] neg_hi:[0,1]
	v_mov_b32_e32 v51, v38
	v_pk_add_f32 v[38:39], v[80:81], v[50:51] neg_lo:[0,1] neg_hi:[0,1]
	v_cmp_eq_f32_e32 vcc, s24, v100
	v_add_f32_e32 v39, v87, v39
	v_add_f32_e32 v38, v38, v39
	;; [unrolled: 1-line block ×3, first 2 shown]
	v_mul_f32_e32 v87, v86, v39
	v_mul_f32_e32 v48, v85, v87
	v_fma_f32 v50, v87, v85, -v48
	v_fmac_f32_e32 v50, v87, v37
	v_sub_f32_e32 v37, v49, v39
	v_add_f32_e32 v37, v38, v37
	v_add_f32_e32 v38, v48, v50
	v_sub_f32_e32 v49, v39, v38
	v_pk_add_f32 v[80:81], v[38:39], v[48:49] neg_lo:[0,1] neg_hi:[0,1]
	v_mov_b32_e32 v51, v38
	v_pk_add_f32 v[38:39], v[80:81], v[50:51] neg_lo:[0,1] neg_hi:[0,1]
	v_cvt_f32_i32_e32 v48, v84
	v_add_f32_e32 v37, v37, v39
	v_add_f32_e32 v37, v38, v37
	;; [unrolled: 1-line block ×4, first 2 shown]
	v_sub_f32_e32 v39, v38, v96
	v_mul_f32_e32 v37, v86, v37
	v_sub_f32_e32 v39, v87, v39
	v_add_f32_e32 v37, v39, v37
	v_add_f32_e32 v49, v38, v37
	v_mul_f32_e32 v50, v49, v49
	v_mov_b32_e32 v39, 0x3ecc95a3
	v_fmac_f32_e32 v39, 0x3e9b6dac, v50
	v_sub_f32_e32 v38, v49, v38
	v_fmaak_f32 v39, v50, v39, 0x3f2aaada
	v_sub_f32_e32 v37, v37, v38
	v_ldexp_f32 v51, v49, 1
	v_mul_f32_e32 v49, v49, v50
	v_mov_b32_e32 v38, 0x3f317218
	v_pk_mul_f32 v[38:39], v[48:49], v[38:39]
	v_ldexp_f32 v37, v37, 1
	v_fma_f32 v49, v48, s23, -v38
	v_fmamk_f32 v50, v48, 0xb102e308, v49
	v_pk_add_f32 v[48:49], v[38:39], v[50:51]
	v_mov_b32_e32 v80, v38
	v_sub_f32_e32 v51, v49, v51
	v_sub_f32_e32 v51, v39, v51
	v_add_f32_e32 v81, v37, v51
	v_pk_add_f32 v[38:39], v[48:49], v[38:39] neg_lo:[0,1] neg_hi:[0,1]
	v_pk_add_f32 v[84:85], v[48:49], v[80:81]
	v_mov_b32_e32 v51, v48
	v_mov_b32_e32 v39, v85
	v_pk_add_f32 v[86:87], v[50:51], v[38:39] neg_lo:[0,1] neg_hi:[0,1]
	v_pk_add_f32 v[38:39], v[50:51], v[38:39]
	v_mov_b32_e32 v80, v81
	v_mov_b32_e32 v50, v39
	v_pk_add_f32 v[96:97], v[50:51], v[48:49] neg_lo:[0,1] neg_hi:[0,1]
	v_mov_b32_e32 v38, v85
	v_mov_b32_e32 v37, v96
	v_pk_add_f32 v[98:99], v[84:85], v[36:37] neg_lo:[0,1] neg_hi:[0,1]
	v_mov_b32_e32 v84, v49
	v_mov_b32_e32 v85, v96
	v_mov_b32_e32 v87, v39
	v_pk_add_f32 v[38:39], v[38:39], v[84:85] neg_lo:[0,1] neg_hi:[0,1]
	v_mov_b32_e32 v81, v48
	v_pk_add_f32 v[38:39], v[80:81], v[38:39] neg_lo:[0,1] neg_hi:[0,1]
	v_mov_b32_e32 v98, v86
	v_pk_add_f32 v[48:49], v[98:99], v[38:39]
	s_mov_b32 s23, 0x33800000
	v_mov_b32_e32 v80, v49
	v_pk_add_f32 v[80:81], v[48:49], v[80:81]
	v_cmp_lt_f32_e64 s[24:25], |v100|, s23
	v_pk_add_f32 v[50:51], v[50:51], v[80:81]
	v_mov_b32_e32 v39, v80
	v_mov_b32_e32 v49, v50
	v_pk_add_f32 v[84:85], v[48:49], v[86:87] neg_lo:[0,1] neg_hi:[0,1]
	s_or_b64 vcc, vcc, s[24:25]
	v_sub_f32_e32 v37, v48, v84
	v_pk_add_f32 v[38:39], v[38:39], v[84:85] neg_lo:[0,1] neg_hi:[0,1]
	v_sub_f32_e32 v37, v86, v37
	v_add_f32_e32 v37, v38, v37
	v_add_f32_e32 v37, v37, v39
	;; [unrolled: 1-line block ×3, first 2 shown]
	v_cndmask_b32_e32 v37, v37, v100, vcc
	v_add_f32_e32 v37, v31, v37
.LBB519_69:
	s_or_b64 exec, exec, s[20:21]
	v_bfe_u32 v31, v37, 16, 1
	s_movk_i32 s24, 0x7fff
	v_add3_u32 v31, v37, v31, s24
	v_and_b32_e32 v38, 0xffff0000, v31
	v_mov_b32_e32 v31, 0x7fc00000
	v_cmp_o_f32_e32 vcc, v37, v37
	v_lshlrev_b32_sdwa v80, v30, v20 dst_sel:DWORD dst_unused:UNUSED_PAD src0_sel:DWORD src1_sel:WORD_0
	v_max_f32_e32 v86, v80, v80
	v_cndmask_b32_e32 v37, v31, v38, vcc
	v_max_f32_e32 v30, v37, v37
	v_min_f32_e32 v38, v30, v86
	v_cmp_u_f32_e32 vcc, v37, v37
	v_max_f32_e32 v30, v30, v86
	v_cmp_u_f32_e64 s[20:21], v80, v80
	v_cndmask_b32_e32 v38, v38, v37, vcc
	v_cndmask_b32_e32 v30, v30, v37, vcc
	v_cndmask_b32_e64 v38, v38, v80, s[20:21]
	v_cndmask_b32_e64 v30, v30, v80, s[20:21]
	v_cmp_neq_f32_e32 vcc, v38, v30
	v_cmp_class_f32_e64 s[22:23], v38, s22
	s_or_b64 s[26:27], vcc, s[22:23]
	s_and_saveexec_b64 s[22:23], s[26:27]
	s_cbranch_execz .LBB519_71
; %bb.70:
	v_sub_f32_e32 v37, v38, v30
	s_mov_b32 s25, 0x3fb8aa3b
	v_mul_f32_e32 v38, 0x3fb8aa3b, v37
	v_fma_f32 v39, v37, s25, -v38
	v_rndne_f32_e32 v48, v38
	v_fmamk_f32 v39, v37, 0x32a5705f, v39
	v_sub_f32_e32 v38, v38, v48
	v_add_f32_e32 v38, v38, v39
	v_exp_f32_e32 v38, v38
	v_cvt_i32_f32_e32 v39, v48
	s_mov_b32 s25, 0xc2ce8ed0
	v_cmp_ngt_f32_e32 vcc, s25, v37
	s_mov_b32 s25, 0x42b17218
	v_ldexp_f32 v38, v38, v39
	v_cndmask_b32_e32 v38, 0, v38, vcc
	v_mov_b32_e32 v39, 0x7f800000
	v_cmp_nlt_f32_e32 vcc, s25, v37
	s_mov_b32 s25, 0x3f2aaaab
	s_mov_b32 s26, 0x7f800000
	v_cndmask_b32_e32 v81, v39, v38, vcc
	v_add_f32_e32 v37, 1.0, v81
	v_add_f32_e32 v38, -1.0, v37
	v_sub_f32_e32 v39, v38, v37
	v_add_f32_e32 v39, 1.0, v39
	v_sub_f32_e32 v38, v81, v38
	v_add_f32_e32 v48, v38, v39
	v_frexp_mant_f32_e32 v49, v37
	v_cvt_f64_f32_e32 v[38:39], v37
	v_frexp_exp_i32_f64_e32 v38, v[38:39]
	v_cmp_gt_f32_e32 vcc, s25, v49
	s_mov_b32 s25, 0x3f317218
	s_nop 0
	v_subbrev_co_u32_e32 v87, vcc, 0, v38, vcc
	v_sub_u32_e32 v38, 0, v87
	v_ldexp_f32 v37, v37, v38
	v_ldexp_f32 v38, v48, v38
	v_add_f32_e32 v48, -1.0, v37
	v_add_f32_e32 v39, 1.0, v48
	v_sub_f32_e32 v39, v37, v39
	v_add_f32_e32 v49, v38, v39
	v_add_f32_e32 v39, 1.0, v37
	v_add_f32_e32 v50, -1.0, v39
	v_sub_f32_e32 v37, v37, v50
	v_add_f32_e32 v37, v38, v37
	v_add_f32_e32 v96, v39, v37
	v_rcp_f32_e32 v97, v96
	v_sub_f32_e32 v38, v39, v96
	v_add_f32_e32 v39, v48, v49
	v_add_f32_e32 v37, v37, v38
	v_mul_f32_e32 v99, v39, v97
	v_sub_f32_e32 v38, v48, v39
	v_mul_f32_e32 v48, v96, v99
	v_fma_f32 v50, v99, v96, -v48
	v_fmac_f32_e32 v50, v99, v37
	v_add_f32_e32 v98, v49, v38
	v_add_f32_e32 v38, v48, v50
	v_sub_f32_e32 v49, v39, v38
	v_pk_add_f32 v[84:85], v[38:39], v[48:49] neg_lo:[0,1] neg_hi:[0,1]
	v_mov_b32_e32 v51, v38
	v_pk_add_f32 v[38:39], v[84:85], v[50:51] neg_lo:[0,1] neg_hi:[0,1]
	v_cmp_eq_f32_e32 vcc, s26, v81
	v_add_f32_e32 v39, v98, v39
	v_add_f32_e32 v38, v38, v39
	;; [unrolled: 1-line block ×3, first 2 shown]
	v_mul_f32_e32 v98, v97, v39
	v_mul_f32_e32 v48, v96, v98
	v_fma_f32 v50, v98, v96, -v48
	v_fmac_f32_e32 v50, v98, v37
	v_sub_f32_e32 v37, v49, v39
	v_add_f32_e32 v37, v38, v37
	v_add_f32_e32 v38, v48, v50
	v_sub_f32_e32 v49, v39, v38
	v_pk_add_f32 v[84:85], v[38:39], v[48:49] neg_lo:[0,1] neg_hi:[0,1]
	v_mov_b32_e32 v51, v38
	v_pk_add_f32 v[38:39], v[84:85], v[50:51] neg_lo:[0,1] neg_hi:[0,1]
	v_cvt_f32_i32_e32 v48, v87
	v_add_f32_e32 v37, v37, v39
	v_add_f32_e32 v37, v38, v37
	;; [unrolled: 1-line block ×4, first 2 shown]
	v_sub_f32_e32 v39, v38, v99
	v_mul_f32_e32 v37, v97, v37
	v_sub_f32_e32 v39, v98, v39
	v_add_f32_e32 v37, v39, v37
	v_add_f32_e32 v49, v38, v37
	v_mul_f32_e32 v50, v49, v49
	v_mov_b32_e32 v39, 0x3ecc95a3
	v_fmac_f32_e32 v39, 0x3e9b6dac, v50
	v_sub_f32_e32 v38, v49, v38
	v_fmaak_f32 v39, v50, v39, 0x3f2aaada
	v_sub_f32_e32 v37, v37, v38
	v_ldexp_f32 v51, v49, 1
	v_mul_f32_e32 v49, v49, v50
	v_mov_b32_e32 v38, 0x3f317218
	v_pk_mul_f32 v[38:39], v[48:49], v[38:39]
	v_ldexp_f32 v37, v37, 1
	v_fma_f32 v49, v48, s25, -v38
	v_fmamk_f32 v50, v48, 0xb102e308, v49
	v_pk_add_f32 v[48:49], v[38:39], v[50:51]
	v_mov_b32_e32 v84, v38
	v_sub_f32_e32 v51, v49, v51
	v_sub_f32_e32 v51, v39, v51
	v_add_f32_e32 v85, v37, v51
	v_pk_add_f32 v[38:39], v[48:49], v[38:39] neg_lo:[0,1] neg_hi:[0,1]
	v_pk_add_f32 v[96:97], v[48:49], v[84:85]
	v_mov_b32_e32 v51, v48
	v_mov_b32_e32 v39, v97
	v_pk_add_f32 v[98:99], v[50:51], v[38:39] neg_lo:[0,1] neg_hi:[0,1]
	v_pk_add_f32 v[38:39], v[50:51], v[38:39]
	v_mov_b32_e32 v84, v85
	v_mov_b32_e32 v50, v39
	v_pk_add_f32 v[100:101], v[50:51], v[48:49] neg_lo:[0,1] neg_hi:[0,1]
	v_mov_b32_e32 v38, v97
	v_mov_b32_e32 v37, v100
	v_pk_add_f32 v[102:103], v[96:97], v[36:37] neg_lo:[0,1] neg_hi:[0,1]
	v_mov_b32_e32 v96, v49
	v_mov_b32_e32 v97, v100
	;; [unrolled: 1-line block ×3, first 2 shown]
	v_pk_add_f32 v[38:39], v[38:39], v[96:97] neg_lo:[0,1] neg_hi:[0,1]
	v_mov_b32_e32 v85, v48
	v_pk_add_f32 v[38:39], v[84:85], v[38:39] neg_lo:[0,1] neg_hi:[0,1]
	v_mov_b32_e32 v102, v98
	v_pk_add_f32 v[48:49], v[102:103], v[38:39]
	s_mov_b32 s25, 0x33800000
	v_mov_b32_e32 v84, v49
	v_pk_add_f32 v[84:85], v[48:49], v[84:85]
	v_cmp_lt_f32_e64 s[26:27], |v81|, s25
	v_pk_add_f32 v[50:51], v[50:51], v[84:85]
	v_mov_b32_e32 v39, v84
	v_mov_b32_e32 v49, v50
	v_pk_add_f32 v[96:97], v[48:49], v[98:99] neg_lo:[0,1] neg_hi:[0,1]
	s_or_b64 vcc, vcc, s[26:27]
	v_sub_f32_e32 v37, v48, v96
	v_pk_add_f32 v[38:39], v[38:39], v[96:97] neg_lo:[0,1] neg_hi:[0,1]
	v_sub_f32_e32 v37, v98, v37
	v_add_f32_e32 v37, v38, v37
	v_add_f32_e32 v37, v37, v39
	;; [unrolled: 1-line block ×3, first 2 shown]
	v_cndmask_b32_e32 v37, v37, v81, vcc
	v_add_f32_e32 v37, v30, v37
.LBB519_71:
	s_or_b64 exec, exec, s[22:23]
	v_bfe_u32 v30, v37, 16, 1
	v_add3_u32 v30, v37, v30, s24
	v_and_b32_e32 v30, 0xffff0000, v30
	v_cmp_o_f32_e32 vcc, v37, v37
	s_movk_i32 s26, 0x1f8
	s_nop 0
	v_cndmask_b32_e32 v37, v31, v30, vcc
	v_mov_b32_e32 v30, 16
	v_lshlrev_b32_sdwa v81, v30, v20 dst_sel:DWORD dst_unused:UNUSED_PAD src0_sel:DWORD src1_sel:WORD_1
	v_max_f32_e32 v31, v37, v37
	v_max_f32_e32 v87, v81, v81
	v_min_f32_e32 v38, v31, v87
	v_cmp_u_f32_e32 vcc, v37, v37
	v_max_f32_e32 v31, v31, v87
	v_cmp_u_f32_e64 s[22:23], v81, v81
	v_cndmask_b32_e32 v38, v38, v37, vcc
	v_cndmask_b32_e32 v31, v31, v37, vcc
	v_cndmask_b32_e64 v38, v38, v81, s[22:23]
	v_cndmask_b32_e64 v31, v31, v81, s[22:23]
	v_cmp_neq_f32_e32 vcc, v38, v31
	v_cmp_class_f32_e64 s[24:25], v38, s26
	s_or_b64 s[28:29], vcc, s[24:25]
	s_and_saveexec_b64 s[24:25], s[28:29]
	s_cbranch_execz .LBB519_73
; %bb.72:
	v_sub_f32_e32 v37, v38, v31
	s_mov_b32 s27, 0x3fb8aa3b
	v_mul_f32_e32 v38, 0x3fb8aa3b, v37
	v_fma_f32 v39, v37, s27, -v38
	v_rndne_f32_e32 v48, v38
	v_fmamk_f32 v39, v37, 0x32a5705f, v39
	v_sub_f32_e32 v38, v38, v48
	v_add_f32_e32 v38, v38, v39
	v_exp_f32_e32 v38, v38
	v_cvt_i32_f32_e32 v39, v48
	s_mov_b32 s27, 0xc2ce8ed0
	v_cmp_ngt_f32_e32 vcc, s27, v37
	s_mov_b32 s27, 0x42b17218
	v_ldexp_f32 v38, v38, v39
	v_cndmask_b32_e32 v38, 0, v38, vcc
	v_mov_b32_e32 v39, 0x7f800000
	v_cmp_nlt_f32_e32 vcc, s27, v37
	s_mov_b32 s27, 0x3f2aaaab
	s_mov_b32 s28, 0x7f800000
	v_cndmask_b32_e32 v112, v39, v38, vcc
	v_add_f32_e32 v37, 1.0, v112
	v_add_f32_e32 v38, -1.0, v37
	v_sub_f32_e32 v39, v38, v37
	v_add_f32_e32 v39, 1.0, v39
	v_sub_f32_e32 v38, v112, v38
	v_add_f32_e32 v48, v38, v39
	v_frexp_mant_f32_e32 v49, v37
	v_cvt_f64_f32_e32 v[38:39], v37
	v_frexp_exp_i32_f64_e32 v38, v[38:39]
	v_cmp_gt_f32_e32 vcc, s27, v49
	s_mov_b32 s27, 0x3f317218
	s_nop 0
	v_subbrev_co_u32_e32 v96, vcc, 0, v38, vcc
	v_sub_u32_e32 v38, 0, v96
	v_ldexp_f32 v37, v37, v38
	v_ldexp_f32 v38, v48, v38
	v_add_f32_e32 v48, -1.0, v37
	v_add_f32_e32 v39, 1.0, v48
	v_sub_f32_e32 v39, v37, v39
	v_add_f32_e32 v49, v38, v39
	v_add_f32_e32 v39, 1.0, v37
	v_add_f32_e32 v50, -1.0, v39
	v_sub_f32_e32 v37, v37, v50
	v_add_f32_e32 v37, v38, v37
	v_add_f32_e32 v97, v39, v37
	v_rcp_f32_e32 v98, v97
	v_sub_f32_e32 v38, v39, v97
	v_add_f32_e32 v39, v48, v49
	v_add_f32_e32 v37, v37, v38
	v_mul_f32_e32 v100, v39, v98
	v_sub_f32_e32 v38, v48, v39
	v_mul_f32_e32 v48, v97, v100
	v_fma_f32 v50, v100, v97, -v48
	v_fmac_f32_e32 v50, v100, v37
	v_add_f32_e32 v99, v49, v38
	v_add_f32_e32 v38, v48, v50
	v_sub_f32_e32 v49, v39, v38
	v_pk_add_f32 v[84:85], v[38:39], v[48:49] neg_lo:[0,1] neg_hi:[0,1]
	v_mov_b32_e32 v51, v38
	v_pk_add_f32 v[38:39], v[84:85], v[50:51] neg_lo:[0,1] neg_hi:[0,1]
	v_cmp_eq_f32_e32 vcc, s28, v112
	v_add_f32_e32 v39, v99, v39
	v_add_f32_e32 v38, v38, v39
	;; [unrolled: 1-line block ×3, first 2 shown]
	v_mul_f32_e32 v99, v98, v39
	v_mul_f32_e32 v48, v97, v99
	v_fma_f32 v50, v99, v97, -v48
	v_fmac_f32_e32 v50, v99, v37
	v_sub_f32_e32 v37, v49, v39
	v_add_f32_e32 v37, v38, v37
	v_add_f32_e32 v38, v48, v50
	v_sub_f32_e32 v49, v39, v38
	v_pk_add_f32 v[84:85], v[38:39], v[48:49] neg_lo:[0,1] neg_hi:[0,1]
	v_mov_b32_e32 v51, v38
	v_pk_add_f32 v[38:39], v[84:85], v[50:51] neg_lo:[0,1] neg_hi:[0,1]
	v_cvt_f32_i32_e32 v48, v96
	v_add_f32_e32 v37, v37, v39
	v_add_f32_e32 v37, v38, v37
	;; [unrolled: 1-line block ×4, first 2 shown]
	v_sub_f32_e32 v39, v38, v100
	v_mul_f32_e32 v37, v98, v37
	v_sub_f32_e32 v39, v99, v39
	v_add_f32_e32 v37, v39, v37
	v_add_f32_e32 v49, v38, v37
	v_mul_f32_e32 v50, v49, v49
	v_mov_b32_e32 v39, 0x3ecc95a3
	v_fmac_f32_e32 v39, 0x3e9b6dac, v50
	v_sub_f32_e32 v38, v49, v38
	v_fmaak_f32 v39, v50, v39, 0x3f2aaada
	v_sub_f32_e32 v37, v37, v38
	v_ldexp_f32 v51, v49, 1
	v_mul_f32_e32 v49, v49, v50
	v_mov_b32_e32 v38, 0x3f317218
	v_pk_mul_f32 v[38:39], v[48:49], v[38:39]
	v_ldexp_f32 v37, v37, 1
	v_fma_f32 v49, v48, s27, -v38
	v_fmamk_f32 v50, v48, 0xb102e308, v49
	v_pk_add_f32 v[48:49], v[38:39], v[50:51]
	v_mov_b32_e32 v84, v38
	v_sub_f32_e32 v51, v49, v51
	v_sub_f32_e32 v51, v39, v51
	v_add_f32_e32 v85, v37, v51
	v_pk_add_f32 v[38:39], v[48:49], v[38:39] neg_lo:[0,1] neg_hi:[0,1]
	v_pk_add_f32 v[96:97], v[48:49], v[84:85]
	v_mov_b32_e32 v51, v48
	v_mov_b32_e32 v39, v97
	v_pk_add_f32 v[98:99], v[50:51], v[38:39] neg_lo:[0,1] neg_hi:[0,1]
	v_pk_add_f32 v[38:39], v[50:51], v[38:39]
	v_mov_b32_e32 v84, v85
	v_mov_b32_e32 v50, v39
	v_pk_add_f32 v[100:101], v[50:51], v[48:49] neg_lo:[0,1] neg_hi:[0,1]
	v_mov_b32_e32 v38, v97
	v_mov_b32_e32 v37, v100
	v_pk_add_f32 v[102:103], v[96:97], v[36:37] neg_lo:[0,1] neg_hi:[0,1]
	v_mov_b32_e32 v96, v49
	v_mov_b32_e32 v97, v100
	;; [unrolled: 1-line block ×3, first 2 shown]
	v_pk_add_f32 v[38:39], v[38:39], v[96:97] neg_lo:[0,1] neg_hi:[0,1]
	v_mov_b32_e32 v85, v48
	v_pk_add_f32 v[38:39], v[84:85], v[38:39] neg_lo:[0,1] neg_hi:[0,1]
	v_mov_b32_e32 v102, v98
	v_pk_add_f32 v[48:49], v[102:103], v[38:39]
	s_mov_b32 s27, 0x33800000
	v_mov_b32_e32 v84, v49
	v_pk_add_f32 v[84:85], v[48:49], v[84:85]
	v_cmp_lt_f32_e64 s[28:29], |v112|, s27
	v_pk_add_f32 v[50:51], v[50:51], v[84:85]
	v_mov_b32_e32 v39, v84
	v_mov_b32_e32 v49, v50
	v_pk_add_f32 v[96:97], v[48:49], v[98:99] neg_lo:[0,1] neg_hi:[0,1]
	s_or_b64 vcc, vcc, s[28:29]
	v_sub_f32_e32 v37, v48, v96
	v_pk_add_f32 v[38:39], v[38:39], v[96:97] neg_lo:[0,1] neg_hi:[0,1]
	v_sub_f32_e32 v37, v98, v37
	v_add_f32_e32 v37, v38, v37
	v_add_f32_e32 v37, v37, v39
	;; [unrolled: 1-line block ×3, first 2 shown]
	v_cndmask_b32_e32 v37, v37, v112, vcc
	v_add_f32_e32 v37, v31, v37
.LBB519_73:
	s_or_b64 exec, exec, s[24:25]
	v_bfe_u32 v31, v37, 16, 1
	s_movk_i32 s28, 0x7fff
	v_add3_u32 v31, v37, v31, s28
	v_and_b32_e32 v38, 0xffff0000, v31
	v_mov_b32_e32 v31, 0x7fc00000
	v_cmp_o_f32_e32 vcc, v37, v37
	v_lshlrev_b32_sdwa v84, v30, v21 dst_sel:DWORD dst_unused:UNUSED_PAD src0_sel:DWORD src1_sel:WORD_0
	v_max_f32_e32 v98, v84, v84
	v_cndmask_b32_e32 v37, v31, v38, vcc
	v_max_f32_e32 v30, v37, v37
	v_min_f32_e32 v38, v30, v98
	v_cmp_u_f32_e32 vcc, v37, v37
	v_max_f32_e32 v30, v30, v98
	v_cmp_u_f32_e64 s[24:25], v84, v84
	v_cndmask_b32_e32 v38, v38, v37, vcc
	v_cndmask_b32_e32 v30, v30, v37, vcc
	v_cndmask_b32_e64 v38, v38, v84, s[24:25]
	v_cndmask_b32_e64 v30, v30, v84, s[24:25]
	v_cmp_neq_f32_e32 vcc, v38, v30
	v_cmp_class_f32_e64 s[26:27], v38, s26
	s_or_b64 vcc, vcc, s[26:27]
	s_and_saveexec_b64 s[26:27], vcc
	s_cbranch_execz .LBB519_75
; %bb.74:
	v_sub_f32_e32 v37, v38, v30
	s_mov_b32 s29, 0x3fb8aa3b
	v_mul_f32_e32 v38, 0x3fb8aa3b, v37
	v_fma_f32 v39, v37, s29, -v38
	v_rndne_f32_e32 v48, v38
	v_fmamk_f32 v39, v37, 0x32a5705f, v39
	v_sub_f32_e32 v38, v38, v48
	v_add_f32_e32 v38, v38, v39
	v_exp_f32_e32 v38, v38
	v_cvt_i32_f32_e32 v39, v48
	s_mov_b32 s29, 0xc2ce8ed0
	v_cmp_ngt_f32_e32 vcc, s29, v37
	s_mov_b32 s29, 0x42b17218
	v_ldexp_f32 v38, v38, v39
	v_cndmask_b32_e32 v38, 0, v38, vcc
	v_mov_b32_e32 v39, 0x7f800000
	v_cmp_nlt_f32_e32 vcc, s29, v37
	s_mov_b32 s29, 0x3f2aaaab
	s_mov_b32 s30, 0x7f800000
	v_cndmask_b32_e32 v85, v39, v38, vcc
	v_add_f32_e32 v37, 1.0, v85
	v_add_f32_e32 v38, -1.0, v37
	v_sub_f32_e32 v39, v38, v37
	v_add_f32_e32 v39, 1.0, v39
	v_sub_f32_e32 v38, v85, v38
	v_add_f32_e32 v48, v38, v39
	v_frexp_mant_f32_e32 v49, v37
	v_cvt_f64_f32_e32 v[38:39], v37
	v_frexp_exp_i32_f64_e32 v38, v[38:39]
	v_cmp_gt_f32_e32 vcc, s29, v49
	s_mov_b32 s29, 0x3f317218
	s_nop 0
	v_subbrev_co_u32_e32 v99, vcc, 0, v38, vcc
	v_sub_u32_e32 v38, 0, v99
	v_ldexp_f32 v37, v37, v38
	v_ldexp_f32 v38, v48, v38
	v_add_f32_e32 v48, -1.0, v37
	v_add_f32_e32 v39, 1.0, v48
	v_sub_f32_e32 v39, v37, v39
	v_add_f32_e32 v49, v38, v39
	v_add_f32_e32 v39, 1.0, v37
	v_add_f32_e32 v50, -1.0, v39
	v_sub_f32_e32 v37, v37, v50
	v_add_f32_e32 v37, v38, v37
	v_add_f32_e32 v100, v39, v37
	v_rcp_f32_e32 v101, v100
	v_sub_f32_e32 v38, v39, v100
	v_add_f32_e32 v39, v48, v49
	v_add_f32_e32 v37, v37, v38
	v_mul_f32_e32 v103, v39, v101
	v_sub_f32_e32 v38, v48, v39
	v_mul_f32_e32 v48, v100, v103
	v_fma_f32 v50, v103, v100, -v48
	v_fmac_f32_e32 v50, v103, v37
	v_add_f32_e32 v102, v49, v38
	v_add_f32_e32 v38, v48, v50
	v_sub_f32_e32 v49, v39, v38
	v_pk_add_f32 v[96:97], v[38:39], v[48:49] neg_lo:[0,1] neg_hi:[0,1]
	v_mov_b32_e32 v51, v38
	v_pk_add_f32 v[38:39], v[96:97], v[50:51] neg_lo:[0,1] neg_hi:[0,1]
	v_cmp_eq_f32_e32 vcc, s30, v85
	v_add_f32_e32 v39, v102, v39
	v_add_f32_e32 v38, v38, v39
	;; [unrolled: 1-line block ×3, first 2 shown]
	v_mul_f32_e32 v102, v101, v39
	v_mul_f32_e32 v48, v100, v102
	v_fma_f32 v50, v102, v100, -v48
	v_fmac_f32_e32 v50, v102, v37
	v_sub_f32_e32 v37, v49, v39
	v_add_f32_e32 v37, v38, v37
	v_add_f32_e32 v38, v48, v50
	v_sub_f32_e32 v49, v39, v38
	v_pk_add_f32 v[96:97], v[38:39], v[48:49] neg_lo:[0,1] neg_hi:[0,1]
	v_mov_b32_e32 v51, v38
	v_pk_add_f32 v[38:39], v[96:97], v[50:51] neg_lo:[0,1] neg_hi:[0,1]
	v_cvt_f32_i32_e32 v48, v99
	v_add_f32_e32 v37, v37, v39
	v_add_f32_e32 v37, v38, v37
	;; [unrolled: 1-line block ×4, first 2 shown]
	v_sub_f32_e32 v39, v38, v103
	v_mul_f32_e32 v37, v101, v37
	v_sub_f32_e32 v39, v102, v39
	v_add_f32_e32 v37, v39, v37
	v_add_f32_e32 v49, v38, v37
	v_mul_f32_e32 v50, v49, v49
	v_mov_b32_e32 v39, 0x3ecc95a3
	v_fmac_f32_e32 v39, 0x3e9b6dac, v50
	v_sub_f32_e32 v38, v49, v38
	v_fmaak_f32 v39, v50, v39, 0x3f2aaada
	v_sub_f32_e32 v37, v37, v38
	v_ldexp_f32 v51, v49, 1
	v_mul_f32_e32 v49, v49, v50
	v_mov_b32_e32 v38, 0x3f317218
	v_pk_mul_f32 v[38:39], v[48:49], v[38:39]
	v_ldexp_f32 v37, v37, 1
	v_fma_f32 v49, v48, s29, -v38
	v_fmamk_f32 v50, v48, 0xb102e308, v49
	v_pk_add_f32 v[48:49], v[38:39], v[50:51]
	v_mov_b32_e32 v96, v38
	v_sub_f32_e32 v51, v49, v51
	v_sub_f32_e32 v51, v39, v51
	v_add_f32_e32 v97, v37, v51
	v_pk_add_f32 v[38:39], v[48:49], v[38:39] neg_lo:[0,1] neg_hi:[0,1]
	v_pk_add_f32 v[100:101], v[48:49], v[96:97]
	v_mov_b32_e32 v51, v48
	v_mov_b32_e32 v39, v101
	v_pk_add_f32 v[102:103], v[50:51], v[38:39] neg_lo:[0,1] neg_hi:[0,1]
	v_pk_add_f32 v[38:39], v[50:51], v[38:39]
	v_mov_b32_e32 v96, v97
	v_mov_b32_e32 v50, v39
	v_pk_add_f32 v[112:113], v[50:51], v[48:49] neg_lo:[0,1] neg_hi:[0,1]
	v_mov_b32_e32 v38, v101
	v_mov_b32_e32 v37, v112
	v_pk_add_f32 v[114:115], v[100:101], v[36:37] neg_lo:[0,1] neg_hi:[0,1]
	v_mov_b32_e32 v100, v49
	v_mov_b32_e32 v101, v112
	v_mov_b32_e32 v103, v39
	v_pk_add_f32 v[38:39], v[38:39], v[100:101] neg_lo:[0,1] neg_hi:[0,1]
	v_mov_b32_e32 v97, v48
	v_pk_add_f32 v[38:39], v[96:97], v[38:39] neg_lo:[0,1] neg_hi:[0,1]
	v_mov_b32_e32 v114, v102
	v_pk_add_f32 v[48:49], v[114:115], v[38:39]
	s_mov_b32 s29, 0x33800000
	v_mov_b32_e32 v96, v49
	v_pk_add_f32 v[96:97], v[48:49], v[96:97]
	v_cmp_lt_f32_e64 s[30:31], |v85|, s29
	v_pk_add_f32 v[50:51], v[50:51], v[96:97]
	v_mov_b32_e32 v39, v96
	v_mov_b32_e32 v49, v50
	v_pk_add_f32 v[100:101], v[48:49], v[102:103] neg_lo:[0,1] neg_hi:[0,1]
	s_or_b64 vcc, vcc, s[30:31]
	v_sub_f32_e32 v37, v48, v100
	v_pk_add_f32 v[38:39], v[38:39], v[100:101] neg_lo:[0,1] neg_hi:[0,1]
	v_sub_f32_e32 v37, v102, v37
	v_add_f32_e32 v37, v38, v37
	v_add_f32_e32 v37, v37, v39
	;; [unrolled: 1-line block ×3, first 2 shown]
	v_cndmask_b32_e32 v37, v37, v85, vcc
	v_add_f32_e32 v37, v30, v37
.LBB519_75:
	s_or_b64 exec, exec, s[26:27]
	v_bfe_u32 v30, v37, 16, 1
	v_add3_u32 v30, v37, v30, s28
	v_and_b32_e32 v30, 0xffff0000, v30
	v_cmp_o_f32_e32 vcc, v37, v37
	s_movk_i32 s30, 0x1f8
	s_nop 0
	v_cndmask_b32_e32 v37, v31, v30, vcc
	v_mov_b32_e32 v30, 16
	v_lshlrev_b32_sdwa v85, v30, v21 dst_sel:DWORD dst_unused:UNUSED_PAD src0_sel:DWORD src1_sel:WORD_1
	v_max_f32_e32 v31, v37, v37
	v_max_f32_e32 v99, v85, v85
	v_min_f32_e32 v38, v31, v99
	v_cmp_u_f32_e32 vcc, v37, v37
	v_max_f32_e32 v31, v31, v99
	v_cmp_u_f32_e64 s[26:27], v85, v85
	v_cndmask_b32_e32 v38, v38, v37, vcc
	v_cndmask_b32_e32 v31, v31, v37, vcc
	v_cndmask_b32_e64 v38, v38, v85, s[26:27]
	v_cndmask_b32_e64 v31, v31, v85, s[26:27]
	v_cmp_neq_f32_e32 vcc, v38, v31
	v_cmp_class_f32_e64 s[28:29], v38, s30
	s_or_b64 vcc, vcc, s[28:29]
	s_and_saveexec_b64 s[28:29], vcc
	s_cbranch_execz .LBB519_77
; %bb.76:
	v_sub_f32_e32 v37, v38, v31
	s_mov_b32 s31, 0x3fb8aa3b
	v_mul_f32_e32 v38, 0x3fb8aa3b, v37
	v_fma_f32 v39, v37, s31, -v38
	v_rndne_f32_e32 v48, v38
	v_fmamk_f32 v39, v37, 0x32a5705f, v39
	v_sub_f32_e32 v38, v38, v48
	v_add_f32_e32 v38, v38, v39
	v_exp_f32_e32 v38, v38
	v_cvt_i32_f32_e32 v39, v48
	s_mov_b32 s31, 0xc2ce8ed0
	v_cmp_ngt_f32_e32 vcc, s31, v37
	s_mov_b32 s31, 0x42b17218
	v_ldexp_f32 v38, v38, v39
	v_cndmask_b32_e32 v38, 0, v38, vcc
	v_mov_b32_e32 v39, 0x7f800000
	v_cmp_nlt_f32_e32 vcc, s31, v37
	s_mov_b32 s31, 0x3f2aaaab
	s_mov_b32 s34, 0x7f800000
	v_cndmask_b32_e32 v116, v39, v38, vcc
	v_add_f32_e32 v37, 1.0, v116
	v_add_f32_e32 v38, -1.0, v37
	v_sub_f32_e32 v39, v38, v37
	v_add_f32_e32 v39, 1.0, v39
	v_sub_f32_e32 v38, v116, v38
	v_add_f32_e32 v48, v38, v39
	v_frexp_mant_f32_e32 v49, v37
	v_cvt_f64_f32_e32 v[38:39], v37
	v_frexp_exp_i32_f64_e32 v38, v[38:39]
	v_cmp_gt_f32_e32 vcc, s31, v49
	s_mov_b32 s31, 0x3f317218
	s_nop 0
	v_subbrev_co_u32_e32 v100, vcc, 0, v38, vcc
	v_sub_u32_e32 v38, 0, v100
	v_ldexp_f32 v37, v37, v38
	v_ldexp_f32 v38, v48, v38
	v_add_f32_e32 v48, -1.0, v37
	v_add_f32_e32 v39, 1.0, v48
	v_sub_f32_e32 v39, v37, v39
	v_add_f32_e32 v49, v38, v39
	v_add_f32_e32 v39, 1.0, v37
	v_add_f32_e32 v50, -1.0, v39
	v_sub_f32_e32 v37, v37, v50
	v_add_f32_e32 v37, v38, v37
	v_add_f32_e32 v101, v39, v37
	v_rcp_f32_e32 v102, v101
	v_sub_f32_e32 v38, v39, v101
	v_add_f32_e32 v39, v48, v49
	v_add_f32_e32 v37, v37, v38
	v_mul_f32_e32 v112, v39, v102
	v_sub_f32_e32 v38, v48, v39
	v_mul_f32_e32 v48, v101, v112
	v_fma_f32 v50, v112, v101, -v48
	v_fmac_f32_e32 v50, v112, v37
	v_add_f32_e32 v103, v49, v38
	v_add_f32_e32 v38, v48, v50
	v_sub_f32_e32 v49, v39, v38
	v_pk_add_f32 v[96:97], v[38:39], v[48:49] neg_lo:[0,1] neg_hi:[0,1]
	v_mov_b32_e32 v51, v38
	v_pk_add_f32 v[38:39], v[96:97], v[50:51] neg_lo:[0,1] neg_hi:[0,1]
	v_cmp_eq_f32_e32 vcc, s34, v116
	v_add_f32_e32 v39, v103, v39
	v_add_f32_e32 v38, v38, v39
	;; [unrolled: 1-line block ×3, first 2 shown]
	v_mul_f32_e32 v103, v102, v39
	v_mul_f32_e32 v48, v101, v103
	v_fma_f32 v50, v103, v101, -v48
	v_fmac_f32_e32 v50, v103, v37
	v_sub_f32_e32 v37, v49, v39
	v_add_f32_e32 v37, v38, v37
	v_add_f32_e32 v38, v48, v50
	v_sub_f32_e32 v49, v39, v38
	v_pk_add_f32 v[96:97], v[38:39], v[48:49] neg_lo:[0,1] neg_hi:[0,1]
	v_mov_b32_e32 v51, v38
	v_pk_add_f32 v[38:39], v[96:97], v[50:51] neg_lo:[0,1] neg_hi:[0,1]
	v_cvt_f32_i32_e32 v48, v100
	v_add_f32_e32 v37, v37, v39
	v_add_f32_e32 v37, v38, v37
	;; [unrolled: 1-line block ×4, first 2 shown]
	v_sub_f32_e32 v39, v38, v112
	v_mul_f32_e32 v37, v102, v37
	v_sub_f32_e32 v39, v103, v39
	v_add_f32_e32 v37, v39, v37
	v_add_f32_e32 v49, v38, v37
	v_mul_f32_e32 v50, v49, v49
	v_mov_b32_e32 v39, 0x3ecc95a3
	v_fmac_f32_e32 v39, 0x3e9b6dac, v50
	v_sub_f32_e32 v38, v49, v38
	v_fmaak_f32 v39, v50, v39, 0x3f2aaada
	v_sub_f32_e32 v37, v37, v38
	v_ldexp_f32 v51, v49, 1
	v_mul_f32_e32 v49, v49, v50
	v_mov_b32_e32 v38, 0x3f317218
	v_pk_mul_f32 v[38:39], v[48:49], v[38:39]
	v_ldexp_f32 v37, v37, 1
	v_fma_f32 v49, v48, s31, -v38
	v_fmamk_f32 v50, v48, 0xb102e308, v49
	v_pk_add_f32 v[48:49], v[38:39], v[50:51]
	v_mov_b32_e32 v96, v38
	v_sub_f32_e32 v51, v49, v51
	v_sub_f32_e32 v51, v39, v51
	v_add_f32_e32 v97, v37, v51
	v_pk_add_f32 v[38:39], v[48:49], v[38:39] neg_lo:[0,1] neg_hi:[0,1]
	v_pk_add_f32 v[100:101], v[48:49], v[96:97]
	v_mov_b32_e32 v51, v48
	v_mov_b32_e32 v39, v101
	v_pk_add_f32 v[102:103], v[50:51], v[38:39] neg_lo:[0,1] neg_hi:[0,1]
	v_pk_add_f32 v[38:39], v[50:51], v[38:39]
	v_mov_b32_e32 v96, v97
	v_mov_b32_e32 v50, v39
	v_pk_add_f32 v[112:113], v[50:51], v[48:49] neg_lo:[0,1] neg_hi:[0,1]
	v_mov_b32_e32 v38, v101
	v_mov_b32_e32 v37, v112
	v_pk_add_f32 v[114:115], v[100:101], v[36:37] neg_lo:[0,1] neg_hi:[0,1]
	v_mov_b32_e32 v100, v49
	v_mov_b32_e32 v101, v112
	;; [unrolled: 1-line block ×3, first 2 shown]
	v_pk_add_f32 v[38:39], v[38:39], v[100:101] neg_lo:[0,1] neg_hi:[0,1]
	v_mov_b32_e32 v97, v48
	v_pk_add_f32 v[38:39], v[96:97], v[38:39] neg_lo:[0,1] neg_hi:[0,1]
	v_mov_b32_e32 v114, v102
	v_pk_add_f32 v[48:49], v[114:115], v[38:39]
	s_mov_b32 s31, 0x33800000
	v_mov_b32_e32 v96, v49
	v_pk_add_f32 v[96:97], v[48:49], v[96:97]
	v_cmp_lt_f32_e64 s[34:35], |v116|, s31
	v_pk_add_f32 v[50:51], v[50:51], v[96:97]
	v_mov_b32_e32 v39, v96
	v_mov_b32_e32 v49, v50
	v_pk_add_f32 v[100:101], v[48:49], v[102:103] neg_lo:[0,1] neg_hi:[0,1]
	s_or_b64 vcc, vcc, s[34:35]
	v_sub_f32_e32 v37, v48, v100
	v_pk_add_f32 v[38:39], v[38:39], v[100:101] neg_lo:[0,1] neg_hi:[0,1]
	v_sub_f32_e32 v37, v102, v37
	v_add_f32_e32 v37, v38, v37
	v_add_f32_e32 v37, v37, v39
	;; [unrolled: 1-line block ×3, first 2 shown]
	v_cndmask_b32_e32 v37, v37, v116, vcc
	v_add_f32_e32 v37, v31, v37
.LBB519_77:
	s_or_b64 exec, exec, s[28:29]
	v_bfe_u32 v31, v37, 16, 1
	s_movk_i32 s34, 0x7fff
	v_add3_u32 v31, v37, v31, s34
	v_and_b32_e32 v38, 0xffff0000, v31
	v_mov_b32_e32 v31, 0x7fc00000
	v_cmp_o_f32_e32 vcc, v37, v37
	v_lshlrev_b32_sdwa v96, v30, v22 dst_sel:DWORD dst_unused:UNUSED_PAD src0_sel:DWORD src1_sel:WORD_0
	v_max_f32_e32 v102, v96, v96
	v_cndmask_b32_e32 v37, v31, v38, vcc
	v_max_f32_e32 v30, v37, v37
	v_min_f32_e32 v38, v30, v102
	v_cmp_u_f32_e32 vcc, v37, v37
	v_max_f32_e32 v30, v30, v102
	v_cmp_u_f32_e64 s[28:29], v96, v96
	v_cndmask_b32_e32 v38, v38, v37, vcc
	v_cndmask_b32_e32 v30, v30, v37, vcc
	v_cndmask_b32_e64 v38, v38, v96, s[28:29]
	v_cndmask_b32_e64 v30, v30, v96, s[28:29]
	v_cmp_neq_f32_e32 vcc, v38, v30
	v_cmp_class_f32_e64 s[30:31], v38, s30
	s_or_b64 vcc, vcc, s[30:31]
	s_and_saveexec_b64 s[30:31], vcc
	s_cbranch_execz .LBB519_79
; %bb.78:
	v_sub_f32_e32 v37, v38, v30
	s_mov_b32 s35, 0x3fb8aa3b
	v_mul_f32_e32 v38, 0x3fb8aa3b, v37
	v_fma_f32 v39, v37, s35, -v38
	v_rndne_f32_e32 v48, v38
	v_fmamk_f32 v39, v37, 0x32a5705f, v39
	v_sub_f32_e32 v38, v38, v48
	v_add_f32_e32 v38, v38, v39
	v_exp_f32_e32 v38, v38
	v_cvt_i32_f32_e32 v39, v48
	s_mov_b32 s35, 0xc2ce8ed0
	v_cmp_ngt_f32_e32 vcc, s35, v37
	s_mov_b32 s35, 0x42b17218
	v_ldexp_f32 v38, v38, v39
	v_cndmask_b32_e32 v38, 0, v38, vcc
	v_mov_b32_e32 v39, 0x7f800000
	v_cmp_nlt_f32_e32 vcc, s35, v37
	s_mov_b32 s35, 0x3f2aaaab
	s_mov_b32 s36, 0x7f800000
	v_cndmask_b32_e32 v97, v39, v38, vcc
	v_add_f32_e32 v37, 1.0, v97
	v_add_f32_e32 v38, -1.0, v37
	v_sub_f32_e32 v39, v38, v37
	v_add_f32_e32 v39, 1.0, v39
	v_sub_f32_e32 v38, v97, v38
	v_add_f32_e32 v48, v38, v39
	v_frexp_mant_f32_e32 v49, v37
	v_cvt_f64_f32_e32 v[38:39], v37
	v_frexp_exp_i32_f64_e32 v38, v[38:39]
	v_cmp_gt_f32_e32 vcc, s35, v49
	s_mov_b32 s35, 0x3f317218
	s_nop 0
	v_subbrev_co_u32_e32 v103, vcc, 0, v38, vcc
	v_sub_u32_e32 v38, 0, v103
	v_ldexp_f32 v37, v37, v38
	v_ldexp_f32 v38, v48, v38
	v_add_f32_e32 v48, -1.0, v37
	v_add_f32_e32 v39, 1.0, v48
	v_sub_f32_e32 v39, v37, v39
	v_add_f32_e32 v49, v38, v39
	v_add_f32_e32 v39, 1.0, v37
	v_add_f32_e32 v50, -1.0, v39
	v_sub_f32_e32 v37, v37, v50
	v_add_f32_e32 v37, v38, v37
	v_add_f32_e32 v112, v39, v37
	v_rcp_f32_e32 v113, v112
	v_sub_f32_e32 v38, v39, v112
	v_add_f32_e32 v39, v48, v49
	v_add_f32_e32 v37, v37, v38
	v_mul_f32_e32 v115, v39, v113
	v_sub_f32_e32 v38, v48, v39
	v_mul_f32_e32 v48, v112, v115
	v_fma_f32 v50, v115, v112, -v48
	v_fmac_f32_e32 v50, v115, v37
	v_add_f32_e32 v114, v49, v38
	v_add_f32_e32 v38, v48, v50
	v_sub_f32_e32 v49, v39, v38
	v_pk_add_f32 v[100:101], v[38:39], v[48:49] neg_lo:[0,1] neg_hi:[0,1]
	v_mov_b32_e32 v51, v38
	v_pk_add_f32 v[38:39], v[100:101], v[50:51] neg_lo:[0,1] neg_hi:[0,1]
	v_cmp_eq_f32_e32 vcc, s36, v97
	v_add_f32_e32 v39, v114, v39
	v_add_f32_e32 v38, v38, v39
	v_add_f32_e32 v39, v49, v38
	v_mul_f32_e32 v114, v113, v39
	v_mul_f32_e32 v48, v112, v114
	v_fma_f32 v50, v114, v112, -v48
	v_fmac_f32_e32 v50, v114, v37
	v_sub_f32_e32 v37, v49, v39
	v_add_f32_e32 v37, v38, v37
	v_add_f32_e32 v38, v48, v50
	v_sub_f32_e32 v49, v39, v38
	v_pk_add_f32 v[100:101], v[38:39], v[48:49] neg_lo:[0,1] neg_hi:[0,1]
	v_mov_b32_e32 v51, v38
	v_pk_add_f32 v[38:39], v[100:101], v[50:51] neg_lo:[0,1] neg_hi:[0,1]
	v_cvt_f32_i32_e32 v48, v103
	v_add_f32_e32 v37, v37, v39
	v_add_f32_e32 v37, v38, v37
	v_add_f32_e32 v38, v115, v114
	v_add_f32_e32 v37, v49, v37
	v_sub_f32_e32 v39, v38, v115
	v_mul_f32_e32 v37, v113, v37
	v_sub_f32_e32 v39, v114, v39
	v_add_f32_e32 v37, v39, v37
	v_add_f32_e32 v49, v38, v37
	v_mul_f32_e32 v50, v49, v49
	v_mov_b32_e32 v39, 0x3ecc95a3
	v_fmac_f32_e32 v39, 0x3e9b6dac, v50
	v_sub_f32_e32 v38, v49, v38
	v_fmaak_f32 v39, v50, v39, 0x3f2aaada
	v_sub_f32_e32 v37, v37, v38
	v_ldexp_f32 v51, v49, 1
	v_mul_f32_e32 v49, v49, v50
	v_mov_b32_e32 v38, 0x3f317218
	v_pk_mul_f32 v[38:39], v[48:49], v[38:39]
	v_ldexp_f32 v37, v37, 1
	v_fma_f32 v49, v48, s35, -v38
	v_fmamk_f32 v50, v48, 0xb102e308, v49
	v_pk_add_f32 v[48:49], v[38:39], v[50:51]
	v_mov_b32_e32 v100, v38
	v_sub_f32_e32 v51, v49, v51
	v_sub_f32_e32 v51, v39, v51
	v_add_f32_e32 v101, v37, v51
	v_pk_add_f32 v[38:39], v[48:49], v[38:39] neg_lo:[0,1] neg_hi:[0,1]
	v_pk_add_f32 v[112:113], v[48:49], v[100:101]
	v_mov_b32_e32 v51, v48
	v_mov_b32_e32 v39, v113
	v_pk_add_f32 v[114:115], v[50:51], v[38:39] neg_lo:[0,1] neg_hi:[0,1]
	v_pk_add_f32 v[38:39], v[50:51], v[38:39]
	v_mov_b32_e32 v100, v101
	v_mov_b32_e32 v50, v39
	v_pk_add_f32 v[116:117], v[50:51], v[48:49] neg_lo:[0,1] neg_hi:[0,1]
	v_mov_b32_e32 v38, v113
	v_mov_b32_e32 v37, v116
	v_pk_add_f32 v[118:119], v[112:113], v[36:37] neg_lo:[0,1] neg_hi:[0,1]
	v_mov_b32_e32 v112, v49
	v_mov_b32_e32 v113, v116
	;; [unrolled: 1-line block ×3, first 2 shown]
	v_pk_add_f32 v[38:39], v[38:39], v[112:113] neg_lo:[0,1] neg_hi:[0,1]
	v_mov_b32_e32 v101, v48
	v_pk_add_f32 v[38:39], v[100:101], v[38:39] neg_lo:[0,1] neg_hi:[0,1]
	v_mov_b32_e32 v118, v114
	v_pk_add_f32 v[48:49], v[118:119], v[38:39]
	s_mov_b32 s35, 0x33800000
	v_mov_b32_e32 v100, v49
	v_pk_add_f32 v[100:101], v[48:49], v[100:101]
	v_cmp_lt_f32_e64 s[36:37], |v97|, s35
	v_pk_add_f32 v[50:51], v[50:51], v[100:101]
	v_mov_b32_e32 v39, v100
	v_mov_b32_e32 v49, v50
	v_pk_add_f32 v[112:113], v[48:49], v[114:115] neg_lo:[0,1] neg_hi:[0,1]
	s_or_b64 vcc, vcc, s[36:37]
	v_sub_f32_e32 v37, v48, v112
	v_pk_add_f32 v[38:39], v[38:39], v[112:113] neg_lo:[0,1] neg_hi:[0,1]
	v_sub_f32_e32 v37, v114, v37
	v_add_f32_e32 v37, v38, v37
	v_add_f32_e32 v37, v37, v39
	;; [unrolled: 1-line block ×3, first 2 shown]
	v_cndmask_b32_e32 v37, v37, v97, vcc
	v_add_f32_e32 v37, v30, v37
.LBB519_79:
	s_or_b64 exec, exec, s[30:31]
	v_bfe_u32 v30, v37, 16, 1
	v_add3_u32 v30, v37, v30, s34
	v_and_b32_e32 v30, 0xffff0000, v30
	v_cmp_o_f32_e32 vcc, v37, v37
	s_movk_i32 s36, 0x1f8
	s_nop 0
	v_cndmask_b32_e32 v37, v31, v30, vcc
	v_mov_b32_e32 v30, 16
	v_lshlrev_b32_sdwa v97, v30, v22 dst_sel:DWORD dst_unused:UNUSED_PAD src0_sel:DWORD src1_sel:WORD_1
	v_max_f32_e32 v31, v37, v37
	v_max_f32_e32 v103, v97, v97
	v_min_f32_e32 v38, v31, v103
	v_cmp_u_f32_e32 vcc, v37, v37
	v_max_f32_e32 v31, v31, v103
	v_cmp_u_f32_e64 s[30:31], v97, v97
	v_cndmask_b32_e32 v38, v38, v37, vcc
	v_cndmask_b32_e32 v31, v31, v37, vcc
	v_cndmask_b32_e64 v38, v38, v97, s[30:31]
	v_cndmask_b32_e64 v31, v31, v97, s[30:31]
	v_cmp_neq_f32_e32 vcc, v38, v31
	v_cmp_class_f32_e64 s[34:35], v38, s36
	s_or_b64 vcc, vcc, s[34:35]
	s_and_saveexec_b64 s[34:35], vcc
	s_cbranch_execz .LBB519_81
; %bb.80:
	v_sub_f32_e32 v37, v38, v31
	s_mov_b32 s37, 0x3fb8aa3b
	v_mul_f32_e32 v38, 0x3fb8aa3b, v37
	v_fma_f32 v39, v37, s37, -v38
	v_rndne_f32_e32 v48, v38
	v_fmamk_f32 v39, v37, 0x32a5705f, v39
	v_sub_f32_e32 v38, v38, v48
	v_add_f32_e32 v38, v38, v39
	v_exp_f32_e32 v38, v38
	v_cvt_i32_f32_e32 v39, v48
	s_mov_b32 s37, 0xc2ce8ed0
	v_cmp_ngt_f32_e32 vcc, s37, v37
	s_mov_b32 s37, 0x42b17218
	v_ldexp_f32 v38, v38, v39
	v_cndmask_b32_e32 v38, 0, v38, vcc
	v_mov_b32_e32 v39, 0x7f800000
	v_cmp_nlt_f32_e32 vcc, s37, v37
	s_mov_b32 s37, 0x3f2aaaab
	s_mov_b32 s38, 0x7f800000
	v_cndmask_b32_e32 v128, v39, v38, vcc
	v_add_f32_e32 v37, 1.0, v128
	v_add_f32_e32 v38, -1.0, v37
	v_sub_f32_e32 v39, v38, v37
	v_add_f32_e32 v39, 1.0, v39
	v_sub_f32_e32 v38, v128, v38
	v_add_f32_e32 v48, v38, v39
	v_frexp_mant_f32_e32 v49, v37
	v_cvt_f64_f32_e32 v[38:39], v37
	v_frexp_exp_i32_f64_e32 v38, v[38:39]
	v_cmp_gt_f32_e32 vcc, s37, v49
	s_mov_b32 s37, 0x3f317218
	s_nop 0
	v_subbrev_co_u32_e32 v112, vcc, 0, v38, vcc
	v_sub_u32_e32 v38, 0, v112
	v_ldexp_f32 v37, v37, v38
	v_ldexp_f32 v38, v48, v38
	v_add_f32_e32 v48, -1.0, v37
	v_add_f32_e32 v39, 1.0, v48
	v_sub_f32_e32 v39, v37, v39
	v_add_f32_e32 v49, v38, v39
	v_add_f32_e32 v39, 1.0, v37
	v_add_f32_e32 v50, -1.0, v39
	v_sub_f32_e32 v37, v37, v50
	v_add_f32_e32 v37, v38, v37
	v_add_f32_e32 v113, v39, v37
	v_rcp_f32_e32 v114, v113
	v_sub_f32_e32 v38, v39, v113
	v_add_f32_e32 v39, v48, v49
	v_add_f32_e32 v37, v37, v38
	v_mul_f32_e32 v116, v39, v114
	v_sub_f32_e32 v38, v48, v39
	v_mul_f32_e32 v48, v113, v116
	v_fma_f32 v50, v116, v113, -v48
	v_fmac_f32_e32 v50, v116, v37
	v_add_f32_e32 v115, v49, v38
	v_add_f32_e32 v38, v48, v50
	v_sub_f32_e32 v49, v39, v38
	v_pk_add_f32 v[100:101], v[38:39], v[48:49] neg_lo:[0,1] neg_hi:[0,1]
	v_mov_b32_e32 v51, v38
	v_pk_add_f32 v[38:39], v[100:101], v[50:51] neg_lo:[0,1] neg_hi:[0,1]
	v_cmp_eq_f32_e32 vcc, s38, v128
	v_add_f32_e32 v39, v115, v39
	v_add_f32_e32 v38, v38, v39
	;; [unrolled: 1-line block ×3, first 2 shown]
	v_mul_f32_e32 v115, v114, v39
	v_mul_f32_e32 v48, v113, v115
	v_fma_f32 v50, v115, v113, -v48
	v_fmac_f32_e32 v50, v115, v37
	v_sub_f32_e32 v37, v49, v39
	v_add_f32_e32 v37, v38, v37
	v_add_f32_e32 v38, v48, v50
	v_sub_f32_e32 v49, v39, v38
	v_pk_add_f32 v[100:101], v[38:39], v[48:49] neg_lo:[0,1] neg_hi:[0,1]
	v_mov_b32_e32 v51, v38
	v_pk_add_f32 v[38:39], v[100:101], v[50:51] neg_lo:[0,1] neg_hi:[0,1]
	v_cvt_f32_i32_e32 v48, v112
	v_add_f32_e32 v37, v37, v39
	v_add_f32_e32 v37, v38, v37
	;; [unrolled: 1-line block ×4, first 2 shown]
	v_sub_f32_e32 v39, v38, v116
	v_mul_f32_e32 v37, v114, v37
	v_sub_f32_e32 v39, v115, v39
	v_add_f32_e32 v37, v39, v37
	v_add_f32_e32 v49, v38, v37
	v_mul_f32_e32 v50, v49, v49
	v_mov_b32_e32 v39, 0x3ecc95a3
	v_fmac_f32_e32 v39, 0x3e9b6dac, v50
	v_sub_f32_e32 v38, v49, v38
	v_fmaak_f32 v39, v50, v39, 0x3f2aaada
	v_sub_f32_e32 v37, v37, v38
	v_ldexp_f32 v51, v49, 1
	v_mul_f32_e32 v49, v49, v50
	v_mov_b32_e32 v38, 0x3f317218
	v_pk_mul_f32 v[38:39], v[48:49], v[38:39]
	v_ldexp_f32 v37, v37, 1
	v_fma_f32 v49, v48, s37, -v38
	v_fmamk_f32 v50, v48, 0xb102e308, v49
	v_pk_add_f32 v[48:49], v[38:39], v[50:51]
	v_mov_b32_e32 v100, v38
	v_sub_f32_e32 v51, v49, v51
	v_sub_f32_e32 v51, v39, v51
	v_add_f32_e32 v101, v37, v51
	v_pk_add_f32 v[38:39], v[48:49], v[38:39] neg_lo:[0,1] neg_hi:[0,1]
	v_pk_add_f32 v[112:113], v[48:49], v[100:101]
	v_mov_b32_e32 v51, v48
	v_mov_b32_e32 v39, v113
	v_pk_add_f32 v[114:115], v[50:51], v[38:39] neg_lo:[0,1] neg_hi:[0,1]
	v_pk_add_f32 v[38:39], v[50:51], v[38:39]
	v_mov_b32_e32 v100, v101
	v_mov_b32_e32 v50, v39
	v_pk_add_f32 v[116:117], v[50:51], v[48:49] neg_lo:[0,1] neg_hi:[0,1]
	v_mov_b32_e32 v38, v113
	v_mov_b32_e32 v37, v116
	v_pk_add_f32 v[118:119], v[112:113], v[36:37] neg_lo:[0,1] neg_hi:[0,1]
	v_mov_b32_e32 v112, v49
	v_mov_b32_e32 v113, v116
	v_mov_b32_e32 v115, v39
	v_pk_add_f32 v[38:39], v[38:39], v[112:113] neg_lo:[0,1] neg_hi:[0,1]
	v_mov_b32_e32 v101, v48
	v_pk_add_f32 v[38:39], v[100:101], v[38:39] neg_lo:[0,1] neg_hi:[0,1]
	v_mov_b32_e32 v118, v114
	v_pk_add_f32 v[48:49], v[118:119], v[38:39]
	s_mov_b32 s37, 0x33800000
	v_mov_b32_e32 v100, v49
	v_pk_add_f32 v[100:101], v[48:49], v[100:101]
	v_cmp_lt_f32_e64 s[38:39], |v128|, s37
	v_pk_add_f32 v[50:51], v[50:51], v[100:101]
	v_mov_b32_e32 v39, v100
	v_mov_b32_e32 v49, v50
	v_pk_add_f32 v[112:113], v[48:49], v[114:115] neg_lo:[0,1] neg_hi:[0,1]
	s_or_b64 vcc, vcc, s[38:39]
	v_sub_f32_e32 v37, v48, v112
	v_pk_add_f32 v[38:39], v[38:39], v[112:113] neg_lo:[0,1] neg_hi:[0,1]
	v_sub_f32_e32 v37, v114, v37
	v_add_f32_e32 v37, v38, v37
	v_add_f32_e32 v37, v37, v39
	;; [unrolled: 1-line block ×3, first 2 shown]
	v_cndmask_b32_e32 v37, v37, v128, vcc
	v_add_f32_e32 v37, v31, v37
.LBB519_81:
	s_or_b64 exec, exec, s[34:35]
	v_bfe_u32 v31, v37, 16, 1
	s_movk_i32 s38, 0x7fff
	v_add3_u32 v31, v37, v31, s38
	v_and_b32_e32 v38, 0xffff0000, v31
	v_mov_b32_e32 v31, 0x7fc00000
	v_cmp_o_f32_e32 vcc, v37, v37
	v_lshlrev_b32_sdwa v100, v30, v23 dst_sel:DWORD dst_unused:UNUSED_PAD src0_sel:DWORD src1_sel:WORD_0
	v_max_f32_e32 v114, v100, v100
	v_cndmask_b32_e32 v37, v31, v38, vcc
	v_max_f32_e32 v30, v37, v37
	v_min_f32_e32 v38, v30, v114
	v_cmp_u_f32_e32 vcc, v37, v37
	v_max_f32_e32 v30, v30, v114
	v_cmp_u_f32_e64 s[34:35], v100, v100
	v_cndmask_b32_e32 v38, v38, v37, vcc
	v_cndmask_b32_e32 v30, v30, v37, vcc
	v_cndmask_b32_e64 v38, v38, v100, s[34:35]
	v_cndmask_b32_e64 v30, v30, v100, s[34:35]
	v_cmp_neq_f32_e32 vcc, v38, v30
	v_cmp_class_f32_e64 s[36:37], v38, s36
	s_or_b64 vcc, vcc, s[36:37]
	s_and_saveexec_b64 s[36:37], vcc
	s_cbranch_execz .LBB519_83
; %bb.82:
	v_sub_f32_e32 v37, v38, v30
	s_mov_b32 s39, 0x3fb8aa3b
	v_mul_f32_e32 v38, 0x3fb8aa3b, v37
	v_fma_f32 v39, v37, s39, -v38
	v_rndne_f32_e32 v48, v38
	v_fmamk_f32 v39, v37, 0x32a5705f, v39
	v_sub_f32_e32 v38, v38, v48
	v_add_f32_e32 v38, v38, v39
	v_exp_f32_e32 v38, v38
	v_cvt_i32_f32_e32 v39, v48
	s_mov_b32 s39, 0xc2ce8ed0
	v_cmp_ngt_f32_e32 vcc, s39, v37
	s_mov_b32 s39, 0x42b17218
	v_ldexp_f32 v38, v38, v39
	v_cndmask_b32_e32 v38, 0, v38, vcc
	v_mov_b32_e32 v39, 0x7f800000
	v_cmp_nlt_f32_e32 vcc, s39, v37
	s_mov_b32 s39, 0x3f2aaaab
	s_mov_b32 s40, 0x7f800000
	v_cndmask_b32_e32 v101, v39, v38, vcc
	v_add_f32_e32 v37, 1.0, v101
	v_add_f32_e32 v38, -1.0, v37
	v_sub_f32_e32 v39, v38, v37
	v_add_f32_e32 v39, 1.0, v39
	v_sub_f32_e32 v38, v101, v38
	v_add_f32_e32 v48, v38, v39
	v_frexp_mant_f32_e32 v49, v37
	v_cvt_f64_f32_e32 v[38:39], v37
	v_frexp_exp_i32_f64_e32 v38, v[38:39]
	v_cmp_gt_f32_e32 vcc, s39, v49
	s_mov_b32 s39, 0x3f317218
	s_nop 0
	v_subbrev_co_u32_e32 v115, vcc, 0, v38, vcc
	v_sub_u32_e32 v38, 0, v115
	v_ldexp_f32 v37, v37, v38
	v_ldexp_f32 v38, v48, v38
	v_add_f32_e32 v48, -1.0, v37
	v_add_f32_e32 v39, 1.0, v48
	v_sub_f32_e32 v39, v37, v39
	v_add_f32_e32 v49, v38, v39
	v_add_f32_e32 v39, 1.0, v37
	v_add_f32_e32 v50, -1.0, v39
	v_sub_f32_e32 v37, v37, v50
	v_add_f32_e32 v37, v38, v37
	v_add_f32_e32 v116, v39, v37
	v_rcp_f32_e32 v117, v116
	v_sub_f32_e32 v38, v39, v116
	v_add_f32_e32 v39, v48, v49
	v_add_f32_e32 v37, v37, v38
	v_mul_f32_e32 v119, v39, v117
	v_sub_f32_e32 v38, v48, v39
	v_mul_f32_e32 v48, v116, v119
	v_fma_f32 v50, v119, v116, -v48
	v_fmac_f32_e32 v50, v119, v37
	v_add_f32_e32 v118, v49, v38
	v_add_f32_e32 v38, v48, v50
	v_sub_f32_e32 v49, v39, v38
	v_pk_add_f32 v[112:113], v[38:39], v[48:49] neg_lo:[0,1] neg_hi:[0,1]
	v_mov_b32_e32 v51, v38
	v_pk_add_f32 v[38:39], v[112:113], v[50:51] neg_lo:[0,1] neg_hi:[0,1]
	v_cmp_eq_f32_e32 vcc, s40, v101
	v_add_f32_e32 v39, v118, v39
	v_add_f32_e32 v38, v38, v39
	;; [unrolled: 1-line block ×3, first 2 shown]
	v_mul_f32_e32 v118, v117, v39
	v_mul_f32_e32 v48, v116, v118
	v_fma_f32 v50, v118, v116, -v48
	v_fmac_f32_e32 v50, v118, v37
	v_sub_f32_e32 v37, v49, v39
	v_add_f32_e32 v37, v38, v37
	v_add_f32_e32 v38, v48, v50
	v_sub_f32_e32 v49, v39, v38
	v_pk_add_f32 v[112:113], v[38:39], v[48:49] neg_lo:[0,1] neg_hi:[0,1]
	v_mov_b32_e32 v51, v38
	v_pk_add_f32 v[38:39], v[112:113], v[50:51] neg_lo:[0,1] neg_hi:[0,1]
	v_cvt_f32_i32_e32 v48, v115
	v_add_f32_e32 v37, v37, v39
	v_add_f32_e32 v37, v38, v37
	v_add_f32_e32 v38, v119, v118
	v_add_f32_e32 v37, v49, v37
	v_sub_f32_e32 v39, v38, v119
	v_mul_f32_e32 v37, v117, v37
	v_sub_f32_e32 v39, v118, v39
	v_add_f32_e32 v37, v39, v37
	v_add_f32_e32 v49, v38, v37
	v_mul_f32_e32 v50, v49, v49
	v_mov_b32_e32 v39, 0x3ecc95a3
	v_fmac_f32_e32 v39, 0x3e9b6dac, v50
	v_sub_f32_e32 v38, v49, v38
	v_fmaak_f32 v39, v50, v39, 0x3f2aaada
	v_sub_f32_e32 v37, v37, v38
	v_ldexp_f32 v51, v49, 1
	v_mul_f32_e32 v49, v49, v50
	v_mov_b32_e32 v38, 0x3f317218
	v_pk_mul_f32 v[38:39], v[48:49], v[38:39]
	v_ldexp_f32 v37, v37, 1
	v_fma_f32 v49, v48, s39, -v38
	v_fmamk_f32 v50, v48, 0xb102e308, v49
	v_pk_add_f32 v[48:49], v[38:39], v[50:51]
	v_mov_b32_e32 v112, v38
	v_sub_f32_e32 v51, v49, v51
	v_sub_f32_e32 v51, v39, v51
	v_add_f32_e32 v113, v37, v51
	v_pk_add_f32 v[38:39], v[48:49], v[38:39] neg_lo:[0,1] neg_hi:[0,1]
	v_pk_add_f32 v[116:117], v[48:49], v[112:113]
	v_mov_b32_e32 v51, v48
	v_mov_b32_e32 v39, v117
	v_pk_add_f32 v[118:119], v[50:51], v[38:39] neg_lo:[0,1] neg_hi:[0,1]
	v_pk_add_f32 v[38:39], v[50:51], v[38:39]
	v_mov_b32_e32 v112, v113
	v_mov_b32_e32 v50, v39
	v_pk_add_f32 v[128:129], v[50:51], v[48:49] neg_lo:[0,1] neg_hi:[0,1]
	v_mov_b32_e32 v38, v117
	v_mov_b32_e32 v37, v128
	v_pk_add_f32 v[130:131], v[116:117], v[36:37] neg_lo:[0,1] neg_hi:[0,1]
	v_mov_b32_e32 v116, v49
	v_mov_b32_e32 v117, v128
	;; [unrolled: 1-line block ×3, first 2 shown]
	v_pk_add_f32 v[38:39], v[38:39], v[116:117] neg_lo:[0,1] neg_hi:[0,1]
	v_mov_b32_e32 v113, v48
	v_pk_add_f32 v[38:39], v[112:113], v[38:39] neg_lo:[0,1] neg_hi:[0,1]
	v_mov_b32_e32 v130, v118
	v_pk_add_f32 v[48:49], v[130:131], v[38:39]
	s_mov_b32 s39, 0x33800000
	v_mov_b32_e32 v112, v49
	v_pk_add_f32 v[112:113], v[48:49], v[112:113]
	v_cmp_lt_f32_e64 s[40:41], |v101|, s39
	v_pk_add_f32 v[50:51], v[50:51], v[112:113]
	v_mov_b32_e32 v39, v112
	v_mov_b32_e32 v49, v50
	v_pk_add_f32 v[116:117], v[48:49], v[118:119] neg_lo:[0,1] neg_hi:[0,1]
	s_or_b64 vcc, vcc, s[40:41]
	v_sub_f32_e32 v37, v48, v116
	v_pk_add_f32 v[38:39], v[38:39], v[116:117] neg_lo:[0,1] neg_hi:[0,1]
	v_sub_f32_e32 v37, v118, v37
	v_add_f32_e32 v37, v38, v37
	v_add_f32_e32 v37, v37, v39
	;; [unrolled: 1-line block ×3, first 2 shown]
	v_cndmask_b32_e32 v37, v37, v101, vcc
	v_add_f32_e32 v37, v30, v37
.LBB519_83:
	s_or_b64 exec, exec, s[36:37]
	v_bfe_u32 v30, v37, 16, 1
	v_add3_u32 v30, v37, v30, s38
	v_and_b32_e32 v30, 0xffff0000, v30
	v_cmp_o_f32_e32 vcc, v37, v37
	s_movk_i32 s40, 0x1f8
	s_nop 0
	v_cndmask_b32_e32 v37, v31, v30, vcc
	v_mov_b32_e32 v30, 16
	v_lshlrev_b32_sdwa v101, v30, v23 dst_sel:DWORD dst_unused:UNUSED_PAD src0_sel:DWORD src1_sel:WORD_1
	v_max_f32_e32 v31, v37, v37
	v_max_f32_e32 v115, v101, v101
	v_min_f32_e32 v38, v31, v115
	v_cmp_u_f32_e32 vcc, v37, v37
	v_max_f32_e32 v31, v31, v115
	v_cmp_u_f32_e64 s[36:37], v101, v101
	v_cndmask_b32_e32 v38, v38, v37, vcc
	v_cndmask_b32_e32 v31, v31, v37, vcc
	v_cndmask_b32_e64 v38, v38, v101, s[36:37]
	v_cndmask_b32_e64 v31, v31, v101, s[36:37]
	v_cmp_neq_f32_e32 vcc, v38, v31
	v_cmp_class_f32_e64 s[38:39], v38, s40
	s_or_b64 vcc, vcc, s[38:39]
	s_and_saveexec_b64 s[38:39], vcc
	s_cbranch_execz .LBB519_85
; %bb.84:
	v_sub_f32_e32 v37, v38, v31
	s_mov_b32 s41, 0x3fb8aa3b
	v_mul_f32_e32 v38, 0x3fb8aa3b, v37
	v_fma_f32 v39, v37, s41, -v38
	v_rndne_f32_e32 v48, v38
	v_fmamk_f32 v39, v37, 0x32a5705f, v39
	v_sub_f32_e32 v38, v38, v48
	v_add_f32_e32 v38, v38, v39
	v_exp_f32_e32 v38, v38
	v_cvt_i32_f32_e32 v39, v48
	s_mov_b32 s41, 0xc2ce8ed0
	v_cmp_ngt_f32_e32 vcc, s41, v37
	s_mov_b32 s41, 0x42b17218
	v_ldexp_f32 v38, v38, v39
	v_cndmask_b32_e32 v38, 0, v38, vcc
	v_mov_b32_e32 v39, 0x7f800000
	v_cmp_nlt_f32_e32 vcc, s41, v37
	s_mov_b32 s41, 0x3f2aaaab
	s_mov_b32 s42, 0x7f800000
	v_cndmask_b32_e32 v132, v39, v38, vcc
	v_add_f32_e32 v37, 1.0, v132
	v_add_f32_e32 v38, -1.0, v37
	v_sub_f32_e32 v39, v38, v37
	v_add_f32_e32 v39, 1.0, v39
	v_sub_f32_e32 v38, v132, v38
	v_add_f32_e32 v48, v38, v39
	v_frexp_mant_f32_e32 v49, v37
	v_cvt_f64_f32_e32 v[38:39], v37
	v_frexp_exp_i32_f64_e32 v38, v[38:39]
	v_cmp_gt_f32_e32 vcc, s41, v49
	s_mov_b32 s41, 0x3f317218
	s_nop 0
	v_subbrev_co_u32_e32 v116, vcc, 0, v38, vcc
	v_sub_u32_e32 v38, 0, v116
	v_ldexp_f32 v37, v37, v38
	v_ldexp_f32 v38, v48, v38
	v_add_f32_e32 v48, -1.0, v37
	v_add_f32_e32 v39, 1.0, v48
	v_sub_f32_e32 v39, v37, v39
	v_add_f32_e32 v49, v38, v39
	v_add_f32_e32 v39, 1.0, v37
	v_add_f32_e32 v50, -1.0, v39
	v_sub_f32_e32 v37, v37, v50
	v_add_f32_e32 v37, v38, v37
	v_add_f32_e32 v117, v39, v37
	v_rcp_f32_e32 v118, v117
	v_sub_f32_e32 v38, v39, v117
	v_add_f32_e32 v39, v48, v49
	v_add_f32_e32 v37, v37, v38
	v_mul_f32_e32 v128, v39, v118
	v_sub_f32_e32 v38, v48, v39
	v_mul_f32_e32 v48, v117, v128
	v_fma_f32 v50, v128, v117, -v48
	v_fmac_f32_e32 v50, v128, v37
	v_add_f32_e32 v119, v49, v38
	v_add_f32_e32 v38, v48, v50
	v_sub_f32_e32 v49, v39, v38
	v_pk_add_f32 v[112:113], v[38:39], v[48:49] neg_lo:[0,1] neg_hi:[0,1]
	v_mov_b32_e32 v51, v38
	v_pk_add_f32 v[38:39], v[112:113], v[50:51] neg_lo:[0,1] neg_hi:[0,1]
	v_cmp_eq_f32_e32 vcc, s42, v132
	v_add_f32_e32 v39, v119, v39
	v_add_f32_e32 v38, v38, v39
	;; [unrolled: 1-line block ×3, first 2 shown]
	v_mul_f32_e32 v119, v118, v39
	v_mul_f32_e32 v48, v117, v119
	v_fma_f32 v50, v119, v117, -v48
	v_fmac_f32_e32 v50, v119, v37
	v_sub_f32_e32 v37, v49, v39
	v_add_f32_e32 v37, v38, v37
	v_add_f32_e32 v38, v48, v50
	v_sub_f32_e32 v49, v39, v38
	v_pk_add_f32 v[112:113], v[38:39], v[48:49] neg_lo:[0,1] neg_hi:[0,1]
	v_mov_b32_e32 v51, v38
	v_pk_add_f32 v[38:39], v[112:113], v[50:51] neg_lo:[0,1] neg_hi:[0,1]
	v_cvt_f32_i32_e32 v48, v116
	v_add_f32_e32 v37, v37, v39
	v_add_f32_e32 v37, v38, v37
	;; [unrolled: 1-line block ×4, first 2 shown]
	v_sub_f32_e32 v39, v38, v128
	v_mul_f32_e32 v37, v118, v37
	v_sub_f32_e32 v39, v119, v39
	v_add_f32_e32 v37, v39, v37
	v_add_f32_e32 v49, v38, v37
	v_mul_f32_e32 v50, v49, v49
	v_mov_b32_e32 v39, 0x3ecc95a3
	v_fmac_f32_e32 v39, 0x3e9b6dac, v50
	v_sub_f32_e32 v38, v49, v38
	v_fmaak_f32 v39, v50, v39, 0x3f2aaada
	v_sub_f32_e32 v37, v37, v38
	v_ldexp_f32 v51, v49, 1
	v_mul_f32_e32 v49, v49, v50
	v_mov_b32_e32 v38, 0x3f317218
	v_pk_mul_f32 v[38:39], v[48:49], v[38:39]
	v_ldexp_f32 v37, v37, 1
	v_fma_f32 v49, v48, s41, -v38
	v_fmamk_f32 v50, v48, 0xb102e308, v49
	v_pk_add_f32 v[48:49], v[38:39], v[50:51]
	v_mov_b32_e32 v112, v38
	v_sub_f32_e32 v51, v49, v51
	v_sub_f32_e32 v51, v39, v51
	v_add_f32_e32 v113, v37, v51
	v_pk_add_f32 v[38:39], v[48:49], v[38:39] neg_lo:[0,1] neg_hi:[0,1]
	v_pk_add_f32 v[116:117], v[48:49], v[112:113]
	v_mov_b32_e32 v51, v48
	v_mov_b32_e32 v39, v117
	v_pk_add_f32 v[118:119], v[50:51], v[38:39] neg_lo:[0,1] neg_hi:[0,1]
	v_pk_add_f32 v[38:39], v[50:51], v[38:39]
	v_mov_b32_e32 v112, v113
	v_mov_b32_e32 v50, v39
	v_pk_add_f32 v[128:129], v[50:51], v[48:49] neg_lo:[0,1] neg_hi:[0,1]
	v_mov_b32_e32 v38, v117
	v_mov_b32_e32 v37, v128
	v_pk_add_f32 v[130:131], v[116:117], v[36:37] neg_lo:[0,1] neg_hi:[0,1]
	v_mov_b32_e32 v116, v49
	v_mov_b32_e32 v117, v128
	v_mov_b32_e32 v119, v39
	v_pk_add_f32 v[38:39], v[38:39], v[116:117] neg_lo:[0,1] neg_hi:[0,1]
	v_mov_b32_e32 v113, v48
	v_pk_add_f32 v[38:39], v[112:113], v[38:39] neg_lo:[0,1] neg_hi:[0,1]
	v_mov_b32_e32 v130, v118
	v_pk_add_f32 v[48:49], v[130:131], v[38:39]
	s_mov_b32 s41, 0x33800000
	v_mov_b32_e32 v112, v49
	v_pk_add_f32 v[112:113], v[48:49], v[112:113]
	v_cmp_lt_f32_e64 s[42:43], |v132|, s41
	v_pk_add_f32 v[50:51], v[50:51], v[112:113]
	v_mov_b32_e32 v39, v112
	v_mov_b32_e32 v49, v50
	v_pk_add_f32 v[116:117], v[48:49], v[118:119] neg_lo:[0,1] neg_hi:[0,1]
	s_or_b64 vcc, vcc, s[42:43]
	v_sub_f32_e32 v37, v48, v116
	v_pk_add_f32 v[38:39], v[38:39], v[116:117] neg_lo:[0,1] neg_hi:[0,1]
	v_sub_f32_e32 v37, v118, v37
	v_add_f32_e32 v37, v38, v37
	v_add_f32_e32 v37, v37, v39
	;; [unrolled: 1-line block ×3, first 2 shown]
	v_cndmask_b32_e32 v37, v37, v132, vcc
	v_add_f32_e32 v37, v31, v37
.LBB519_85:
	s_or_b64 exec, exec, s[38:39]
	v_bfe_u32 v31, v37, 16, 1
	s_movk_i32 s42, 0x7fff
	v_add3_u32 v31, v37, v31, s42
	v_and_b32_e32 v38, 0xffff0000, v31
	v_mov_b32_e32 v31, 0x7fc00000
	v_cmp_o_f32_e32 vcc, v37, v37
	v_lshlrev_b32_sdwa v112, v30, v16 dst_sel:DWORD dst_unused:UNUSED_PAD src0_sel:DWORD src1_sel:WORD_0
	v_max_f32_e32 v118, v112, v112
	v_cndmask_b32_e32 v37, v31, v38, vcc
	v_max_f32_e32 v30, v37, v37
	v_min_f32_e32 v38, v30, v118
	v_cmp_u_f32_e32 vcc, v37, v37
	v_max_f32_e32 v30, v30, v118
	v_cmp_u_f32_e64 s[38:39], v112, v112
	v_cndmask_b32_e32 v38, v38, v37, vcc
	v_cndmask_b32_e32 v30, v30, v37, vcc
	v_cndmask_b32_e64 v38, v38, v112, s[38:39]
	v_cndmask_b32_e64 v30, v30, v112, s[38:39]
	v_cmp_neq_f32_e32 vcc, v38, v30
	v_cmp_class_f32_e64 s[40:41], v38, s40
	s_or_b64 vcc, vcc, s[40:41]
	s_and_saveexec_b64 s[40:41], vcc
	s_cbranch_execz .LBB519_87
; %bb.86:
	v_sub_f32_e32 v37, v38, v30
	s_mov_b32 s43, 0x3fb8aa3b
	v_mul_f32_e32 v38, 0x3fb8aa3b, v37
	v_fma_f32 v39, v37, s43, -v38
	v_rndne_f32_e32 v48, v38
	v_fmamk_f32 v39, v37, 0x32a5705f, v39
	v_sub_f32_e32 v38, v38, v48
	v_add_f32_e32 v38, v38, v39
	v_exp_f32_e32 v38, v38
	v_cvt_i32_f32_e32 v39, v48
	s_mov_b32 s43, 0xc2ce8ed0
	v_cmp_ngt_f32_e32 vcc, s43, v37
	s_mov_b32 s43, 0x42b17218
	v_ldexp_f32 v38, v38, v39
	v_cndmask_b32_e32 v38, 0, v38, vcc
	v_mov_b32_e32 v39, 0x7f800000
	v_cmp_nlt_f32_e32 vcc, s43, v37
	s_mov_b32 s43, 0x3f2aaaab
	s_mov_b32 s44, 0x7f800000
	v_cndmask_b32_e32 v113, v39, v38, vcc
	v_add_f32_e32 v37, 1.0, v113
	v_add_f32_e32 v38, -1.0, v37
	v_sub_f32_e32 v39, v38, v37
	v_add_f32_e32 v39, 1.0, v39
	v_sub_f32_e32 v38, v113, v38
	v_add_f32_e32 v48, v38, v39
	v_frexp_mant_f32_e32 v49, v37
	v_cvt_f64_f32_e32 v[38:39], v37
	v_frexp_exp_i32_f64_e32 v38, v[38:39]
	v_cmp_gt_f32_e32 vcc, s43, v49
	s_mov_b32 s43, 0x3f317218
	s_nop 0
	v_subbrev_co_u32_e32 v119, vcc, 0, v38, vcc
	v_sub_u32_e32 v38, 0, v119
	v_ldexp_f32 v37, v37, v38
	v_ldexp_f32 v38, v48, v38
	v_add_f32_e32 v48, -1.0, v37
	v_add_f32_e32 v39, 1.0, v48
	v_sub_f32_e32 v39, v37, v39
	v_add_f32_e32 v49, v38, v39
	v_add_f32_e32 v39, 1.0, v37
	v_add_f32_e32 v50, -1.0, v39
	v_sub_f32_e32 v37, v37, v50
	v_add_f32_e32 v37, v38, v37
	v_add_f32_e32 v128, v39, v37
	v_rcp_f32_e32 v129, v128
	v_sub_f32_e32 v38, v39, v128
	v_add_f32_e32 v39, v48, v49
	v_add_f32_e32 v37, v37, v38
	v_mul_f32_e32 v131, v39, v129
	v_sub_f32_e32 v38, v48, v39
	v_mul_f32_e32 v48, v128, v131
	v_fma_f32 v50, v131, v128, -v48
	v_fmac_f32_e32 v50, v131, v37
	v_add_f32_e32 v130, v49, v38
	v_add_f32_e32 v38, v48, v50
	v_sub_f32_e32 v49, v39, v38
	v_pk_add_f32 v[116:117], v[38:39], v[48:49] neg_lo:[0,1] neg_hi:[0,1]
	v_mov_b32_e32 v51, v38
	v_pk_add_f32 v[38:39], v[116:117], v[50:51] neg_lo:[0,1] neg_hi:[0,1]
	v_cmp_eq_f32_e32 vcc, s44, v113
	v_add_f32_e32 v39, v130, v39
	v_add_f32_e32 v38, v38, v39
	v_add_f32_e32 v39, v49, v38
	v_mul_f32_e32 v130, v129, v39
	v_mul_f32_e32 v48, v128, v130
	v_fma_f32 v50, v130, v128, -v48
	v_fmac_f32_e32 v50, v130, v37
	v_sub_f32_e32 v37, v49, v39
	v_add_f32_e32 v37, v38, v37
	v_add_f32_e32 v38, v48, v50
	v_sub_f32_e32 v49, v39, v38
	v_pk_add_f32 v[116:117], v[38:39], v[48:49] neg_lo:[0,1] neg_hi:[0,1]
	v_mov_b32_e32 v51, v38
	v_pk_add_f32 v[38:39], v[116:117], v[50:51] neg_lo:[0,1] neg_hi:[0,1]
	v_cvt_f32_i32_e32 v48, v119
	v_add_f32_e32 v37, v37, v39
	v_add_f32_e32 v37, v38, v37
	v_add_f32_e32 v38, v131, v130
	v_add_f32_e32 v37, v49, v37
	v_sub_f32_e32 v39, v38, v131
	v_mul_f32_e32 v37, v129, v37
	v_sub_f32_e32 v39, v130, v39
	v_add_f32_e32 v37, v39, v37
	v_add_f32_e32 v49, v38, v37
	v_mul_f32_e32 v50, v49, v49
	v_mov_b32_e32 v39, 0x3ecc95a3
	v_fmac_f32_e32 v39, 0x3e9b6dac, v50
	v_sub_f32_e32 v38, v49, v38
	v_fmaak_f32 v39, v50, v39, 0x3f2aaada
	v_sub_f32_e32 v37, v37, v38
	v_ldexp_f32 v51, v49, 1
	v_mul_f32_e32 v49, v49, v50
	v_mov_b32_e32 v38, 0x3f317218
	v_pk_mul_f32 v[38:39], v[48:49], v[38:39]
	v_ldexp_f32 v37, v37, 1
	v_fma_f32 v49, v48, s43, -v38
	v_fmamk_f32 v50, v48, 0xb102e308, v49
	v_pk_add_f32 v[48:49], v[38:39], v[50:51]
	v_mov_b32_e32 v116, v38
	v_sub_f32_e32 v51, v49, v51
	v_sub_f32_e32 v51, v39, v51
	v_add_f32_e32 v117, v37, v51
	v_pk_add_f32 v[38:39], v[48:49], v[38:39] neg_lo:[0,1] neg_hi:[0,1]
	v_pk_add_f32 v[128:129], v[48:49], v[116:117]
	v_mov_b32_e32 v51, v48
	v_mov_b32_e32 v39, v129
	v_pk_add_f32 v[130:131], v[50:51], v[38:39] neg_lo:[0,1] neg_hi:[0,1]
	v_pk_add_f32 v[38:39], v[50:51], v[38:39]
	v_mov_b32_e32 v116, v117
	v_mov_b32_e32 v50, v39
	v_pk_add_f32 v[132:133], v[50:51], v[48:49] neg_lo:[0,1] neg_hi:[0,1]
	v_mov_b32_e32 v38, v129
	v_mov_b32_e32 v37, v132
	v_pk_add_f32 v[134:135], v[128:129], v[36:37] neg_lo:[0,1] neg_hi:[0,1]
	v_mov_b32_e32 v128, v49
	v_mov_b32_e32 v129, v132
	v_mov_b32_e32 v131, v39
	v_pk_add_f32 v[38:39], v[38:39], v[128:129] neg_lo:[0,1] neg_hi:[0,1]
	v_mov_b32_e32 v117, v48
	v_pk_add_f32 v[38:39], v[116:117], v[38:39] neg_lo:[0,1] neg_hi:[0,1]
	v_mov_b32_e32 v134, v130
	v_pk_add_f32 v[48:49], v[134:135], v[38:39]
	s_mov_b32 s43, 0x33800000
	v_mov_b32_e32 v116, v49
	v_pk_add_f32 v[116:117], v[48:49], v[116:117]
	v_cmp_lt_f32_e64 s[44:45], |v113|, s43
	v_pk_add_f32 v[50:51], v[50:51], v[116:117]
	v_mov_b32_e32 v39, v116
	v_mov_b32_e32 v49, v50
	v_pk_add_f32 v[128:129], v[48:49], v[130:131] neg_lo:[0,1] neg_hi:[0,1]
	s_or_b64 vcc, vcc, s[44:45]
	v_sub_f32_e32 v37, v48, v128
	v_pk_add_f32 v[38:39], v[38:39], v[128:129] neg_lo:[0,1] neg_hi:[0,1]
	v_sub_f32_e32 v37, v130, v37
	v_add_f32_e32 v37, v38, v37
	v_add_f32_e32 v37, v37, v39
	;; [unrolled: 1-line block ×3, first 2 shown]
	v_cndmask_b32_e32 v37, v37, v113, vcc
	v_add_f32_e32 v37, v30, v37
.LBB519_87:
	s_or_b64 exec, exec, s[40:41]
	v_bfe_u32 v30, v37, 16, 1
	v_add3_u32 v30, v37, v30, s42
	v_and_b32_e32 v30, 0xffff0000, v30
	v_cmp_o_f32_e32 vcc, v37, v37
	s_movk_i32 s44, 0x1f8
	s_nop 0
	v_cndmask_b32_e32 v37, v31, v30, vcc
	v_mov_b32_e32 v30, 16
	v_lshlrev_b32_sdwa v113, v30, v16 dst_sel:DWORD dst_unused:UNUSED_PAD src0_sel:DWORD src1_sel:WORD_1
	v_max_f32_e32 v31, v37, v37
	v_max_f32_e32 v119, v113, v113
	v_min_f32_e32 v38, v31, v119
	v_cmp_u_f32_e32 vcc, v37, v37
	v_max_f32_e32 v31, v31, v119
	v_cmp_u_f32_e64 s[40:41], v113, v113
	v_cndmask_b32_e32 v38, v38, v37, vcc
	v_cndmask_b32_e32 v31, v31, v37, vcc
	v_cndmask_b32_e64 v38, v38, v113, s[40:41]
	v_cndmask_b32_e64 v31, v31, v113, s[40:41]
	v_cmp_neq_f32_e32 vcc, v38, v31
	v_cmp_class_f32_e64 s[42:43], v38, s44
	s_or_b64 vcc, vcc, s[42:43]
	s_and_saveexec_b64 s[42:43], vcc
	s_cbranch_execz .LBB519_89
; %bb.88:
	v_sub_f32_e32 v37, v38, v31
	s_mov_b32 s45, 0x3fb8aa3b
	v_mul_f32_e32 v38, 0x3fb8aa3b, v37
	v_fma_f32 v39, v37, s45, -v38
	v_rndne_f32_e32 v48, v38
	v_fmamk_f32 v39, v37, 0x32a5705f, v39
	v_sub_f32_e32 v38, v38, v48
	v_add_f32_e32 v38, v38, v39
	v_exp_f32_e32 v38, v38
	v_cvt_i32_f32_e32 v39, v48
	s_mov_b32 s45, 0xc2ce8ed0
	v_cmp_ngt_f32_e32 vcc, s45, v37
	s_mov_b32 s45, 0x42b17218
	v_ldexp_f32 v38, v38, v39
	v_cndmask_b32_e32 v38, 0, v38, vcc
	v_mov_b32_e32 v39, 0x7f800000
	v_cmp_nlt_f32_e32 vcc, s45, v37
	s_mov_b32 s45, 0x3f2aaaab
	s_mov_b32 s46, 0x7f800000
	v_cndmask_b32_e32 v144, v39, v38, vcc
	v_add_f32_e32 v37, 1.0, v144
	v_add_f32_e32 v38, -1.0, v37
	v_sub_f32_e32 v39, v38, v37
	v_add_f32_e32 v39, 1.0, v39
	v_sub_f32_e32 v38, v144, v38
	v_add_f32_e32 v48, v38, v39
	v_frexp_mant_f32_e32 v49, v37
	v_cvt_f64_f32_e32 v[38:39], v37
	v_frexp_exp_i32_f64_e32 v38, v[38:39]
	v_cmp_gt_f32_e32 vcc, s45, v49
	s_mov_b32 s45, 0x3f317218
	s_nop 0
	v_subbrev_co_u32_e32 v128, vcc, 0, v38, vcc
	v_sub_u32_e32 v38, 0, v128
	v_ldexp_f32 v37, v37, v38
	v_ldexp_f32 v38, v48, v38
	v_add_f32_e32 v48, -1.0, v37
	v_add_f32_e32 v39, 1.0, v48
	v_sub_f32_e32 v39, v37, v39
	v_add_f32_e32 v49, v38, v39
	v_add_f32_e32 v39, 1.0, v37
	v_add_f32_e32 v50, -1.0, v39
	v_sub_f32_e32 v37, v37, v50
	v_add_f32_e32 v37, v38, v37
	v_add_f32_e32 v129, v39, v37
	v_rcp_f32_e32 v130, v129
	v_sub_f32_e32 v38, v39, v129
	v_add_f32_e32 v39, v48, v49
	v_add_f32_e32 v37, v37, v38
	v_mul_f32_e32 v132, v39, v130
	v_sub_f32_e32 v38, v48, v39
	v_mul_f32_e32 v48, v129, v132
	v_fma_f32 v50, v132, v129, -v48
	v_fmac_f32_e32 v50, v132, v37
	v_add_f32_e32 v131, v49, v38
	v_add_f32_e32 v38, v48, v50
	v_sub_f32_e32 v49, v39, v38
	v_pk_add_f32 v[116:117], v[38:39], v[48:49] neg_lo:[0,1] neg_hi:[0,1]
	v_mov_b32_e32 v51, v38
	v_pk_add_f32 v[38:39], v[116:117], v[50:51] neg_lo:[0,1] neg_hi:[0,1]
	v_cmp_eq_f32_e32 vcc, s46, v144
	v_add_f32_e32 v39, v131, v39
	v_add_f32_e32 v38, v38, v39
	;; [unrolled: 1-line block ×3, first 2 shown]
	v_mul_f32_e32 v131, v130, v39
	v_mul_f32_e32 v48, v129, v131
	v_fma_f32 v50, v131, v129, -v48
	v_fmac_f32_e32 v50, v131, v37
	v_sub_f32_e32 v37, v49, v39
	v_add_f32_e32 v37, v38, v37
	v_add_f32_e32 v38, v48, v50
	v_sub_f32_e32 v49, v39, v38
	v_pk_add_f32 v[116:117], v[38:39], v[48:49] neg_lo:[0,1] neg_hi:[0,1]
	v_mov_b32_e32 v51, v38
	v_pk_add_f32 v[38:39], v[116:117], v[50:51] neg_lo:[0,1] neg_hi:[0,1]
	v_cvt_f32_i32_e32 v48, v128
	v_add_f32_e32 v37, v37, v39
	v_add_f32_e32 v37, v38, v37
	;; [unrolled: 1-line block ×4, first 2 shown]
	v_sub_f32_e32 v39, v38, v132
	v_mul_f32_e32 v37, v130, v37
	v_sub_f32_e32 v39, v131, v39
	v_add_f32_e32 v37, v39, v37
	v_add_f32_e32 v49, v38, v37
	v_mul_f32_e32 v50, v49, v49
	v_mov_b32_e32 v39, 0x3ecc95a3
	v_fmac_f32_e32 v39, 0x3e9b6dac, v50
	v_sub_f32_e32 v38, v49, v38
	v_fmaak_f32 v39, v50, v39, 0x3f2aaada
	v_sub_f32_e32 v37, v37, v38
	v_ldexp_f32 v51, v49, 1
	v_mul_f32_e32 v49, v49, v50
	v_mov_b32_e32 v38, 0x3f317218
	v_pk_mul_f32 v[38:39], v[48:49], v[38:39]
	v_ldexp_f32 v37, v37, 1
	v_fma_f32 v49, v48, s45, -v38
	v_fmamk_f32 v50, v48, 0xb102e308, v49
	v_pk_add_f32 v[48:49], v[38:39], v[50:51]
	v_mov_b32_e32 v116, v38
	v_sub_f32_e32 v51, v49, v51
	v_sub_f32_e32 v51, v39, v51
	v_add_f32_e32 v117, v37, v51
	v_pk_add_f32 v[38:39], v[48:49], v[38:39] neg_lo:[0,1] neg_hi:[0,1]
	v_pk_add_f32 v[128:129], v[48:49], v[116:117]
	v_mov_b32_e32 v51, v48
	v_mov_b32_e32 v39, v129
	v_pk_add_f32 v[130:131], v[50:51], v[38:39] neg_lo:[0,1] neg_hi:[0,1]
	v_pk_add_f32 v[38:39], v[50:51], v[38:39]
	v_mov_b32_e32 v116, v117
	v_mov_b32_e32 v50, v39
	v_pk_add_f32 v[132:133], v[50:51], v[48:49] neg_lo:[0,1] neg_hi:[0,1]
	v_mov_b32_e32 v38, v129
	v_mov_b32_e32 v37, v132
	v_pk_add_f32 v[134:135], v[128:129], v[36:37] neg_lo:[0,1] neg_hi:[0,1]
	v_mov_b32_e32 v128, v49
	v_mov_b32_e32 v129, v132
	;; [unrolled: 1-line block ×3, first 2 shown]
	v_pk_add_f32 v[38:39], v[38:39], v[128:129] neg_lo:[0,1] neg_hi:[0,1]
	v_mov_b32_e32 v117, v48
	v_pk_add_f32 v[38:39], v[116:117], v[38:39] neg_lo:[0,1] neg_hi:[0,1]
	v_mov_b32_e32 v134, v130
	v_pk_add_f32 v[48:49], v[134:135], v[38:39]
	s_mov_b32 s45, 0x33800000
	v_mov_b32_e32 v116, v49
	v_pk_add_f32 v[116:117], v[48:49], v[116:117]
	v_cmp_lt_f32_e64 s[46:47], |v144|, s45
	v_pk_add_f32 v[50:51], v[50:51], v[116:117]
	v_mov_b32_e32 v39, v116
	v_mov_b32_e32 v49, v50
	v_pk_add_f32 v[128:129], v[48:49], v[130:131] neg_lo:[0,1] neg_hi:[0,1]
	s_or_b64 vcc, vcc, s[46:47]
	v_sub_f32_e32 v37, v48, v128
	v_pk_add_f32 v[38:39], v[38:39], v[128:129] neg_lo:[0,1] neg_hi:[0,1]
	v_sub_f32_e32 v37, v130, v37
	v_add_f32_e32 v37, v38, v37
	v_add_f32_e32 v37, v37, v39
	;; [unrolled: 1-line block ×3, first 2 shown]
	v_cndmask_b32_e32 v37, v37, v144, vcc
	v_add_f32_e32 v37, v31, v37
.LBB519_89:
	s_or_b64 exec, exec, s[42:43]
	v_bfe_u32 v31, v37, 16, 1
	s_movk_i32 s46, 0x7fff
	v_add3_u32 v31, v37, v31, s46
	v_and_b32_e32 v38, 0xffff0000, v31
	v_mov_b32_e32 v31, 0x7fc00000
	v_cmp_o_f32_e32 vcc, v37, v37
	v_lshlrev_b32_sdwa v116, v30, v17 dst_sel:DWORD dst_unused:UNUSED_PAD src0_sel:DWORD src1_sel:WORD_0
	v_max_f32_e32 v130, v116, v116
	v_cndmask_b32_e32 v37, v31, v38, vcc
	v_max_f32_e32 v30, v37, v37
	v_min_f32_e32 v38, v30, v130
	v_cmp_u_f32_e32 vcc, v37, v37
	v_max_f32_e32 v30, v30, v130
	v_cmp_u_f32_e64 s[42:43], v116, v116
	v_cndmask_b32_e32 v38, v38, v37, vcc
	v_cndmask_b32_e32 v30, v30, v37, vcc
	v_cndmask_b32_e64 v38, v38, v116, s[42:43]
	v_cndmask_b32_e64 v30, v30, v116, s[42:43]
	v_cmp_neq_f32_e32 vcc, v38, v30
	v_cmp_class_f32_e64 s[44:45], v38, s44
	s_or_b64 vcc, vcc, s[44:45]
	s_and_saveexec_b64 s[44:45], vcc
	s_cbranch_execz .LBB519_91
; %bb.90:
	v_sub_f32_e32 v37, v38, v30
	s_mov_b32 s47, 0x3fb8aa3b
	v_mul_f32_e32 v38, 0x3fb8aa3b, v37
	v_fma_f32 v39, v37, s47, -v38
	v_rndne_f32_e32 v48, v38
	v_fmamk_f32 v39, v37, 0x32a5705f, v39
	v_sub_f32_e32 v38, v38, v48
	v_add_f32_e32 v38, v38, v39
	v_exp_f32_e32 v38, v38
	v_cvt_i32_f32_e32 v39, v48
	s_mov_b32 s47, 0xc2ce8ed0
	v_cmp_ngt_f32_e32 vcc, s47, v37
	s_mov_b32 s47, 0x42b17218
	v_ldexp_f32 v38, v38, v39
	v_cndmask_b32_e32 v38, 0, v38, vcc
	v_mov_b32_e32 v39, 0x7f800000
	v_cmp_nlt_f32_e32 vcc, s47, v37
	s_mov_b32 s47, 0x3f2aaaab
	s_mov_b32 s48, 0x7f800000
	v_cndmask_b32_e32 v117, v39, v38, vcc
	v_add_f32_e32 v37, 1.0, v117
	v_add_f32_e32 v38, -1.0, v37
	v_sub_f32_e32 v39, v38, v37
	v_add_f32_e32 v39, 1.0, v39
	v_sub_f32_e32 v38, v117, v38
	v_add_f32_e32 v48, v38, v39
	v_frexp_mant_f32_e32 v49, v37
	v_cvt_f64_f32_e32 v[38:39], v37
	v_frexp_exp_i32_f64_e32 v38, v[38:39]
	v_cmp_gt_f32_e32 vcc, s47, v49
	s_mov_b32 s47, 0x3f317218
	s_nop 0
	v_subbrev_co_u32_e32 v131, vcc, 0, v38, vcc
	v_sub_u32_e32 v38, 0, v131
	v_ldexp_f32 v37, v37, v38
	v_ldexp_f32 v38, v48, v38
	v_add_f32_e32 v48, -1.0, v37
	v_add_f32_e32 v39, 1.0, v48
	v_sub_f32_e32 v39, v37, v39
	v_add_f32_e32 v49, v38, v39
	v_add_f32_e32 v39, 1.0, v37
	v_add_f32_e32 v50, -1.0, v39
	v_sub_f32_e32 v37, v37, v50
	v_add_f32_e32 v37, v38, v37
	v_add_f32_e32 v132, v39, v37
	v_rcp_f32_e32 v133, v132
	v_sub_f32_e32 v38, v39, v132
	v_add_f32_e32 v39, v48, v49
	v_add_f32_e32 v37, v37, v38
	v_mul_f32_e32 v135, v39, v133
	v_sub_f32_e32 v38, v48, v39
	v_mul_f32_e32 v48, v132, v135
	v_fma_f32 v50, v135, v132, -v48
	v_fmac_f32_e32 v50, v135, v37
	v_add_f32_e32 v134, v49, v38
	v_add_f32_e32 v38, v48, v50
	v_sub_f32_e32 v49, v39, v38
	v_pk_add_f32 v[128:129], v[38:39], v[48:49] neg_lo:[0,1] neg_hi:[0,1]
	v_mov_b32_e32 v51, v38
	v_pk_add_f32 v[38:39], v[128:129], v[50:51] neg_lo:[0,1] neg_hi:[0,1]
	v_cmp_eq_f32_e32 vcc, s48, v117
	v_add_f32_e32 v39, v134, v39
	v_add_f32_e32 v38, v38, v39
	;; [unrolled: 1-line block ×3, first 2 shown]
	v_mul_f32_e32 v134, v133, v39
	v_mul_f32_e32 v48, v132, v134
	v_fma_f32 v50, v134, v132, -v48
	v_fmac_f32_e32 v50, v134, v37
	v_sub_f32_e32 v37, v49, v39
	v_add_f32_e32 v37, v38, v37
	v_add_f32_e32 v38, v48, v50
	v_sub_f32_e32 v49, v39, v38
	v_pk_add_f32 v[128:129], v[38:39], v[48:49] neg_lo:[0,1] neg_hi:[0,1]
	v_mov_b32_e32 v51, v38
	v_pk_add_f32 v[38:39], v[128:129], v[50:51] neg_lo:[0,1] neg_hi:[0,1]
	v_cvt_f32_i32_e32 v48, v131
	v_add_f32_e32 v37, v37, v39
	v_add_f32_e32 v37, v38, v37
	;; [unrolled: 1-line block ×4, first 2 shown]
	v_sub_f32_e32 v39, v38, v135
	v_mul_f32_e32 v37, v133, v37
	v_sub_f32_e32 v39, v134, v39
	v_add_f32_e32 v37, v39, v37
	v_add_f32_e32 v49, v38, v37
	v_mul_f32_e32 v50, v49, v49
	v_mov_b32_e32 v39, 0x3ecc95a3
	v_fmac_f32_e32 v39, 0x3e9b6dac, v50
	v_sub_f32_e32 v38, v49, v38
	v_fmaak_f32 v39, v50, v39, 0x3f2aaada
	v_sub_f32_e32 v37, v37, v38
	v_ldexp_f32 v51, v49, 1
	v_mul_f32_e32 v49, v49, v50
	v_mov_b32_e32 v38, 0x3f317218
	v_pk_mul_f32 v[38:39], v[48:49], v[38:39]
	v_ldexp_f32 v37, v37, 1
	v_fma_f32 v49, v48, s47, -v38
	v_fmamk_f32 v50, v48, 0xb102e308, v49
	v_pk_add_f32 v[48:49], v[38:39], v[50:51]
	v_mov_b32_e32 v128, v38
	v_sub_f32_e32 v51, v49, v51
	v_sub_f32_e32 v51, v39, v51
	v_add_f32_e32 v129, v37, v51
	v_pk_add_f32 v[38:39], v[48:49], v[38:39] neg_lo:[0,1] neg_hi:[0,1]
	v_pk_add_f32 v[132:133], v[48:49], v[128:129]
	v_mov_b32_e32 v51, v48
	v_mov_b32_e32 v39, v133
	v_pk_add_f32 v[134:135], v[50:51], v[38:39] neg_lo:[0,1] neg_hi:[0,1]
	v_pk_add_f32 v[38:39], v[50:51], v[38:39]
	v_mov_b32_e32 v128, v129
	v_mov_b32_e32 v50, v39
	v_pk_add_f32 v[144:145], v[50:51], v[48:49] neg_lo:[0,1] neg_hi:[0,1]
	v_mov_b32_e32 v38, v133
	v_mov_b32_e32 v37, v144
	v_pk_add_f32 v[148:149], v[132:133], v[36:37] neg_lo:[0,1] neg_hi:[0,1]
	v_mov_b32_e32 v132, v49
	v_mov_b32_e32 v133, v144
	;; [unrolled: 1-line block ×3, first 2 shown]
	v_pk_add_f32 v[38:39], v[38:39], v[132:133] neg_lo:[0,1] neg_hi:[0,1]
	v_mov_b32_e32 v129, v48
	v_pk_add_f32 v[38:39], v[128:129], v[38:39] neg_lo:[0,1] neg_hi:[0,1]
	v_mov_b32_e32 v148, v134
	v_pk_add_f32 v[48:49], v[148:149], v[38:39]
	s_mov_b32 s47, 0x33800000
	v_mov_b32_e32 v128, v49
	v_pk_add_f32 v[128:129], v[48:49], v[128:129]
	v_cmp_lt_f32_e64 s[48:49], |v117|, s47
	v_pk_add_f32 v[50:51], v[50:51], v[128:129]
	v_mov_b32_e32 v39, v128
	v_mov_b32_e32 v49, v50
	v_pk_add_f32 v[132:133], v[48:49], v[134:135] neg_lo:[0,1] neg_hi:[0,1]
	s_or_b64 vcc, vcc, s[48:49]
	v_sub_f32_e32 v37, v48, v132
	v_pk_add_f32 v[38:39], v[38:39], v[132:133] neg_lo:[0,1] neg_hi:[0,1]
	v_sub_f32_e32 v37, v134, v37
	v_add_f32_e32 v37, v38, v37
	v_add_f32_e32 v37, v37, v39
	v_add_f32_e32 v37, v50, v37
	v_cndmask_b32_e32 v37, v37, v117, vcc
	v_add_f32_e32 v37, v30, v37
.LBB519_91:
	s_or_b64 exec, exec, s[44:45]
	v_bfe_u32 v30, v37, 16, 1
	v_add3_u32 v30, v37, v30, s46
	v_and_b32_e32 v30, 0xffff0000, v30
	v_cmp_o_f32_e32 vcc, v37, v37
	s_movk_i32 s48, 0x1f8
	s_nop 0
	v_cndmask_b32_e32 v37, v31, v30, vcc
	v_mov_b32_e32 v30, 16
	v_lshlrev_b32_sdwa v117, v30, v17 dst_sel:DWORD dst_unused:UNUSED_PAD src0_sel:DWORD src1_sel:WORD_1
	v_max_f32_e32 v31, v37, v37
	v_max_f32_e32 v131, v117, v117
	v_min_f32_e32 v38, v31, v131
	v_cmp_u_f32_e32 vcc, v37, v37
	v_max_f32_e32 v31, v31, v131
	v_cmp_u_f32_e64 s[44:45], v117, v117
	v_cndmask_b32_e32 v38, v38, v37, vcc
	v_cndmask_b32_e32 v31, v31, v37, vcc
	v_cndmask_b32_e64 v38, v38, v117, s[44:45]
	v_cndmask_b32_e64 v31, v31, v117, s[44:45]
	v_cmp_neq_f32_e32 vcc, v38, v31
	v_cmp_class_f32_e64 s[46:47], v38, s48
	s_or_b64 vcc, vcc, s[46:47]
	s_and_saveexec_b64 s[46:47], vcc
	s_cbranch_execz .LBB519_93
; %bb.92:
	v_sub_f32_e32 v37, v38, v31
	s_mov_b32 s49, 0x3fb8aa3b
	v_mul_f32_e32 v38, 0x3fb8aa3b, v37
	v_fma_f32 v39, v37, s49, -v38
	v_rndne_f32_e32 v48, v38
	v_fmamk_f32 v39, v37, 0x32a5705f, v39
	v_sub_f32_e32 v38, v38, v48
	v_add_f32_e32 v38, v38, v39
	v_exp_f32_e32 v38, v38
	v_cvt_i32_f32_e32 v39, v48
	s_mov_b32 s49, 0xc2ce8ed0
	v_cmp_ngt_f32_e32 vcc, s49, v37
	s_mov_b32 s49, 0x42b17218
	v_ldexp_f32 v38, v38, v39
	v_cndmask_b32_e32 v38, 0, v38, vcc
	v_mov_b32_e32 v39, 0x7f800000
	v_cmp_nlt_f32_e32 vcc, s49, v37
	s_mov_b32 s49, 0x3f2aaaab
	s_mov_b32 s50, 0x7f800000
	v_cndmask_b32_e32 v150, v39, v38, vcc
	v_add_f32_e32 v37, 1.0, v150
	v_add_f32_e32 v38, -1.0, v37
	v_sub_f32_e32 v39, v38, v37
	v_add_f32_e32 v39, 1.0, v39
	v_sub_f32_e32 v38, v150, v38
	v_add_f32_e32 v48, v38, v39
	v_frexp_mant_f32_e32 v49, v37
	v_cvt_f64_f32_e32 v[38:39], v37
	v_frexp_exp_i32_f64_e32 v38, v[38:39]
	v_cmp_gt_f32_e32 vcc, s49, v49
	s_mov_b32 s49, 0x3f317218
	s_nop 0
	v_subbrev_co_u32_e32 v132, vcc, 0, v38, vcc
	v_sub_u32_e32 v38, 0, v132
	v_ldexp_f32 v37, v37, v38
	v_ldexp_f32 v38, v48, v38
	v_add_f32_e32 v48, -1.0, v37
	v_add_f32_e32 v39, 1.0, v48
	v_sub_f32_e32 v39, v37, v39
	v_add_f32_e32 v49, v38, v39
	v_add_f32_e32 v39, 1.0, v37
	v_add_f32_e32 v50, -1.0, v39
	v_sub_f32_e32 v37, v37, v50
	v_add_f32_e32 v37, v38, v37
	v_add_f32_e32 v133, v39, v37
	v_rcp_f32_e32 v134, v133
	v_sub_f32_e32 v38, v39, v133
	v_add_f32_e32 v39, v48, v49
	v_add_f32_e32 v37, v37, v38
	v_mul_f32_e32 v144, v39, v134
	v_sub_f32_e32 v38, v48, v39
	v_mul_f32_e32 v48, v133, v144
	v_fma_f32 v50, v144, v133, -v48
	v_fmac_f32_e32 v50, v144, v37
	v_add_f32_e32 v135, v49, v38
	v_add_f32_e32 v38, v48, v50
	v_sub_f32_e32 v49, v39, v38
	v_pk_add_f32 v[128:129], v[38:39], v[48:49] neg_lo:[0,1] neg_hi:[0,1]
	v_mov_b32_e32 v51, v38
	v_pk_add_f32 v[38:39], v[128:129], v[50:51] neg_lo:[0,1] neg_hi:[0,1]
	v_cmp_eq_f32_e32 vcc, s50, v150
	v_add_f32_e32 v39, v135, v39
	v_add_f32_e32 v38, v38, v39
	v_add_f32_e32 v39, v49, v38
	v_mul_f32_e32 v135, v134, v39
	v_mul_f32_e32 v48, v133, v135
	v_fma_f32 v50, v135, v133, -v48
	v_fmac_f32_e32 v50, v135, v37
	v_sub_f32_e32 v37, v49, v39
	v_add_f32_e32 v37, v38, v37
	v_add_f32_e32 v38, v48, v50
	v_sub_f32_e32 v49, v39, v38
	v_pk_add_f32 v[128:129], v[38:39], v[48:49] neg_lo:[0,1] neg_hi:[0,1]
	v_mov_b32_e32 v51, v38
	v_pk_add_f32 v[38:39], v[128:129], v[50:51] neg_lo:[0,1] neg_hi:[0,1]
	v_cvt_f32_i32_e32 v48, v132
	v_add_f32_e32 v37, v37, v39
	v_add_f32_e32 v37, v38, v37
	;; [unrolled: 1-line block ×4, first 2 shown]
	v_sub_f32_e32 v39, v38, v144
	v_mul_f32_e32 v37, v134, v37
	v_sub_f32_e32 v39, v135, v39
	v_add_f32_e32 v37, v39, v37
	v_add_f32_e32 v49, v38, v37
	v_mul_f32_e32 v50, v49, v49
	v_mov_b32_e32 v39, 0x3ecc95a3
	v_fmac_f32_e32 v39, 0x3e9b6dac, v50
	v_sub_f32_e32 v38, v49, v38
	v_fmaak_f32 v39, v50, v39, 0x3f2aaada
	v_sub_f32_e32 v37, v37, v38
	v_ldexp_f32 v51, v49, 1
	v_mul_f32_e32 v49, v49, v50
	v_mov_b32_e32 v38, 0x3f317218
	v_pk_mul_f32 v[38:39], v[48:49], v[38:39]
	v_ldexp_f32 v37, v37, 1
	v_fma_f32 v49, v48, s49, -v38
	v_fmamk_f32 v50, v48, 0xb102e308, v49
	v_pk_add_f32 v[48:49], v[38:39], v[50:51]
	v_mov_b32_e32 v128, v38
	v_sub_f32_e32 v51, v49, v51
	v_sub_f32_e32 v51, v39, v51
	v_add_f32_e32 v129, v37, v51
	v_pk_add_f32 v[38:39], v[48:49], v[38:39] neg_lo:[0,1] neg_hi:[0,1]
	v_pk_add_f32 v[132:133], v[48:49], v[128:129]
	v_mov_b32_e32 v51, v48
	v_mov_b32_e32 v39, v133
	v_pk_add_f32 v[134:135], v[50:51], v[38:39] neg_lo:[0,1] neg_hi:[0,1]
	v_pk_add_f32 v[38:39], v[50:51], v[38:39]
	v_mov_b32_e32 v128, v129
	v_mov_b32_e32 v50, v39
	v_pk_add_f32 v[144:145], v[50:51], v[48:49] neg_lo:[0,1] neg_hi:[0,1]
	v_mov_b32_e32 v38, v133
	v_mov_b32_e32 v37, v144
	v_pk_add_f32 v[148:149], v[132:133], v[36:37] neg_lo:[0,1] neg_hi:[0,1]
	v_mov_b32_e32 v132, v49
	v_mov_b32_e32 v133, v144
	;; [unrolled: 1-line block ×3, first 2 shown]
	v_pk_add_f32 v[38:39], v[38:39], v[132:133] neg_lo:[0,1] neg_hi:[0,1]
	v_mov_b32_e32 v129, v48
	v_pk_add_f32 v[38:39], v[128:129], v[38:39] neg_lo:[0,1] neg_hi:[0,1]
	v_mov_b32_e32 v148, v134
	v_pk_add_f32 v[48:49], v[148:149], v[38:39]
	s_mov_b32 s49, 0x33800000
	v_mov_b32_e32 v128, v49
	v_pk_add_f32 v[128:129], v[48:49], v[128:129]
	v_cmp_lt_f32_e64 s[50:51], |v150|, s49
	v_pk_add_f32 v[50:51], v[50:51], v[128:129]
	v_mov_b32_e32 v39, v128
	v_mov_b32_e32 v49, v50
	v_pk_add_f32 v[132:133], v[48:49], v[134:135] neg_lo:[0,1] neg_hi:[0,1]
	s_or_b64 vcc, vcc, s[50:51]
	v_sub_f32_e32 v37, v48, v132
	v_pk_add_f32 v[38:39], v[38:39], v[132:133] neg_lo:[0,1] neg_hi:[0,1]
	v_sub_f32_e32 v37, v134, v37
	v_add_f32_e32 v37, v38, v37
	v_add_f32_e32 v37, v37, v39
	;; [unrolled: 1-line block ×3, first 2 shown]
	v_cndmask_b32_e32 v37, v37, v150, vcc
	v_add_f32_e32 v37, v31, v37
.LBB519_93:
	s_or_b64 exec, exec, s[46:47]
	v_bfe_u32 v31, v37, 16, 1
	s_movk_i32 s50, 0x7fff
	v_add3_u32 v31, v37, v31, s50
	v_and_b32_e32 v38, 0xffff0000, v31
	v_mov_b32_e32 v31, 0x7fc00000
	v_cmp_o_f32_e32 vcc, v37, v37
	v_lshlrev_b32_sdwa v128, v30, v18 dst_sel:DWORD dst_unused:UNUSED_PAD src0_sel:DWORD src1_sel:WORD_0
	v_max_f32_e32 v134, v128, v128
	v_cndmask_b32_e32 v37, v31, v38, vcc
	v_max_f32_e32 v30, v37, v37
	v_min_f32_e32 v38, v30, v134
	v_cmp_u_f32_e32 vcc, v37, v37
	v_max_f32_e32 v30, v30, v134
	v_cmp_u_f32_e64 s[46:47], v128, v128
	v_cndmask_b32_e32 v38, v38, v37, vcc
	v_cndmask_b32_e32 v30, v30, v37, vcc
	v_cndmask_b32_e64 v38, v38, v128, s[46:47]
	v_cndmask_b32_e64 v30, v30, v128, s[46:47]
	v_cmp_neq_f32_e32 vcc, v38, v30
	v_cmp_class_f32_e64 s[48:49], v38, s48
	s_or_b64 vcc, vcc, s[48:49]
	s_and_saveexec_b64 s[48:49], vcc
	s_cbranch_execz .LBB519_95
; %bb.94:
	v_sub_f32_e32 v37, v38, v30
	s_mov_b32 s51, 0x3fb8aa3b
	v_mul_f32_e32 v38, 0x3fb8aa3b, v37
	v_fma_f32 v39, v37, s51, -v38
	v_rndne_f32_e32 v48, v38
	v_fmamk_f32 v39, v37, 0x32a5705f, v39
	v_sub_f32_e32 v38, v38, v48
	v_add_f32_e32 v38, v38, v39
	v_exp_f32_e32 v38, v38
	v_cvt_i32_f32_e32 v39, v48
	s_mov_b32 s51, 0xc2ce8ed0
	v_cmp_ngt_f32_e32 vcc, s51, v37
	s_mov_b32 s51, 0x42b17218
	v_ldexp_f32 v38, v38, v39
	v_cndmask_b32_e32 v38, 0, v38, vcc
	v_mov_b32_e32 v39, 0x7f800000
	v_cmp_nlt_f32_e32 vcc, s51, v37
	s_mov_b32 s51, 0x3f2aaaab
	s_mov_b32 s52, 0x7f800000
	v_cndmask_b32_e32 v129, v39, v38, vcc
	v_add_f32_e32 v37, 1.0, v129
	v_add_f32_e32 v38, -1.0, v37
	v_sub_f32_e32 v39, v38, v37
	v_add_f32_e32 v39, 1.0, v39
	v_sub_f32_e32 v38, v129, v38
	v_add_f32_e32 v48, v38, v39
	v_frexp_mant_f32_e32 v49, v37
	v_cvt_f64_f32_e32 v[38:39], v37
	v_frexp_exp_i32_f64_e32 v38, v[38:39]
	v_cmp_gt_f32_e32 vcc, s51, v49
	s_mov_b32 s51, 0x3f317218
	s_nop 0
	v_subbrev_co_u32_e32 v135, vcc, 0, v38, vcc
	v_sub_u32_e32 v38, 0, v135
	v_ldexp_f32 v37, v37, v38
	v_ldexp_f32 v38, v48, v38
	v_add_f32_e32 v48, -1.0, v37
	v_add_f32_e32 v39, 1.0, v48
	v_sub_f32_e32 v39, v37, v39
	v_add_f32_e32 v49, v38, v39
	v_add_f32_e32 v39, 1.0, v37
	v_add_f32_e32 v50, -1.0, v39
	v_sub_f32_e32 v37, v37, v50
	v_add_f32_e32 v37, v38, v37
	v_add_f32_e32 v144, v39, v37
	v_rcp_f32_e32 v145, v144
	v_sub_f32_e32 v38, v39, v144
	v_add_f32_e32 v39, v48, v49
	v_add_f32_e32 v37, v37, v38
	v_mul_f32_e32 v149, v39, v145
	v_sub_f32_e32 v38, v48, v39
	v_mul_f32_e32 v48, v144, v149
	v_fma_f32 v50, v149, v144, -v48
	v_fmac_f32_e32 v50, v149, v37
	v_add_f32_e32 v148, v49, v38
	v_add_f32_e32 v38, v48, v50
	v_sub_f32_e32 v49, v39, v38
	v_pk_add_f32 v[132:133], v[38:39], v[48:49] neg_lo:[0,1] neg_hi:[0,1]
	v_mov_b32_e32 v51, v38
	v_pk_add_f32 v[38:39], v[132:133], v[50:51] neg_lo:[0,1] neg_hi:[0,1]
	v_cmp_eq_f32_e32 vcc, s52, v129
	v_add_f32_e32 v39, v148, v39
	v_add_f32_e32 v38, v38, v39
	;; [unrolled: 1-line block ×3, first 2 shown]
	v_mul_f32_e32 v148, v145, v39
	v_mul_f32_e32 v48, v144, v148
	v_fma_f32 v50, v148, v144, -v48
	v_fmac_f32_e32 v50, v148, v37
	v_sub_f32_e32 v37, v49, v39
	v_add_f32_e32 v37, v38, v37
	v_add_f32_e32 v38, v48, v50
	v_sub_f32_e32 v49, v39, v38
	v_pk_add_f32 v[132:133], v[38:39], v[48:49] neg_lo:[0,1] neg_hi:[0,1]
	v_mov_b32_e32 v51, v38
	v_pk_add_f32 v[38:39], v[132:133], v[50:51] neg_lo:[0,1] neg_hi:[0,1]
	v_cvt_f32_i32_e32 v48, v135
	v_add_f32_e32 v37, v37, v39
	v_add_f32_e32 v37, v38, v37
	;; [unrolled: 1-line block ×4, first 2 shown]
	v_sub_f32_e32 v39, v38, v149
	v_mul_f32_e32 v37, v145, v37
	v_sub_f32_e32 v39, v148, v39
	v_add_f32_e32 v37, v39, v37
	v_add_f32_e32 v49, v38, v37
	v_mul_f32_e32 v50, v49, v49
	v_mov_b32_e32 v39, 0x3ecc95a3
	v_fmac_f32_e32 v39, 0x3e9b6dac, v50
	v_sub_f32_e32 v38, v49, v38
	v_fmaak_f32 v39, v50, v39, 0x3f2aaada
	v_sub_f32_e32 v37, v37, v38
	v_ldexp_f32 v51, v49, 1
	v_mul_f32_e32 v49, v49, v50
	v_mov_b32_e32 v38, 0x3f317218
	v_pk_mul_f32 v[38:39], v[48:49], v[38:39]
	v_ldexp_f32 v37, v37, 1
	v_fma_f32 v49, v48, s51, -v38
	v_fmamk_f32 v50, v48, 0xb102e308, v49
	v_pk_add_f32 v[48:49], v[38:39], v[50:51]
	v_mov_b32_e32 v132, v38
	v_sub_f32_e32 v51, v49, v51
	v_sub_f32_e32 v51, v39, v51
	v_add_f32_e32 v133, v37, v51
	v_pk_add_f32 v[38:39], v[48:49], v[38:39] neg_lo:[0,1] neg_hi:[0,1]
	v_pk_add_f32 v[144:145], v[48:49], v[132:133]
	v_mov_b32_e32 v51, v48
	v_mov_b32_e32 v39, v145
	v_pk_add_f32 v[148:149], v[50:51], v[38:39] neg_lo:[0,1] neg_hi:[0,1]
	v_pk_add_f32 v[38:39], v[50:51], v[38:39]
	v_mov_b32_e32 v132, v133
	v_mov_b32_e32 v50, v39
	v_pk_add_f32 v[150:151], v[50:51], v[48:49] neg_lo:[0,1] neg_hi:[0,1]
	v_mov_b32_e32 v38, v145
	v_mov_b32_e32 v37, v150
	v_pk_add_f32 v[160:161], v[144:145], v[36:37] neg_lo:[0,1] neg_hi:[0,1]
	v_mov_b32_e32 v144, v49
	v_mov_b32_e32 v145, v150
	;; [unrolled: 1-line block ×3, first 2 shown]
	v_pk_add_f32 v[38:39], v[38:39], v[144:145] neg_lo:[0,1] neg_hi:[0,1]
	v_mov_b32_e32 v133, v48
	v_pk_add_f32 v[38:39], v[132:133], v[38:39] neg_lo:[0,1] neg_hi:[0,1]
	v_mov_b32_e32 v160, v148
	v_pk_add_f32 v[48:49], v[160:161], v[38:39]
	s_mov_b32 s51, 0x33800000
	v_mov_b32_e32 v132, v49
	v_pk_add_f32 v[132:133], v[48:49], v[132:133]
	v_cmp_lt_f32_e64 s[52:53], |v129|, s51
	v_pk_add_f32 v[50:51], v[50:51], v[132:133]
	v_mov_b32_e32 v39, v132
	v_mov_b32_e32 v49, v50
	v_pk_add_f32 v[144:145], v[48:49], v[148:149] neg_lo:[0,1] neg_hi:[0,1]
	s_or_b64 vcc, vcc, s[52:53]
	v_sub_f32_e32 v37, v48, v144
	v_pk_add_f32 v[38:39], v[38:39], v[144:145] neg_lo:[0,1] neg_hi:[0,1]
	v_sub_f32_e32 v37, v148, v37
	v_add_f32_e32 v37, v38, v37
	v_add_f32_e32 v37, v37, v39
	v_add_f32_e32 v37, v50, v37
	v_cndmask_b32_e32 v37, v37, v129, vcc
	v_add_f32_e32 v37, v30, v37
.LBB519_95:
	s_or_b64 exec, exec, s[48:49]
	v_bfe_u32 v30, v37, 16, 1
	v_add3_u32 v30, v37, v30, s50
	v_and_b32_e32 v30, 0xffff0000, v30
	v_cmp_o_f32_e32 vcc, v37, v37
	s_movk_i32 s52, 0x1f8
	s_nop 0
	v_cndmask_b32_e32 v37, v31, v30, vcc
	v_mov_b32_e32 v30, 16
	v_lshlrev_b32_sdwa v129, v30, v18 dst_sel:DWORD dst_unused:UNUSED_PAD src0_sel:DWORD src1_sel:WORD_1
	v_max_f32_e32 v31, v37, v37
	v_max_f32_e32 v135, v129, v129
	v_min_f32_e32 v38, v31, v135
	v_cmp_u_f32_e32 vcc, v37, v37
	v_max_f32_e32 v31, v31, v135
	v_cmp_u_f32_e64 s[48:49], v129, v129
	v_cndmask_b32_e32 v38, v38, v37, vcc
	v_cndmask_b32_e32 v31, v31, v37, vcc
	v_cndmask_b32_e64 v38, v38, v129, s[48:49]
	v_cndmask_b32_e64 v31, v31, v129, s[48:49]
	v_cmp_neq_f32_e32 vcc, v38, v31
	v_cmp_class_f32_e64 s[50:51], v38, s52
	s_or_b64 vcc, vcc, s[50:51]
	s_and_saveexec_b64 s[50:51], vcc
	s_cbranch_execz .LBB519_97
; %bb.96:
	v_sub_f32_e32 v37, v38, v31
	s_mov_b32 s53, 0x3fb8aa3b
	v_mul_f32_e32 v38, 0x3fb8aa3b, v37
	v_fma_f32 v39, v37, s53, -v38
	v_rndne_f32_e32 v48, v38
	v_fmamk_f32 v39, v37, 0x32a5705f, v39
	v_sub_f32_e32 v38, v38, v48
	v_add_f32_e32 v38, v38, v39
	v_exp_f32_e32 v38, v38
	v_cvt_i32_f32_e32 v39, v48
	s_mov_b32 s53, 0xc2ce8ed0
	v_cmp_ngt_f32_e32 vcc, s53, v37
	s_mov_b32 s53, 0x42b17218
	v_ldexp_f32 v38, v38, v39
	v_cndmask_b32_e32 v38, 0, v38, vcc
	v_mov_b32_e32 v39, 0x7f800000
	v_cmp_nlt_f32_e32 vcc, s53, v37
	s_mov_b32 s53, 0x3f2aaaab
	s_mov_b32 s56, 0x7f800000
	v_cndmask_b32_e32 v162, v39, v38, vcc
	v_add_f32_e32 v37, 1.0, v162
	v_add_f32_e32 v38, -1.0, v37
	v_sub_f32_e32 v39, v38, v37
	v_add_f32_e32 v39, 1.0, v39
	v_sub_f32_e32 v38, v162, v38
	v_add_f32_e32 v48, v38, v39
	v_frexp_mant_f32_e32 v49, v37
	v_cvt_f64_f32_e32 v[38:39], v37
	v_frexp_exp_i32_f64_e32 v38, v[38:39]
	v_cmp_gt_f32_e32 vcc, s53, v49
	s_mov_b32 s53, 0x3f317218
	s_nop 0
	v_subbrev_co_u32_e32 v144, vcc, 0, v38, vcc
	v_sub_u32_e32 v38, 0, v144
	v_ldexp_f32 v37, v37, v38
	v_ldexp_f32 v38, v48, v38
	v_add_f32_e32 v48, -1.0, v37
	v_add_f32_e32 v39, 1.0, v48
	v_sub_f32_e32 v39, v37, v39
	v_add_f32_e32 v49, v38, v39
	v_add_f32_e32 v39, 1.0, v37
	v_add_f32_e32 v50, -1.0, v39
	v_sub_f32_e32 v37, v37, v50
	v_add_f32_e32 v37, v38, v37
	v_add_f32_e32 v145, v39, v37
	v_rcp_f32_e32 v148, v145
	v_sub_f32_e32 v38, v39, v145
	v_add_f32_e32 v39, v48, v49
	v_add_f32_e32 v37, v37, v38
	v_mul_f32_e32 v150, v39, v148
	v_sub_f32_e32 v38, v48, v39
	v_mul_f32_e32 v48, v145, v150
	v_fma_f32 v50, v150, v145, -v48
	v_fmac_f32_e32 v50, v150, v37
	v_add_f32_e32 v149, v49, v38
	v_add_f32_e32 v38, v48, v50
	v_sub_f32_e32 v49, v39, v38
	v_pk_add_f32 v[132:133], v[38:39], v[48:49] neg_lo:[0,1] neg_hi:[0,1]
	v_mov_b32_e32 v51, v38
	v_pk_add_f32 v[38:39], v[132:133], v[50:51] neg_lo:[0,1] neg_hi:[0,1]
	v_cmp_eq_f32_e32 vcc, s56, v162
	v_add_f32_e32 v39, v149, v39
	v_add_f32_e32 v38, v38, v39
	;; [unrolled: 1-line block ×3, first 2 shown]
	v_mul_f32_e32 v149, v148, v39
	v_mul_f32_e32 v48, v145, v149
	v_fma_f32 v50, v149, v145, -v48
	v_fmac_f32_e32 v50, v149, v37
	v_sub_f32_e32 v37, v49, v39
	v_add_f32_e32 v37, v38, v37
	v_add_f32_e32 v38, v48, v50
	v_sub_f32_e32 v49, v39, v38
	v_pk_add_f32 v[132:133], v[38:39], v[48:49] neg_lo:[0,1] neg_hi:[0,1]
	v_mov_b32_e32 v51, v38
	v_pk_add_f32 v[38:39], v[132:133], v[50:51] neg_lo:[0,1] neg_hi:[0,1]
	v_cvt_f32_i32_e32 v48, v144
	v_add_f32_e32 v37, v37, v39
	v_add_f32_e32 v37, v38, v37
	v_add_f32_e32 v38, v150, v149
	v_add_f32_e32 v37, v49, v37
	v_sub_f32_e32 v39, v38, v150
	v_mul_f32_e32 v37, v148, v37
	v_sub_f32_e32 v39, v149, v39
	v_add_f32_e32 v37, v39, v37
	v_add_f32_e32 v49, v38, v37
	v_mul_f32_e32 v50, v49, v49
	v_mov_b32_e32 v39, 0x3ecc95a3
	v_fmac_f32_e32 v39, 0x3e9b6dac, v50
	v_sub_f32_e32 v38, v49, v38
	v_fmaak_f32 v39, v50, v39, 0x3f2aaada
	v_sub_f32_e32 v37, v37, v38
	v_ldexp_f32 v51, v49, 1
	v_mul_f32_e32 v49, v49, v50
	v_mov_b32_e32 v38, 0x3f317218
	v_pk_mul_f32 v[38:39], v[48:49], v[38:39]
	v_ldexp_f32 v37, v37, 1
	v_fma_f32 v49, v48, s53, -v38
	v_fmamk_f32 v50, v48, 0xb102e308, v49
	v_pk_add_f32 v[48:49], v[38:39], v[50:51]
	v_mov_b32_e32 v132, v38
	v_sub_f32_e32 v51, v49, v51
	v_sub_f32_e32 v51, v39, v51
	v_add_f32_e32 v133, v37, v51
	v_pk_add_f32 v[38:39], v[48:49], v[38:39] neg_lo:[0,1] neg_hi:[0,1]
	v_pk_add_f32 v[144:145], v[48:49], v[132:133]
	v_mov_b32_e32 v51, v48
	v_mov_b32_e32 v39, v145
	v_pk_add_f32 v[148:149], v[50:51], v[38:39] neg_lo:[0,1] neg_hi:[0,1]
	v_pk_add_f32 v[38:39], v[50:51], v[38:39]
	v_mov_b32_e32 v132, v133
	v_mov_b32_e32 v50, v39
	v_pk_add_f32 v[150:151], v[50:51], v[48:49] neg_lo:[0,1] neg_hi:[0,1]
	v_mov_b32_e32 v38, v145
	v_mov_b32_e32 v37, v150
	v_pk_add_f32 v[160:161], v[144:145], v[36:37] neg_lo:[0,1] neg_hi:[0,1]
	v_mov_b32_e32 v144, v49
	v_mov_b32_e32 v145, v150
	;; [unrolled: 1-line block ×3, first 2 shown]
	v_pk_add_f32 v[38:39], v[38:39], v[144:145] neg_lo:[0,1] neg_hi:[0,1]
	v_mov_b32_e32 v133, v48
	v_pk_add_f32 v[38:39], v[132:133], v[38:39] neg_lo:[0,1] neg_hi:[0,1]
	v_mov_b32_e32 v160, v148
	v_pk_add_f32 v[48:49], v[160:161], v[38:39]
	s_mov_b32 s53, 0x33800000
	v_mov_b32_e32 v132, v49
	v_pk_add_f32 v[132:133], v[48:49], v[132:133]
	v_cmp_lt_f32_e64 s[56:57], |v162|, s53
	v_pk_add_f32 v[50:51], v[50:51], v[132:133]
	v_mov_b32_e32 v39, v132
	v_mov_b32_e32 v49, v50
	v_pk_add_f32 v[144:145], v[48:49], v[148:149] neg_lo:[0,1] neg_hi:[0,1]
	s_or_b64 vcc, vcc, s[56:57]
	v_sub_f32_e32 v37, v48, v144
	v_pk_add_f32 v[38:39], v[38:39], v[144:145] neg_lo:[0,1] neg_hi:[0,1]
	v_sub_f32_e32 v37, v148, v37
	v_add_f32_e32 v37, v38, v37
	v_add_f32_e32 v37, v37, v39
	;; [unrolled: 1-line block ×3, first 2 shown]
	v_cndmask_b32_e32 v37, v37, v162, vcc
	v_add_f32_e32 v37, v31, v37
.LBB519_97:
	s_or_b64 exec, exec, s[50:51]
	v_bfe_u32 v31, v37, 16, 1
	s_movk_i32 s56, 0x7fff
	v_add3_u32 v31, v37, v31, s56
	v_and_b32_e32 v38, 0xffff0000, v31
	v_mov_b32_e32 v31, 0x7fc00000
	v_cmp_o_f32_e32 vcc, v37, v37
	v_lshlrev_b32_sdwa v132, v30, v19 dst_sel:DWORD dst_unused:UNUSED_PAD src0_sel:DWORD src1_sel:WORD_0
	v_max_f32_e32 v144, v132, v132
	v_cndmask_b32_e32 v37, v31, v38, vcc
	v_max_f32_e32 v30, v37, v37
	v_min_f32_e32 v38, v30, v144
	v_cmp_u_f32_e32 vcc, v37, v37
	v_max_f32_e32 v30, v30, v144
	v_cmp_u_f32_e64 s[50:51], v132, v132
	v_cndmask_b32_e32 v38, v38, v37, vcc
	v_cndmask_b32_e32 v30, v30, v37, vcc
	v_cndmask_b32_e64 v38, v38, v132, s[50:51]
	v_cndmask_b32_e64 v30, v30, v132, s[50:51]
	v_cmp_neq_f32_e32 vcc, v38, v30
	v_cmp_class_f32_e64 s[52:53], v38, s52
	s_or_b64 vcc, vcc, s[52:53]
	s_and_saveexec_b64 s[52:53], vcc
	s_cbranch_execz .LBB519_99
; %bb.98:
	v_sub_f32_e32 v37, v38, v30
	s_mov_b32 s57, 0x3fb8aa3b
	v_mul_f32_e32 v38, 0x3fb8aa3b, v37
	v_fma_f32 v39, v37, s57, -v38
	v_rndne_f32_e32 v48, v38
	v_fmamk_f32 v39, v37, 0x32a5705f, v39
	v_sub_f32_e32 v38, v38, v48
	v_add_f32_e32 v38, v38, v39
	v_exp_f32_e32 v38, v38
	v_cvt_i32_f32_e32 v39, v48
	s_mov_b32 s57, 0xc2ce8ed0
	v_cmp_ngt_f32_e32 vcc, s57, v37
	s_mov_b32 s57, 0x42b17218
	v_ldexp_f32 v38, v38, v39
	v_cndmask_b32_e32 v38, 0, v38, vcc
	v_mov_b32_e32 v39, 0x7f800000
	v_cmp_nlt_f32_e32 vcc, s57, v37
	s_mov_b32 s57, 0x3f2aaaab
	s_mov_b32 s58, 0x7f800000
	v_cndmask_b32_e32 v133, v39, v38, vcc
	v_add_f32_e32 v37, 1.0, v133
	v_add_f32_e32 v38, -1.0, v37
	v_sub_f32_e32 v39, v38, v37
	v_add_f32_e32 v39, 1.0, v39
	v_sub_f32_e32 v38, v133, v38
	v_add_f32_e32 v48, v38, v39
	v_frexp_mant_f32_e32 v49, v37
	v_cvt_f64_f32_e32 v[38:39], v37
	v_frexp_exp_i32_f64_e32 v38, v[38:39]
	v_cmp_gt_f32_e32 vcc, s57, v49
	s_mov_b32 s57, 0x3f317218
	s_nop 0
	v_subbrev_co_u32_e32 v145, vcc, 0, v38, vcc
	v_sub_u32_e32 v38, 0, v145
	v_ldexp_f32 v37, v37, v38
	v_ldexp_f32 v38, v48, v38
	v_add_f32_e32 v48, -1.0, v37
	v_add_f32_e32 v39, 1.0, v48
	v_sub_f32_e32 v39, v37, v39
	v_add_f32_e32 v49, v38, v39
	v_add_f32_e32 v39, 1.0, v37
	v_add_f32_e32 v50, -1.0, v39
	v_sub_f32_e32 v37, v37, v50
	v_add_f32_e32 v37, v38, v37
	v_add_f32_e32 v150, v39, v37
	v_rcp_f32_e32 v151, v150
	v_sub_f32_e32 v38, v39, v150
	v_add_f32_e32 v39, v48, v49
	v_add_f32_e32 v37, v37, v38
	v_mul_f32_e32 v161, v39, v151
	v_sub_f32_e32 v38, v48, v39
	v_mul_f32_e32 v48, v150, v161
	v_fma_f32 v50, v161, v150, -v48
	v_fmac_f32_e32 v50, v161, v37
	v_add_f32_e32 v160, v49, v38
	v_add_f32_e32 v38, v48, v50
	v_sub_f32_e32 v49, v39, v38
	v_pk_add_f32 v[148:149], v[38:39], v[48:49] neg_lo:[0,1] neg_hi:[0,1]
	v_mov_b32_e32 v51, v38
	v_pk_add_f32 v[38:39], v[148:149], v[50:51] neg_lo:[0,1] neg_hi:[0,1]
	v_cmp_eq_f32_e32 vcc, s58, v133
	v_add_f32_e32 v39, v160, v39
	v_add_f32_e32 v38, v38, v39
	;; [unrolled: 1-line block ×3, first 2 shown]
	v_mul_f32_e32 v160, v151, v39
	v_mul_f32_e32 v48, v150, v160
	v_fma_f32 v50, v160, v150, -v48
	v_fmac_f32_e32 v50, v160, v37
	v_sub_f32_e32 v37, v49, v39
	v_add_f32_e32 v37, v38, v37
	v_add_f32_e32 v38, v48, v50
	v_sub_f32_e32 v49, v39, v38
	v_pk_add_f32 v[148:149], v[38:39], v[48:49] neg_lo:[0,1] neg_hi:[0,1]
	v_mov_b32_e32 v51, v38
	v_pk_add_f32 v[38:39], v[148:149], v[50:51] neg_lo:[0,1] neg_hi:[0,1]
	v_cvt_f32_i32_e32 v48, v145
	v_add_f32_e32 v37, v37, v39
	v_add_f32_e32 v37, v38, v37
	;; [unrolled: 1-line block ×4, first 2 shown]
	v_sub_f32_e32 v39, v38, v161
	v_mul_f32_e32 v37, v151, v37
	v_sub_f32_e32 v39, v160, v39
	v_add_f32_e32 v37, v39, v37
	v_add_f32_e32 v49, v38, v37
	v_mul_f32_e32 v50, v49, v49
	v_mov_b32_e32 v39, 0x3ecc95a3
	v_fmac_f32_e32 v39, 0x3e9b6dac, v50
	v_sub_f32_e32 v38, v49, v38
	v_fmaak_f32 v39, v50, v39, 0x3f2aaada
	v_sub_f32_e32 v37, v37, v38
	v_ldexp_f32 v51, v49, 1
	v_mul_f32_e32 v49, v49, v50
	v_mov_b32_e32 v38, 0x3f317218
	v_pk_mul_f32 v[38:39], v[48:49], v[38:39]
	v_ldexp_f32 v37, v37, 1
	v_fma_f32 v49, v48, s57, -v38
	v_fmamk_f32 v50, v48, 0xb102e308, v49
	v_pk_add_f32 v[48:49], v[38:39], v[50:51]
	v_mov_b32_e32 v148, v38
	v_sub_f32_e32 v51, v49, v51
	v_sub_f32_e32 v51, v39, v51
	v_add_f32_e32 v149, v37, v51
	v_pk_add_f32 v[38:39], v[48:49], v[38:39] neg_lo:[0,1] neg_hi:[0,1]
	v_pk_add_f32 v[150:151], v[48:49], v[148:149]
	v_mov_b32_e32 v51, v48
	v_mov_b32_e32 v39, v151
	v_pk_add_f32 v[160:161], v[50:51], v[38:39] neg_lo:[0,1] neg_hi:[0,1]
	v_pk_add_f32 v[38:39], v[50:51], v[38:39]
	v_mov_b32_e32 v148, v149
	v_mov_b32_e32 v50, v39
	v_pk_add_f32 v[162:163], v[50:51], v[48:49] neg_lo:[0,1] neg_hi:[0,1]
	v_mov_b32_e32 v38, v151
	v_mov_b32_e32 v37, v162
	v_pk_add_f32 v[164:165], v[150:151], v[36:37] neg_lo:[0,1] neg_hi:[0,1]
	v_mov_b32_e32 v150, v49
	v_mov_b32_e32 v151, v162
	;; [unrolled: 1-line block ×3, first 2 shown]
	v_pk_add_f32 v[38:39], v[38:39], v[150:151] neg_lo:[0,1] neg_hi:[0,1]
	v_mov_b32_e32 v149, v48
	v_pk_add_f32 v[38:39], v[148:149], v[38:39] neg_lo:[0,1] neg_hi:[0,1]
	v_mov_b32_e32 v164, v160
	v_pk_add_f32 v[48:49], v[164:165], v[38:39]
	s_mov_b32 s57, 0x33800000
	v_mov_b32_e32 v148, v49
	v_pk_add_f32 v[148:149], v[48:49], v[148:149]
	v_cmp_lt_f32_e64 s[58:59], |v133|, s57
	v_pk_add_f32 v[50:51], v[50:51], v[148:149]
	v_mov_b32_e32 v39, v148
	v_mov_b32_e32 v49, v50
	v_pk_add_f32 v[150:151], v[48:49], v[160:161] neg_lo:[0,1] neg_hi:[0,1]
	s_or_b64 vcc, vcc, s[58:59]
	v_sub_f32_e32 v37, v48, v150
	v_pk_add_f32 v[38:39], v[38:39], v[150:151] neg_lo:[0,1] neg_hi:[0,1]
	v_sub_f32_e32 v37, v160, v37
	v_add_f32_e32 v37, v38, v37
	v_add_f32_e32 v37, v37, v39
	;; [unrolled: 1-line block ×3, first 2 shown]
	v_cndmask_b32_e32 v37, v37, v133, vcc
	v_add_f32_e32 v37, v30, v37
.LBB519_99:
	s_or_b64 exec, exec, s[52:53]
	v_bfe_u32 v30, v37, 16, 1
	v_add3_u32 v30, v37, v30, s56
	v_and_b32_e32 v30, 0xffff0000, v30
	v_cmp_o_f32_e32 vcc, v37, v37
	s_movk_i32 s56, 0x1f8
	s_nop 0
	v_cndmask_b32_e32 v31, v31, v30, vcc
	v_mov_b32_e32 v30, 16
	v_lshlrev_b32_sdwa v133, v30, v19 dst_sel:DWORD dst_unused:UNUSED_PAD src0_sel:DWORD src1_sel:WORD_1
	v_max_f32_e32 v30, v31, v31
	v_max_f32_e32 v145, v133, v133
	v_min_f32_e32 v37, v30, v145
	v_cmp_u_f32_e32 vcc, v31, v31
	v_max_f32_e32 v30, v30, v145
	v_cmp_u_f32_e64 s[52:53], v133, v133
	v_cndmask_b32_e32 v37, v37, v31, vcc
	v_cndmask_b32_e32 v30, v30, v31, vcc
	v_cndmask_b32_e64 v37, v37, v133, s[52:53]
	v_cndmask_b32_e64 v30, v30, v133, s[52:53]
	v_cmp_neq_f32_e32 vcc, v37, v30
	v_cmp_class_f32_e64 s[56:57], v37, s56
	s_or_b64 vcc, vcc, s[56:57]
	s_and_saveexec_b64 s[56:57], vcc
	s_cbranch_execz .LBB519_101
; %bb.100:
	v_sub_f32_e32 v31, v37, v30
	s_mov_b32 s58, 0x3fb8aa3b
	v_mul_f32_e32 v37, 0x3fb8aa3b, v31
	v_fma_f32 v38, v31, s58, -v37
	v_rndne_f32_e32 v39, v37
	v_fmamk_f32 v38, v31, 0x32a5705f, v38
	v_sub_f32_e32 v37, v37, v39
	v_add_f32_e32 v37, v37, v38
	v_exp_f32_e32 v37, v37
	v_cvt_i32_f32_e32 v38, v39
	s_mov_b32 s58, 0xc2ce8ed0
	v_cmp_ngt_f32_e32 vcc, s58, v31
	s_mov_b32 s58, 0x42b17218
	v_ldexp_f32 v37, v37, v38
	v_cndmask_b32_e32 v37, 0, v37, vcc
	v_mov_b32_e32 v38, 0x7f800000
	v_cmp_nlt_f32_e32 vcc, s58, v31
	s_mov_b32 s58, 0x3f2aaaab
	s_mov_b32 s59, 0x7f800000
	v_cndmask_b32_e32 v37, v38, v37, vcc
	v_add_f32_e32 v31, 1.0, v37
	v_add_f32_e32 v38, -1.0, v31
	v_sub_f32_e32 v39, v38, v31
	v_add_f32_e32 v39, 1.0, v39
	v_sub_f32_e32 v38, v37, v38
	v_add_f32_e32 v48, v38, v39
	v_frexp_mant_f32_e32 v49, v31
	v_cvt_f64_f32_e32 v[38:39], v31
	v_frexp_exp_i32_f64_e32 v38, v[38:39]
	v_cmp_gt_f32_e32 vcc, s58, v49
	s_mov_b32 s58, 0x3f317218
	s_nop 0
	v_subbrev_co_u32_e32 v150, vcc, 0, v38, vcc
	v_sub_u32_e32 v38, 0, v150
	v_ldexp_f32 v31, v31, v38
	v_ldexp_f32 v38, v48, v38
	v_add_f32_e32 v48, -1.0, v31
	v_add_f32_e32 v39, 1.0, v48
	v_sub_f32_e32 v39, v31, v39
	v_add_f32_e32 v49, v38, v39
	v_add_f32_e32 v39, 1.0, v31
	v_add_f32_e32 v50, -1.0, v39
	v_sub_f32_e32 v31, v31, v50
	v_add_f32_e32 v31, v38, v31
	v_add_f32_e32 v151, v39, v31
	v_rcp_f32_e32 v160, v151
	v_sub_f32_e32 v38, v39, v151
	v_add_f32_e32 v39, v48, v49
	v_add_f32_e32 v31, v31, v38
	v_mul_f32_e32 v162, v39, v160
	v_sub_f32_e32 v38, v48, v39
	v_mul_f32_e32 v48, v151, v162
	v_fma_f32 v50, v162, v151, -v48
	v_fmac_f32_e32 v50, v162, v31
	v_add_f32_e32 v161, v49, v38
	v_add_f32_e32 v38, v48, v50
	v_sub_f32_e32 v49, v39, v38
	v_pk_add_f32 v[148:149], v[38:39], v[48:49] neg_lo:[0,1] neg_hi:[0,1]
	v_mov_b32_e32 v51, v38
	v_pk_add_f32 v[38:39], v[148:149], v[50:51] neg_lo:[0,1] neg_hi:[0,1]
	v_cmp_eq_f32_e32 vcc, s59, v37
	v_add_f32_e32 v39, v161, v39
	v_add_f32_e32 v38, v38, v39
	;; [unrolled: 1-line block ×3, first 2 shown]
	v_mul_f32_e32 v161, v160, v39
	v_mul_f32_e32 v48, v151, v161
	v_fma_f32 v50, v161, v151, -v48
	v_fmac_f32_e32 v50, v161, v31
	v_sub_f32_e32 v31, v49, v39
	v_add_f32_e32 v31, v38, v31
	v_add_f32_e32 v38, v48, v50
	v_sub_f32_e32 v49, v39, v38
	v_pk_add_f32 v[148:149], v[38:39], v[48:49] neg_lo:[0,1] neg_hi:[0,1]
	v_mov_b32_e32 v51, v38
	v_pk_add_f32 v[38:39], v[148:149], v[50:51] neg_lo:[0,1] neg_hi:[0,1]
	v_cvt_f32_i32_e32 v48, v150
	v_add_f32_e32 v31, v31, v39
	v_add_f32_e32 v31, v38, v31
	;; [unrolled: 1-line block ×4, first 2 shown]
	v_sub_f32_e32 v39, v38, v162
	v_mul_f32_e32 v31, v160, v31
	v_sub_f32_e32 v39, v161, v39
	v_add_f32_e32 v31, v39, v31
	v_add_f32_e32 v49, v38, v31
	v_mul_f32_e32 v50, v49, v49
	v_mov_b32_e32 v39, 0x3ecc95a3
	v_fmac_f32_e32 v39, 0x3e9b6dac, v50
	v_sub_f32_e32 v38, v49, v38
	v_fmaak_f32 v39, v50, v39, 0x3f2aaada
	v_sub_f32_e32 v31, v31, v38
	v_ldexp_f32 v51, v49, 1
	v_mul_f32_e32 v49, v49, v50
	v_mov_b32_e32 v38, 0x3f317218
	v_pk_mul_f32 v[38:39], v[48:49], v[38:39]
	v_ldexp_f32 v31, v31, 1
	v_fma_f32 v49, v48, s58, -v38
	v_fmamk_f32 v50, v48, 0xb102e308, v49
	v_pk_add_f32 v[48:49], v[38:39], v[50:51]
	v_mov_b32_e32 v148, v38
	v_sub_f32_e32 v51, v49, v51
	v_sub_f32_e32 v51, v39, v51
	v_add_f32_e32 v149, v31, v51
	v_pk_add_f32 v[38:39], v[48:49], v[38:39] neg_lo:[0,1] neg_hi:[0,1]
	v_pk_add_f32 v[150:151], v[48:49], v[148:149]
	v_mov_b32_e32 v51, v48
	v_mov_b32_e32 v39, v151
	v_pk_add_f32 v[160:161], v[50:51], v[38:39] neg_lo:[0,1] neg_hi:[0,1]
	v_pk_add_f32 v[38:39], v[50:51], v[38:39]
	v_mov_b32_e32 v148, v149
	v_mov_b32_e32 v50, v39
	v_pk_add_f32 v[162:163], v[50:51], v[48:49] neg_lo:[0,1] neg_hi:[0,1]
	v_mov_b32_e32 v38, v151
	v_mov_b32_e32 v31, v162
	v_pk_add_f32 v[164:165], v[150:151], v[30:31] neg_lo:[0,1] neg_hi:[0,1]
	v_mov_b32_e32 v150, v49
	v_mov_b32_e32 v151, v162
	;; [unrolled: 1-line block ×3, first 2 shown]
	v_pk_add_f32 v[38:39], v[38:39], v[150:151] neg_lo:[0,1] neg_hi:[0,1]
	v_mov_b32_e32 v149, v48
	v_pk_add_f32 v[38:39], v[148:149], v[38:39] neg_lo:[0,1] neg_hi:[0,1]
	v_mov_b32_e32 v164, v160
	v_pk_add_f32 v[48:49], v[164:165], v[38:39]
	s_mov_b32 s58, 0x33800000
	v_mov_b32_e32 v148, v49
	v_pk_add_f32 v[148:149], v[48:49], v[148:149]
	v_cmp_lt_f32_e64 s[58:59], |v37|, s58
	v_pk_add_f32 v[50:51], v[50:51], v[148:149]
	v_mov_b32_e32 v39, v148
	v_mov_b32_e32 v49, v50
	v_pk_add_f32 v[150:151], v[48:49], v[160:161] neg_lo:[0,1] neg_hi:[0,1]
	s_or_b64 vcc, vcc, s[58:59]
	v_sub_f32_e32 v31, v48, v150
	v_pk_add_f32 v[38:39], v[38:39], v[150:151] neg_lo:[0,1] neg_hi:[0,1]
	v_sub_f32_e32 v31, v160, v31
	v_add_f32_e32 v31, v38, v31
	v_add_f32_e32 v31, v31, v39
	;; [unrolled: 1-line block ×3, first 2 shown]
	v_cndmask_b32_e32 v31, v31, v37, vcc
	v_add_f32_e32 v31, v30, v31
.LBB519_101:
	s_or_b64 exec, exec, s[56:57]
	v_bfe_u32 v30, v31, 16, 1
	s_movk_i32 vcc_lo, 0x7fff
	v_add3_u32 v30, v31, v30, vcc_lo
	v_lshrrev_b32_e32 v30, 16, v30
	v_mov_b32_e32 v37, 0x7fc0
	v_cmp_o_f32_e32 vcc, v31, v31
	s_nop 1
	v_cndmask_b32_e32 v31, v37, v30, vcc
	v_mbcnt_lo_u32_b32 v30, -1, 0
	v_mbcnt_hi_u32_b32 v37, -1, v30
	v_and_b32_e32 v30, 15, v37
	v_and_b32_e32 v38, 0xffff, v31
	v_cmp_ne_u32_e32 vcc, 0, v30
	s_nop 0
	v_mov_b32_dpp v39, v38 row_shr:1 row_mask:0xf bank_mask:0xf
	s_and_saveexec_b64 s[58:59], vcc
	s_cbranch_execz .LBB519_105
; %bb.102:
	v_lshlrev_b32_e32 v39, 16, v39
	v_lshlrev_b32_e32 v31, 16, v38
	v_max_f32_e32 v48, v31, v31
	v_max_f32_e32 v49, v39, v39
	v_min_f32_e32 v38, v49, v48
	v_cmp_u_f32_e32 vcc, v39, v39
	v_max_f32_e32 v48, v49, v48
	v_cmp_u_f32_e64 s[56:57], v31, v31
	v_cndmask_b32_e32 v38, v38, v39, vcc
	v_cndmask_b32_e32 v48, v48, v39, vcc
	v_cndmask_b32_e64 v38, v38, v31, s[56:57]
	v_cndmask_b32_e64 v31, v48, v31, s[56:57]
	s_movk_i32 s56, 0x1f8
	v_cmp_neq_f32_e32 vcc, v38, v31
	v_cmp_class_f32_e64 s[56:57], v38, s56
	s_or_b64 vcc, vcc, s[56:57]
	s_and_saveexec_b64 s[56:57], vcc
	s_cbranch_execz .LBB519_104
; %bb.103:
	v_sub_f32_e32 v38, v38, v31
	s_mov_b32 s60, 0x3fb8aa3b
	v_mul_f32_e32 v39, 0x3fb8aa3b, v38
	v_fma_f32 v48, v38, s60, -v39
	v_rndne_f32_e32 v49, v39
	v_fmamk_f32 v48, v38, 0x32a5705f, v48
	v_sub_f32_e32 v39, v39, v49
	v_add_f32_e32 v39, v39, v48
	v_exp_f32_e32 v39, v39
	v_cvt_i32_f32_e32 v48, v49
	s_mov_b32 s60, 0xc2ce8ed0
	v_cmp_ngt_f32_e32 vcc, s60, v38
	s_mov_b32 s60, 0x42b17218
	v_ldexp_f32 v39, v39, v48
	v_cndmask_b32_e32 v39, 0, v39, vcc
	v_mov_b32_e32 v48, 0x7f800000
	v_cmp_nlt_f32_e32 vcc, s60, v38
	s_mov_b32 s60, 0x3f2aaaab
	s_mov_b32 s61, 0x7f800000
	v_cndmask_b32_e32 v166, v48, v39, vcc
	v_add_f32_e32 v48, 1.0, v166
	v_add_f32_e32 v38, -1.0, v48
	v_sub_f32_e32 v39, v38, v48
	v_add_f32_e32 v39, 1.0, v39
	v_sub_f32_e32 v38, v166, v38
	v_add_f32_e32 v49, v38, v39
	v_frexp_mant_f32_e32 v50, v48
	v_cvt_f64_f32_e32 v[38:39], v48
	v_frexp_exp_i32_f64_e32 v38, v[38:39]
	v_cmp_gt_f32_e32 vcc, s60, v50
	s_mov_b32 s60, 0x3f317218
	s_nop 0
	v_subbrev_co_u32_e32 v150, vcc, 0, v38, vcc
	v_sub_u32_e32 v38, 0, v150
	v_ldexp_f32 v39, v48, v38
	v_add_f32_e32 v48, -1.0, v39
	v_add_f32_e32 v50, 1.0, v39
	v_ldexp_f32 v38, v49, v38
	v_add_f32_e32 v49, 1.0, v48
	v_add_f32_e32 v51, -1.0, v50
	v_sub_f32_e32 v49, v39, v49
	v_sub_f32_e32 v39, v39, v51
	v_add_f32_e32 v49, v38, v49
	v_add_f32_e32 v38, v38, v39
	;; [unrolled: 1-line block ×3, first 2 shown]
	v_rcp_f32_e32 v161, v151
	v_sub_f32_e32 v39, v50, v151
	v_add_f32_e32 v160, v38, v39
	v_add_f32_e32 v39, v48, v49
	v_mul_f32_e32 v163, v39, v161
	v_sub_f32_e32 v38, v48, v39
	v_mul_f32_e32 v48, v151, v163
	v_fma_f32 v50, v163, v151, -v48
	v_fmac_f32_e32 v50, v163, v160
	v_add_f32_e32 v162, v49, v38
	v_add_f32_e32 v38, v48, v50
	v_sub_f32_e32 v49, v39, v38
	v_pk_add_f32 v[148:149], v[38:39], v[48:49] neg_lo:[0,1] neg_hi:[0,1]
	v_mov_b32_e32 v51, v38
	v_pk_add_f32 v[38:39], v[148:149], v[50:51] neg_lo:[0,1] neg_hi:[0,1]
	v_cmp_eq_f32_e32 vcc, s61, v166
	v_add_f32_e32 v39, v162, v39
	v_add_f32_e32 v38, v38, v39
	v_add_f32_e32 v39, v49, v38
	v_mul_f32_e32 v162, v161, v39
	v_mul_f32_e32 v48, v151, v162
	v_fma_f32 v50, v162, v151, -v48
	v_fmac_f32_e32 v50, v162, v160
	v_sub_f32_e32 v49, v49, v39
	v_add_f32_e32 v151, v38, v49
	v_add_f32_e32 v38, v48, v50
	v_sub_f32_e32 v49, v39, v38
	v_pk_add_f32 v[148:149], v[38:39], v[48:49] neg_lo:[0,1] neg_hi:[0,1]
	v_mov_b32_e32 v51, v38
	v_pk_add_f32 v[38:39], v[148:149], v[50:51] neg_lo:[0,1] neg_hi:[0,1]
	v_cvt_f32_i32_e32 v48, v150
	v_add_f32_e32 v39, v151, v39
	v_add_f32_e32 v38, v38, v39
	;; [unrolled: 1-line block ×4, first 2 shown]
	v_sub_f32_e32 v39, v49, v163
	v_mul_f32_e32 v38, v161, v38
	v_sub_f32_e32 v39, v162, v39
	v_add_f32_e32 v38, v39, v38
	v_add_f32_e32 v50, v49, v38
	v_mul_f32_e32 v148, v50, v50
	v_mov_b32_e32 v39, 0x3ecc95a3
	v_sub_f32_e32 v49, v50, v49
	v_fmac_f32_e32 v39, 0x3e9b6dac, v148
	v_sub_f32_e32 v38, v38, v49
	v_fmaak_f32 v39, v148, v39, 0x3f2aaada
	v_ldexp_f32 v149, v38, 1
	v_mul_f32_e32 v49, v50, v148
	v_mov_b32_e32 v38, 0x3f317218
	v_pk_mul_f32 v[38:39], v[48:49], v[38:39]
	v_ldexp_f32 v51, v50, 1
	v_fma_f32 v49, v48, s60, -v38
	v_fmamk_f32 v50, v48, 0xb102e308, v49
	v_pk_add_f32 v[48:49], v[38:39], v[50:51]
	v_mov_b32_e32 v148, v38
	v_sub_f32_e32 v51, v49, v51
	v_sub_f32_e32 v51, v39, v51
	v_add_f32_e32 v149, v149, v51
	v_pk_add_f32 v[38:39], v[48:49], v[38:39] neg_lo:[0,1] neg_hi:[0,1]
	v_pk_add_f32 v[150:151], v[48:49], v[148:149]
	v_mov_b32_e32 v51, v48
	v_mov_b32_e32 v39, v151
	v_pk_add_f32 v[160:161], v[50:51], v[38:39] neg_lo:[0,1] neg_hi:[0,1]
	v_pk_add_f32 v[38:39], v[50:51], v[38:39]
	v_mov_b32_e32 v148, v149
	v_mov_b32_e32 v50, v39
	v_pk_add_f32 v[162:163], v[50:51], v[48:49] neg_lo:[0,1] neg_hi:[0,1]
	v_mov_b32_e32 v38, v151
	v_mov_b32_e32 v51, v162
	v_pk_add_f32 v[164:165], v[150:151], v[50:51] neg_lo:[0,1] neg_hi:[0,1]
	v_mov_b32_e32 v150, v49
	v_mov_b32_e32 v151, v162
	v_mov_b32_e32 v161, v39
	v_pk_add_f32 v[38:39], v[38:39], v[150:151] neg_lo:[0,1] neg_hi:[0,1]
	v_mov_b32_e32 v149, v48
	v_pk_add_f32 v[38:39], v[148:149], v[38:39] neg_lo:[0,1] neg_hi:[0,1]
	v_mov_b32_e32 v164, v160
	v_pk_add_f32 v[48:49], v[164:165], v[38:39]
	s_mov_b32 s60, 0x33800000
	v_mov_b32_e32 v148, v49
	v_pk_add_f32 v[148:149], v[48:49], v[148:149]
	v_cmp_lt_f32_e64 s[60:61], |v166|, s60
	v_pk_add_f32 v[50:51], v[50:51], v[148:149]
	v_mov_b32_e32 v39, v148
	v_mov_b32_e32 v49, v50
	v_pk_add_f32 v[150:151], v[48:49], v[160:161] neg_lo:[0,1] neg_hi:[0,1]
	s_or_b64 vcc, vcc, s[60:61]
	v_sub_f32_e32 v48, v48, v150
	v_pk_add_f32 v[38:39], v[38:39], v[150:151] neg_lo:[0,1] neg_hi:[0,1]
	v_sub_f32_e32 v48, v160, v48
	v_add_f32_e32 v38, v38, v48
	v_add_f32_e32 v38, v38, v39
	;; [unrolled: 1-line block ×3, first 2 shown]
	v_cndmask_b32_e32 v38, v38, v166, vcc
	v_add_f32_e32 v39, v31, v38
.LBB519_104:
	s_or_b64 exec, exec, s[56:57]
	v_bfe_u32 v31, v39, 16, 1
	s_movk_i32 vcc_lo, 0x7fff
	v_add3_u32 v31, v39, v31, vcc_lo
	v_lshrrev_b32_e32 v31, 16, v31
	v_mov_b32_e32 v38, 0x7fc0
	v_cmp_o_f32_e32 vcc, v39, v39
	s_nop 1
	v_cndmask_b32_e32 v31, v38, v31, vcc
	v_and_b32_e32 v38, 0xffff, v31
.LBB519_105:
	s_or_b64 exec, exec, s[58:59]
	s_nop 0
	v_mov_b32_dpp v39, v38 row_shr:2 row_mask:0xf bank_mask:0xf
	v_cmp_lt_u32_e32 vcc, 1, v30
	s_and_saveexec_b64 s[58:59], vcc
	s_cbranch_execz .LBB519_109
; %bb.106:
	v_lshlrev_b32_e32 v39, 16, v39
	v_lshlrev_b32_e32 v31, 16, v38
	v_max_f32_e32 v48, v31, v31
	v_max_f32_e32 v49, v39, v39
	v_min_f32_e32 v38, v49, v48
	v_cmp_u_f32_e32 vcc, v39, v39
	v_max_f32_e32 v48, v49, v48
	v_cmp_u_f32_e64 s[56:57], v31, v31
	v_cndmask_b32_e32 v38, v38, v39, vcc
	v_cndmask_b32_e32 v48, v48, v39, vcc
	v_cndmask_b32_e64 v38, v38, v31, s[56:57]
	v_cndmask_b32_e64 v31, v48, v31, s[56:57]
	s_movk_i32 s56, 0x1f8
	v_cmp_neq_f32_e32 vcc, v38, v31
	v_cmp_class_f32_e64 s[56:57], v38, s56
	s_or_b64 vcc, vcc, s[56:57]
	s_and_saveexec_b64 s[56:57], vcc
	s_cbranch_execz .LBB519_108
; %bb.107:
	v_sub_f32_e32 v38, v38, v31
	s_mov_b32 s60, 0x3fb8aa3b
	v_mul_f32_e32 v39, 0x3fb8aa3b, v38
	v_fma_f32 v48, v38, s60, -v39
	v_rndne_f32_e32 v49, v39
	v_fmamk_f32 v48, v38, 0x32a5705f, v48
	v_sub_f32_e32 v39, v39, v49
	v_add_f32_e32 v39, v39, v48
	v_exp_f32_e32 v39, v39
	v_cvt_i32_f32_e32 v48, v49
	s_mov_b32 s60, 0xc2ce8ed0
	v_cmp_ngt_f32_e32 vcc, s60, v38
	s_mov_b32 s60, 0x42b17218
	v_ldexp_f32 v39, v39, v48
	v_cndmask_b32_e32 v39, 0, v39, vcc
	v_mov_b32_e32 v48, 0x7f800000
	v_cmp_nlt_f32_e32 vcc, s60, v38
	s_mov_b32 s60, 0x3f2aaaab
	s_mov_b32 s61, 0x7f800000
	v_cndmask_b32_e32 v166, v48, v39, vcc
	v_add_f32_e32 v48, 1.0, v166
	v_add_f32_e32 v38, -1.0, v48
	v_sub_f32_e32 v39, v38, v48
	v_add_f32_e32 v39, 1.0, v39
	v_sub_f32_e32 v38, v166, v38
	v_add_f32_e32 v49, v38, v39
	v_frexp_mant_f32_e32 v50, v48
	v_cvt_f64_f32_e32 v[38:39], v48
	v_frexp_exp_i32_f64_e32 v38, v[38:39]
	v_cmp_gt_f32_e32 vcc, s60, v50
	s_mov_b32 s60, 0x3f317218
	s_nop 0
	v_subbrev_co_u32_e32 v150, vcc, 0, v38, vcc
	v_sub_u32_e32 v38, 0, v150
	v_ldexp_f32 v39, v48, v38
	v_add_f32_e32 v48, -1.0, v39
	v_add_f32_e32 v50, 1.0, v39
	v_ldexp_f32 v38, v49, v38
	v_add_f32_e32 v49, 1.0, v48
	v_add_f32_e32 v51, -1.0, v50
	v_sub_f32_e32 v49, v39, v49
	v_sub_f32_e32 v39, v39, v51
	v_add_f32_e32 v49, v38, v49
	v_add_f32_e32 v38, v38, v39
	;; [unrolled: 1-line block ×3, first 2 shown]
	v_rcp_f32_e32 v161, v151
	v_sub_f32_e32 v39, v50, v151
	v_add_f32_e32 v160, v38, v39
	v_add_f32_e32 v39, v48, v49
	v_mul_f32_e32 v163, v39, v161
	v_sub_f32_e32 v38, v48, v39
	v_mul_f32_e32 v48, v151, v163
	v_fma_f32 v50, v163, v151, -v48
	v_fmac_f32_e32 v50, v163, v160
	v_add_f32_e32 v162, v49, v38
	v_add_f32_e32 v38, v48, v50
	v_sub_f32_e32 v49, v39, v38
	v_pk_add_f32 v[148:149], v[38:39], v[48:49] neg_lo:[0,1] neg_hi:[0,1]
	v_mov_b32_e32 v51, v38
	v_pk_add_f32 v[38:39], v[148:149], v[50:51] neg_lo:[0,1] neg_hi:[0,1]
	v_cmp_eq_f32_e32 vcc, s61, v166
	v_add_f32_e32 v39, v162, v39
	v_add_f32_e32 v38, v38, v39
	;; [unrolled: 1-line block ×3, first 2 shown]
	v_mul_f32_e32 v162, v161, v39
	v_mul_f32_e32 v48, v151, v162
	v_fma_f32 v50, v162, v151, -v48
	v_fmac_f32_e32 v50, v162, v160
	v_sub_f32_e32 v49, v49, v39
	v_add_f32_e32 v151, v38, v49
	v_add_f32_e32 v38, v48, v50
	v_sub_f32_e32 v49, v39, v38
	v_pk_add_f32 v[148:149], v[38:39], v[48:49] neg_lo:[0,1] neg_hi:[0,1]
	v_mov_b32_e32 v51, v38
	v_pk_add_f32 v[38:39], v[148:149], v[50:51] neg_lo:[0,1] neg_hi:[0,1]
	v_cvt_f32_i32_e32 v48, v150
	v_add_f32_e32 v39, v151, v39
	v_add_f32_e32 v38, v38, v39
	;; [unrolled: 1-line block ×4, first 2 shown]
	v_sub_f32_e32 v39, v49, v163
	v_mul_f32_e32 v38, v161, v38
	v_sub_f32_e32 v39, v162, v39
	v_add_f32_e32 v38, v39, v38
	v_add_f32_e32 v50, v49, v38
	v_mul_f32_e32 v148, v50, v50
	v_mov_b32_e32 v39, 0x3ecc95a3
	v_sub_f32_e32 v49, v50, v49
	v_fmac_f32_e32 v39, 0x3e9b6dac, v148
	v_sub_f32_e32 v38, v38, v49
	v_fmaak_f32 v39, v148, v39, 0x3f2aaada
	v_ldexp_f32 v149, v38, 1
	v_mul_f32_e32 v49, v50, v148
	v_mov_b32_e32 v38, 0x3f317218
	v_pk_mul_f32 v[38:39], v[48:49], v[38:39]
	v_ldexp_f32 v51, v50, 1
	v_fma_f32 v49, v48, s60, -v38
	v_fmamk_f32 v50, v48, 0xb102e308, v49
	v_pk_add_f32 v[48:49], v[38:39], v[50:51]
	v_mov_b32_e32 v148, v38
	v_sub_f32_e32 v51, v49, v51
	v_sub_f32_e32 v51, v39, v51
	v_add_f32_e32 v149, v149, v51
	v_pk_add_f32 v[38:39], v[48:49], v[38:39] neg_lo:[0,1] neg_hi:[0,1]
	v_pk_add_f32 v[150:151], v[48:49], v[148:149]
	v_mov_b32_e32 v51, v48
	v_mov_b32_e32 v39, v151
	v_pk_add_f32 v[160:161], v[50:51], v[38:39] neg_lo:[0,1] neg_hi:[0,1]
	v_pk_add_f32 v[38:39], v[50:51], v[38:39]
	v_mov_b32_e32 v148, v149
	v_mov_b32_e32 v50, v39
	v_pk_add_f32 v[162:163], v[50:51], v[48:49] neg_lo:[0,1] neg_hi:[0,1]
	v_mov_b32_e32 v38, v151
	v_mov_b32_e32 v51, v162
	v_pk_add_f32 v[164:165], v[150:151], v[50:51] neg_lo:[0,1] neg_hi:[0,1]
	v_mov_b32_e32 v150, v49
	v_mov_b32_e32 v151, v162
	;; [unrolled: 1-line block ×3, first 2 shown]
	v_pk_add_f32 v[38:39], v[38:39], v[150:151] neg_lo:[0,1] neg_hi:[0,1]
	v_mov_b32_e32 v149, v48
	v_pk_add_f32 v[38:39], v[148:149], v[38:39] neg_lo:[0,1] neg_hi:[0,1]
	v_mov_b32_e32 v164, v160
	v_pk_add_f32 v[48:49], v[164:165], v[38:39]
	s_mov_b32 s60, 0x33800000
	v_mov_b32_e32 v148, v49
	v_pk_add_f32 v[148:149], v[48:49], v[148:149]
	v_cmp_lt_f32_e64 s[60:61], |v166|, s60
	v_pk_add_f32 v[50:51], v[50:51], v[148:149]
	v_mov_b32_e32 v39, v148
	v_mov_b32_e32 v49, v50
	v_pk_add_f32 v[150:151], v[48:49], v[160:161] neg_lo:[0,1] neg_hi:[0,1]
	s_or_b64 vcc, vcc, s[60:61]
	v_sub_f32_e32 v48, v48, v150
	v_pk_add_f32 v[38:39], v[38:39], v[150:151] neg_lo:[0,1] neg_hi:[0,1]
	v_sub_f32_e32 v48, v160, v48
	v_add_f32_e32 v38, v38, v48
	v_add_f32_e32 v38, v38, v39
	;; [unrolled: 1-line block ×3, first 2 shown]
	v_cndmask_b32_e32 v38, v38, v166, vcc
	v_add_f32_e32 v39, v31, v38
.LBB519_108:
	s_or_b64 exec, exec, s[56:57]
	v_bfe_u32 v31, v39, 16, 1
	s_movk_i32 vcc_lo, 0x7fff
	v_add3_u32 v31, v39, v31, vcc_lo
	v_lshrrev_b32_e32 v31, 16, v31
	v_mov_b32_e32 v38, 0x7fc0
	v_cmp_o_f32_e32 vcc, v39, v39
	s_nop 1
	v_cndmask_b32_e32 v31, v38, v31, vcc
	v_and_b32_e32 v38, 0xffff, v31
.LBB519_109:
	s_or_b64 exec, exec, s[58:59]
	s_nop 0
	v_mov_b32_dpp v39, v38 row_shr:4 row_mask:0xf bank_mask:0xf
	v_cmp_lt_u32_e32 vcc, 3, v30
	s_and_saveexec_b64 s[58:59], vcc
	s_cbranch_execz .LBB519_113
; %bb.110:
	v_lshlrev_b32_e32 v39, 16, v39
	v_lshlrev_b32_e32 v31, 16, v38
	v_max_f32_e32 v48, v31, v31
	v_max_f32_e32 v49, v39, v39
	v_min_f32_e32 v38, v49, v48
	v_cmp_u_f32_e32 vcc, v39, v39
	v_max_f32_e32 v48, v49, v48
	v_cmp_u_f32_e64 s[56:57], v31, v31
	v_cndmask_b32_e32 v38, v38, v39, vcc
	v_cndmask_b32_e32 v48, v48, v39, vcc
	v_cndmask_b32_e64 v38, v38, v31, s[56:57]
	v_cndmask_b32_e64 v31, v48, v31, s[56:57]
	s_movk_i32 s56, 0x1f8
	v_cmp_neq_f32_e32 vcc, v38, v31
	v_cmp_class_f32_e64 s[56:57], v38, s56
	s_or_b64 vcc, vcc, s[56:57]
	s_and_saveexec_b64 s[56:57], vcc
	s_cbranch_execz .LBB519_112
; %bb.111:
	v_sub_f32_e32 v38, v38, v31
	s_mov_b32 s60, 0x3fb8aa3b
	v_mul_f32_e32 v39, 0x3fb8aa3b, v38
	v_fma_f32 v48, v38, s60, -v39
	v_rndne_f32_e32 v49, v39
	v_fmamk_f32 v48, v38, 0x32a5705f, v48
	v_sub_f32_e32 v39, v39, v49
	v_add_f32_e32 v39, v39, v48
	v_exp_f32_e32 v39, v39
	v_cvt_i32_f32_e32 v48, v49
	s_mov_b32 s60, 0xc2ce8ed0
	v_cmp_ngt_f32_e32 vcc, s60, v38
	s_mov_b32 s60, 0x42b17218
	v_ldexp_f32 v39, v39, v48
	v_cndmask_b32_e32 v39, 0, v39, vcc
	v_mov_b32_e32 v48, 0x7f800000
	v_cmp_nlt_f32_e32 vcc, s60, v38
	s_mov_b32 s60, 0x3f2aaaab
	s_mov_b32 s61, 0x7f800000
	v_cndmask_b32_e32 v166, v48, v39, vcc
	v_add_f32_e32 v48, 1.0, v166
	v_add_f32_e32 v38, -1.0, v48
	v_sub_f32_e32 v39, v38, v48
	v_add_f32_e32 v39, 1.0, v39
	v_sub_f32_e32 v38, v166, v38
	v_add_f32_e32 v49, v38, v39
	v_frexp_mant_f32_e32 v50, v48
	v_cvt_f64_f32_e32 v[38:39], v48
	v_frexp_exp_i32_f64_e32 v38, v[38:39]
	v_cmp_gt_f32_e32 vcc, s60, v50
	s_mov_b32 s60, 0x3f317218
	s_nop 0
	v_subbrev_co_u32_e32 v150, vcc, 0, v38, vcc
	v_sub_u32_e32 v38, 0, v150
	v_ldexp_f32 v39, v48, v38
	v_add_f32_e32 v48, -1.0, v39
	v_add_f32_e32 v50, 1.0, v39
	v_ldexp_f32 v38, v49, v38
	v_add_f32_e32 v49, 1.0, v48
	v_add_f32_e32 v51, -1.0, v50
	v_sub_f32_e32 v49, v39, v49
	v_sub_f32_e32 v39, v39, v51
	v_add_f32_e32 v49, v38, v49
	v_add_f32_e32 v38, v38, v39
	;; [unrolled: 1-line block ×3, first 2 shown]
	v_rcp_f32_e32 v161, v151
	v_sub_f32_e32 v39, v50, v151
	v_add_f32_e32 v160, v38, v39
	v_add_f32_e32 v39, v48, v49
	v_mul_f32_e32 v163, v39, v161
	v_sub_f32_e32 v38, v48, v39
	v_mul_f32_e32 v48, v151, v163
	v_fma_f32 v50, v163, v151, -v48
	v_fmac_f32_e32 v50, v163, v160
	v_add_f32_e32 v162, v49, v38
	v_add_f32_e32 v38, v48, v50
	v_sub_f32_e32 v49, v39, v38
	v_pk_add_f32 v[148:149], v[38:39], v[48:49] neg_lo:[0,1] neg_hi:[0,1]
	v_mov_b32_e32 v51, v38
	v_pk_add_f32 v[38:39], v[148:149], v[50:51] neg_lo:[0,1] neg_hi:[0,1]
	v_cmp_eq_f32_e32 vcc, s61, v166
	v_add_f32_e32 v39, v162, v39
	v_add_f32_e32 v38, v38, v39
	;; [unrolled: 1-line block ×3, first 2 shown]
	v_mul_f32_e32 v162, v161, v39
	v_mul_f32_e32 v48, v151, v162
	v_fma_f32 v50, v162, v151, -v48
	v_fmac_f32_e32 v50, v162, v160
	v_sub_f32_e32 v49, v49, v39
	v_add_f32_e32 v151, v38, v49
	v_add_f32_e32 v38, v48, v50
	v_sub_f32_e32 v49, v39, v38
	v_pk_add_f32 v[148:149], v[38:39], v[48:49] neg_lo:[0,1] neg_hi:[0,1]
	v_mov_b32_e32 v51, v38
	v_pk_add_f32 v[38:39], v[148:149], v[50:51] neg_lo:[0,1] neg_hi:[0,1]
	v_cvt_f32_i32_e32 v48, v150
	v_add_f32_e32 v39, v151, v39
	v_add_f32_e32 v38, v38, v39
	;; [unrolled: 1-line block ×4, first 2 shown]
	v_sub_f32_e32 v39, v49, v163
	v_mul_f32_e32 v38, v161, v38
	v_sub_f32_e32 v39, v162, v39
	v_add_f32_e32 v38, v39, v38
	v_add_f32_e32 v50, v49, v38
	v_mul_f32_e32 v148, v50, v50
	v_mov_b32_e32 v39, 0x3ecc95a3
	v_sub_f32_e32 v49, v50, v49
	v_fmac_f32_e32 v39, 0x3e9b6dac, v148
	v_sub_f32_e32 v38, v38, v49
	v_fmaak_f32 v39, v148, v39, 0x3f2aaada
	v_ldexp_f32 v149, v38, 1
	v_mul_f32_e32 v49, v50, v148
	v_mov_b32_e32 v38, 0x3f317218
	v_pk_mul_f32 v[38:39], v[48:49], v[38:39]
	v_ldexp_f32 v51, v50, 1
	v_fma_f32 v49, v48, s60, -v38
	v_fmamk_f32 v50, v48, 0xb102e308, v49
	v_pk_add_f32 v[48:49], v[38:39], v[50:51]
	v_mov_b32_e32 v148, v38
	v_sub_f32_e32 v51, v49, v51
	v_sub_f32_e32 v51, v39, v51
	v_add_f32_e32 v149, v149, v51
	v_pk_add_f32 v[38:39], v[48:49], v[38:39] neg_lo:[0,1] neg_hi:[0,1]
	v_pk_add_f32 v[150:151], v[48:49], v[148:149]
	v_mov_b32_e32 v51, v48
	v_mov_b32_e32 v39, v151
	v_pk_add_f32 v[160:161], v[50:51], v[38:39] neg_lo:[0,1] neg_hi:[0,1]
	v_pk_add_f32 v[38:39], v[50:51], v[38:39]
	v_mov_b32_e32 v148, v149
	v_mov_b32_e32 v50, v39
	v_pk_add_f32 v[162:163], v[50:51], v[48:49] neg_lo:[0,1] neg_hi:[0,1]
	v_mov_b32_e32 v38, v151
	v_mov_b32_e32 v51, v162
	v_pk_add_f32 v[164:165], v[150:151], v[50:51] neg_lo:[0,1] neg_hi:[0,1]
	v_mov_b32_e32 v150, v49
	v_mov_b32_e32 v151, v162
	;; [unrolled: 1-line block ×3, first 2 shown]
	v_pk_add_f32 v[38:39], v[38:39], v[150:151] neg_lo:[0,1] neg_hi:[0,1]
	v_mov_b32_e32 v149, v48
	v_pk_add_f32 v[38:39], v[148:149], v[38:39] neg_lo:[0,1] neg_hi:[0,1]
	v_mov_b32_e32 v164, v160
	v_pk_add_f32 v[48:49], v[164:165], v[38:39]
	s_mov_b32 s60, 0x33800000
	v_mov_b32_e32 v148, v49
	v_pk_add_f32 v[148:149], v[48:49], v[148:149]
	v_cmp_lt_f32_e64 s[60:61], |v166|, s60
	v_pk_add_f32 v[50:51], v[50:51], v[148:149]
	v_mov_b32_e32 v39, v148
	v_mov_b32_e32 v49, v50
	v_pk_add_f32 v[150:151], v[48:49], v[160:161] neg_lo:[0,1] neg_hi:[0,1]
	s_or_b64 vcc, vcc, s[60:61]
	v_sub_f32_e32 v48, v48, v150
	v_pk_add_f32 v[38:39], v[38:39], v[150:151] neg_lo:[0,1] neg_hi:[0,1]
	v_sub_f32_e32 v48, v160, v48
	v_add_f32_e32 v38, v38, v48
	v_add_f32_e32 v38, v38, v39
	;; [unrolled: 1-line block ×3, first 2 shown]
	v_cndmask_b32_e32 v38, v38, v166, vcc
	v_add_f32_e32 v39, v31, v38
.LBB519_112:
	s_or_b64 exec, exec, s[56:57]
	v_bfe_u32 v31, v39, 16, 1
	s_movk_i32 vcc_lo, 0x7fff
	v_add3_u32 v31, v39, v31, vcc_lo
	v_lshrrev_b32_e32 v31, 16, v31
	v_mov_b32_e32 v38, 0x7fc0
	v_cmp_o_f32_e32 vcc, v39, v39
	s_nop 1
	v_cndmask_b32_e32 v31, v38, v31, vcc
	v_and_b32_e32 v38, 0xffff, v31
.LBB519_113:
	s_or_b64 exec, exec, s[58:59]
	s_nop 0
	v_mov_b32_dpp v39, v38 row_shr:8 row_mask:0xf bank_mask:0xf
	v_cmp_lt_u32_e32 vcc, 7, v30
	s_and_saveexec_b64 s[58:59], vcc
	s_cbranch_execz .LBB519_117
; %bb.114:
	v_lshlrev_b32_e32 v31, 16, v39
	v_lshlrev_b32_e32 v30, 16, v38
	v_max_f32_e32 v39, v30, v30
	v_max_f32_e32 v48, v31, v31
	v_min_f32_e32 v38, v48, v39
	v_cmp_u_f32_e32 vcc, v31, v31
	v_max_f32_e32 v39, v48, v39
	v_cmp_u_f32_e64 s[56:57], v30, v30
	v_cndmask_b32_e32 v38, v38, v31, vcc
	v_cndmask_b32_e32 v39, v39, v31, vcc
	v_cndmask_b32_e64 v38, v38, v30, s[56:57]
	v_cndmask_b32_e64 v30, v39, v30, s[56:57]
	s_movk_i32 s56, 0x1f8
	v_cmp_neq_f32_e32 vcc, v38, v30
	v_cmp_class_f32_e64 s[56:57], v38, s56
	s_or_b64 vcc, vcc, s[56:57]
	s_and_saveexec_b64 s[56:57], vcc
	s_cbranch_execz .LBB519_116
; %bb.115:
	v_sub_f32_e32 v31, v38, v30
	s_mov_b32 s60, 0x3fb8aa3b
	v_mul_f32_e32 v38, 0x3fb8aa3b, v31
	v_fma_f32 v39, v31, s60, -v38
	v_rndne_f32_e32 v48, v38
	v_fmamk_f32 v39, v31, 0x32a5705f, v39
	v_sub_f32_e32 v38, v38, v48
	v_add_f32_e32 v38, v38, v39
	v_exp_f32_e32 v38, v38
	v_cvt_i32_f32_e32 v39, v48
	s_mov_b32 s60, 0xc2ce8ed0
	v_cmp_ngt_f32_e32 vcc, s60, v31
	s_mov_b32 s60, 0x42b17218
	v_ldexp_f32 v38, v38, v39
	v_cndmask_b32_e32 v38, 0, v38, vcc
	v_mov_b32_e32 v39, 0x7f800000
	v_cmp_nlt_f32_e32 vcc, s60, v31
	s_mov_b32 s60, 0x3f2aaaab
	s_mov_b32 s61, 0x7f800000
	v_cndmask_b32_e32 v166, v39, v38, vcc
	v_add_f32_e32 v31, 1.0, v166
	v_add_f32_e32 v38, -1.0, v31
	v_sub_f32_e32 v39, v38, v31
	v_add_f32_e32 v39, 1.0, v39
	v_sub_f32_e32 v38, v166, v38
	v_add_f32_e32 v48, v38, v39
	v_frexp_mant_f32_e32 v49, v31
	v_cvt_f64_f32_e32 v[38:39], v31
	v_frexp_exp_i32_f64_e32 v38, v[38:39]
	v_cmp_gt_f32_e32 vcc, s60, v49
	s_mov_b32 s60, 0x3f317218
	s_nop 0
	v_subbrev_co_u32_e32 v150, vcc, 0, v38, vcc
	v_sub_u32_e32 v38, 0, v150
	v_ldexp_f32 v31, v31, v38
	v_ldexp_f32 v38, v48, v38
	v_add_f32_e32 v48, -1.0, v31
	v_add_f32_e32 v39, 1.0, v48
	v_sub_f32_e32 v39, v31, v39
	v_add_f32_e32 v49, v38, v39
	v_add_f32_e32 v39, 1.0, v31
	v_add_f32_e32 v50, -1.0, v39
	v_sub_f32_e32 v31, v31, v50
	v_add_f32_e32 v31, v38, v31
	v_add_f32_e32 v151, v39, v31
	v_rcp_f32_e32 v160, v151
	v_sub_f32_e32 v38, v39, v151
	v_add_f32_e32 v39, v48, v49
	v_add_f32_e32 v31, v31, v38
	v_mul_f32_e32 v162, v39, v160
	v_sub_f32_e32 v38, v48, v39
	v_mul_f32_e32 v48, v151, v162
	v_fma_f32 v50, v162, v151, -v48
	v_fmac_f32_e32 v50, v162, v31
	v_add_f32_e32 v161, v49, v38
	v_add_f32_e32 v38, v48, v50
	v_sub_f32_e32 v49, v39, v38
	v_pk_add_f32 v[148:149], v[38:39], v[48:49] neg_lo:[0,1] neg_hi:[0,1]
	v_mov_b32_e32 v51, v38
	v_pk_add_f32 v[38:39], v[148:149], v[50:51] neg_lo:[0,1] neg_hi:[0,1]
	v_cmp_eq_f32_e32 vcc, s61, v166
	v_add_f32_e32 v39, v161, v39
	v_add_f32_e32 v38, v38, v39
	;; [unrolled: 1-line block ×3, first 2 shown]
	v_mul_f32_e32 v161, v160, v39
	v_mul_f32_e32 v48, v151, v161
	v_fma_f32 v50, v161, v151, -v48
	v_fmac_f32_e32 v50, v161, v31
	v_sub_f32_e32 v31, v49, v39
	v_add_f32_e32 v31, v38, v31
	v_add_f32_e32 v38, v48, v50
	v_sub_f32_e32 v49, v39, v38
	v_pk_add_f32 v[148:149], v[38:39], v[48:49] neg_lo:[0,1] neg_hi:[0,1]
	v_mov_b32_e32 v51, v38
	v_pk_add_f32 v[38:39], v[148:149], v[50:51] neg_lo:[0,1] neg_hi:[0,1]
	v_cvt_f32_i32_e32 v48, v150
	v_add_f32_e32 v31, v31, v39
	v_add_f32_e32 v31, v38, v31
	;; [unrolled: 1-line block ×4, first 2 shown]
	v_sub_f32_e32 v39, v38, v162
	v_mul_f32_e32 v31, v160, v31
	v_sub_f32_e32 v39, v161, v39
	v_add_f32_e32 v31, v39, v31
	v_add_f32_e32 v49, v38, v31
	v_mul_f32_e32 v50, v49, v49
	v_mov_b32_e32 v39, 0x3ecc95a3
	v_fmac_f32_e32 v39, 0x3e9b6dac, v50
	v_sub_f32_e32 v38, v49, v38
	v_fmaak_f32 v39, v50, v39, 0x3f2aaada
	v_sub_f32_e32 v31, v31, v38
	v_ldexp_f32 v51, v49, 1
	v_mul_f32_e32 v49, v49, v50
	v_mov_b32_e32 v38, 0x3f317218
	v_pk_mul_f32 v[38:39], v[48:49], v[38:39]
	v_ldexp_f32 v31, v31, 1
	v_fma_f32 v49, v48, s60, -v38
	v_fmamk_f32 v50, v48, 0xb102e308, v49
	v_pk_add_f32 v[48:49], v[38:39], v[50:51]
	v_mov_b32_e32 v148, v38
	v_sub_f32_e32 v51, v49, v51
	v_sub_f32_e32 v51, v39, v51
	v_add_f32_e32 v149, v31, v51
	v_pk_add_f32 v[38:39], v[48:49], v[38:39] neg_lo:[0,1] neg_hi:[0,1]
	v_pk_add_f32 v[150:151], v[48:49], v[148:149]
	v_mov_b32_e32 v51, v48
	v_mov_b32_e32 v39, v151
	v_pk_add_f32 v[160:161], v[50:51], v[38:39] neg_lo:[0,1] neg_hi:[0,1]
	v_pk_add_f32 v[38:39], v[50:51], v[38:39]
	v_mov_b32_e32 v148, v149
	v_mov_b32_e32 v50, v39
	v_pk_add_f32 v[162:163], v[50:51], v[48:49] neg_lo:[0,1] neg_hi:[0,1]
	v_mov_b32_e32 v38, v151
	v_mov_b32_e32 v31, v162
	v_pk_add_f32 v[164:165], v[150:151], v[30:31] neg_lo:[0,1] neg_hi:[0,1]
	v_mov_b32_e32 v150, v49
	v_mov_b32_e32 v151, v162
	;; [unrolled: 1-line block ×3, first 2 shown]
	v_pk_add_f32 v[38:39], v[38:39], v[150:151] neg_lo:[0,1] neg_hi:[0,1]
	v_mov_b32_e32 v149, v48
	v_pk_add_f32 v[38:39], v[148:149], v[38:39] neg_lo:[0,1] neg_hi:[0,1]
	v_mov_b32_e32 v164, v160
	v_pk_add_f32 v[48:49], v[164:165], v[38:39]
	s_mov_b32 s60, 0x33800000
	v_mov_b32_e32 v148, v49
	v_pk_add_f32 v[148:149], v[48:49], v[148:149]
	v_cmp_lt_f32_e64 s[60:61], |v166|, s60
	v_pk_add_f32 v[50:51], v[50:51], v[148:149]
	v_mov_b32_e32 v39, v148
	v_mov_b32_e32 v49, v50
	v_pk_add_f32 v[150:151], v[48:49], v[160:161] neg_lo:[0,1] neg_hi:[0,1]
	s_or_b64 vcc, vcc, s[60:61]
	v_sub_f32_e32 v31, v48, v150
	v_pk_add_f32 v[38:39], v[38:39], v[150:151] neg_lo:[0,1] neg_hi:[0,1]
	v_sub_f32_e32 v31, v160, v31
	v_add_f32_e32 v31, v38, v31
	v_add_f32_e32 v31, v31, v39
	;; [unrolled: 1-line block ×3, first 2 shown]
	v_cndmask_b32_e32 v31, v31, v166, vcc
	v_add_f32_e32 v31, v30, v31
.LBB519_116:
	s_or_b64 exec, exec, s[56:57]
	v_bfe_u32 v30, v31, 16, 1
	s_movk_i32 vcc_lo, 0x7fff
	v_add3_u32 v30, v31, v30, vcc_lo
	v_lshrrev_b32_e32 v30, 16, v30
	v_mov_b32_e32 v38, 0x7fc0
	v_cmp_o_f32_e32 vcc, v31, v31
	s_nop 1
	v_cndmask_b32_e32 v31, v38, v30, vcc
	v_and_b32_e32 v38, 0xffff, v31
.LBB519_117:
	s_or_b64 exec, exec, s[58:59]
	v_and_b32_e32 v39, 16, v37
	v_mov_b32_dpp v30, v38 row_bcast:15 row_mask:0xf bank_mask:0xf
	v_cmp_ne_u32_e32 vcc, 0, v39
	s_and_saveexec_b64 s[58:59], vcc
	s_cbranch_execz .LBB519_121
; %bb.118:
	v_lshlrev_b32_e32 v31, 16, v30
	v_lshlrev_b32_e32 v30, 16, v38
	v_max_f32_e32 v39, v30, v30
	v_max_f32_e32 v48, v31, v31
	v_min_f32_e32 v38, v48, v39
	v_cmp_u_f32_e32 vcc, v31, v31
	v_max_f32_e32 v39, v48, v39
	v_cmp_u_f32_e64 s[56:57], v30, v30
	v_cndmask_b32_e32 v38, v38, v31, vcc
	v_cndmask_b32_e32 v39, v39, v31, vcc
	v_cndmask_b32_e64 v38, v38, v30, s[56:57]
	v_cndmask_b32_e64 v30, v39, v30, s[56:57]
	s_movk_i32 s56, 0x1f8
	v_cmp_neq_f32_e32 vcc, v38, v30
	v_cmp_class_f32_e64 s[56:57], v38, s56
	s_or_b64 vcc, vcc, s[56:57]
	s_and_saveexec_b64 s[56:57], vcc
	s_cbranch_execz .LBB519_120
; %bb.119:
	v_sub_f32_e32 v31, v38, v30
	s_mov_b32 s60, 0x3fb8aa3b
	v_mul_f32_e32 v38, 0x3fb8aa3b, v31
	v_fma_f32 v39, v31, s60, -v38
	v_rndne_f32_e32 v48, v38
	v_fmamk_f32 v39, v31, 0x32a5705f, v39
	v_sub_f32_e32 v38, v38, v48
	v_add_f32_e32 v38, v38, v39
	v_exp_f32_e32 v38, v38
	v_cvt_i32_f32_e32 v39, v48
	s_mov_b32 s60, 0xc2ce8ed0
	v_cmp_ngt_f32_e32 vcc, s60, v31
	s_mov_b32 s60, 0x42b17218
	v_ldexp_f32 v38, v38, v39
	v_cndmask_b32_e32 v38, 0, v38, vcc
	v_mov_b32_e32 v39, 0x7f800000
	v_cmp_nlt_f32_e32 vcc, s60, v31
	s_mov_b32 s60, 0x3f2aaaab
	s_mov_b32 s61, 0x7f800000
	v_cndmask_b32_e32 v166, v39, v38, vcc
	v_add_f32_e32 v31, 1.0, v166
	v_add_f32_e32 v38, -1.0, v31
	v_sub_f32_e32 v39, v38, v31
	v_add_f32_e32 v39, 1.0, v39
	v_sub_f32_e32 v38, v166, v38
	v_add_f32_e32 v48, v38, v39
	v_frexp_mant_f32_e32 v49, v31
	v_cvt_f64_f32_e32 v[38:39], v31
	v_frexp_exp_i32_f64_e32 v38, v[38:39]
	v_cmp_gt_f32_e32 vcc, s60, v49
	s_mov_b32 s60, 0x3f317218
	s_nop 0
	v_subbrev_co_u32_e32 v150, vcc, 0, v38, vcc
	v_sub_u32_e32 v38, 0, v150
	v_ldexp_f32 v31, v31, v38
	v_ldexp_f32 v38, v48, v38
	v_add_f32_e32 v48, -1.0, v31
	v_add_f32_e32 v39, 1.0, v48
	v_sub_f32_e32 v39, v31, v39
	v_add_f32_e32 v49, v38, v39
	v_add_f32_e32 v39, 1.0, v31
	v_add_f32_e32 v50, -1.0, v39
	v_sub_f32_e32 v31, v31, v50
	v_add_f32_e32 v31, v38, v31
	v_add_f32_e32 v151, v39, v31
	v_rcp_f32_e32 v160, v151
	v_sub_f32_e32 v38, v39, v151
	v_add_f32_e32 v39, v48, v49
	v_add_f32_e32 v31, v31, v38
	v_mul_f32_e32 v162, v39, v160
	v_sub_f32_e32 v38, v48, v39
	v_mul_f32_e32 v48, v151, v162
	v_fma_f32 v50, v162, v151, -v48
	v_fmac_f32_e32 v50, v162, v31
	v_add_f32_e32 v161, v49, v38
	v_add_f32_e32 v38, v48, v50
	v_sub_f32_e32 v49, v39, v38
	v_pk_add_f32 v[148:149], v[38:39], v[48:49] neg_lo:[0,1] neg_hi:[0,1]
	v_mov_b32_e32 v51, v38
	v_pk_add_f32 v[38:39], v[148:149], v[50:51] neg_lo:[0,1] neg_hi:[0,1]
	v_cmp_eq_f32_e32 vcc, s61, v166
	v_add_f32_e32 v39, v161, v39
	v_add_f32_e32 v38, v38, v39
	;; [unrolled: 1-line block ×3, first 2 shown]
	v_mul_f32_e32 v161, v160, v39
	v_mul_f32_e32 v48, v151, v161
	v_fma_f32 v50, v161, v151, -v48
	v_fmac_f32_e32 v50, v161, v31
	v_sub_f32_e32 v31, v49, v39
	v_add_f32_e32 v31, v38, v31
	v_add_f32_e32 v38, v48, v50
	v_sub_f32_e32 v49, v39, v38
	v_pk_add_f32 v[148:149], v[38:39], v[48:49] neg_lo:[0,1] neg_hi:[0,1]
	v_mov_b32_e32 v51, v38
	v_pk_add_f32 v[38:39], v[148:149], v[50:51] neg_lo:[0,1] neg_hi:[0,1]
	v_cvt_f32_i32_e32 v48, v150
	v_add_f32_e32 v31, v31, v39
	v_add_f32_e32 v31, v38, v31
	;; [unrolled: 1-line block ×4, first 2 shown]
	v_sub_f32_e32 v39, v38, v162
	v_mul_f32_e32 v31, v160, v31
	v_sub_f32_e32 v39, v161, v39
	v_add_f32_e32 v31, v39, v31
	v_add_f32_e32 v49, v38, v31
	v_mul_f32_e32 v50, v49, v49
	v_mov_b32_e32 v39, 0x3ecc95a3
	v_fmac_f32_e32 v39, 0x3e9b6dac, v50
	v_sub_f32_e32 v38, v49, v38
	v_fmaak_f32 v39, v50, v39, 0x3f2aaada
	v_sub_f32_e32 v31, v31, v38
	v_ldexp_f32 v51, v49, 1
	v_mul_f32_e32 v49, v49, v50
	v_mov_b32_e32 v38, 0x3f317218
	v_pk_mul_f32 v[38:39], v[48:49], v[38:39]
	v_ldexp_f32 v31, v31, 1
	v_fma_f32 v49, v48, s60, -v38
	v_fmamk_f32 v50, v48, 0xb102e308, v49
	v_pk_add_f32 v[48:49], v[38:39], v[50:51]
	v_mov_b32_e32 v148, v38
	v_sub_f32_e32 v51, v49, v51
	v_sub_f32_e32 v51, v39, v51
	v_add_f32_e32 v149, v31, v51
	v_pk_add_f32 v[38:39], v[48:49], v[38:39] neg_lo:[0,1] neg_hi:[0,1]
	v_pk_add_f32 v[150:151], v[48:49], v[148:149]
	v_mov_b32_e32 v51, v48
	v_mov_b32_e32 v39, v151
	v_pk_add_f32 v[160:161], v[50:51], v[38:39] neg_lo:[0,1] neg_hi:[0,1]
	v_pk_add_f32 v[38:39], v[50:51], v[38:39]
	v_mov_b32_e32 v148, v149
	v_mov_b32_e32 v50, v39
	v_pk_add_f32 v[162:163], v[50:51], v[48:49] neg_lo:[0,1] neg_hi:[0,1]
	v_mov_b32_e32 v38, v151
	v_mov_b32_e32 v31, v162
	v_pk_add_f32 v[164:165], v[150:151], v[30:31] neg_lo:[0,1] neg_hi:[0,1]
	v_mov_b32_e32 v150, v49
	v_mov_b32_e32 v151, v162
	;; [unrolled: 1-line block ×3, first 2 shown]
	v_pk_add_f32 v[38:39], v[38:39], v[150:151] neg_lo:[0,1] neg_hi:[0,1]
	v_mov_b32_e32 v149, v48
	v_pk_add_f32 v[38:39], v[148:149], v[38:39] neg_lo:[0,1] neg_hi:[0,1]
	v_mov_b32_e32 v164, v160
	v_pk_add_f32 v[48:49], v[164:165], v[38:39]
	s_mov_b32 s60, 0x33800000
	v_mov_b32_e32 v148, v49
	v_pk_add_f32 v[148:149], v[48:49], v[148:149]
	v_cmp_lt_f32_e64 s[60:61], |v166|, s60
	v_pk_add_f32 v[50:51], v[50:51], v[148:149]
	v_mov_b32_e32 v39, v148
	v_mov_b32_e32 v49, v50
	v_pk_add_f32 v[150:151], v[48:49], v[160:161] neg_lo:[0,1] neg_hi:[0,1]
	s_or_b64 vcc, vcc, s[60:61]
	v_sub_f32_e32 v31, v48, v150
	v_pk_add_f32 v[38:39], v[38:39], v[150:151] neg_lo:[0,1] neg_hi:[0,1]
	v_sub_f32_e32 v31, v160, v31
	v_add_f32_e32 v31, v38, v31
	v_add_f32_e32 v31, v31, v39
	;; [unrolled: 1-line block ×3, first 2 shown]
	v_cndmask_b32_e32 v31, v31, v166, vcc
	v_add_f32_e32 v31, v30, v31
.LBB519_120:
	s_or_b64 exec, exec, s[56:57]
	v_bfe_u32 v30, v31, 16, 1
	s_movk_i32 vcc_lo, 0x7fff
	v_add3_u32 v30, v31, v30, vcc_lo
	v_lshrrev_b32_e32 v30, 16, v30
	v_mov_b32_e32 v38, 0x7fc0
	v_cmp_o_f32_e32 vcc, v31, v31
	s_nop 1
	v_cndmask_b32_e32 v31, v38, v30, vcc
	v_and_b32_e32 v38, 0xffff, v31
.LBB519_121:
	s_or_b64 exec, exec, s[58:59]
	s_nop 0
	v_mov_b32_dpp v30, v38 row_bcast:31 row_mask:0xf bank_mask:0xf
	v_cmp_lt_u32_e32 vcc, 31, v37
	s_and_saveexec_b64 s[58:59], vcc
	s_cbranch_execz .LBB519_125
; %bb.122:
	v_lshlrev_b32_e32 v31, 16, v30
	v_lshlrev_b32_e32 v30, 16, v38
	v_max_f32_e32 v39, v30, v30
	v_max_f32_e32 v48, v31, v31
	v_min_f32_e32 v38, v48, v39
	v_cmp_u_f32_e32 vcc, v31, v31
	v_max_f32_e32 v39, v48, v39
	v_cmp_u_f32_e64 s[56:57], v30, v30
	v_cndmask_b32_e32 v38, v38, v31, vcc
	v_cndmask_b32_e32 v39, v39, v31, vcc
	v_cndmask_b32_e64 v38, v38, v30, s[56:57]
	v_cndmask_b32_e64 v30, v39, v30, s[56:57]
	s_movk_i32 s56, 0x1f8
	v_cmp_neq_f32_e32 vcc, v38, v30
	v_cmp_class_f32_e64 s[56:57], v38, s56
	s_or_b64 vcc, vcc, s[56:57]
	s_and_saveexec_b64 s[56:57], vcc
	s_cbranch_execz .LBB519_124
; %bb.123:
	v_sub_f32_e32 v31, v38, v30
	s_mov_b32 s60, 0x3fb8aa3b
	v_mul_f32_e32 v38, 0x3fb8aa3b, v31
	v_fma_f32 v39, v31, s60, -v38
	v_rndne_f32_e32 v48, v38
	v_fmamk_f32 v39, v31, 0x32a5705f, v39
	v_sub_f32_e32 v38, v38, v48
	v_add_f32_e32 v38, v38, v39
	v_exp_f32_e32 v38, v38
	v_cvt_i32_f32_e32 v39, v48
	s_mov_b32 s60, 0xc2ce8ed0
	v_cmp_ngt_f32_e32 vcc, s60, v31
	s_mov_b32 s60, 0x42b17218
	v_ldexp_f32 v38, v38, v39
	v_cndmask_b32_e32 v38, 0, v38, vcc
	v_mov_b32_e32 v39, 0x7f800000
	v_cmp_nlt_f32_e32 vcc, s60, v31
	s_mov_b32 s60, 0x3f2aaaab
	s_mov_b32 s61, 0x7f800000
	v_cndmask_b32_e32 v166, v39, v38, vcc
	v_add_f32_e32 v31, 1.0, v166
	v_add_f32_e32 v38, -1.0, v31
	v_sub_f32_e32 v39, v38, v31
	v_add_f32_e32 v39, 1.0, v39
	v_sub_f32_e32 v38, v166, v38
	v_add_f32_e32 v48, v38, v39
	v_frexp_mant_f32_e32 v49, v31
	v_cvt_f64_f32_e32 v[38:39], v31
	v_frexp_exp_i32_f64_e32 v38, v[38:39]
	v_cmp_gt_f32_e32 vcc, s60, v49
	s_mov_b32 s60, 0x3f317218
	s_nop 0
	v_subbrev_co_u32_e32 v150, vcc, 0, v38, vcc
	v_sub_u32_e32 v38, 0, v150
	v_ldexp_f32 v31, v31, v38
	v_ldexp_f32 v38, v48, v38
	v_add_f32_e32 v48, -1.0, v31
	v_add_f32_e32 v39, 1.0, v48
	v_sub_f32_e32 v39, v31, v39
	v_add_f32_e32 v49, v38, v39
	v_add_f32_e32 v39, 1.0, v31
	v_add_f32_e32 v50, -1.0, v39
	v_sub_f32_e32 v31, v31, v50
	v_add_f32_e32 v31, v38, v31
	v_add_f32_e32 v151, v39, v31
	v_rcp_f32_e32 v160, v151
	v_sub_f32_e32 v38, v39, v151
	v_add_f32_e32 v39, v48, v49
	v_add_f32_e32 v31, v31, v38
	v_mul_f32_e32 v162, v39, v160
	v_sub_f32_e32 v38, v48, v39
	v_mul_f32_e32 v48, v151, v162
	v_fma_f32 v50, v162, v151, -v48
	v_fmac_f32_e32 v50, v162, v31
	v_add_f32_e32 v161, v49, v38
	v_add_f32_e32 v38, v48, v50
	v_sub_f32_e32 v49, v39, v38
	v_pk_add_f32 v[148:149], v[38:39], v[48:49] neg_lo:[0,1] neg_hi:[0,1]
	v_mov_b32_e32 v51, v38
	v_pk_add_f32 v[38:39], v[148:149], v[50:51] neg_lo:[0,1] neg_hi:[0,1]
	v_cmp_eq_f32_e32 vcc, s61, v166
	v_add_f32_e32 v39, v161, v39
	v_add_f32_e32 v38, v38, v39
	;; [unrolled: 1-line block ×3, first 2 shown]
	v_mul_f32_e32 v161, v160, v39
	v_mul_f32_e32 v48, v151, v161
	v_fma_f32 v50, v161, v151, -v48
	v_fmac_f32_e32 v50, v161, v31
	v_sub_f32_e32 v31, v49, v39
	v_add_f32_e32 v31, v38, v31
	v_add_f32_e32 v38, v48, v50
	v_sub_f32_e32 v49, v39, v38
	v_pk_add_f32 v[148:149], v[38:39], v[48:49] neg_lo:[0,1] neg_hi:[0,1]
	v_mov_b32_e32 v51, v38
	v_pk_add_f32 v[38:39], v[148:149], v[50:51] neg_lo:[0,1] neg_hi:[0,1]
	v_cvt_f32_i32_e32 v48, v150
	v_add_f32_e32 v31, v31, v39
	v_add_f32_e32 v31, v38, v31
	;; [unrolled: 1-line block ×4, first 2 shown]
	v_sub_f32_e32 v39, v38, v162
	v_mul_f32_e32 v31, v160, v31
	v_sub_f32_e32 v39, v161, v39
	v_add_f32_e32 v31, v39, v31
	v_add_f32_e32 v49, v38, v31
	v_mul_f32_e32 v50, v49, v49
	v_mov_b32_e32 v39, 0x3ecc95a3
	v_fmac_f32_e32 v39, 0x3e9b6dac, v50
	v_sub_f32_e32 v38, v49, v38
	v_fmaak_f32 v39, v50, v39, 0x3f2aaada
	v_sub_f32_e32 v31, v31, v38
	v_ldexp_f32 v51, v49, 1
	v_mul_f32_e32 v49, v49, v50
	v_mov_b32_e32 v38, 0x3f317218
	v_pk_mul_f32 v[38:39], v[48:49], v[38:39]
	v_ldexp_f32 v31, v31, 1
	v_fma_f32 v49, v48, s60, -v38
	v_fmamk_f32 v50, v48, 0xb102e308, v49
	v_pk_add_f32 v[48:49], v[38:39], v[50:51]
	v_mov_b32_e32 v148, v38
	v_sub_f32_e32 v51, v49, v51
	v_sub_f32_e32 v51, v39, v51
	v_add_f32_e32 v149, v31, v51
	v_pk_add_f32 v[38:39], v[48:49], v[38:39] neg_lo:[0,1] neg_hi:[0,1]
	v_pk_add_f32 v[150:151], v[48:49], v[148:149]
	v_mov_b32_e32 v51, v48
	v_mov_b32_e32 v39, v151
	v_pk_add_f32 v[160:161], v[50:51], v[38:39] neg_lo:[0,1] neg_hi:[0,1]
	v_pk_add_f32 v[38:39], v[50:51], v[38:39]
	v_mov_b32_e32 v148, v149
	v_mov_b32_e32 v50, v39
	v_pk_add_f32 v[162:163], v[50:51], v[48:49] neg_lo:[0,1] neg_hi:[0,1]
	v_mov_b32_e32 v38, v151
	v_mov_b32_e32 v31, v162
	v_pk_add_f32 v[164:165], v[150:151], v[30:31] neg_lo:[0,1] neg_hi:[0,1]
	v_mov_b32_e32 v150, v49
	v_mov_b32_e32 v151, v162
	;; [unrolled: 1-line block ×3, first 2 shown]
	v_pk_add_f32 v[38:39], v[38:39], v[150:151] neg_lo:[0,1] neg_hi:[0,1]
	v_mov_b32_e32 v149, v48
	v_pk_add_f32 v[38:39], v[148:149], v[38:39] neg_lo:[0,1] neg_hi:[0,1]
	v_mov_b32_e32 v164, v160
	v_pk_add_f32 v[48:49], v[164:165], v[38:39]
	s_mov_b32 s60, 0x33800000
	v_mov_b32_e32 v148, v49
	v_pk_add_f32 v[148:149], v[48:49], v[148:149]
	v_cmp_lt_f32_e64 s[60:61], |v166|, s60
	v_pk_add_f32 v[50:51], v[50:51], v[148:149]
	v_mov_b32_e32 v39, v148
	v_mov_b32_e32 v49, v50
	v_pk_add_f32 v[150:151], v[48:49], v[160:161] neg_lo:[0,1] neg_hi:[0,1]
	s_or_b64 vcc, vcc, s[60:61]
	v_sub_f32_e32 v31, v48, v150
	v_pk_add_f32 v[38:39], v[38:39], v[150:151] neg_lo:[0,1] neg_hi:[0,1]
	v_sub_f32_e32 v31, v160, v31
	v_add_f32_e32 v31, v38, v31
	v_add_f32_e32 v31, v31, v39
	v_add_f32_e32 v31, v50, v31
	v_cndmask_b32_e32 v31, v31, v166, vcc
	v_add_f32_e32 v31, v30, v31
.LBB519_124:
	s_or_b64 exec, exec, s[56:57]
	v_bfe_u32 v30, v31, 16, 1
	s_movk_i32 vcc_lo, 0x7fff
	v_add3_u32 v30, v31, v30, vcc_lo
	v_lshrrev_b32_e32 v30, 16, v30
	v_mov_b32_e32 v38, 0x7fc0
	v_cmp_o_f32_e32 vcc, v31, v31
	s_nop 1
	v_cndmask_b32_e32 v31, v38, v30, vcc
.LBB519_125:
	s_or_b64 exec, exec, s[58:59]
	v_and_b32_e32 v38, 0x3c0, v32
	v_min_u32_e32 v38, 0xc0, v38
	v_or_b32_e32 v38, 63, v38
	v_lshrrev_b32_e32 v30, 6, v32
	v_cmp_eq_u32_e32 vcc, v38, v32
	s_and_saveexec_b64 s[56:57], vcc
	s_cbranch_execz .LBB519_127
; %bb.126:
	v_lshlrev_b32_e32 v38, 1, v30
	ds_write_b16 v38, v31
.LBB519_127:
	s_or_b64 exec, exec, s[56:57]
	v_cmp_gt_u32_e32 vcc, 4, v32
	s_waitcnt lgkmcnt(0)
	s_barrier
	s_and_saveexec_b64 s[58:59], vcc
	s_cbranch_execz .LBB519_137
; %bb.128:
	ds_read_u16 v39, v0
	v_and_b32_e32 v38, 3, v37
	v_cmp_ne_u32_e32 vcc, 0, v38
	s_waitcnt lgkmcnt(0)
	v_and_b32_e32 v49, 0xffff, v39
	s_nop 1
	v_mov_b32_dpp v48, v49 row_shr:1 row_mask:0xf bank_mask:0xf
	s_and_saveexec_b64 s[60:61], vcc
	s_cbranch_execz .LBB519_132
; %bb.129:
	v_lshlrev_b32_e32 v48, 16, v48
	v_lshlrev_b32_e32 v39, 16, v49
	v_max_f32_e32 v50, v39, v39
	v_max_f32_e32 v51, v48, v48
	v_min_f32_e32 v49, v51, v50
	v_cmp_u_f32_e32 vcc, v48, v48
	v_max_f32_e32 v50, v51, v50
	v_cmp_u_f32_e64 s[56:57], v39, v39
	v_cndmask_b32_e32 v49, v49, v48, vcc
	v_cndmask_b32_e32 v50, v50, v48, vcc
	v_cndmask_b32_e64 v49, v49, v39, s[56:57]
	v_cndmask_b32_e64 v39, v50, v39, s[56:57]
	s_movk_i32 s56, 0x1f8
	v_cmp_neq_f32_e32 vcc, v49, v39
	v_cmp_class_f32_e64 s[56:57], v49, s56
	s_or_b64 vcc, vcc, s[56:57]
	s_and_saveexec_b64 s[56:57], vcc
	s_cbranch_execz .LBB519_131
; %bb.130:
	v_sub_f32_e32 v48, v49, v39
	s_mov_b32 s62, 0x3fb8aa3b
	v_mul_f32_e32 v49, 0x3fb8aa3b, v48
	v_fma_f32 v50, v48, s62, -v49
	v_rndne_f32_e32 v51, v49
	v_fmamk_f32 v50, v48, 0x32a5705f, v50
	v_sub_f32_e32 v49, v49, v51
	v_add_f32_e32 v49, v49, v50
	v_exp_f32_e32 v49, v49
	v_cvt_i32_f32_e32 v50, v51
	s_mov_b32 s62, 0xc2ce8ed0
	v_cmp_ngt_f32_e32 vcc, s62, v48
	s_mov_b32 s62, 0x42b17218
	v_ldexp_f32 v49, v49, v50
	v_cndmask_b32_e32 v49, 0, v49, vcc
	v_mov_b32_e32 v50, 0x7f800000
	v_cmp_nlt_f32_e32 vcc, s62, v48
	s_mov_b32 s62, 0x3f2aaaab
	s_mov_b32 s63, 0x7f800000
	v_cndmask_b32_e32 v176, v50, v49, vcc
	v_add_f32_e32 v50, 1.0, v176
	v_add_f32_e32 v48, -1.0, v50
	v_sub_f32_e32 v49, v48, v50
	v_add_f32_e32 v49, 1.0, v49
	v_sub_f32_e32 v48, v176, v48
	v_add_f32_e32 v51, v48, v49
	v_frexp_mant_f32_e32 v148, v50
	v_cvt_f64_f32_e32 v[48:49], v50
	v_frexp_exp_i32_f64_e32 v48, v[48:49]
	v_cmp_gt_f32_e32 vcc, s62, v148
	s_mov_b32 s62, 0x3f317218
	s_nop 0
	v_subbrev_co_u32_e32 v160, vcc, 0, v48, vcc
	v_sub_u32_e32 v48, 0, v160
	v_ldexp_f32 v49, v50, v48
	v_add_f32_e32 v50, -1.0, v49
	v_add_f32_e32 v148, 1.0, v49
	v_ldexp_f32 v48, v51, v48
	v_add_f32_e32 v51, 1.0, v50
	v_add_f32_e32 v149, -1.0, v148
	v_sub_f32_e32 v51, v49, v51
	v_sub_f32_e32 v49, v49, v149
	v_add_f32_e32 v51, v48, v51
	v_add_f32_e32 v48, v48, v49
	;; [unrolled: 1-line block ×3, first 2 shown]
	v_rcp_f32_e32 v163, v161
	v_sub_f32_e32 v49, v148, v161
	v_add_f32_e32 v162, v48, v49
	v_add_f32_e32 v49, v50, v51
	v_mul_f32_e32 v165, v49, v163
	v_sub_f32_e32 v48, v50, v49
	v_mul_f32_e32 v50, v161, v165
	v_fma_f32 v148, v165, v161, -v50
	v_fmac_f32_e32 v148, v165, v162
	v_add_f32_e32 v164, v51, v48
	v_add_f32_e32 v48, v50, v148
	v_sub_f32_e32 v51, v49, v48
	v_pk_add_f32 v[150:151], v[48:49], v[50:51] neg_lo:[0,1] neg_hi:[0,1]
	v_mov_b32_e32 v149, v48
	v_pk_add_f32 v[48:49], v[150:151], v[148:149] neg_lo:[0,1] neg_hi:[0,1]
	v_cmp_eq_f32_e32 vcc, s63, v176
	v_add_f32_e32 v49, v164, v49
	v_add_f32_e32 v48, v48, v49
	;; [unrolled: 1-line block ×3, first 2 shown]
	v_mul_f32_e32 v164, v163, v49
	v_mul_f32_e32 v50, v161, v164
	v_fma_f32 v148, v164, v161, -v50
	v_fmac_f32_e32 v148, v164, v162
	v_sub_f32_e32 v51, v51, v49
	v_add_f32_e32 v161, v48, v51
	v_add_f32_e32 v48, v50, v148
	v_sub_f32_e32 v51, v49, v48
	v_pk_add_f32 v[150:151], v[48:49], v[50:51] neg_lo:[0,1] neg_hi:[0,1]
	v_mov_b32_e32 v149, v48
	v_pk_add_f32 v[48:49], v[150:151], v[148:149] neg_lo:[0,1] neg_hi:[0,1]
	v_cvt_f32_i32_e32 v50, v160
	v_add_f32_e32 v49, v161, v49
	v_add_f32_e32 v48, v48, v49
	;; [unrolled: 1-line block ×4, first 2 shown]
	v_sub_f32_e32 v49, v51, v165
	v_mul_f32_e32 v48, v163, v48
	v_sub_f32_e32 v49, v164, v49
	v_add_f32_e32 v48, v49, v48
	v_add_f32_e32 v148, v51, v48
	v_mul_f32_e32 v150, v148, v148
	v_mov_b32_e32 v49, 0x3ecc95a3
	v_sub_f32_e32 v51, v148, v51
	v_fmac_f32_e32 v49, 0x3e9b6dac, v150
	v_sub_f32_e32 v48, v48, v51
	v_fmaak_f32 v49, v150, v49, 0x3f2aaada
	v_ldexp_f32 v151, v48, 1
	v_mul_f32_e32 v51, v148, v150
	v_mov_b32_e32 v48, 0x3f317218
	v_pk_mul_f32 v[48:49], v[50:51], v[48:49]
	v_ldexp_f32 v149, v148, 1
	v_fma_f32 v51, v50, s62, -v48
	v_fmamk_f32 v148, v50, 0xb102e308, v51
	v_pk_add_f32 v[50:51], v[48:49], v[148:149]
	v_mov_b32_e32 v150, v48
	v_sub_f32_e32 v149, v51, v149
	v_sub_f32_e32 v149, v49, v149
	v_add_f32_e32 v151, v151, v149
	v_pk_add_f32 v[48:49], v[50:51], v[48:49] neg_lo:[0,1] neg_hi:[0,1]
	v_pk_add_f32 v[160:161], v[50:51], v[150:151]
	v_mov_b32_e32 v149, v50
	v_mov_b32_e32 v49, v161
	v_pk_add_f32 v[162:163], v[148:149], v[48:49] neg_lo:[0,1] neg_hi:[0,1]
	v_pk_add_f32 v[48:49], v[148:149], v[48:49]
	v_mov_b32_e32 v150, v151
	v_mov_b32_e32 v148, v49
	v_pk_add_f32 v[164:165], v[148:149], v[50:51] neg_lo:[0,1] neg_hi:[0,1]
	v_mov_b32_e32 v48, v161
	v_mov_b32_e32 v149, v164
	v_pk_add_f32 v[166:167], v[160:161], v[148:149] neg_lo:[0,1] neg_hi:[0,1]
	v_mov_b32_e32 v160, v51
	v_mov_b32_e32 v161, v164
	;; [unrolled: 1-line block ×3, first 2 shown]
	v_pk_add_f32 v[48:49], v[48:49], v[160:161] neg_lo:[0,1] neg_hi:[0,1]
	v_mov_b32_e32 v151, v50
	v_pk_add_f32 v[48:49], v[150:151], v[48:49] neg_lo:[0,1] neg_hi:[0,1]
	v_mov_b32_e32 v166, v162
	v_pk_add_f32 v[50:51], v[166:167], v[48:49]
	s_mov_b32 s62, 0x33800000
	v_mov_b32_e32 v150, v51
	v_pk_add_f32 v[150:151], v[50:51], v[150:151]
	v_cmp_lt_f32_e64 s[62:63], |v176|, s62
	v_pk_add_f32 v[148:149], v[148:149], v[150:151]
	v_mov_b32_e32 v49, v150
	v_mov_b32_e32 v51, v148
	v_pk_add_f32 v[160:161], v[50:51], v[162:163] neg_lo:[0,1] neg_hi:[0,1]
	s_or_b64 vcc, vcc, s[62:63]
	v_sub_f32_e32 v50, v50, v160
	v_pk_add_f32 v[48:49], v[48:49], v[160:161] neg_lo:[0,1] neg_hi:[0,1]
	v_sub_f32_e32 v50, v162, v50
	v_add_f32_e32 v48, v48, v50
	v_add_f32_e32 v48, v48, v49
	;; [unrolled: 1-line block ×3, first 2 shown]
	v_cndmask_b32_e32 v48, v48, v176, vcc
	v_add_f32_e32 v48, v39, v48
.LBB519_131:
	s_or_b64 exec, exec, s[56:57]
	v_bfe_u32 v39, v48, 16, 1
	s_movk_i32 vcc_lo, 0x7fff
	v_add3_u32 v39, v48, v39, vcc_lo
	v_lshrrev_b32_e32 v39, 16, v39
	v_mov_b32_e32 v49, 0x7fc0
	v_cmp_o_f32_e32 vcc, v48, v48
	s_nop 1
	v_cndmask_b32_e32 v39, v49, v39, vcc
	v_and_b32_e32 v49, 0xffff, v39
.LBB519_132:
	s_or_b64 exec, exec, s[60:61]
	s_nop 0
	v_mov_b32_dpp v48, v49 row_shr:2 row_mask:0xf bank_mask:0xf
	v_cmp_lt_u32_e32 vcc, 1, v38
	s_and_saveexec_b64 s[60:61], vcc
	s_cbranch_execz .LBB519_136
; %bb.133:
	v_lshlrev_b32_e32 v39, 16, v48
	v_lshlrev_b32_e32 v38, 16, v49
	v_max_f32_e32 v49, v38, v38
	v_max_f32_e32 v50, v39, v39
	v_min_f32_e32 v48, v50, v49
	v_cmp_u_f32_e32 vcc, v39, v39
	v_max_f32_e32 v49, v50, v49
	v_cmp_u_f32_e64 s[56:57], v38, v38
	v_cndmask_b32_e32 v48, v48, v39, vcc
	v_cndmask_b32_e32 v49, v49, v39, vcc
	v_cndmask_b32_e64 v48, v48, v38, s[56:57]
	v_cndmask_b32_e64 v38, v49, v38, s[56:57]
	s_movk_i32 s56, 0x1f8
	v_cmp_neq_f32_e32 vcc, v48, v38
	v_cmp_class_f32_e64 s[56:57], v48, s56
	s_or_b64 vcc, vcc, s[56:57]
	s_and_saveexec_b64 s[56:57], vcc
	s_cbranch_execz .LBB519_135
; %bb.134:
	v_sub_f32_e32 v39, v48, v38
	s_mov_b32 s62, 0x3fb8aa3b
	v_mul_f32_e32 v48, 0x3fb8aa3b, v39
	v_fma_f32 v49, v39, s62, -v48
	v_rndne_f32_e32 v50, v48
	v_fmamk_f32 v49, v39, 0x32a5705f, v49
	v_sub_f32_e32 v48, v48, v50
	v_add_f32_e32 v48, v48, v49
	v_exp_f32_e32 v48, v48
	v_cvt_i32_f32_e32 v49, v50
	s_mov_b32 s62, 0xc2ce8ed0
	v_cmp_ngt_f32_e32 vcc, s62, v39
	s_mov_b32 s62, 0x42b17218
	v_ldexp_f32 v48, v48, v49
	v_cndmask_b32_e32 v48, 0, v48, vcc
	v_mov_b32_e32 v49, 0x7f800000
	v_cmp_nlt_f32_e32 vcc, s62, v39
	s_mov_b32 s62, 0x3f2aaaab
	s_mov_b32 s63, 0x7f800000
	v_cndmask_b32_e32 v176, v49, v48, vcc
	v_add_f32_e32 v39, 1.0, v176
	v_add_f32_e32 v48, -1.0, v39
	v_sub_f32_e32 v49, v48, v39
	v_add_f32_e32 v49, 1.0, v49
	v_sub_f32_e32 v48, v176, v48
	v_add_f32_e32 v50, v48, v49
	v_frexp_mant_f32_e32 v51, v39
	v_cvt_f64_f32_e32 v[48:49], v39
	v_frexp_exp_i32_f64_e32 v48, v[48:49]
	v_cmp_gt_f32_e32 vcc, s62, v51
	s_mov_b32 s62, 0x3f317218
	s_nop 0
	v_subbrev_co_u32_e32 v160, vcc, 0, v48, vcc
	v_sub_u32_e32 v48, 0, v160
	v_ldexp_f32 v39, v39, v48
	v_ldexp_f32 v48, v50, v48
	v_add_f32_e32 v50, -1.0, v39
	v_add_f32_e32 v49, 1.0, v50
	v_sub_f32_e32 v49, v39, v49
	v_add_f32_e32 v51, v48, v49
	v_add_f32_e32 v49, 1.0, v39
	v_add_f32_e32 v148, -1.0, v49
	v_sub_f32_e32 v39, v39, v148
	v_add_f32_e32 v39, v48, v39
	v_add_f32_e32 v161, v49, v39
	v_rcp_f32_e32 v162, v161
	v_sub_f32_e32 v48, v49, v161
	v_add_f32_e32 v49, v50, v51
	v_add_f32_e32 v39, v39, v48
	v_mul_f32_e32 v164, v49, v162
	v_sub_f32_e32 v48, v50, v49
	v_mul_f32_e32 v50, v161, v164
	v_fma_f32 v148, v164, v161, -v50
	v_fmac_f32_e32 v148, v164, v39
	v_add_f32_e32 v163, v51, v48
	v_add_f32_e32 v48, v50, v148
	v_sub_f32_e32 v51, v49, v48
	v_pk_add_f32 v[150:151], v[48:49], v[50:51] neg_lo:[0,1] neg_hi:[0,1]
	v_mov_b32_e32 v149, v48
	v_pk_add_f32 v[48:49], v[150:151], v[148:149] neg_lo:[0,1] neg_hi:[0,1]
	v_cmp_eq_f32_e32 vcc, s63, v176
	v_add_f32_e32 v49, v163, v49
	v_add_f32_e32 v48, v48, v49
	;; [unrolled: 1-line block ×3, first 2 shown]
	v_mul_f32_e32 v163, v162, v49
	v_mul_f32_e32 v50, v161, v163
	v_fma_f32 v148, v163, v161, -v50
	v_fmac_f32_e32 v148, v163, v39
	v_sub_f32_e32 v39, v51, v49
	v_add_f32_e32 v39, v48, v39
	v_add_f32_e32 v48, v50, v148
	v_sub_f32_e32 v51, v49, v48
	v_pk_add_f32 v[150:151], v[48:49], v[50:51] neg_lo:[0,1] neg_hi:[0,1]
	v_mov_b32_e32 v149, v48
	v_pk_add_f32 v[48:49], v[150:151], v[148:149] neg_lo:[0,1] neg_hi:[0,1]
	v_cvt_f32_i32_e32 v50, v160
	v_add_f32_e32 v39, v39, v49
	v_add_f32_e32 v39, v48, v39
	;; [unrolled: 1-line block ×4, first 2 shown]
	v_sub_f32_e32 v49, v48, v164
	v_mul_f32_e32 v39, v162, v39
	v_sub_f32_e32 v49, v163, v49
	v_add_f32_e32 v39, v49, v39
	v_add_f32_e32 v51, v48, v39
	v_mul_f32_e32 v148, v51, v51
	v_mov_b32_e32 v49, 0x3ecc95a3
	v_fmac_f32_e32 v49, 0x3e9b6dac, v148
	v_sub_f32_e32 v48, v51, v48
	v_fmaak_f32 v49, v148, v49, 0x3f2aaada
	v_sub_f32_e32 v39, v39, v48
	v_ldexp_f32 v149, v51, 1
	v_mul_f32_e32 v51, v51, v148
	v_mov_b32_e32 v48, 0x3f317218
	v_pk_mul_f32 v[48:49], v[50:51], v[48:49]
	v_ldexp_f32 v39, v39, 1
	v_fma_f32 v51, v50, s62, -v48
	v_fmamk_f32 v148, v50, 0xb102e308, v51
	v_pk_add_f32 v[50:51], v[48:49], v[148:149]
	v_mov_b32_e32 v150, v48
	v_sub_f32_e32 v149, v51, v149
	v_sub_f32_e32 v149, v49, v149
	v_add_f32_e32 v151, v39, v149
	v_pk_add_f32 v[48:49], v[50:51], v[48:49] neg_lo:[0,1] neg_hi:[0,1]
	v_pk_add_f32 v[160:161], v[50:51], v[150:151]
	v_mov_b32_e32 v149, v50
	v_mov_b32_e32 v49, v161
	v_pk_add_f32 v[162:163], v[148:149], v[48:49] neg_lo:[0,1] neg_hi:[0,1]
	v_pk_add_f32 v[48:49], v[148:149], v[48:49]
	v_mov_b32_e32 v150, v151
	v_mov_b32_e32 v148, v49
	v_pk_add_f32 v[164:165], v[148:149], v[50:51] neg_lo:[0,1] neg_hi:[0,1]
	v_mov_b32_e32 v48, v161
	v_mov_b32_e32 v39, v164
	v_pk_add_f32 v[166:167], v[160:161], v[38:39] neg_lo:[0,1] neg_hi:[0,1]
	v_mov_b32_e32 v160, v51
	v_mov_b32_e32 v161, v164
	;; [unrolled: 1-line block ×3, first 2 shown]
	v_pk_add_f32 v[48:49], v[48:49], v[160:161] neg_lo:[0,1] neg_hi:[0,1]
	v_mov_b32_e32 v151, v50
	v_pk_add_f32 v[48:49], v[150:151], v[48:49] neg_lo:[0,1] neg_hi:[0,1]
	v_mov_b32_e32 v166, v162
	v_pk_add_f32 v[50:51], v[166:167], v[48:49]
	s_mov_b32 s62, 0x33800000
	v_mov_b32_e32 v150, v51
	v_pk_add_f32 v[150:151], v[50:51], v[150:151]
	v_cmp_lt_f32_e64 s[62:63], |v176|, s62
	v_pk_add_f32 v[148:149], v[148:149], v[150:151]
	v_mov_b32_e32 v49, v150
	v_mov_b32_e32 v51, v148
	v_pk_add_f32 v[160:161], v[50:51], v[162:163] neg_lo:[0,1] neg_hi:[0,1]
	s_or_b64 vcc, vcc, s[62:63]
	v_sub_f32_e32 v39, v50, v160
	v_pk_add_f32 v[48:49], v[48:49], v[160:161] neg_lo:[0,1] neg_hi:[0,1]
	v_sub_f32_e32 v39, v162, v39
	v_add_f32_e32 v39, v48, v39
	v_add_f32_e32 v39, v39, v49
	;; [unrolled: 1-line block ×3, first 2 shown]
	v_cndmask_b32_e32 v39, v39, v176, vcc
	v_add_f32_e32 v39, v38, v39
.LBB519_135:
	s_or_b64 exec, exec, s[56:57]
	v_bfe_u32 v38, v39, 16, 1
	s_movk_i32 vcc_lo, 0x7fff
	v_add3_u32 v38, v39, v38, vcc_lo
	v_lshrrev_b32_e32 v38, 16, v38
	v_mov_b32_e32 v48, 0x7fc0
	v_cmp_o_f32_e32 vcc, v39, v39
	s_nop 1
	v_cndmask_b32_e32 v39, v48, v38, vcc
.LBB519_136:
	s_or_b64 exec, exec, s[60:61]
	ds_write_b16 v0, v39
.LBB519_137:
	s_or_b64 exec, exec, s[58:59]
	v_cmp_gt_u32_e32 vcc, 64, v32
	v_cmp_lt_u32_e64 s[56:57], 63, v32
	s_waitcnt lgkmcnt(0)
	s_barrier
	s_waitcnt lgkmcnt(0)
                                        ; implicit-def: $vgpr148
	s_and_saveexec_b64 s[60:61], s[56:57]
	s_cbranch_execz .LBB519_141
; %bb.138:
	v_lshl_add_u32 v30, v30, 1, -2
	ds_read_u16 v148, v30
	v_lshlrev_b32_e32 v30, 16, v31
	v_max_f32_e32 v39, v30, v30
	v_cmp_u_f32_e64 s[58:59], v30, v30
	s_waitcnt lgkmcnt(0)
	v_lshlrev_b32_e32 v31, 16, v148
	v_max_f32_e32 v48, v31, v31
	v_min_f32_e32 v38, v48, v39
	v_cmp_u_f32_e64 s[56:57], v31, v31
	v_max_f32_e32 v39, v48, v39
	s_nop 0
	v_cndmask_b32_e64 v38, v38, v31, s[56:57]
	v_cndmask_b32_e64 v39, v39, v31, s[56:57]
	;; [unrolled: 1-line block ×4, first 2 shown]
	s_movk_i32 s58, 0x1f8
	v_cmp_neq_f32_e64 s[56:57], v38, v30
	v_cmp_class_f32_e64 s[58:59], v38, s58
	s_or_b64 s[56:57], s[56:57], s[58:59]
	s_and_saveexec_b64 s[58:59], s[56:57]
	s_cbranch_execz .LBB519_140
; %bb.139:
	v_sub_f32_e32 v31, v38, v30
	s_mov_b32 s56, 0x3fb8aa3b
	v_mul_f32_e32 v38, 0x3fb8aa3b, v31
	v_fma_f32 v39, v31, s56, -v38
	v_rndne_f32_e32 v48, v38
	v_fmamk_f32 v39, v31, 0x32a5705f, v39
	v_sub_f32_e32 v38, v38, v48
	v_add_f32_e32 v38, v38, v39
	v_exp_f32_e32 v38, v38
	v_cvt_i32_f32_e32 v39, v48
	s_mov_b32 s56, 0xc2ce8ed0
	v_cmp_ngt_f32_e64 s[56:57], s56, v31
	s_mov_b32 s62, 0x7f800000
	v_ldexp_f32 v38, v38, v39
	v_cndmask_b32_e64 v38, 0, v38, s[56:57]
	s_mov_b32 s56, 0x42b17218
	v_mov_b32_e32 v39, 0x7f800000
	v_cmp_nlt_f32_e64 s[56:57], s56, v31
	s_nop 1
	v_cndmask_b32_e64 v149, v39, v38, s[56:57]
	v_add_f32_e32 v31, 1.0, v149
	v_add_f32_e32 v38, -1.0, v31
	v_sub_f32_e32 v39, v38, v31
	v_add_f32_e32 v39, 1.0, v39
	v_sub_f32_e32 v38, v149, v38
	v_add_f32_e32 v48, v38, v39
	v_frexp_mant_f32_e32 v49, v31
	s_mov_b32 s56, 0x3f2aaaab
	v_cvt_f64_f32_e32 v[38:39], v31
	v_frexp_exp_i32_f64_e32 v38, v[38:39]
	v_cmp_gt_f32_e64 s[56:57], s56, v49
	s_nop 1
	v_subbrev_co_u32_e64 v160, s[56:57], 0, v38, s[56:57]
	v_sub_u32_e32 v38, 0, v160
	v_ldexp_f32 v31, v31, v38
	v_ldexp_f32 v38, v48, v38
	v_add_f32_e32 v48, -1.0, v31
	v_add_f32_e32 v39, 1.0, v48
	v_sub_f32_e32 v39, v31, v39
	v_add_f32_e32 v49, v38, v39
	v_add_f32_e32 v39, 1.0, v31
	v_add_f32_e32 v50, -1.0, v39
	v_sub_f32_e32 v31, v31, v50
	v_add_f32_e32 v31, v38, v31
	v_add_f32_e32 v161, v39, v31
	v_rcp_f32_e32 v162, v161
	v_sub_f32_e32 v38, v39, v161
	v_add_f32_e32 v39, v48, v49
	v_add_f32_e32 v31, v31, v38
	v_mul_f32_e32 v164, v39, v162
	v_sub_f32_e32 v38, v48, v39
	v_mul_f32_e32 v48, v161, v164
	v_fma_f32 v50, v164, v161, -v48
	v_fmac_f32_e32 v50, v164, v31
	v_add_f32_e32 v163, v49, v38
	v_add_f32_e32 v38, v48, v50
	v_sub_f32_e32 v49, v39, v38
	v_pk_add_f32 v[150:151], v[38:39], v[48:49] neg_lo:[0,1] neg_hi:[0,1]
	v_mov_b32_e32 v51, v38
	v_pk_add_f32 v[38:39], v[150:151], v[50:51] neg_lo:[0,1] neg_hi:[0,1]
	s_mov_b32 s56, 0x3f317218
	v_add_f32_e32 v39, v163, v39
	v_add_f32_e32 v38, v38, v39
	;; [unrolled: 1-line block ×3, first 2 shown]
	v_mul_f32_e32 v163, v162, v39
	v_mul_f32_e32 v48, v161, v163
	v_fma_f32 v50, v163, v161, -v48
	v_fmac_f32_e32 v50, v163, v31
	v_sub_f32_e32 v31, v49, v39
	v_add_f32_e32 v31, v38, v31
	v_add_f32_e32 v38, v48, v50
	v_sub_f32_e32 v49, v39, v38
	v_pk_add_f32 v[150:151], v[38:39], v[48:49] neg_lo:[0,1] neg_hi:[0,1]
	v_mov_b32_e32 v51, v38
	v_pk_add_f32 v[38:39], v[150:151], v[50:51] neg_lo:[0,1] neg_hi:[0,1]
	v_cvt_f32_i32_e32 v48, v160
	v_add_f32_e32 v31, v31, v39
	v_add_f32_e32 v31, v38, v31
	;; [unrolled: 1-line block ×4, first 2 shown]
	v_sub_f32_e32 v39, v38, v164
	v_mul_f32_e32 v31, v162, v31
	v_sub_f32_e32 v39, v163, v39
	v_add_f32_e32 v31, v39, v31
	v_add_f32_e32 v49, v38, v31
	v_mul_f32_e32 v50, v49, v49
	v_mov_b32_e32 v39, 0x3ecc95a3
	v_fmac_f32_e32 v39, 0x3e9b6dac, v50
	v_sub_f32_e32 v38, v49, v38
	v_fmaak_f32 v39, v50, v39, 0x3f2aaada
	v_sub_f32_e32 v31, v31, v38
	v_ldexp_f32 v51, v49, 1
	v_mul_f32_e32 v49, v49, v50
	v_mov_b32_e32 v38, 0x3f317218
	v_pk_mul_f32 v[38:39], v[48:49], v[38:39]
	v_ldexp_f32 v31, v31, 1
	v_fma_f32 v49, v48, s56, -v38
	v_fmamk_f32 v50, v48, 0xb102e308, v49
	v_pk_add_f32 v[48:49], v[38:39], v[50:51]
	v_mov_b32_e32 v150, v38
	v_sub_f32_e32 v51, v49, v51
	v_sub_f32_e32 v51, v39, v51
	v_add_f32_e32 v151, v31, v51
	v_pk_add_f32 v[38:39], v[48:49], v[38:39] neg_lo:[0,1] neg_hi:[0,1]
	v_pk_add_f32 v[160:161], v[48:49], v[150:151]
	v_mov_b32_e32 v51, v48
	v_mov_b32_e32 v39, v161
	v_pk_add_f32 v[162:163], v[50:51], v[38:39] neg_lo:[0,1] neg_hi:[0,1]
	v_pk_add_f32 v[38:39], v[50:51], v[38:39]
	v_mov_b32_e32 v150, v151
	v_mov_b32_e32 v50, v39
	v_pk_add_f32 v[164:165], v[50:51], v[48:49] neg_lo:[0,1] neg_hi:[0,1]
	v_mov_b32_e32 v38, v161
	v_mov_b32_e32 v31, v164
	v_pk_add_f32 v[166:167], v[160:161], v[30:31] neg_lo:[0,1] neg_hi:[0,1]
	v_mov_b32_e32 v160, v49
	v_mov_b32_e32 v161, v164
	v_mov_b32_e32 v163, v39
	v_pk_add_f32 v[38:39], v[38:39], v[160:161] neg_lo:[0,1] neg_hi:[0,1]
	v_mov_b32_e32 v151, v48
	v_pk_add_f32 v[38:39], v[150:151], v[38:39] neg_lo:[0,1] neg_hi:[0,1]
	v_mov_b32_e32 v166, v162
	v_pk_add_f32 v[48:49], v[166:167], v[38:39]
	v_cmp_eq_f32_e64 s[56:57], s62, v149
	v_mov_b32_e32 v150, v49
	v_pk_add_f32 v[150:151], v[48:49], v[150:151]
	s_mov_b32 s62, 0x33800000
	v_pk_add_f32 v[50:51], v[50:51], v[150:151]
	v_mov_b32_e32 v39, v150
	v_mov_b32_e32 v49, v50
	v_pk_add_f32 v[160:161], v[48:49], v[162:163] neg_lo:[0,1] neg_hi:[0,1]
	v_cmp_lt_f32_e64 s[62:63], |v149|, s62
	v_sub_f32_e32 v31, v48, v160
	v_pk_add_f32 v[38:39], v[38:39], v[160:161] neg_lo:[0,1] neg_hi:[0,1]
	v_sub_f32_e32 v31, v162, v31
	v_add_f32_e32 v31, v38, v31
	v_add_f32_e32 v31, v31, v39
	;; [unrolled: 1-line block ×3, first 2 shown]
	s_or_b64 s[56:57], s[56:57], s[62:63]
	v_cndmask_b32_e64 v31, v31, v149, s[56:57]
	v_add_f32_e32 v31, v30, v31
.LBB519_140:
	s_or_b64 exec, exec, s[58:59]
	v_bfe_u32 v30, v31, 16, 1
	s_movk_i32 s56, 0x7fff
	v_add3_u32 v30, v31, v30, s56
	v_lshrrev_b32_e32 v30, 16, v30
	v_mov_b32_e32 v38, 0x7fc0
	v_cmp_o_f32_e64 s[56:57], v31, v31
	s_nop 1
	v_cndmask_b32_e64 v31, v38, v30, s[56:57]
.LBB519_141:
	s_or_b64 exec, exec, s[60:61]
	v_and_b32_e32 v30, 0xffff, v31
	v_add_u32_e32 v31, -1, v37
	v_and_b32_e32 v38, 64, v37
	v_cmp_lt_i32_e64 s[56:57], v31, v38
	s_nop 1
	v_cndmask_b32_e64 v31, v31, v37, s[56:57]
	v_lshlrev_b32_e32 v31, 2, v31
	ds_bpermute_b32 v149, v31, v30
	v_cmp_eq_u32_e64 s[56:57], 0, v37
	s_and_saveexec_b64 s[60:61], vcc
	s_cbranch_execz .LBB519_212
; %bb.142:
	v_mov_b32_e32 v49, 0
	ds_read_u16 v150, v49 offset:6
	v_add_u32_e32 v30, 64, v36
	s_and_saveexec_b64 vcc, s[56:57]
	s_cbranch_execz .LBB519_144
; %bb.143:
	v_mov_b32_e32 v31, v49
	v_lshl_add_u64 v[38:39], v[30:31], 2, v[28:29]
	s_waitcnt lgkmcnt(0)
	v_or_b32_e32 v31, 0x10000, v150
	flat_store_dword v[38:39], v31 sc1
.LBB519_144:
	s_or_b64 exec, exec, vcc
	v_xad_u32 v36, v37, -1, v36
	v_add_u32_e32 v48, 64, v36
	v_lshl_add_u64 v[38:39], v[48:49], 2, v[28:29]
	flat_load_dword v50, v[38:39] sc1
	s_waitcnt vmcnt(0) lgkmcnt(0)
	v_lshrrev_b32_e32 v31, 16, v50
	v_cmp_eq_u16_sdwa s[58:59], v31, v49 src0_sel:BYTE_0 src1_sel:DWORD
	s_and_saveexec_b64 vcc, s[58:59]
	s_cbranch_execz .LBB519_148
; %bb.145:
	s_mov_b64 s[58:59], 0
	v_mov_b32_e32 v48, 0
.LBB519_146:                            ; =>This Inner Loop Header: Depth=1
	flat_load_dword v50, v[38:39] sc1
	s_waitcnt vmcnt(0) lgkmcnt(0)
	v_lshrrev_b32_e32 v31, 16, v50
	v_cmp_ne_u16_sdwa s[62:63], v31, v48 src0_sel:BYTE_0 src1_sel:DWORD
	s_or_b64 s[58:59], s[62:63], s[58:59]
	s_andn2_b64 exec, exec, s[58:59]
	s_cbranch_execnz .LBB519_146
; %bb.147:
	s_or_b64 exec, exec, s[58:59]
.LBB519_148:
	s_or_b64 exec, exec, vcc
	v_mov_b32_e32 v38, 2
	v_cmp_eq_u16_sdwa vcc, v31, v38 src0_sel:BYTE_0 src1_sel:DWORD
	v_lshlrev_b64 v[38:39], v37, -1
	v_and_b32_e32 v151, 63, v37
	v_and_b32_e32 v48, vcc_hi, v39
	v_and_b32_e32 v161, vcc_lo, v38
	v_cmp_ne_u32_e32 vcc, 63, v151
	v_and_b32_e32 v49, 0xffff, v50
	v_or_b32_e32 v48, 0x80000000, v48
	v_addc_co_u32_e32 v51, vcc, 0, v37, vcc
	v_lshlrev_b32_e32 v160, 2, v51
	ds_bpermute_b32 v51, v160, v49
	v_ffbl_b32_e32 v48, v48
	v_add_u32_e32 v48, 32, v48
	v_ffbl_b32_e32 v161, v161
	v_min_u32_e32 v48, v161, v48
	v_cmp_lt_u32_e32 vcc, v151, v48
	s_and_saveexec_b64 s[62:63], vcc
	s_cbranch_execz .LBB519_152
; %bb.149:
	s_waitcnt lgkmcnt(0)
	v_lshlrev_b32_e32 v50, 16, v51
	v_lshlrev_b32_e32 v49, 16, v49
	v_max_f32_e32 v161, v49, v49
	v_max_f32_e32 v162, v50, v50
	v_min_f32_e32 v51, v162, v161
	v_cmp_u_f32_e32 vcc, v50, v50
	v_max_f32_e32 v161, v162, v161
	v_cmp_u_f32_e64 s[58:59], v49, v49
	v_cndmask_b32_e32 v51, v51, v50, vcc
	v_cndmask_b32_e32 v161, v161, v50, vcc
	v_cndmask_b32_e64 v51, v51, v49, s[58:59]
	v_cndmask_b32_e64 v49, v161, v49, s[58:59]
	s_movk_i32 s58, 0x1f8
	v_cmp_neq_f32_e32 vcc, v51, v49
	v_cmp_class_f32_e64 s[58:59], v51, s58
	s_or_b64 vcc, vcc, s[58:59]
	s_and_saveexec_b64 s[58:59], vcc
	s_cbranch_execz .LBB519_151
; %bb.150:
	v_sub_f32_e32 v50, v51, v49
	s_mov_b32 s64, 0x3fb8aa3b
	v_mul_f32_e32 v51, 0x3fb8aa3b, v50
	v_fma_f32 v161, v50, s64, -v51
	v_rndne_f32_e32 v162, v51
	v_fmamk_f32 v161, v50, 0x32a5705f, v161
	v_sub_f32_e32 v51, v51, v162
	v_add_f32_e32 v51, v51, v161
	v_exp_f32_e32 v51, v51
	v_cvt_i32_f32_e32 v161, v162
	s_mov_b32 s64, 0xc2ce8ed0
	v_cmp_ngt_f32_e32 vcc, s64, v50
	s_mov_b32 s64, 0x42b17218
	v_ldexp_f32 v51, v51, v161
	v_cndmask_b32_e32 v51, 0, v51, vcc
	v_mov_b32_e32 v161, 0x7f800000
	v_cmp_nlt_f32_e32 vcc, s64, v50
	s_mov_b32 s64, 0x3f2aaaab
	s_mov_b32 s65, 0x7f800000
	v_cndmask_b32_e32 v192, v161, v51, vcc
	v_add_f32_e32 v161, 1.0, v192
	v_add_f32_e32 v50, -1.0, v161
	v_sub_f32_e32 v51, v50, v161
	v_add_f32_e32 v51, 1.0, v51
	v_sub_f32_e32 v50, v192, v50
	v_add_f32_e32 v162, v50, v51
	v_frexp_mant_f32_e32 v163, v161
	v_cvt_f64_f32_e32 v[50:51], v161
	v_frexp_exp_i32_f64_e32 v50, v[50:51]
	v_cmp_gt_f32_e32 vcc, s64, v163
	s_mov_b32 s64, 0x3f317218
	s_nop 0
	v_subbrev_co_u32_e32 v176, vcc, 0, v50, vcc
	v_sub_u32_e32 v50, 0, v176
	v_ldexp_f32 v51, v161, v50
	v_add_f32_e32 v161, -1.0, v51
	v_add_f32_e32 v163, 1.0, v51
	v_ldexp_f32 v50, v162, v50
	v_add_f32_e32 v162, 1.0, v161
	v_add_f32_e32 v164, -1.0, v163
	v_sub_f32_e32 v162, v51, v162
	v_sub_f32_e32 v51, v51, v164
	v_add_f32_e32 v162, v50, v162
	v_add_f32_e32 v50, v50, v51
	;; [unrolled: 1-line block ×3, first 2 shown]
	v_rcp_f32_e32 v179, v177
	v_sub_f32_e32 v51, v163, v177
	v_add_f32_e32 v178, v50, v51
	v_add_f32_e32 v51, v161, v162
	v_sub_f32_e32 v50, v161, v51
	v_mul_f32_e32 v180, v51, v179
	v_add_f32_e32 v161, v162, v50
	v_mul_f32_e32 v162, v177, v180
	v_fma_f32 v164, v180, v177, -v162
	v_fmac_f32_e32 v164, v180, v178
	v_add_f32_e32 v50, v162, v164
	v_sub_f32_e32 v163, v51, v50
	v_pk_add_f32 v[166:167], v[50:51], v[162:163] neg_lo:[0,1] neg_hi:[0,1]
	v_mov_b32_e32 v165, v50
	v_pk_add_f32 v[50:51], v[166:167], v[164:165] neg_lo:[0,1] neg_hi:[0,1]
	v_cmp_eq_f32_e32 vcc, s65, v192
	v_add_f32_e32 v51, v161, v51
	v_add_f32_e32 v50, v50, v51
	;; [unrolled: 1-line block ×3, first 2 shown]
	v_mul_f32_e32 v161, v179, v51
	v_mul_f32_e32 v162, v177, v161
	v_fma_f32 v164, v161, v177, -v162
	v_fmac_f32_e32 v164, v161, v178
	v_sub_f32_e32 v163, v163, v51
	v_add_f32_e32 v177, v50, v163
	v_add_f32_e32 v50, v162, v164
	v_sub_f32_e32 v163, v51, v50
	v_pk_add_f32 v[166:167], v[50:51], v[162:163] neg_lo:[0,1] neg_hi:[0,1]
	v_mov_b32_e32 v165, v50
	v_pk_add_f32 v[50:51], v[166:167], v[164:165] neg_lo:[0,1] neg_hi:[0,1]
	v_cvt_f32_i32_e32 v162, v176
	v_add_f32_e32 v51, v177, v51
	v_add_f32_e32 v50, v50, v51
	;; [unrolled: 1-line block ×4, first 2 shown]
	v_sub_f32_e32 v51, v163, v180
	v_mul_f32_e32 v50, v179, v50
	v_sub_f32_e32 v51, v161, v51
	v_add_f32_e32 v50, v51, v50
	v_add_f32_e32 v161, v163, v50
	v_mul_f32_e32 v164, v161, v161
	v_mov_b32_e32 v51, 0x3ecc95a3
	v_sub_f32_e32 v163, v161, v163
	v_fmac_f32_e32 v51, 0x3e9b6dac, v164
	v_sub_f32_e32 v50, v50, v163
	v_fmaak_f32 v51, v164, v51, 0x3f2aaada
	v_ldexp_f32 v166, v50, 1
	v_mul_f32_e32 v163, v161, v164
	v_mov_b32_e32 v50, 0x3f317218
	v_pk_mul_f32 v[50:51], v[162:163], v[50:51]
	v_ldexp_f32 v165, v161, 1
	v_fma_f32 v161, v162, s64, -v50
	v_fmamk_f32 v164, v162, 0xb102e308, v161
	v_pk_add_f32 v[162:163], v[50:51], v[164:165]
	s_mov_b32 s64, 0x33800000
	v_sub_f32_e32 v161, v163, v165
	v_sub_f32_e32 v161, v51, v161
	v_add_f32_e32 v167, v166, v161
	v_mov_b32_e32 v166, v50
	v_pk_add_f32 v[50:51], v[162:163], v[50:51] neg_lo:[0,1] neg_hi:[0,1]
	v_pk_add_f32 v[176:177], v[162:163], v[166:167]
	v_mov_b32_e32 v165, v162
	v_mov_b32_e32 v51, v177
	v_pk_add_f32 v[178:179], v[164:165], v[50:51] neg_lo:[0,1] neg_hi:[0,1]
	v_pk_add_f32 v[50:51], v[164:165], v[50:51]
	v_mov_b32_e32 v166, v167
	v_mov_b32_e32 v164, v51
	v_pk_add_f32 v[180:181], v[164:165], v[162:163] neg_lo:[0,1] neg_hi:[0,1]
	v_mov_b32_e32 v50, v177
	v_mov_b32_e32 v161, v180
	v_pk_add_f32 v[182:183], v[176:177], v[160:161] neg_lo:[0,1] neg_hi:[0,1]
	v_mov_b32_e32 v176, v163
	v_mov_b32_e32 v177, v180
	;; [unrolled: 1-line block ×3, first 2 shown]
	v_pk_add_f32 v[50:51], v[50:51], v[176:177] neg_lo:[0,1] neg_hi:[0,1]
	v_mov_b32_e32 v167, v162
	v_pk_add_f32 v[50:51], v[166:167], v[50:51] neg_lo:[0,1] neg_hi:[0,1]
	v_mov_b32_e32 v182, v178
	v_pk_add_f32 v[162:163], v[182:183], v[50:51]
	v_cmp_lt_f32_e64 s[64:65], |v192|, s64
	v_mov_b32_e32 v166, v163
	v_pk_add_f32 v[166:167], v[162:163], v[166:167]
	s_or_b64 vcc, vcc, s[64:65]
	v_pk_add_f32 v[164:165], v[164:165], v[166:167]
	v_mov_b32_e32 v51, v166
	v_mov_b32_e32 v163, v164
	v_pk_add_f32 v[176:177], v[162:163], v[178:179] neg_lo:[0,1] neg_hi:[0,1]
	s_nop 0
	v_sub_f32_e32 v161, v162, v176
	v_pk_add_f32 v[50:51], v[50:51], v[176:177] neg_lo:[0,1] neg_hi:[0,1]
	v_sub_f32_e32 v161, v178, v161
	v_add_f32_e32 v50, v50, v161
	v_add_f32_e32 v50, v50, v51
	;; [unrolled: 1-line block ×3, first 2 shown]
	v_cndmask_b32_e32 v50, v50, v192, vcc
	v_add_f32_e32 v50, v49, v50
.LBB519_151:
	s_or_b64 exec, exec, s[58:59]
	v_bfe_u32 v49, v50, 16, 1
	s_movk_i32 vcc_lo, 0x7fff
	v_add3_u32 v49, v50, v49, vcc_lo
	v_lshrrev_b32_e32 v49, 16, v49
	v_mov_b32_e32 v51, 0x7fc0
	v_cmp_o_f32_e32 vcc, v50, v50
	s_nop 1
	v_cndmask_b32_e32 v50, v51, v49, vcc
	v_and_b32_e32 v49, 0xffff, v50
.LBB519_152:
	s_or_b64 exec, exec, s[62:63]
	v_cmp_gt_u32_e32 vcc, 62, v151
	v_add_u32_e32 v162, 2, v151
	s_waitcnt lgkmcnt(0)
	v_cndmask_b32_e64 v51, 0, 1, vcc
	v_lshlrev_b32_e32 v51, 1, v51
	v_add_lshl_u32 v161, v51, v37, 2
	ds_bpermute_b32 v51, v161, v49
	v_cmp_le_u32_e32 vcc, v162, v48
	s_and_saveexec_b64 s[62:63], vcc
	s_cbranch_execz .LBB519_156
; %bb.153:
	s_waitcnt lgkmcnt(0)
	v_lshlrev_b32_e32 v50, 16, v51
	v_lshlrev_b32_e32 v49, 16, v49
	v_max_f32_e32 v163, v49, v49
	v_max_f32_e32 v164, v50, v50
	v_min_f32_e32 v51, v164, v163
	v_cmp_u_f32_e32 vcc, v50, v50
	v_max_f32_e32 v163, v164, v163
	v_cmp_u_f32_e64 s[58:59], v49, v49
	v_cndmask_b32_e32 v51, v51, v50, vcc
	v_cndmask_b32_e32 v163, v163, v50, vcc
	v_cndmask_b32_e64 v51, v51, v49, s[58:59]
	v_cndmask_b32_e64 v49, v163, v49, s[58:59]
	s_movk_i32 s58, 0x1f8
	v_cmp_neq_f32_e32 vcc, v51, v49
	v_cmp_class_f32_e64 s[58:59], v51, s58
	s_or_b64 vcc, vcc, s[58:59]
	s_and_saveexec_b64 s[58:59], vcc
	s_cbranch_execz .LBB519_155
; %bb.154:
	v_sub_f32_e32 v50, v51, v49
	s_mov_b32 s64, 0x3fb8aa3b
	v_mul_f32_e32 v51, 0x3fb8aa3b, v50
	v_fma_f32 v163, v50, s64, -v51
	v_rndne_f32_e32 v164, v51
	v_fmamk_f32 v163, v50, 0x32a5705f, v163
	v_sub_f32_e32 v51, v51, v164
	v_add_f32_e32 v51, v51, v163
	v_exp_f32_e32 v51, v51
	v_cvt_i32_f32_e32 v163, v164
	s_mov_b32 s64, 0xc2ce8ed0
	v_cmp_ngt_f32_e32 vcc, s64, v50
	s_mov_b32 s64, 0x42b17218
	v_ldexp_f32 v51, v51, v163
	v_cndmask_b32_e32 v51, 0, v51, vcc
	v_mov_b32_e32 v163, 0x7f800000
	v_cmp_nlt_f32_e32 vcc, s64, v50
	s_mov_b32 s64, 0x3f2aaaab
	s_mov_b32 s65, 0x7f800000
	v_cndmask_b32_e32 v194, v163, v51, vcc
	v_add_f32_e32 v163, 1.0, v194
	v_add_f32_e32 v50, -1.0, v163
	v_sub_f32_e32 v51, v50, v163
	v_add_f32_e32 v51, 1.0, v51
	v_sub_f32_e32 v50, v194, v50
	v_add_f32_e32 v164, v50, v51
	v_frexp_mant_f32_e32 v165, v163
	v_cvt_f64_f32_e32 v[50:51], v163
	v_frexp_exp_i32_f64_e32 v50, v[50:51]
	v_cmp_gt_f32_e32 vcc, s64, v165
	s_mov_b32 s64, 0x3f317218
	s_nop 0
	v_subbrev_co_u32_e32 v178, vcc, 0, v50, vcc
	v_sub_u32_e32 v50, 0, v178
	v_ldexp_f32 v51, v163, v50
	v_add_f32_e32 v163, -1.0, v51
	v_add_f32_e32 v165, 1.0, v51
	v_ldexp_f32 v50, v164, v50
	v_add_f32_e32 v164, 1.0, v163
	v_add_f32_e32 v166, -1.0, v165
	v_sub_f32_e32 v164, v51, v164
	v_sub_f32_e32 v51, v51, v166
	v_add_f32_e32 v164, v50, v164
	v_add_f32_e32 v50, v50, v51
	;; [unrolled: 1-line block ×3, first 2 shown]
	v_rcp_f32_e32 v181, v179
	v_sub_f32_e32 v51, v165, v179
	v_add_f32_e32 v180, v50, v51
	v_add_f32_e32 v51, v163, v164
	v_sub_f32_e32 v50, v163, v51
	v_mul_f32_e32 v182, v51, v181
	v_add_f32_e32 v163, v164, v50
	v_mul_f32_e32 v164, v179, v182
	v_fma_f32 v166, v182, v179, -v164
	v_fmac_f32_e32 v166, v182, v180
	v_add_f32_e32 v50, v164, v166
	v_sub_f32_e32 v165, v51, v50
	v_pk_add_f32 v[176:177], v[50:51], v[164:165] neg_lo:[0,1] neg_hi:[0,1]
	v_mov_b32_e32 v167, v50
	v_pk_add_f32 v[50:51], v[176:177], v[166:167] neg_lo:[0,1] neg_hi:[0,1]
	v_cmp_eq_f32_e32 vcc, s65, v194
	v_add_f32_e32 v51, v163, v51
	v_add_f32_e32 v50, v50, v51
	;; [unrolled: 1-line block ×3, first 2 shown]
	v_mul_f32_e32 v163, v181, v51
	v_mul_f32_e32 v164, v179, v163
	v_fma_f32 v166, v163, v179, -v164
	v_fmac_f32_e32 v166, v163, v180
	v_sub_f32_e32 v165, v165, v51
	v_add_f32_e32 v179, v50, v165
	v_add_f32_e32 v50, v164, v166
	v_sub_f32_e32 v165, v51, v50
	v_pk_add_f32 v[176:177], v[50:51], v[164:165] neg_lo:[0,1] neg_hi:[0,1]
	v_mov_b32_e32 v167, v50
	v_pk_add_f32 v[50:51], v[176:177], v[166:167] neg_lo:[0,1] neg_hi:[0,1]
	v_cvt_f32_i32_e32 v164, v178
	v_add_f32_e32 v51, v179, v51
	v_add_f32_e32 v50, v50, v51
	v_add_f32_e32 v50, v165, v50
	v_add_f32_e32 v165, v182, v163
	v_sub_f32_e32 v51, v165, v182
	v_mul_f32_e32 v50, v181, v50
	v_sub_f32_e32 v51, v163, v51
	v_add_f32_e32 v50, v51, v50
	v_add_f32_e32 v163, v165, v50
	v_mul_f32_e32 v166, v163, v163
	v_mov_b32_e32 v51, 0x3ecc95a3
	v_sub_f32_e32 v165, v163, v165
	v_fmac_f32_e32 v51, 0x3e9b6dac, v166
	v_sub_f32_e32 v50, v50, v165
	v_fmaak_f32 v51, v166, v51, 0x3f2aaada
	v_ldexp_f32 v176, v50, 1
	v_mul_f32_e32 v165, v163, v166
	v_mov_b32_e32 v50, 0x3f317218
	v_pk_mul_f32 v[50:51], v[164:165], v[50:51]
	v_ldexp_f32 v167, v163, 1
	v_fma_f32 v163, v164, s64, -v50
	v_fmamk_f32 v166, v164, 0xb102e308, v163
	v_pk_add_f32 v[164:165], v[50:51], v[166:167]
	s_mov_b32 s64, 0x33800000
	v_sub_f32_e32 v163, v165, v167
	v_sub_f32_e32 v163, v51, v163
	v_add_f32_e32 v177, v176, v163
	v_mov_b32_e32 v176, v50
	v_pk_add_f32 v[50:51], v[164:165], v[50:51] neg_lo:[0,1] neg_hi:[0,1]
	v_pk_add_f32 v[178:179], v[164:165], v[176:177]
	v_mov_b32_e32 v167, v164
	v_mov_b32_e32 v51, v179
	v_pk_add_f32 v[180:181], v[166:167], v[50:51] neg_lo:[0,1] neg_hi:[0,1]
	v_pk_add_f32 v[50:51], v[166:167], v[50:51]
	v_mov_b32_e32 v176, v177
	v_mov_b32_e32 v166, v51
	v_pk_add_f32 v[182:183], v[166:167], v[164:165] neg_lo:[0,1] neg_hi:[0,1]
	v_mov_b32_e32 v50, v179
	v_mov_b32_e32 v163, v182
	v_pk_add_f32 v[192:193], v[178:179], v[162:163] neg_lo:[0,1] neg_hi:[0,1]
	v_mov_b32_e32 v178, v165
	v_mov_b32_e32 v179, v182
	;; [unrolled: 1-line block ×3, first 2 shown]
	v_pk_add_f32 v[50:51], v[50:51], v[178:179] neg_lo:[0,1] neg_hi:[0,1]
	v_mov_b32_e32 v177, v164
	v_pk_add_f32 v[50:51], v[176:177], v[50:51] neg_lo:[0,1] neg_hi:[0,1]
	v_mov_b32_e32 v192, v180
	v_pk_add_f32 v[164:165], v[192:193], v[50:51]
	v_cmp_lt_f32_e64 s[64:65], |v194|, s64
	v_mov_b32_e32 v176, v165
	v_pk_add_f32 v[176:177], v[164:165], v[176:177]
	s_or_b64 vcc, vcc, s[64:65]
	v_pk_add_f32 v[166:167], v[166:167], v[176:177]
	v_mov_b32_e32 v51, v176
	v_mov_b32_e32 v165, v166
	v_pk_add_f32 v[178:179], v[164:165], v[180:181] neg_lo:[0,1] neg_hi:[0,1]
	s_nop 0
	v_sub_f32_e32 v163, v164, v178
	v_pk_add_f32 v[50:51], v[50:51], v[178:179] neg_lo:[0,1] neg_hi:[0,1]
	v_sub_f32_e32 v163, v180, v163
	v_add_f32_e32 v50, v50, v163
	v_add_f32_e32 v50, v50, v51
	;; [unrolled: 1-line block ×3, first 2 shown]
	v_cndmask_b32_e32 v50, v50, v194, vcc
	v_add_f32_e32 v50, v49, v50
.LBB519_155:
	s_or_b64 exec, exec, s[58:59]
	v_bfe_u32 v49, v50, 16, 1
	s_movk_i32 vcc_lo, 0x7fff
	v_add3_u32 v49, v50, v49, vcc_lo
	v_lshrrev_b32_e32 v49, 16, v49
	v_mov_b32_e32 v51, 0x7fc0
	v_cmp_o_f32_e32 vcc, v50, v50
	s_nop 1
	v_cndmask_b32_e32 v50, v51, v49, vcc
	v_and_b32_e32 v49, 0xffff, v50
.LBB519_156:
	s_or_b64 exec, exec, s[62:63]
	v_cmp_gt_u32_e32 vcc, 60, v151
	v_add_u32_e32 v164, 4, v151
	s_waitcnt lgkmcnt(0)
	v_cndmask_b32_e64 v51, 0, 1, vcc
	v_lshlrev_b32_e32 v51, 2, v51
	v_add_lshl_u32 v163, v51, v37, 2
	ds_bpermute_b32 v51, v163, v49
	v_cmp_le_u32_e32 vcc, v164, v48
	s_and_saveexec_b64 s[62:63], vcc
	s_cbranch_execz .LBB519_160
; %bb.157:
	s_waitcnt lgkmcnt(0)
	v_lshlrev_b32_e32 v50, 16, v51
	v_lshlrev_b32_e32 v49, 16, v49
	v_max_f32_e32 v165, v49, v49
	v_max_f32_e32 v166, v50, v50
	v_min_f32_e32 v51, v166, v165
	v_cmp_u_f32_e32 vcc, v50, v50
	v_max_f32_e32 v165, v166, v165
	v_cmp_u_f32_e64 s[58:59], v49, v49
	v_cndmask_b32_e32 v51, v51, v50, vcc
	v_cndmask_b32_e32 v165, v165, v50, vcc
	v_cndmask_b32_e64 v51, v51, v49, s[58:59]
	v_cndmask_b32_e64 v49, v165, v49, s[58:59]
	s_movk_i32 s58, 0x1f8
	v_cmp_neq_f32_e32 vcc, v51, v49
	v_cmp_class_f32_e64 s[58:59], v51, s58
	s_or_b64 vcc, vcc, s[58:59]
	s_and_saveexec_b64 s[58:59], vcc
	s_cbranch_execz .LBB519_159
; %bb.158:
	v_sub_f32_e32 v50, v51, v49
	s_mov_b32 s64, 0x3fb8aa3b
	v_mul_f32_e32 v51, 0x3fb8aa3b, v50
	v_fma_f32 v165, v50, s64, -v51
	v_rndne_f32_e32 v166, v51
	v_fmamk_f32 v165, v50, 0x32a5705f, v165
	v_sub_f32_e32 v51, v51, v166
	v_add_f32_e32 v51, v51, v165
	v_exp_f32_e32 v51, v51
	v_cvt_i32_f32_e32 v165, v166
	s_mov_b32 s64, 0xc2ce8ed0
	v_cmp_ngt_f32_e32 vcc, s64, v50
	s_mov_b32 s64, 0x42b17218
	v_ldexp_f32 v51, v51, v165
	v_cndmask_b32_e32 v51, 0, v51, vcc
	v_mov_b32_e32 v165, 0x7f800000
	v_cmp_nlt_f32_e32 vcc, s64, v50
	s_mov_b32 s64, 0x3f2aaaab
	s_mov_b32 s65, 0x7f800000
	v_cndmask_b32_e32 v196, v165, v51, vcc
	v_add_f32_e32 v165, 1.0, v196
	v_add_f32_e32 v50, -1.0, v165
	v_sub_f32_e32 v51, v50, v165
	v_add_f32_e32 v51, 1.0, v51
	v_sub_f32_e32 v50, v196, v50
	v_add_f32_e32 v166, v50, v51
	v_frexp_mant_f32_e32 v167, v165
	v_cvt_f64_f32_e32 v[50:51], v165
	v_frexp_exp_i32_f64_e32 v50, v[50:51]
	v_cmp_gt_f32_e32 vcc, s64, v167
	s_mov_b32 s64, 0x3f317218
	s_nop 0
	v_subbrev_co_u32_e32 v180, vcc, 0, v50, vcc
	v_sub_u32_e32 v50, 0, v180
	v_ldexp_f32 v51, v165, v50
	v_add_f32_e32 v165, -1.0, v51
	v_add_f32_e32 v167, 1.0, v51
	v_ldexp_f32 v50, v166, v50
	v_add_f32_e32 v166, 1.0, v165
	v_add_f32_e32 v176, -1.0, v167
	v_sub_f32_e32 v166, v51, v166
	v_sub_f32_e32 v51, v51, v176
	v_add_f32_e32 v166, v50, v166
	v_add_f32_e32 v50, v50, v51
	;; [unrolled: 1-line block ×3, first 2 shown]
	v_rcp_f32_e32 v183, v181
	v_sub_f32_e32 v51, v167, v181
	v_add_f32_e32 v182, v50, v51
	v_add_f32_e32 v51, v165, v166
	v_sub_f32_e32 v50, v165, v51
	v_mul_f32_e32 v192, v51, v183
	v_add_f32_e32 v165, v166, v50
	v_mul_f32_e32 v166, v181, v192
	v_fma_f32 v176, v192, v181, -v166
	v_fmac_f32_e32 v176, v192, v182
	v_add_f32_e32 v50, v166, v176
	v_sub_f32_e32 v167, v51, v50
	v_pk_add_f32 v[178:179], v[50:51], v[166:167] neg_lo:[0,1] neg_hi:[0,1]
	v_mov_b32_e32 v177, v50
	v_pk_add_f32 v[50:51], v[178:179], v[176:177] neg_lo:[0,1] neg_hi:[0,1]
	v_cmp_eq_f32_e32 vcc, s65, v196
	v_add_f32_e32 v51, v165, v51
	v_add_f32_e32 v50, v50, v51
	;; [unrolled: 1-line block ×3, first 2 shown]
	v_mul_f32_e32 v165, v183, v51
	v_mul_f32_e32 v166, v181, v165
	v_fma_f32 v176, v165, v181, -v166
	v_fmac_f32_e32 v176, v165, v182
	v_sub_f32_e32 v167, v167, v51
	v_add_f32_e32 v181, v50, v167
	v_add_f32_e32 v50, v166, v176
	v_sub_f32_e32 v167, v51, v50
	v_pk_add_f32 v[178:179], v[50:51], v[166:167] neg_lo:[0,1] neg_hi:[0,1]
	v_mov_b32_e32 v177, v50
	v_pk_add_f32 v[50:51], v[178:179], v[176:177] neg_lo:[0,1] neg_hi:[0,1]
	v_cvt_f32_i32_e32 v166, v180
	v_add_f32_e32 v51, v181, v51
	v_add_f32_e32 v50, v50, v51
	;; [unrolled: 1-line block ×4, first 2 shown]
	v_sub_f32_e32 v51, v167, v192
	v_mul_f32_e32 v50, v183, v50
	v_sub_f32_e32 v51, v165, v51
	v_add_f32_e32 v50, v51, v50
	v_add_f32_e32 v165, v167, v50
	v_mul_f32_e32 v176, v165, v165
	v_mov_b32_e32 v51, 0x3ecc95a3
	v_sub_f32_e32 v167, v165, v167
	v_fmac_f32_e32 v51, 0x3e9b6dac, v176
	v_sub_f32_e32 v50, v50, v167
	v_fmaak_f32 v51, v176, v51, 0x3f2aaada
	v_ldexp_f32 v178, v50, 1
	v_mul_f32_e32 v167, v165, v176
	v_mov_b32_e32 v50, 0x3f317218
	v_pk_mul_f32 v[50:51], v[166:167], v[50:51]
	v_ldexp_f32 v177, v165, 1
	v_fma_f32 v165, v166, s64, -v50
	v_fmamk_f32 v176, v166, 0xb102e308, v165
	v_pk_add_f32 v[166:167], v[50:51], v[176:177]
	s_mov_b32 s64, 0x33800000
	v_sub_f32_e32 v165, v167, v177
	v_sub_f32_e32 v165, v51, v165
	v_add_f32_e32 v179, v178, v165
	v_mov_b32_e32 v178, v50
	v_pk_add_f32 v[50:51], v[166:167], v[50:51] neg_lo:[0,1] neg_hi:[0,1]
	v_pk_add_f32 v[180:181], v[166:167], v[178:179]
	v_mov_b32_e32 v177, v166
	v_mov_b32_e32 v51, v181
	v_pk_add_f32 v[182:183], v[176:177], v[50:51] neg_lo:[0,1] neg_hi:[0,1]
	v_pk_add_f32 v[50:51], v[176:177], v[50:51]
	v_mov_b32_e32 v178, v179
	v_mov_b32_e32 v176, v51
	v_pk_add_f32 v[192:193], v[176:177], v[166:167] neg_lo:[0,1] neg_hi:[0,1]
	v_mov_b32_e32 v50, v181
	v_mov_b32_e32 v165, v192
	v_pk_add_f32 v[194:195], v[180:181], v[164:165] neg_lo:[0,1] neg_hi:[0,1]
	v_mov_b32_e32 v180, v167
	v_mov_b32_e32 v181, v192
	;; [unrolled: 1-line block ×3, first 2 shown]
	v_pk_add_f32 v[50:51], v[50:51], v[180:181] neg_lo:[0,1] neg_hi:[0,1]
	v_mov_b32_e32 v179, v166
	v_pk_add_f32 v[50:51], v[178:179], v[50:51] neg_lo:[0,1] neg_hi:[0,1]
	v_mov_b32_e32 v194, v182
	v_pk_add_f32 v[166:167], v[194:195], v[50:51]
	v_cmp_lt_f32_e64 s[64:65], |v196|, s64
	v_mov_b32_e32 v178, v167
	v_pk_add_f32 v[178:179], v[166:167], v[178:179]
	s_or_b64 vcc, vcc, s[64:65]
	v_pk_add_f32 v[176:177], v[176:177], v[178:179]
	v_mov_b32_e32 v51, v178
	v_mov_b32_e32 v167, v176
	v_pk_add_f32 v[180:181], v[166:167], v[182:183] neg_lo:[0,1] neg_hi:[0,1]
	s_nop 0
	v_sub_f32_e32 v165, v166, v180
	v_pk_add_f32 v[50:51], v[50:51], v[180:181] neg_lo:[0,1] neg_hi:[0,1]
	v_sub_f32_e32 v165, v182, v165
	v_add_f32_e32 v50, v50, v165
	v_add_f32_e32 v50, v50, v51
	;; [unrolled: 1-line block ×3, first 2 shown]
	v_cndmask_b32_e32 v50, v50, v196, vcc
	v_add_f32_e32 v50, v49, v50
.LBB519_159:
	s_or_b64 exec, exec, s[58:59]
	v_bfe_u32 v49, v50, 16, 1
	s_movk_i32 vcc_lo, 0x7fff
	v_add3_u32 v49, v50, v49, vcc_lo
	v_lshrrev_b32_e32 v49, 16, v49
	v_mov_b32_e32 v51, 0x7fc0
	v_cmp_o_f32_e32 vcc, v50, v50
	s_nop 1
	v_cndmask_b32_e32 v50, v51, v49, vcc
	v_and_b32_e32 v49, 0xffff, v50
.LBB519_160:
	s_or_b64 exec, exec, s[62:63]
	v_cmp_gt_u32_e32 vcc, 56, v151
	v_add_u32_e32 v166, 8, v151
	s_waitcnt lgkmcnt(0)
	v_cndmask_b32_e64 v51, 0, 1, vcc
	v_lshlrev_b32_e32 v51, 3, v51
	v_add_lshl_u32 v165, v51, v37, 2
	ds_bpermute_b32 v51, v165, v49
	v_cmp_le_u32_e32 vcc, v166, v48
	s_and_saveexec_b64 s[62:63], vcc
	s_cbranch_execz .LBB519_164
; %bb.161:
	s_waitcnt lgkmcnt(0)
	v_lshlrev_b32_e32 v50, 16, v51
	v_lshlrev_b32_e32 v49, 16, v49
	v_max_f32_e32 v167, v49, v49
	v_max_f32_e32 v176, v50, v50
	v_min_f32_e32 v51, v176, v167
	v_cmp_u_f32_e32 vcc, v50, v50
	v_max_f32_e32 v167, v176, v167
	v_cmp_u_f32_e64 s[58:59], v49, v49
	v_cndmask_b32_e32 v51, v51, v50, vcc
	v_cndmask_b32_e32 v167, v167, v50, vcc
	v_cndmask_b32_e64 v51, v51, v49, s[58:59]
	v_cndmask_b32_e64 v49, v167, v49, s[58:59]
	s_movk_i32 s58, 0x1f8
	v_cmp_neq_f32_e32 vcc, v51, v49
	v_cmp_class_f32_e64 s[58:59], v51, s58
	s_or_b64 vcc, vcc, s[58:59]
	s_and_saveexec_b64 s[58:59], vcc
	s_cbranch_execz .LBB519_163
; %bb.162:
	v_sub_f32_e32 v50, v51, v49
	s_mov_b32 s64, 0x3fb8aa3b
	v_mul_f32_e32 v51, 0x3fb8aa3b, v50
	v_fma_f32 v167, v50, s64, -v51
	v_rndne_f32_e32 v176, v51
	v_fmamk_f32 v167, v50, 0x32a5705f, v167
	v_sub_f32_e32 v51, v51, v176
	v_add_f32_e32 v51, v51, v167
	v_exp_f32_e32 v51, v51
	v_cvt_i32_f32_e32 v167, v176
	s_mov_b32 s64, 0xc2ce8ed0
	v_cmp_ngt_f32_e32 vcc, s64, v50
	s_mov_b32 s64, 0x42b17218
	v_ldexp_f32 v51, v51, v167
	v_cndmask_b32_e32 v51, 0, v51, vcc
	v_mov_b32_e32 v167, 0x7f800000
	v_cmp_nlt_f32_e32 vcc, s64, v50
	s_mov_b32 s64, 0x3f2aaaab
	s_mov_b32 s65, 0x7f800000
	v_cndmask_b32_e32 v198, v167, v51, vcc
	v_add_f32_e32 v167, 1.0, v198
	v_add_f32_e32 v50, -1.0, v167
	v_sub_f32_e32 v51, v50, v167
	v_add_f32_e32 v51, 1.0, v51
	v_sub_f32_e32 v50, v198, v50
	v_add_f32_e32 v176, v50, v51
	v_frexp_mant_f32_e32 v177, v167
	v_cvt_f64_f32_e32 v[50:51], v167
	v_frexp_exp_i32_f64_e32 v50, v[50:51]
	v_cmp_gt_f32_e32 vcc, s64, v177
	s_mov_b32 s64, 0x3f317218
	s_nop 0
	v_subbrev_co_u32_e32 v182, vcc, 0, v50, vcc
	v_sub_u32_e32 v50, 0, v182
	v_ldexp_f32 v51, v167, v50
	v_add_f32_e32 v167, -1.0, v51
	v_add_f32_e32 v177, 1.0, v51
	v_ldexp_f32 v50, v176, v50
	v_add_f32_e32 v176, 1.0, v167
	v_add_f32_e32 v178, -1.0, v177
	v_sub_f32_e32 v176, v51, v176
	v_sub_f32_e32 v51, v51, v178
	v_add_f32_e32 v176, v50, v176
	v_add_f32_e32 v50, v50, v51
	v_add_f32_e32 v183, v177, v50
	v_rcp_f32_e32 v193, v183
	v_sub_f32_e32 v51, v177, v183
	v_add_f32_e32 v192, v50, v51
	v_add_f32_e32 v51, v167, v176
	v_sub_f32_e32 v50, v167, v51
	v_mul_f32_e32 v194, v51, v193
	v_add_f32_e32 v167, v176, v50
	v_mul_f32_e32 v176, v183, v194
	v_fma_f32 v178, v194, v183, -v176
	v_fmac_f32_e32 v178, v194, v192
	v_add_f32_e32 v50, v176, v178
	v_sub_f32_e32 v177, v51, v50
	v_pk_add_f32 v[180:181], v[50:51], v[176:177] neg_lo:[0,1] neg_hi:[0,1]
	v_mov_b32_e32 v179, v50
	v_pk_add_f32 v[50:51], v[180:181], v[178:179] neg_lo:[0,1] neg_hi:[0,1]
	v_cmp_eq_f32_e32 vcc, s65, v198
	v_add_f32_e32 v51, v167, v51
	v_add_f32_e32 v50, v50, v51
	;; [unrolled: 1-line block ×3, first 2 shown]
	v_mul_f32_e32 v167, v193, v51
	v_mul_f32_e32 v176, v183, v167
	v_fma_f32 v178, v167, v183, -v176
	v_fmac_f32_e32 v178, v167, v192
	v_sub_f32_e32 v177, v177, v51
	v_add_f32_e32 v183, v50, v177
	v_add_f32_e32 v50, v176, v178
	v_sub_f32_e32 v177, v51, v50
	v_pk_add_f32 v[180:181], v[50:51], v[176:177] neg_lo:[0,1] neg_hi:[0,1]
	v_mov_b32_e32 v179, v50
	v_pk_add_f32 v[50:51], v[180:181], v[178:179] neg_lo:[0,1] neg_hi:[0,1]
	v_cvt_f32_i32_e32 v176, v182
	v_add_f32_e32 v51, v183, v51
	v_add_f32_e32 v50, v50, v51
	;; [unrolled: 1-line block ×4, first 2 shown]
	v_sub_f32_e32 v51, v177, v194
	v_mul_f32_e32 v50, v193, v50
	v_sub_f32_e32 v51, v167, v51
	v_add_f32_e32 v50, v51, v50
	v_add_f32_e32 v167, v177, v50
	v_mul_f32_e32 v178, v167, v167
	v_mov_b32_e32 v51, 0x3ecc95a3
	v_sub_f32_e32 v177, v167, v177
	v_fmac_f32_e32 v51, 0x3e9b6dac, v178
	v_sub_f32_e32 v50, v50, v177
	v_fmaak_f32 v51, v178, v51, 0x3f2aaada
	v_ldexp_f32 v180, v50, 1
	v_mul_f32_e32 v177, v167, v178
	v_mov_b32_e32 v50, 0x3f317218
	v_pk_mul_f32 v[50:51], v[176:177], v[50:51]
	v_ldexp_f32 v179, v167, 1
	v_fma_f32 v167, v176, s64, -v50
	v_fmamk_f32 v178, v176, 0xb102e308, v167
	v_pk_add_f32 v[176:177], v[50:51], v[178:179]
	s_mov_b32 s64, 0x33800000
	v_sub_f32_e32 v167, v177, v179
	v_sub_f32_e32 v167, v51, v167
	v_add_f32_e32 v181, v180, v167
	v_mov_b32_e32 v180, v50
	v_pk_add_f32 v[50:51], v[176:177], v[50:51] neg_lo:[0,1] neg_hi:[0,1]
	v_pk_add_f32 v[182:183], v[176:177], v[180:181]
	v_mov_b32_e32 v179, v176
	v_mov_b32_e32 v51, v183
	v_pk_add_f32 v[192:193], v[178:179], v[50:51] neg_lo:[0,1] neg_hi:[0,1]
	v_pk_add_f32 v[50:51], v[178:179], v[50:51]
	v_mov_b32_e32 v180, v181
	v_mov_b32_e32 v178, v51
	v_pk_add_f32 v[194:195], v[178:179], v[176:177] neg_lo:[0,1] neg_hi:[0,1]
	v_mov_b32_e32 v50, v183
	v_mov_b32_e32 v167, v194
	v_pk_add_f32 v[196:197], v[182:183], v[166:167] neg_lo:[0,1] neg_hi:[0,1]
	v_mov_b32_e32 v182, v177
	v_mov_b32_e32 v183, v194
	;; [unrolled: 1-line block ×3, first 2 shown]
	v_pk_add_f32 v[50:51], v[50:51], v[182:183] neg_lo:[0,1] neg_hi:[0,1]
	v_mov_b32_e32 v181, v176
	v_pk_add_f32 v[50:51], v[180:181], v[50:51] neg_lo:[0,1] neg_hi:[0,1]
	v_mov_b32_e32 v196, v192
	v_pk_add_f32 v[176:177], v[196:197], v[50:51]
	v_cmp_lt_f32_e64 s[64:65], |v198|, s64
	v_mov_b32_e32 v180, v177
	v_pk_add_f32 v[180:181], v[176:177], v[180:181]
	s_or_b64 vcc, vcc, s[64:65]
	v_pk_add_f32 v[178:179], v[178:179], v[180:181]
	v_mov_b32_e32 v51, v180
	v_mov_b32_e32 v177, v178
	v_pk_add_f32 v[182:183], v[176:177], v[192:193] neg_lo:[0,1] neg_hi:[0,1]
	s_nop 0
	v_sub_f32_e32 v167, v176, v182
	v_pk_add_f32 v[50:51], v[50:51], v[182:183] neg_lo:[0,1] neg_hi:[0,1]
	v_sub_f32_e32 v167, v192, v167
	v_add_f32_e32 v50, v50, v167
	v_add_f32_e32 v50, v50, v51
	v_add_f32_e32 v50, v178, v50
	v_cndmask_b32_e32 v50, v50, v198, vcc
	v_add_f32_e32 v50, v49, v50
.LBB519_163:
	s_or_b64 exec, exec, s[58:59]
	v_bfe_u32 v49, v50, 16, 1
	s_movk_i32 vcc_lo, 0x7fff
	v_add3_u32 v49, v50, v49, vcc_lo
	v_lshrrev_b32_e32 v49, 16, v49
	v_mov_b32_e32 v51, 0x7fc0
	v_cmp_o_f32_e32 vcc, v50, v50
	s_nop 1
	v_cndmask_b32_e32 v50, v51, v49, vcc
	v_and_b32_e32 v49, 0xffff, v50
.LBB519_164:
	s_or_b64 exec, exec, s[62:63]
	v_cmp_gt_u32_e32 vcc, 48, v151
	v_add_u32_e32 v176, 16, v151
	s_waitcnt lgkmcnt(0)
	v_cndmask_b32_e64 v51, 0, 1, vcc
	v_lshlrev_b32_e32 v51, 4, v51
	v_add_lshl_u32 v167, v51, v37, 2
	ds_bpermute_b32 v51, v167, v49
	v_cmp_le_u32_e32 vcc, v176, v48
	s_and_saveexec_b64 s[62:63], vcc
	s_cbranch_execz .LBB519_168
; %bb.165:
	s_waitcnt lgkmcnt(0)
	v_lshlrev_b32_e32 v50, 16, v51
	v_lshlrev_b32_e32 v49, 16, v49
	v_max_f32_e32 v177, v49, v49
	v_max_f32_e32 v178, v50, v50
	v_min_f32_e32 v51, v178, v177
	v_cmp_u_f32_e32 vcc, v50, v50
	v_max_f32_e32 v177, v178, v177
	v_cmp_u_f32_e64 s[58:59], v49, v49
	v_cndmask_b32_e32 v51, v51, v50, vcc
	v_cndmask_b32_e32 v177, v177, v50, vcc
	v_cndmask_b32_e64 v51, v51, v49, s[58:59]
	v_cndmask_b32_e64 v49, v177, v49, s[58:59]
	s_movk_i32 s58, 0x1f8
	v_cmp_neq_f32_e32 vcc, v51, v49
	v_cmp_class_f32_e64 s[58:59], v51, s58
	s_or_b64 vcc, vcc, s[58:59]
	s_and_saveexec_b64 s[58:59], vcc
	s_cbranch_execz .LBB519_167
; %bb.166:
	v_sub_f32_e32 v50, v51, v49
	s_mov_b32 s64, 0x3fb8aa3b
	v_mul_f32_e32 v51, 0x3fb8aa3b, v50
	v_fma_f32 v177, v50, s64, -v51
	v_rndne_f32_e32 v178, v51
	v_fmamk_f32 v177, v50, 0x32a5705f, v177
	v_sub_f32_e32 v51, v51, v178
	v_add_f32_e32 v51, v51, v177
	v_exp_f32_e32 v51, v51
	v_cvt_i32_f32_e32 v177, v178
	s_mov_b32 s64, 0xc2ce8ed0
	v_cmp_ngt_f32_e32 vcc, s64, v50
	s_mov_b32 s64, 0x42b17218
	v_ldexp_f32 v51, v51, v177
	v_cndmask_b32_e32 v51, 0, v51, vcc
	v_mov_b32_e32 v177, 0x7f800000
	v_cmp_nlt_f32_e32 vcc, s64, v50
	s_mov_b32 s64, 0x3f2aaaab
	s_mov_b32 s65, 0x7f800000
	v_cndmask_b32_e32 v208, v177, v51, vcc
	v_add_f32_e32 v177, 1.0, v208
	v_add_f32_e32 v50, -1.0, v177
	v_sub_f32_e32 v51, v50, v177
	v_add_f32_e32 v51, 1.0, v51
	v_sub_f32_e32 v50, v208, v50
	v_add_f32_e32 v178, v50, v51
	v_frexp_mant_f32_e32 v179, v177
	v_cvt_f64_f32_e32 v[50:51], v177
	v_frexp_exp_i32_f64_e32 v50, v[50:51]
	v_cmp_gt_f32_e32 vcc, s64, v179
	s_mov_b32 s64, 0x3f317218
	s_nop 0
	v_subbrev_co_u32_e32 v192, vcc, 0, v50, vcc
	v_sub_u32_e32 v50, 0, v192
	v_ldexp_f32 v51, v177, v50
	v_add_f32_e32 v177, -1.0, v51
	v_add_f32_e32 v179, 1.0, v51
	v_ldexp_f32 v50, v178, v50
	v_add_f32_e32 v178, 1.0, v177
	v_add_f32_e32 v180, -1.0, v179
	v_sub_f32_e32 v178, v51, v178
	v_sub_f32_e32 v51, v51, v180
	v_add_f32_e32 v178, v50, v178
	v_add_f32_e32 v50, v50, v51
	v_add_f32_e32 v193, v179, v50
	v_rcp_f32_e32 v195, v193
	v_sub_f32_e32 v51, v179, v193
	v_add_f32_e32 v194, v50, v51
	v_add_f32_e32 v51, v177, v178
	v_sub_f32_e32 v50, v177, v51
	v_mul_f32_e32 v196, v51, v195
	v_add_f32_e32 v177, v178, v50
	v_mul_f32_e32 v178, v193, v196
	v_fma_f32 v180, v196, v193, -v178
	v_fmac_f32_e32 v180, v196, v194
	v_add_f32_e32 v50, v178, v180
	v_sub_f32_e32 v179, v51, v50
	v_pk_add_f32 v[182:183], v[50:51], v[178:179] neg_lo:[0,1] neg_hi:[0,1]
	v_mov_b32_e32 v181, v50
	v_pk_add_f32 v[50:51], v[182:183], v[180:181] neg_lo:[0,1] neg_hi:[0,1]
	v_cmp_eq_f32_e32 vcc, s65, v208
	v_add_f32_e32 v51, v177, v51
	v_add_f32_e32 v50, v50, v51
	;; [unrolled: 1-line block ×3, first 2 shown]
	v_mul_f32_e32 v177, v195, v51
	v_mul_f32_e32 v178, v193, v177
	v_fma_f32 v180, v177, v193, -v178
	v_fmac_f32_e32 v180, v177, v194
	v_sub_f32_e32 v179, v179, v51
	v_add_f32_e32 v193, v50, v179
	v_add_f32_e32 v50, v178, v180
	v_sub_f32_e32 v179, v51, v50
	v_pk_add_f32 v[182:183], v[50:51], v[178:179] neg_lo:[0,1] neg_hi:[0,1]
	v_mov_b32_e32 v181, v50
	v_pk_add_f32 v[50:51], v[182:183], v[180:181] neg_lo:[0,1] neg_hi:[0,1]
	v_cvt_f32_i32_e32 v178, v192
	v_add_f32_e32 v51, v193, v51
	v_add_f32_e32 v50, v50, v51
	;; [unrolled: 1-line block ×4, first 2 shown]
	v_sub_f32_e32 v51, v179, v196
	v_mul_f32_e32 v50, v195, v50
	v_sub_f32_e32 v51, v177, v51
	v_add_f32_e32 v50, v51, v50
	v_add_f32_e32 v177, v179, v50
	v_mul_f32_e32 v180, v177, v177
	v_mov_b32_e32 v51, 0x3ecc95a3
	v_sub_f32_e32 v179, v177, v179
	v_fmac_f32_e32 v51, 0x3e9b6dac, v180
	v_sub_f32_e32 v50, v50, v179
	v_fmaak_f32 v51, v180, v51, 0x3f2aaada
	v_ldexp_f32 v182, v50, 1
	v_mul_f32_e32 v179, v177, v180
	v_mov_b32_e32 v50, 0x3f317218
	v_pk_mul_f32 v[50:51], v[178:179], v[50:51]
	v_ldexp_f32 v181, v177, 1
	v_fma_f32 v177, v178, s64, -v50
	v_fmamk_f32 v180, v178, 0xb102e308, v177
	v_pk_add_f32 v[178:179], v[50:51], v[180:181]
	s_mov_b32 s64, 0x33800000
	v_sub_f32_e32 v177, v179, v181
	v_sub_f32_e32 v177, v51, v177
	v_add_f32_e32 v183, v182, v177
	v_mov_b32_e32 v182, v50
	v_pk_add_f32 v[50:51], v[178:179], v[50:51] neg_lo:[0,1] neg_hi:[0,1]
	v_pk_add_f32 v[192:193], v[178:179], v[182:183]
	v_mov_b32_e32 v181, v178
	v_mov_b32_e32 v51, v193
	v_pk_add_f32 v[194:195], v[180:181], v[50:51] neg_lo:[0,1] neg_hi:[0,1]
	v_pk_add_f32 v[50:51], v[180:181], v[50:51]
	v_mov_b32_e32 v182, v183
	v_mov_b32_e32 v180, v51
	v_pk_add_f32 v[196:197], v[180:181], v[178:179] neg_lo:[0,1] neg_hi:[0,1]
	v_mov_b32_e32 v50, v193
	v_mov_b32_e32 v177, v196
	v_pk_add_f32 v[198:199], v[192:193], v[176:177] neg_lo:[0,1] neg_hi:[0,1]
	v_mov_b32_e32 v192, v179
	v_mov_b32_e32 v193, v196
	;; [unrolled: 1-line block ×3, first 2 shown]
	v_pk_add_f32 v[50:51], v[50:51], v[192:193] neg_lo:[0,1] neg_hi:[0,1]
	v_mov_b32_e32 v183, v178
	v_pk_add_f32 v[50:51], v[182:183], v[50:51] neg_lo:[0,1] neg_hi:[0,1]
	v_mov_b32_e32 v198, v194
	v_pk_add_f32 v[178:179], v[198:199], v[50:51]
	v_cmp_lt_f32_e64 s[64:65], |v208|, s64
	v_mov_b32_e32 v182, v179
	v_pk_add_f32 v[182:183], v[178:179], v[182:183]
	s_or_b64 vcc, vcc, s[64:65]
	v_pk_add_f32 v[180:181], v[180:181], v[182:183]
	v_mov_b32_e32 v51, v182
	v_mov_b32_e32 v179, v180
	v_pk_add_f32 v[192:193], v[178:179], v[194:195] neg_lo:[0,1] neg_hi:[0,1]
	s_nop 0
	v_sub_f32_e32 v177, v178, v192
	v_pk_add_f32 v[50:51], v[50:51], v[192:193] neg_lo:[0,1] neg_hi:[0,1]
	v_sub_f32_e32 v177, v194, v177
	v_add_f32_e32 v50, v50, v177
	v_add_f32_e32 v50, v50, v51
	;; [unrolled: 1-line block ×3, first 2 shown]
	v_cndmask_b32_e32 v50, v50, v208, vcc
	v_add_f32_e32 v50, v49, v50
.LBB519_167:
	s_or_b64 exec, exec, s[58:59]
	v_bfe_u32 v49, v50, 16, 1
	s_movk_i32 vcc_lo, 0x7fff
	v_add3_u32 v49, v50, v49, vcc_lo
	v_lshrrev_b32_e32 v49, 16, v49
	v_mov_b32_e32 v51, 0x7fc0
	v_cmp_o_f32_e32 vcc, v50, v50
	s_nop 1
	v_cndmask_b32_e32 v50, v51, v49, vcc
	v_and_b32_e32 v49, 0xffff, v50
.LBB519_168:
	s_or_b64 exec, exec, s[62:63]
	v_cmp_gt_u32_e32 vcc, 32, v151
	v_add_u32_e32 v178, 32, v151
	s_waitcnt lgkmcnt(0)
	v_cndmask_b32_e64 v51, 0, 1, vcc
	v_lshlrev_b32_e32 v51, 5, v51
	v_add_lshl_u32 v177, v51, v37, 2
	ds_bpermute_b32 v37, v177, v49
	v_cmp_le_u32_e32 vcc, v178, v48
	s_and_saveexec_b64 s[62:63], vcc
	s_cbranch_execz .LBB519_172
; %bb.169:
	s_waitcnt lgkmcnt(0)
	v_lshlrev_b32_e32 v48, 16, v37
	v_lshlrev_b32_e32 v37, 16, v49
	v_max_f32_e32 v50, v37, v37
	v_max_f32_e32 v51, v48, v48
	v_min_f32_e32 v49, v51, v50
	v_cmp_u_f32_e32 vcc, v48, v48
	v_max_f32_e32 v50, v51, v50
	v_cmp_u_f32_e64 s[58:59], v37, v37
	v_cndmask_b32_e32 v49, v49, v48, vcc
	v_cndmask_b32_e32 v50, v50, v48, vcc
	v_cndmask_b32_e64 v49, v49, v37, s[58:59]
	v_cndmask_b32_e64 v37, v50, v37, s[58:59]
	s_movk_i32 s58, 0x1f8
	v_cmp_neq_f32_e32 vcc, v49, v37
	v_cmp_class_f32_e64 s[58:59], v49, s58
	s_or_b64 vcc, vcc, s[58:59]
	s_and_saveexec_b64 s[58:59], vcc
	s_cbranch_execz .LBB519_171
; %bb.170:
	v_sub_f32_e32 v48, v49, v37
	s_mov_b32 s64, 0x3fb8aa3b
	v_mul_f32_e32 v49, 0x3fb8aa3b, v48
	v_fma_f32 v50, v48, s64, -v49
	v_rndne_f32_e32 v51, v49
	v_fmamk_f32 v50, v48, 0x32a5705f, v50
	v_sub_f32_e32 v49, v49, v51
	v_add_f32_e32 v49, v49, v50
	v_exp_f32_e32 v49, v49
	v_cvt_i32_f32_e32 v50, v51
	s_mov_b32 s64, 0xc2ce8ed0
	v_cmp_ngt_f32_e32 vcc, s64, v48
	s_mov_b32 s64, 0x42b17218
	v_ldexp_f32 v49, v49, v50
	v_cndmask_b32_e32 v49, 0, v49, vcc
	v_mov_b32_e32 v50, 0x7f800000
	v_cmp_nlt_f32_e32 vcc, s64, v48
	s_mov_b32 s64, 0x3f2aaaab
	s_mov_b32 s65, 0x7f800000
	v_cndmask_b32_e32 v208, v50, v49, vcc
	v_add_f32_e32 v50, 1.0, v208
	v_add_f32_e32 v48, -1.0, v50
	v_sub_f32_e32 v49, v48, v50
	v_add_f32_e32 v49, 1.0, v49
	v_sub_f32_e32 v48, v208, v48
	v_add_f32_e32 v51, v48, v49
	v_frexp_mant_f32_e32 v179, v50
	v_cvt_f64_f32_e32 v[48:49], v50
	v_frexp_exp_i32_f64_e32 v48, v[48:49]
	v_cmp_gt_f32_e32 vcc, s64, v179
	s_mov_b32 s64, 0x3f317218
	s_nop 0
	v_subbrev_co_u32_e32 v179, vcc, 0, v48, vcc
	v_sub_u32_e32 v48, 0, v179
	v_ldexp_f32 v49, v50, v48
	v_add_f32_e32 v50, -1.0, v49
	v_add_f32_e32 v180, 1.0, v49
	v_ldexp_f32 v48, v51, v48
	v_add_f32_e32 v51, 1.0, v50
	v_add_f32_e32 v181, -1.0, v180
	v_sub_f32_e32 v51, v49, v51
	v_sub_f32_e32 v49, v49, v181
	v_add_f32_e32 v51, v48, v51
	v_add_f32_e32 v48, v48, v49
	;; [unrolled: 1-line block ×3, first 2 shown]
	v_rcp_f32_e32 v194, v192
	v_sub_f32_e32 v49, v180, v192
	v_add_f32_e32 v193, v48, v49
	v_add_f32_e32 v49, v50, v51
	v_mul_f32_e32 v196, v49, v194
	v_sub_f32_e32 v48, v50, v49
	v_mul_f32_e32 v50, v192, v196
	v_fma_f32 v180, v196, v192, -v50
	v_fmac_f32_e32 v180, v196, v193
	v_add_f32_e32 v195, v51, v48
	v_add_f32_e32 v48, v50, v180
	v_sub_f32_e32 v51, v49, v48
	v_pk_add_f32 v[182:183], v[48:49], v[50:51] neg_lo:[0,1] neg_hi:[0,1]
	v_mov_b32_e32 v181, v48
	v_pk_add_f32 v[48:49], v[182:183], v[180:181] neg_lo:[0,1] neg_hi:[0,1]
	v_cmp_eq_f32_e32 vcc, s65, v208
	v_add_f32_e32 v49, v195, v49
	v_add_f32_e32 v48, v48, v49
	;; [unrolled: 1-line block ×3, first 2 shown]
	v_mul_f32_e32 v195, v194, v49
	v_mul_f32_e32 v50, v192, v195
	v_fma_f32 v180, v195, v192, -v50
	v_fmac_f32_e32 v180, v195, v193
	v_sub_f32_e32 v51, v51, v49
	v_add_f32_e32 v192, v48, v51
	v_add_f32_e32 v48, v50, v180
	v_sub_f32_e32 v51, v49, v48
	v_pk_add_f32 v[182:183], v[48:49], v[50:51] neg_lo:[0,1] neg_hi:[0,1]
	v_mov_b32_e32 v181, v48
	v_pk_add_f32 v[48:49], v[182:183], v[180:181] neg_lo:[0,1] neg_hi:[0,1]
	v_cvt_f32_i32_e32 v50, v179
	v_add_f32_e32 v49, v192, v49
	v_add_f32_e32 v48, v48, v49
	;; [unrolled: 1-line block ×4, first 2 shown]
	v_sub_f32_e32 v49, v51, v196
	v_mul_f32_e32 v48, v194, v48
	v_sub_f32_e32 v49, v195, v49
	v_add_f32_e32 v48, v49, v48
	v_add_f32_e32 v180, v51, v48
	v_mul_f32_e32 v182, v180, v180
	v_mov_b32_e32 v49, 0x3ecc95a3
	v_sub_f32_e32 v51, v180, v51
	v_fmac_f32_e32 v49, 0x3e9b6dac, v182
	v_sub_f32_e32 v48, v48, v51
	v_fmaak_f32 v49, v182, v49, 0x3f2aaada
	v_ldexp_f32 v179, v48, 1
	v_mul_f32_e32 v51, v180, v182
	v_mov_b32_e32 v48, 0x3f317218
	v_pk_mul_f32 v[48:49], v[50:51], v[48:49]
	v_ldexp_f32 v181, v180, 1
	v_fma_f32 v51, v50, s64, -v48
	v_fmamk_f32 v180, v50, 0xb102e308, v51
	v_pk_add_f32 v[50:51], v[48:49], v[180:181]
	v_mov_b32_e32 v182, v48
	v_sub_f32_e32 v181, v51, v181
	v_sub_f32_e32 v181, v49, v181
	v_add_f32_e32 v183, v179, v181
	v_pk_add_f32 v[48:49], v[50:51], v[48:49] neg_lo:[0,1] neg_hi:[0,1]
	v_pk_add_f32 v[192:193], v[50:51], v[182:183]
	v_mov_b32_e32 v181, v50
	v_mov_b32_e32 v49, v193
	v_pk_add_f32 v[194:195], v[180:181], v[48:49] neg_lo:[0,1] neg_hi:[0,1]
	v_pk_add_f32 v[48:49], v[180:181], v[48:49]
	v_mov_b32_e32 v182, v183
	v_mov_b32_e32 v180, v49
	v_pk_add_f32 v[196:197], v[180:181], v[50:51] neg_lo:[0,1] neg_hi:[0,1]
	v_mov_b32_e32 v48, v193
	v_mov_b32_e32 v179, v196
	v_pk_add_f32 v[198:199], v[192:193], v[178:179] neg_lo:[0,1] neg_hi:[0,1]
	v_mov_b32_e32 v192, v51
	v_mov_b32_e32 v193, v196
	;; [unrolled: 1-line block ×3, first 2 shown]
	v_pk_add_f32 v[48:49], v[48:49], v[192:193] neg_lo:[0,1] neg_hi:[0,1]
	v_mov_b32_e32 v183, v50
	v_pk_add_f32 v[48:49], v[182:183], v[48:49] neg_lo:[0,1] neg_hi:[0,1]
	v_mov_b32_e32 v198, v194
	v_pk_add_f32 v[50:51], v[198:199], v[48:49]
	s_mov_b32 s64, 0x33800000
	v_mov_b32_e32 v182, v51
	v_pk_add_f32 v[182:183], v[50:51], v[182:183]
	v_cmp_lt_f32_e64 s[64:65], |v208|, s64
	v_pk_add_f32 v[180:181], v[180:181], v[182:183]
	v_mov_b32_e32 v49, v182
	v_mov_b32_e32 v51, v180
	v_pk_add_f32 v[192:193], v[50:51], v[194:195] neg_lo:[0,1] neg_hi:[0,1]
	s_or_b64 vcc, vcc, s[64:65]
	v_sub_f32_e32 v50, v50, v192
	v_pk_add_f32 v[48:49], v[48:49], v[192:193] neg_lo:[0,1] neg_hi:[0,1]
	v_sub_f32_e32 v50, v194, v50
	v_add_f32_e32 v48, v48, v50
	v_add_f32_e32 v48, v48, v49
	;; [unrolled: 1-line block ×3, first 2 shown]
	v_cndmask_b32_e32 v48, v48, v208, vcc
	v_add_f32_e32 v48, v37, v48
.LBB519_171:
	s_or_b64 exec, exec, s[58:59]
	v_bfe_u32 v37, v48, 16, 1
	s_movk_i32 vcc_lo, 0x7fff
	v_add3_u32 v37, v48, v37, vcc_lo
	v_lshrrev_b32_e32 v37, 16, v37
	v_mov_b32_e32 v49, 0x7fc0
	v_cmp_o_f32_e32 vcc, v48, v48
	s_nop 1
	v_cndmask_b32_e32 v50, v49, v37, vcc
.LBB519_172:
	s_or_b64 exec, exec, s[62:63]
                                        ; implicit-def: $vgpr48
	s_waitcnt lgkmcnt(0)
	v_mov_b32_e32 v37, 0
	s_movk_i32 s64, 0x1f8
	s_mov_b32 s65, 0x3fb8aa3b
	s_mov_b32 s66, 0xc2ce8ed0
	;; [unrolled: 1-line block ×5, first 2 shown]
	v_mov_b32_e32 v180, 0x3ecc95a3
	s_mov_b32 s70, 0x3f317218
	s_mov_b32 s71, 0x33800000
	s_movk_i32 s72, 0x7fff
	v_mov_b32_e32 v181, 2
	v_mov_b32_e32 v182, 0x7f800000
	;; [unrolled: 1-line block ×4, first 2 shown]
	s_branch .LBB519_174
.LBB519_173:                            ;   in Loop: Header=BB519_174 Depth=1
                                        ; implicit-def: $vgpr50
                                        ; implicit-def: $vgpr31
	s_cbranch_execnz .LBB519_206
.LBB519_174:                            ; =>This Loop Header: Depth=1
                                        ;     Child Loop BB519_177 Depth 2
	v_cmp_ne_u16_sdwa vcc, v31, v181 src0_sel:BYTE_0 src1_sel:DWORD
	v_mov_b32_e32 v179, v50
	s_nop 0
	v_cndmask_b32_e64 v31, 0, 1, vcc
	;;#ASMSTART
	;;#ASMEND
	s_nop 0
	v_cmp_ne_u32_e32 vcc, 0, v31
	s_cmp_lg_u64 vcc, exec
	s_cbranch_scc1 .LBB519_173
; %bb.175:                              ;   in Loop: Header=BB519_174 Depth=1
	v_lshl_add_u64 v[50:51], v[36:37], 2, v[28:29]
	flat_load_dword v49, v[50:51] sc1
	s_waitcnt vmcnt(0) lgkmcnt(0)
	v_lshrrev_b32_e32 v31, 16, v49
	v_cmp_eq_u16_sdwa s[58:59], v31, v37 src0_sel:BYTE_0 src1_sel:DWORD
	s_and_saveexec_b64 vcc, s[58:59]
	s_cbranch_execz .LBB519_179
; %bb.176:                              ;   in Loop: Header=BB519_174 Depth=1
	s_mov_b64 s[58:59], 0
.LBB519_177:                            ;   Parent Loop BB519_174 Depth=1
                                        ; =>  This Inner Loop Header: Depth=2
	flat_load_dword v49, v[50:51] sc1
	s_waitcnt vmcnt(0) lgkmcnt(0)
	v_lshrrev_b32_e32 v31, 16, v49
	v_cmp_ne_u16_sdwa s[62:63], v31, v37 src0_sel:BYTE_0 src1_sel:DWORD
	s_or_b64 s[58:59], s[62:63], s[58:59]
	s_andn2_b64 exec, exec, s[58:59]
	s_cbranch_execnz .LBB519_177
; %bb.178:                              ;   in Loop: Header=BB519_174 Depth=1
	s_or_b64 exec, exec, s[58:59]
.LBB519_179:                            ;   in Loop: Header=BB519_174 Depth=1
	s_or_b64 exec, exec, vcc
	v_cmp_eq_u16_sdwa vcc, v31, v181 src0_sel:BYTE_0 src1_sel:DWORD
	v_and_b32_e32 v51, 0xffff, v49
	ds_bpermute_b32 v192, v160, v51
	v_and_b32_e32 v50, vcc_hi, v39
	v_or_b32_e32 v50, 0x80000000, v50
	v_and_b32_e32 v193, vcc_lo, v38
	v_ffbl_b32_e32 v50, v50
	v_add_u32_e32 v50, 32, v50
	v_ffbl_b32_e32 v193, v193
	v_min_u32_e32 v50, v193, v50
	v_cmp_lt_u32_e32 vcc, v151, v50
	s_and_saveexec_b64 s[62:63], vcc
	s_cbranch_execz .LBB519_183
; %bb.180:                              ;   in Loop: Header=BB519_174 Depth=1
	s_waitcnt lgkmcnt(0)
	v_lshlrev_b32_e32 v49, 16, v192
	v_lshlrev_b32_e32 v51, 16, v51
	v_max_f32_e32 v193, v51, v51
	v_max_f32_e32 v194, v49, v49
	v_min_f32_e32 v192, v194, v193
	v_cmp_u_f32_e32 vcc, v49, v49
	v_max_f32_e32 v193, v194, v193
	v_cmp_u_f32_e64 s[58:59], v51, v51
	v_cndmask_b32_e32 v192, v192, v49, vcc
	v_cndmask_b32_e32 v193, v193, v49, vcc
	v_cndmask_b32_e64 v192, v192, v51, s[58:59]
	v_cndmask_b32_e64 v51, v193, v51, s[58:59]
	v_cmp_neq_f32_e32 vcc, v192, v51
	v_cmp_class_f32_e64 s[58:59], v192, s64
	s_or_b64 vcc, vcc, s[58:59]
	s_and_saveexec_b64 s[58:59], vcc
	s_cbranch_execz .LBB519_182
; %bb.181:                              ;   in Loop: Header=BB519_174 Depth=1
	v_sub_f32_e32 v49, v192, v51
	v_mul_f32_e32 v192, 0x3fb8aa3b, v49
	v_fma_f32 v193, v49, s65, -v192
	v_rndne_f32_e32 v194, v192
	v_fmac_f32_e32 v193, 0x32a5705f, v49
	v_sub_f32_e32 v192, v192, v194
	v_add_f32_e32 v192, v192, v193
	v_cvt_i32_f32_e32 v193, v194
	v_exp_f32_e32 v192, v192
	v_cmp_ngt_f32_e32 vcc, s66, v49
	v_ldexp_f32 v192, v192, v193
	s_nop 0
	v_cndmask_b32_e32 v192, 0, v192, vcc
	v_cmp_nlt_f32_e32 vcc, s67, v49
	s_nop 1
	v_cndmask_b32_e32 v224, v182, v192, vcc
	v_add_f32_e32 v49, 1.0, v224
	v_add_f32_e32 v192, -1.0, v49
	v_sub_f32_e32 v193, v192, v49
	v_add_f32_e32 v193, 1.0, v193
	v_sub_f32_e32 v192, v224, v192
	v_add_f32_e32 v194, v192, v193
	v_frexp_mant_f32_e32 v195, v49
	v_cvt_f64_f32_e32 v[192:193], v49
	v_frexp_exp_i32_f64_e32 v192, v[192:193]
	v_cmp_gt_f32_e32 vcc, s69, v195
	v_cmp_lt_f32_e64 s[74:75], |v224|, s71
	s_nop 0
	v_subbrev_co_u32_e32 v208, vcc, 0, v192, vcc
	v_sub_u32_e32 v192, 0, v208
	v_ldexp_f32 v49, v49, v192
	v_ldexp_f32 v192, v194, v192
	v_add_f32_e32 v194, -1.0, v49
	v_add_f32_e32 v193, 1.0, v194
	v_sub_f32_e32 v193, v49, v193
	v_add_f32_e32 v195, v192, v193
	v_add_f32_e32 v193, 1.0, v49
	v_add_f32_e32 v196, -1.0, v193
	v_sub_f32_e32 v49, v49, v196
	v_add_f32_e32 v49, v192, v49
	v_add_f32_e32 v209, v193, v49
	v_rcp_f32_e32 v210, v209
	v_sub_f32_e32 v192, v193, v209
	v_add_f32_e32 v193, v194, v195
	v_add_f32_e32 v49, v49, v192
	v_mul_f32_e32 v212, v193, v210
	v_sub_f32_e32 v192, v194, v193
	v_mul_f32_e32 v194, v209, v212
	v_fma_f32 v196, v212, v209, -v194
	v_fmac_f32_e32 v196, v212, v49
	v_add_f32_e32 v211, v195, v192
	v_add_f32_e32 v192, v194, v196
	v_sub_f32_e32 v195, v193, v192
	v_pk_add_f32 v[198:199], v[192:193], v[194:195] neg_lo:[0,1] neg_hi:[0,1]
	v_mov_b32_e32 v197, v192
	v_pk_add_f32 v[192:193], v[198:199], v[196:197] neg_lo:[0,1] neg_hi:[0,1]
	v_cmp_eq_f32_e32 vcc, s68, v224
	v_add_f32_e32 v193, v211, v193
	v_add_f32_e32 v192, v192, v193
	;; [unrolled: 1-line block ×3, first 2 shown]
	v_mul_f32_e32 v211, v210, v193
	v_mul_f32_e32 v194, v209, v211
	v_fma_f32 v196, v211, v209, -v194
	v_fmac_f32_e32 v196, v211, v49
	v_sub_f32_e32 v49, v195, v193
	v_add_f32_e32 v49, v192, v49
	v_add_f32_e32 v192, v194, v196
	v_sub_f32_e32 v195, v193, v192
	v_pk_add_f32 v[198:199], v[192:193], v[194:195] neg_lo:[0,1] neg_hi:[0,1]
	v_mov_b32_e32 v197, v192
	v_pk_add_f32 v[192:193], v[198:199], v[196:197] neg_lo:[0,1] neg_hi:[0,1]
	s_or_b64 vcc, vcc, s[74:75]
	v_add_f32_e32 v49, v49, v193
	v_add_f32_e32 v49, v192, v49
	;; [unrolled: 1-line block ×4, first 2 shown]
	v_sub_f32_e32 v192, v193, v212
	v_mul_f32_e32 v49, v210, v49
	v_sub_f32_e32 v192, v211, v192
	v_add_f32_e32 v194, v192, v49
	v_add_f32_e32 v196, v193, v194
	v_cvt_f32_i32_e32 v192, v208
	v_mul_f32_e32 v197, v196, v196
	v_sub_f32_e32 v193, v196, v193
	v_fmamk_f32 v49, v197, 0x3e9b6dac, v180
	v_sub_f32_e32 v193, v194, v193
	v_fmaak_f32 v49, v197, v49, 0x3f2aaada
	v_ldexp_f32 v198, v193, 1
	v_mul_f32_e32 v193, v196, v197
	v_ldexp_f32 v195, v196, 1
	v_pk_mul_f32 v[196:197], v[192:193], v[48:49]
	s_nop 0
	v_fma_f32 v194, v192, s70, -v196
	v_fmac_f32_e32 v194, 0xb102e308, v192
	v_pk_add_f32 v[192:193], v[196:197], v[194:195]
	s_nop 0
	v_sub_f32_e32 v49, v193, v195
	v_sub_f32_e32 v49, v197, v49
	v_add_f32_e32 v199, v198, v49
	v_mov_b32_e32 v198, v196
	v_pk_add_f32 v[196:197], v[192:193], v[196:197] neg_lo:[0,1] neg_hi:[0,1]
	v_pk_add_f32 v[208:209], v[192:193], v[198:199]
	v_mov_b32_e32 v195, v192
	v_mov_b32_e32 v197, v209
	v_pk_add_f32 v[210:211], v[194:195], v[196:197] neg_lo:[0,1] neg_hi:[0,1]
	v_pk_add_f32 v[194:195], v[194:195], v[196:197]
	v_mov_b32_e32 v198, v199
	v_mov_b32_e32 v196, v195
	v_pk_add_f32 v[212:213], v[196:197], v[192:193] neg_lo:[0,1] neg_hi:[0,1]
	v_mov_b32_e32 v194, v209
	v_mov_b32_e32 v49, v212
	v_pk_add_f32 v[214:215], v[208:209], v[48:49] neg_lo:[0,1] neg_hi:[0,1]
	v_mov_b32_e32 v208, v193
	v_mov_b32_e32 v209, v212
	;; [unrolled: 1-line block ×3, first 2 shown]
	v_pk_add_f32 v[194:195], v[194:195], v[208:209] neg_lo:[0,1] neg_hi:[0,1]
	v_mov_b32_e32 v199, v192
	v_pk_add_f32 v[192:193], v[198:199], v[194:195] neg_lo:[0,1] neg_hi:[0,1]
	v_mov_b32_e32 v214, v210
	v_pk_add_f32 v[194:195], v[214:215], v[192:193]
	s_nop 0
	v_mov_b32_e32 v198, v195
	v_pk_add_f32 v[198:199], v[194:195], v[198:199]
	s_nop 0
	v_pk_add_f32 v[196:197], v[196:197], v[198:199]
	v_mov_b32_e32 v193, v198
	v_mov_b32_e32 v195, v196
	v_pk_add_f32 v[208:209], v[194:195], v[210:211] neg_lo:[0,1] neg_hi:[0,1]
	s_nop 0
	v_sub_f32_e32 v49, v194, v208
	v_pk_add_f32 v[192:193], v[192:193], v[208:209] neg_lo:[0,1] neg_hi:[0,1]
	v_sub_f32_e32 v49, v210, v49
	v_add_f32_e32 v49, v192, v49
	v_add_f32_e32 v49, v49, v193
	;; [unrolled: 1-line block ×3, first 2 shown]
	v_cndmask_b32_e32 v49, v49, v224, vcc
	v_add_f32_e32 v49, v51, v49
.LBB519_182:                            ;   in Loop: Header=BB519_174 Depth=1
	s_or_b64 exec, exec, s[58:59]
	v_bfe_u32 v51, v49, 16, 1
	v_add3_u32 v51, v49, v51, s72
	v_lshrrev_b32_e32 v51, 16, v51
	v_cmp_o_f32_e32 vcc, v49, v49
	s_nop 1
	v_cndmask_b32_e32 v49, v183, v51, vcc
	v_and_b32_e32 v51, 0xffff, v49
.LBB519_183:                            ;   in Loop: Header=BB519_174 Depth=1
	s_or_b64 exec, exec, s[62:63]
	s_waitcnt lgkmcnt(0)
	ds_bpermute_b32 v192, v161, v51
	v_cmp_le_u32_e32 vcc, v162, v50
	s_and_saveexec_b64 s[62:63], vcc
	s_cbranch_execz .LBB519_187
; %bb.184:                              ;   in Loop: Header=BB519_174 Depth=1
	s_waitcnt lgkmcnt(0)
	v_lshlrev_b32_e32 v49, 16, v192
	v_lshlrev_b32_e32 v51, 16, v51
	v_max_f32_e32 v193, v51, v51
	v_max_f32_e32 v194, v49, v49
	v_min_f32_e32 v192, v194, v193
	v_cmp_u_f32_e32 vcc, v49, v49
	v_max_f32_e32 v193, v194, v193
	v_cmp_u_f32_e64 s[58:59], v51, v51
	v_cndmask_b32_e32 v192, v192, v49, vcc
	v_cndmask_b32_e32 v193, v193, v49, vcc
	v_cndmask_b32_e64 v192, v192, v51, s[58:59]
	v_cndmask_b32_e64 v51, v193, v51, s[58:59]
	v_cmp_neq_f32_e32 vcc, v192, v51
	v_cmp_class_f32_e64 s[58:59], v192, s64
	s_or_b64 vcc, vcc, s[58:59]
	s_and_saveexec_b64 s[58:59], vcc
	s_cbranch_execz .LBB519_186
; %bb.185:                              ;   in Loop: Header=BB519_174 Depth=1
	v_sub_f32_e32 v49, v192, v51
	v_mul_f32_e32 v192, 0x3fb8aa3b, v49
	v_fma_f32 v193, v49, s65, -v192
	v_rndne_f32_e32 v194, v192
	v_fmac_f32_e32 v193, 0x32a5705f, v49
	v_sub_f32_e32 v192, v192, v194
	v_add_f32_e32 v192, v192, v193
	v_cvt_i32_f32_e32 v193, v194
	v_exp_f32_e32 v192, v192
	v_cmp_ngt_f32_e32 vcc, s66, v49
	v_ldexp_f32 v192, v192, v193
	s_nop 0
	v_cndmask_b32_e32 v192, 0, v192, vcc
	v_cmp_nlt_f32_e32 vcc, s67, v49
	s_nop 1
	v_cndmask_b32_e32 v224, v182, v192, vcc
	v_add_f32_e32 v49, 1.0, v224
	v_add_f32_e32 v192, -1.0, v49
	v_sub_f32_e32 v193, v192, v49
	v_add_f32_e32 v193, 1.0, v193
	v_sub_f32_e32 v192, v224, v192
	v_add_f32_e32 v194, v192, v193
	v_frexp_mant_f32_e32 v195, v49
	v_cvt_f64_f32_e32 v[192:193], v49
	v_frexp_exp_i32_f64_e32 v192, v[192:193]
	v_cmp_gt_f32_e32 vcc, s69, v195
	v_cmp_lt_f32_e64 s[74:75], |v224|, s71
	s_nop 0
	v_subbrev_co_u32_e32 v208, vcc, 0, v192, vcc
	v_sub_u32_e32 v192, 0, v208
	v_ldexp_f32 v49, v49, v192
	v_ldexp_f32 v192, v194, v192
	v_add_f32_e32 v194, -1.0, v49
	v_add_f32_e32 v193, 1.0, v194
	v_sub_f32_e32 v193, v49, v193
	v_add_f32_e32 v195, v192, v193
	v_add_f32_e32 v193, 1.0, v49
	v_add_f32_e32 v196, -1.0, v193
	v_sub_f32_e32 v49, v49, v196
	v_add_f32_e32 v49, v192, v49
	v_add_f32_e32 v209, v193, v49
	v_rcp_f32_e32 v210, v209
	v_sub_f32_e32 v192, v193, v209
	v_add_f32_e32 v193, v194, v195
	v_add_f32_e32 v49, v49, v192
	v_mul_f32_e32 v212, v193, v210
	v_sub_f32_e32 v192, v194, v193
	v_mul_f32_e32 v194, v209, v212
	v_fma_f32 v196, v212, v209, -v194
	v_fmac_f32_e32 v196, v212, v49
	v_add_f32_e32 v211, v195, v192
	v_add_f32_e32 v192, v194, v196
	v_sub_f32_e32 v195, v193, v192
	v_pk_add_f32 v[198:199], v[192:193], v[194:195] neg_lo:[0,1] neg_hi:[0,1]
	v_mov_b32_e32 v197, v192
	v_pk_add_f32 v[192:193], v[198:199], v[196:197] neg_lo:[0,1] neg_hi:[0,1]
	v_cmp_eq_f32_e32 vcc, s68, v224
	v_add_f32_e32 v193, v211, v193
	v_add_f32_e32 v192, v192, v193
	v_add_f32_e32 v193, v195, v192
	v_mul_f32_e32 v211, v210, v193
	v_mul_f32_e32 v194, v209, v211
	v_fma_f32 v196, v211, v209, -v194
	v_fmac_f32_e32 v196, v211, v49
	v_sub_f32_e32 v49, v195, v193
	v_add_f32_e32 v49, v192, v49
	v_add_f32_e32 v192, v194, v196
	v_sub_f32_e32 v195, v193, v192
	v_pk_add_f32 v[198:199], v[192:193], v[194:195] neg_lo:[0,1] neg_hi:[0,1]
	v_mov_b32_e32 v197, v192
	v_pk_add_f32 v[192:193], v[198:199], v[196:197] neg_lo:[0,1] neg_hi:[0,1]
	s_or_b64 vcc, vcc, s[74:75]
	v_add_f32_e32 v49, v49, v193
	v_add_f32_e32 v49, v192, v49
	;; [unrolled: 1-line block ×4, first 2 shown]
	v_sub_f32_e32 v192, v193, v212
	v_mul_f32_e32 v49, v210, v49
	v_sub_f32_e32 v192, v211, v192
	v_add_f32_e32 v194, v192, v49
	v_add_f32_e32 v196, v193, v194
	v_cvt_f32_i32_e32 v192, v208
	v_mul_f32_e32 v197, v196, v196
	v_sub_f32_e32 v193, v196, v193
	v_fmamk_f32 v49, v197, 0x3e9b6dac, v180
	v_sub_f32_e32 v193, v194, v193
	v_fmaak_f32 v49, v197, v49, 0x3f2aaada
	v_ldexp_f32 v198, v193, 1
	v_mul_f32_e32 v193, v196, v197
	v_ldexp_f32 v195, v196, 1
	v_pk_mul_f32 v[196:197], v[192:193], v[48:49]
	s_nop 0
	v_fma_f32 v194, v192, s70, -v196
	v_fmac_f32_e32 v194, 0xb102e308, v192
	v_pk_add_f32 v[192:193], v[196:197], v[194:195]
	s_nop 0
	v_sub_f32_e32 v49, v193, v195
	v_sub_f32_e32 v49, v197, v49
	v_add_f32_e32 v199, v198, v49
	v_mov_b32_e32 v198, v196
	v_pk_add_f32 v[196:197], v[192:193], v[196:197] neg_lo:[0,1] neg_hi:[0,1]
	v_pk_add_f32 v[208:209], v[192:193], v[198:199]
	v_mov_b32_e32 v195, v192
	v_mov_b32_e32 v197, v209
	v_pk_add_f32 v[210:211], v[194:195], v[196:197] neg_lo:[0,1] neg_hi:[0,1]
	v_pk_add_f32 v[194:195], v[194:195], v[196:197]
	v_mov_b32_e32 v198, v199
	v_mov_b32_e32 v196, v195
	v_pk_add_f32 v[212:213], v[196:197], v[192:193] neg_lo:[0,1] neg_hi:[0,1]
	v_mov_b32_e32 v194, v209
	v_mov_b32_e32 v49, v212
	v_pk_add_f32 v[214:215], v[208:209], v[48:49] neg_lo:[0,1] neg_hi:[0,1]
	v_mov_b32_e32 v208, v193
	v_mov_b32_e32 v209, v212
	;; [unrolled: 1-line block ×3, first 2 shown]
	v_pk_add_f32 v[194:195], v[194:195], v[208:209] neg_lo:[0,1] neg_hi:[0,1]
	v_mov_b32_e32 v199, v192
	v_pk_add_f32 v[192:193], v[198:199], v[194:195] neg_lo:[0,1] neg_hi:[0,1]
	v_mov_b32_e32 v214, v210
	v_pk_add_f32 v[194:195], v[214:215], v[192:193]
	s_nop 0
	v_mov_b32_e32 v198, v195
	v_pk_add_f32 v[198:199], v[194:195], v[198:199]
	s_nop 0
	v_pk_add_f32 v[196:197], v[196:197], v[198:199]
	v_mov_b32_e32 v193, v198
	v_mov_b32_e32 v195, v196
	v_pk_add_f32 v[208:209], v[194:195], v[210:211] neg_lo:[0,1] neg_hi:[0,1]
	s_nop 0
	v_sub_f32_e32 v49, v194, v208
	v_pk_add_f32 v[192:193], v[192:193], v[208:209] neg_lo:[0,1] neg_hi:[0,1]
	v_sub_f32_e32 v49, v210, v49
	v_add_f32_e32 v49, v192, v49
	v_add_f32_e32 v49, v49, v193
	;; [unrolled: 1-line block ×3, first 2 shown]
	v_cndmask_b32_e32 v49, v49, v224, vcc
	v_add_f32_e32 v49, v51, v49
.LBB519_186:                            ;   in Loop: Header=BB519_174 Depth=1
	s_or_b64 exec, exec, s[58:59]
	v_bfe_u32 v51, v49, 16, 1
	v_add3_u32 v51, v49, v51, s72
	v_lshrrev_b32_e32 v51, 16, v51
	v_cmp_o_f32_e32 vcc, v49, v49
	s_nop 1
	v_cndmask_b32_e32 v49, v183, v51, vcc
	v_and_b32_e32 v51, 0xffff, v49
.LBB519_187:                            ;   in Loop: Header=BB519_174 Depth=1
	s_or_b64 exec, exec, s[62:63]
	s_waitcnt lgkmcnt(0)
	ds_bpermute_b32 v192, v163, v51
	v_cmp_le_u32_e32 vcc, v164, v50
	s_and_saveexec_b64 s[62:63], vcc
	s_cbranch_execz .LBB519_191
; %bb.188:                              ;   in Loop: Header=BB519_174 Depth=1
	s_waitcnt lgkmcnt(0)
	v_lshlrev_b32_e32 v49, 16, v192
	v_lshlrev_b32_e32 v51, 16, v51
	v_max_f32_e32 v193, v51, v51
	v_max_f32_e32 v194, v49, v49
	v_min_f32_e32 v192, v194, v193
	v_cmp_u_f32_e32 vcc, v49, v49
	v_max_f32_e32 v193, v194, v193
	v_cmp_u_f32_e64 s[58:59], v51, v51
	v_cndmask_b32_e32 v192, v192, v49, vcc
	v_cndmask_b32_e32 v193, v193, v49, vcc
	v_cndmask_b32_e64 v192, v192, v51, s[58:59]
	v_cndmask_b32_e64 v51, v193, v51, s[58:59]
	v_cmp_neq_f32_e32 vcc, v192, v51
	v_cmp_class_f32_e64 s[58:59], v192, s64
	s_or_b64 vcc, vcc, s[58:59]
	s_and_saveexec_b64 s[58:59], vcc
	s_cbranch_execz .LBB519_190
; %bb.189:                              ;   in Loop: Header=BB519_174 Depth=1
	v_sub_f32_e32 v49, v192, v51
	v_mul_f32_e32 v192, 0x3fb8aa3b, v49
	v_fma_f32 v193, v49, s65, -v192
	v_rndne_f32_e32 v194, v192
	v_fmac_f32_e32 v193, 0x32a5705f, v49
	v_sub_f32_e32 v192, v192, v194
	v_add_f32_e32 v192, v192, v193
	v_cvt_i32_f32_e32 v193, v194
	v_exp_f32_e32 v192, v192
	v_cmp_ngt_f32_e32 vcc, s66, v49
	v_ldexp_f32 v192, v192, v193
	s_nop 0
	v_cndmask_b32_e32 v192, 0, v192, vcc
	v_cmp_nlt_f32_e32 vcc, s67, v49
	s_nop 1
	v_cndmask_b32_e32 v224, v182, v192, vcc
	v_add_f32_e32 v49, 1.0, v224
	v_add_f32_e32 v192, -1.0, v49
	v_sub_f32_e32 v193, v192, v49
	v_add_f32_e32 v193, 1.0, v193
	v_sub_f32_e32 v192, v224, v192
	v_add_f32_e32 v194, v192, v193
	v_frexp_mant_f32_e32 v195, v49
	v_cvt_f64_f32_e32 v[192:193], v49
	v_frexp_exp_i32_f64_e32 v192, v[192:193]
	v_cmp_gt_f32_e32 vcc, s69, v195
	v_cmp_lt_f32_e64 s[74:75], |v224|, s71
	s_nop 0
	v_subbrev_co_u32_e32 v208, vcc, 0, v192, vcc
	v_sub_u32_e32 v192, 0, v208
	v_ldexp_f32 v49, v49, v192
	v_ldexp_f32 v192, v194, v192
	v_add_f32_e32 v194, -1.0, v49
	v_add_f32_e32 v193, 1.0, v194
	v_sub_f32_e32 v193, v49, v193
	v_add_f32_e32 v195, v192, v193
	v_add_f32_e32 v193, 1.0, v49
	v_add_f32_e32 v196, -1.0, v193
	v_sub_f32_e32 v49, v49, v196
	v_add_f32_e32 v49, v192, v49
	v_add_f32_e32 v209, v193, v49
	v_rcp_f32_e32 v210, v209
	v_sub_f32_e32 v192, v193, v209
	v_add_f32_e32 v193, v194, v195
	v_add_f32_e32 v49, v49, v192
	v_mul_f32_e32 v212, v193, v210
	v_sub_f32_e32 v192, v194, v193
	v_mul_f32_e32 v194, v209, v212
	v_fma_f32 v196, v212, v209, -v194
	v_fmac_f32_e32 v196, v212, v49
	v_add_f32_e32 v211, v195, v192
	v_add_f32_e32 v192, v194, v196
	v_sub_f32_e32 v195, v193, v192
	v_pk_add_f32 v[198:199], v[192:193], v[194:195] neg_lo:[0,1] neg_hi:[0,1]
	v_mov_b32_e32 v197, v192
	v_pk_add_f32 v[192:193], v[198:199], v[196:197] neg_lo:[0,1] neg_hi:[0,1]
	v_cmp_eq_f32_e32 vcc, s68, v224
	v_add_f32_e32 v193, v211, v193
	v_add_f32_e32 v192, v192, v193
	;; [unrolled: 1-line block ×3, first 2 shown]
	v_mul_f32_e32 v211, v210, v193
	v_mul_f32_e32 v194, v209, v211
	v_fma_f32 v196, v211, v209, -v194
	v_fmac_f32_e32 v196, v211, v49
	v_sub_f32_e32 v49, v195, v193
	v_add_f32_e32 v49, v192, v49
	v_add_f32_e32 v192, v194, v196
	v_sub_f32_e32 v195, v193, v192
	v_pk_add_f32 v[198:199], v[192:193], v[194:195] neg_lo:[0,1] neg_hi:[0,1]
	v_mov_b32_e32 v197, v192
	v_pk_add_f32 v[192:193], v[198:199], v[196:197] neg_lo:[0,1] neg_hi:[0,1]
	s_or_b64 vcc, vcc, s[74:75]
	v_add_f32_e32 v49, v49, v193
	v_add_f32_e32 v49, v192, v49
	;; [unrolled: 1-line block ×4, first 2 shown]
	v_sub_f32_e32 v192, v193, v212
	v_mul_f32_e32 v49, v210, v49
	v_sub_f32_e32 v192, v211, v192
	v_add_f32_e32 v194, v192, v49
	v_add_f32_e32 v196, v193, v194
	v_cvt_f32_i32_e32 v192, v208
	v_mul_f32_e32 v197, v196, v196
	v_sub_f32_e32 v193, v196, v193
	v_fmamk_f32 v49, v197, 0x3e9b6dac, v180
	v_sub_f32_e32 v193, v194, v193
	v_fmaak_f32 v49, v197, v49, 0x3f2aaada
	v_ldexp_f32 v198, v193, 1
	v_mul_f32_e32 v193, v196, v197
	v_ldexp_f32 v195, v196, 1
	v_pk_mul_f32 v[196:197], v[192:193], v[48:49]
	s_nop 0
	v_fma_f32 v194, v192, s70, -v196
	v_fmac_f32_e32 v194, 0xb102e308, v192
	v_pk_add_f32 v[192:193], v[196:197], v[194:195]
	s_nop 0
	v_sub_f32_e32 v49, v193, v195
	v_sub_f32_e32 v49, v197, v49
	v_add_f32_e32 v199, v198, v49
	v_mov_b32_e32 v198, v196
	v_pk_add_f32 v[196:197], v[192:193], v[196:197] neg_lo:[0,1] neg_hi:[0,1]
	v_pk_add_f32 v[208:209], v[192:193], v[198:199]
	v_mov_b32_e32 v195, v192
	v_mov_b32_e32 v197, v209
	v_pk_add_f32 v[210:211], v[194:195], v[196:197] neg_lo:[0,1] neg_hi:[0,1]
	v_pk_add_f32 v[194:195], v[194:195], v[196:197]
	v_mov_b32_e32 v198, v199
	v_mov_b32_e32 v196, v195
	v_pk_add_f32 v[212:213], v[196:197], v[192:193] neg_lo:[0,1] neg_hi:[0,1]
	v_mov_b32_e32 v194, v209
	v_mov_b32_e32 v49, v212
	v_pk_add_f32 v[214:215], v[208:209], v[48:49] neg_lo:[0,1] neg_hi:[0,1]
	v_mov_b32_e32 v208, v193
	v_mov_b32_e32 v209, v212
	;; [unrolled: 1-line block ×3, first 2 shown]
	v_pk_add_f32 v[194:195], v[194:195], v[208:209] neg_lo:[0,1] neg_hi:[0,1]
	v_mov_b32_e32 v199, v192
	v_pk_add_f32 v[192:193], v[198:199], v[194:195] neg_lo:[0,1] neg_hi:[0,1]
	v_mov_b32_e32 v214, v210
	v_pk_add_f32 v[194:195], v[214:215], v[192:193]
	s_nop 0
	v_mov_b32_e32 v198, v195
	v_pk_add_f32 v[198:199], v[194:195], v[198:199]
	s_nop 0
	v_pk_add_f32 v[196:197], v[196:197], v[198:199]
	v_mov_b32_e32 v193, v198
	v_mov_b32_e32 v195, v196
	v_pk_add_f32 v[208:209], v[194:195], v[210:211] neg_lo:[0,1] neg_hi:[0,1]
	s_nop 0
	v_sub_f32_e32 v49, v194, v208
	v_pk_add_f32 v[192:193], v[192:193], v[208:209] neg_lo:[0,1] neg_hi:[0,1]
	v_sub_f32_e32 v49, v210, v49
	v_add_f32_e32 v49, v192, v49
	v_add_f32_e32 v49, v49, v193
	;; [unrolled: 1-line block ×3, first 2 shown]
	v_cndmask_b32_e32 v49, v49, v224, vcc
	v_add_f32_e32 v49, v51, v49
.LBB519_190:                            ;   in Loop: Header=BB519_174 Depth=1
	s_or_b64 exec, exec, s[58:59]
	v_bfe_u32 v51, v49, 16, 1
	v_add3_u32 v51, v49, v51, s72
	v_lshrrev_b32_e32 v51, 16, v51
	v_cmp_o_f32_e32 vcc, v49, v49
	s_nop 1
	v_cndmask_b32_e32 v49, v183, v51, vcc
	v_and_b32_e32 v51, 0xffff, v49
.LBB519_191:                            ;   in Loop: Header=BB519_174 Depth=1
	s_or_b64 exec, exec, s[62:63]
	s_waitcnt lgkmcnt(0)
	ds_bpermute_b32 v192, v165, v51
	v_cmp_le_u32_e32 vcc, v166, v50
	s_and_saveexec_b64 s[62:63], vcc
	s_cbranch_execz .LBB519_195
; %bb.192:                              ;   in Loop: Header=BB519_174 Depth=1
	s_waitcnt lgkmcnt(0)
	v_lshlrev_b32_e32 v49, 16, v192
	v_lshlrev_b32_e32 v51, 16, v51
	v_max_f32_e32 v193, v51, v51
	v_max_f32_e32 v194, v49, v49
	v_min_f32_e32 v192, v194, v193
	v_cmp_u_f32_e32 vcc, v49, v49
	v_max_f32_e32 v193, v194, v193
	v_cmp_u_f32_e64 s[58:59], v51, v51
	v_cndmask_b32_e32 v192, v192, v49, vcc
	v_cndmask_b32_e32 v193, v193, v49, vcc
	v_cndmask_b32_e64 v192, v192, v51, s[58:59]
	v_cndmask_b32_e64 v51, v193, v51, s[58:59]
	v_cmp_neq_f32_e32 vcc, v192, v51
	v_cmp_class_f32_e64 s[58:59], v192, s64
	s_or_b64 vcc, vcc, s[58:59]
	s_and_saveexec_b64 s[58:59], vcc
	s_cbranch_execz .LBB519_194
; %bb.193:                              ;   in Loop: Header=BB519_174 Depth=1
	v_sub_f32_e32 v49, v192, v51
	v_mul_f32_e32 v192, 0x3fb8aa3b, v49
	v_fma_f32 v193, v49, s65, -v192
	v_rndne_f32_e32 v194, v192
	v_fmac_f32_e32 v193, 0x32a5705f, v49
	v_sub_f32_e32 v192, v192, v194
	v_add_f32_e32 v192, v192, v193
	v_cvt_i32_f32_e32 v193, v194
	v_exp_f32_e32 v192, v192
	v_cmp_ngt_f32_e32 vcc, s66, v49
	v_ldexp_f32 v192, v192, v193
	s_nop 0
	v_cndmask_b32_e32 v192, 0, v192, vcc
	v_cmp_nlt_f32_e32 vcc, s67, v49
	s_nop 1
	v_cndmask_b32_e32 v224, v182, v192, vcc
	v_add_f32_e32 v49, 1.0, v224
	v_add_f32_e32 v192, -1.0, v49
	v_sub_f32_e32 v193, v192, v49
	v_add_f32_e32 v193, 1.0, v193
	v_sub_f32_e32 v192, v224, v192
	v_add_f32_e32 v194, v192, v193
	v_frexp_mant_f32_e32 v195, v49
	v_cvt_f64_f32_e32 v[192:193], v49
	v_frexp_exp_i32_f64_e32 v192, v[192:193]
	v_cmp_gt_f32_e32 vcc, s69, v195
	v_cmp_lt_f32_e64 s[74:75], |v224|, s71
	s_nop 0
	v_subbrev_co_u32_e32 v208, vcc, 0, v192, vcc
	v_sub_u32_e32 v192, 0, v208
	v_ldexp_f32 v49, v49, v192
	v_ldexp_f32 v192, v194, v192
	v_add_f32_e32 v194, -1.0, v49
	v_add_f32_e32 v193, 1.0, v194
	v_sub_f32_e32 v193, v49, v193
	v_add_f32_e32 v195, v192, v193
	v_add_f32_e32 v193, 1.0, v49
	v_add_f32_e32 v196, -1.0, v193
	v_sub_f32_e32 v49, v49, v196
	v_add_f32_e32 v49, v192, v49
	v_add_f32_e32 v209, v193, v49
	v_rcp_f32_e32 v210, v209
	v_sub_f32_e32 v192, v193, v209
	v_add_f32_e32 v193, v194, v195
	v_add_f32_e32 v49, v49, v192
	v_mul_f32_e32 v212, v193, v210
	v_sub_f32_e32 v192, v194, v193
	v_mul_f32_e32 v194, v209, v212
	v_fma_f32 v196, v212, v209, -v194
	v_fmac_f32_e32 v196, v212, v49
	v_add_f32_e32 v211, v195, v192
	v_add_f32_e32 v192, v194, v196
	v_sub_f32_e32 v195, v193, v192
	v_pk_add_f32 v[198:199], v[192:193], v[194:195] neg_lo:[0,1] neg_hi:[0,1]
	v_mov_b32_e32 v197, v192
	v_pk_add_f32 v[192:193], v[198:199], v[196:197] neg_lo:[0,1] neg_hi:[0,1]
	v_cmp_eq_f32_e32 vcc, s68, v224
	v_add_f32_e32 v193, v211, v193
	v_add_f32_e32 v192, v192, v193
	;; [unrolled: 1-line block ×3, first 2 shown]
	v_mul_f32_e32 v211, v210, v193
	v_mul_f32_e32 v194, v209, v211
	v_fma_f32 v196, v211, v209, -v194
	v_fmac_f32_e32 v196, v211, v49
	v_sub_f32_e32 v49, v195, v193
	v_add_f32_e32 v49, v192, v49
	v_add_f32_e32 v192, v194, v196
	v_sub_f32_e32 v195, v193, v192
	v_pk_add_f32 v[198:199], v[192:193], v[194:195] neg_lo:[0,1] neg_hi:[0,1]
	v_mov_b32_e32 v197, v192
	v_pk_add_f32 v[192:193], v[198:199], v[196:197] neg_lo:[0,1] neg_hi:[0,1]
	s_or_b64 vcc, vcc, s[74:75]
	v_add_f32_e32 v49, v49, v193
	v_add_f32_e32 v49, v192, v49
	;; [unrolled: 1-line block ×4, first 2 shown]
	v_sub_f32_e32 v192, v193, v212
	v_mul_f32_e32 v49, v210, v49
	v_sub_f32_e32 v192, v211, v192
	v_add_f32_e32 v194, v192, v49
	v_add_f32_e32 v196, v193, v194
	v_cvt_f32_i32_e32 v192, v208
	v_mul_f32_e32 v197, v196, v196
	v_sub_f32_e32 v193, v196, v193
	v_fmamk_f32 v49, v197, 0x3e9b6dac, v180
	v_sub_f32_e32 v193, v194, v193
	v_fmaak_f32 v49, v197, v49, 0x3f2aaada
	v_ldexp_f32 v198, v193, 1
	v_mul_f32_e32 v193, v196, v197
	v_ldexp_f32 v195, v196, 1
	v_pk_mul_f32 v[196:197], v[192:193], v[48:49]
	s_nop 0
	v_fma_f32 v194, v192, s70, -v196
	v_fmac_f32_e32 v194, 0xb102e308, v192
	v_pk_add_f32 v[192:193], v[196:197], v[194:195]
	s_nop 0
	v_sub_f32_e32 v49, v193, v195
	v_sub_f32_e32 v49, v197, v49
	v_add_f32_e32 v199, v198, v49
	v_mov_b32_e32 v198, v196
	v_pk_add_f32 v[196:197], v[192:193], v[196:197] neg_lo:[0,1] neg_hi:[0,1]
	v_pk_add_f32 v[208:209], v[192:193], v[198:199]
	v_mov_b32_e32 v195, v192
	v_mov_b32_e32 v197, v209
	v_pk_add_f32 v[210:211], v[194:195], v[196:197] neg_lo:[0,1] neg_hi:[0,1]
	v_pk_add_f32 v[194:195], v[194:195], v[196:197]
	v_mov_b32_e32 v198, v199
	v_mov_b32_e32 v196, v195
	v_pk_add_f32 v[212:213], v[196:197], v[192:193] neg_lo:[0,1] neg_hi:[0,1]
	v_mov_b32_e32 v194, v209
	v_mov_b32_e32 v49, v212
	v_pk_add_f32 v[214:215], v[208:209], v[48:49] neg_lo:[0,1] neg_hi:[0,1]
	v_mov_b32_e32 v208, v193
	v_mov_b32_e32 v209, v212
	;; [unrolled: 1-line block ×3, first 2 shown]
	v_pk_add_f32 v[194:195], v[194:195], v[208:209] neg_lo:[0,1] neg_hi:[0,1]
	v_mov_b32_e32 v199, v192
	v_pk_add_f32 v[192:193], v[198:199], v[194:195] neg_lo:[0,1] neg_hi:[0,1]
	v_mov_b32_e32 v214, v210
	v_pk_add_f32 v[194:195], v[214:215], v[192:193]
	s_nop 0
	v_mov_b32_e32 v198, v195
	v_pk_add_f32 v[198:199], v[194:195], v[198:199]
	s_nop 0
	v_pk_add_f32 v[196:197], v[196:197], v[198:199]
	v_mov_b32_e32 v193, v198
	v_mov_b32_e32 v195, v196
	v_pk_add_f32 v[208:209], v[194:195], v[210:211] neg_lo:[0,1] neg_hi:[0,1]
	s_nop 0
	v_sub_f32_e32 v49, v194, v208
	v_pk_add_f32 v[192:193], v[192:193], v[208:209] neg_lo:[0,1] neg_hi:[0,1]
	v_sub_f32_e32 v49, v210, v49
	v_add_f32_e32 v49, v192, v49
	v_add_f32_e32 v49, v49, v193
	;; [unrolled: 1-line block ×3, first 2 shown]
	v_cndmask_b32_e32 v49, v49, v224, vcc
	v_add_f32_e32 v49, v51, v49
.LBB519_194:                            ;   in Loop: Header=BB519_174 Depth=1
	s_or_b64 exec, exec, s[58:59]
	v_bfe_u32 v51, v49, 16, 1
	v_add3_u32 v51, v49, v51, s72
	v_lshrrev_b32_e32 v51, 16, v51
	v_cmp_o_f32_e32 vcc, v49, v49
	s_nop 1
	v_cndmask_b32_e32 v49, v183, v51, vcc
	v_and_b32_e32 v51, 0xffff, v49
.LBB519_195:                            ;   in Loop: Header=BB519_174 Depth=1
	s_or_b64 exec, exec, s[62:63]
	s_waitcnt lgkmcnt(0)
	ds_bpermute_b32 v192, v167, v51
	v_cmp_le_u32_e32 vcc, v176, v50
	s_and_saveexec_b64 s[62:63], vcc
	s_cbranch_execz .LBB519_199
; %bb.196:                              ;   in Loop: Header=BB519_174 Depth=1
	s_waitcnt lgkmcnt(0)
	v_lshlrev_b32_e32 v49, 16, v192
	v_lshlrev_b32_e32 v51, 16, v51
	v_max_f32_e32 v193, v51, v51
	v_max_f32_e32 v194, v49, v49
	v_min_f32_e32 v192, v194, v193
	v_cmp_u_f32_e32 vcc, v49, v49
	v_max_f32_e32 v193, v194, v193
	v_cmp_u_f32_e64 s[58:59], v51, v51
	v_cndmask_b32_e32 v192, v192, v49, vcc
	v_cndmask_b32_e32 v193, v193, v49, vcc
	v_cndmask_b32_e64 v192, v192, v51, s[58:59]
	v_cndmask_b32_e64 v51, v193, v51, s[58:59]
	v_cmp_neq_f32_e32 vcc, v192, v51
	v_cmp_class_f32_e64 s[58:59], v192, s64
	s_or_b64 vcc, vcc, s[58:59]
	s_and_saveexec_b64 s[58:59], vcc
	s_cbranch_execz .LBB519_198
; %bb.197:                              ;   in Loop: Header=BB519_174 Depth=1
	v_sub_f32_e32 v49, v192, v51
	v_mul_f32_e32 v192, 0x3fb8aa3b, v49
	v_fma_f32 v193, v49, s65, -v192
	v_rndne_f32_e32 v194, v192
	v_fmac_f32_e32 v193, 0x32a5705f, v49
	v_sub_f32_e32 v192, v192, v194
	v_add_f32_e32 v192, v192, v193
	v_cvt_i32_f32_e32 v193, v194
	v_exp_f32_e32 v192, v192
	v_cmp_ngt_f32_e32 vcc, s66, v49
	v_ldexp_f32 v192, v192, v193
	s_nop 0
	v_cndmask_b32_e32 v192, 0, v192, vcc
	v_cmp_nlt_f32_e32 vcc, s67, v49
	s_nop 1
	v_cndmask_b32_e32 v224, v182, v192, vcc
	v_add_f32_e32 v49, 1.0, v224
	v_add_f32_e32 v192, -1.0, v49
	v_sub_f32_e32 v193, v192, v49
	v_add_f32_e32 v193, 1.0, v193
	v_sub_f32_e32 v192, v224, v192
	v_add_f32_e32 v194, v192, v193
	v_frexp_mant_f32_e32 v195, v49
	v_cvt_f64_f32_e32 v[192:193], v49
	v_frexp_exp_i32_f64_e32 v192, v[192:193]
	v_cmp_gt_f32_e32 vcc, s69, v195
	v_cmp_lt_f32_e64 s[74:75], |v224|, s71
	s_nop 0
	v_subbrev_co_u32_e32 v208, vcc, 0, v192, vcc
	v_sub_u32_e32 v192, 0, v208
	v_ldexp_f32 v49, v49, v192
	v_ldexp_f32 v192, v194, v192
	v_add_f32_e32 v194, -1.0, v49
	v_add_f32_e32 v193, 1.0, v194
	v_sub_f32_e32 v193, v49, v193
	v_add_f32_e32 v195, v192, v193
	v_add_f32_e32 v193, 1.0, v49
	v_add_f32_e32 v196, -1.0, v193
	v_sub_f32_e32 v49, v49, v196
	v_add_f32_e32 v49, v192, v49
	v_add_f32_e32 v209, v193, v49
	v_rcp_f32_e32 v210, v209
	v_sub_f32_e32 v192, v193, v209
	v_add_f32_e32 v193, v194, v195
	v_add_f32_e32 v49, v49, v192
	v_mul_f32_e32 v212, v193, v210
	v_sub_f32_e32 v192, v194, v193
	v_mul_f32_e32 v194, v209, v212
	v_fma_f32 v196, v212, v209, -v194
	v_fmac_f32_e32 v196, v212, v49
	v_add_f32_e32 v211, v195, v192
	v_add_f32_e32 v192, v194, v196
	v_sub_f32_e32 v195, v193, v192
	v_pk_add_f32 v[198:199], v[192:193], v[194:195] neg_lo:[0,1] neg_hi:[0,1]
	v_mov_b32_e32 v197, v192
	v_pk_add_f32 v[192:193], v[198:199], v[196:197] neg_lo:[0,1] neg_hi:[0,1]
	v_cmp_eq_f32_e32 vcc, s68, v224
	v_add_f32_e32 v193, v211, v193
	v_add_f32_e32 v192, v192, v193
	;; [unrolled: 1-line block ×3, first 2 shown]
	v_mul_f32_e32 v211, v210, v193
	v_mul_f32_e32 v194, v209, v211
	v_fma_f32 v196, v211, v209, -v194
	v_fmac_f32_e32 v196, v211, v49
	v_sub_f32_e32 v49, v195, v193
	v_add_f32_e32 v49, v192, v49
	v_add_f32_e32 v192, v194, v196
	v_sub_f32_e32 v195, v193, v192
	v_pk_add_f32 v[198:199], v[192:193], v[194:195] neg_lo:[0,1] neg_hi:[0,1]
	v_mov_b32_e32 v197, v192
	v_pk_add_f32 v[192:193], v[198:199], v[196:197] neg_lo:[0,1] neg_hi:[0,1]
	s_or_b64 vcc, vcc, s[74:75]
	v_add_f32_e32 v49, v49, v193
	v_add_f32_e32 v49, v192, v49
	;; [unrolled: 1-line block ×4, first 2 shown]
	v_sub_f32_e32 v192, v193, v212
	v_mul_f32_e32 v49, v210, v49
	v_sub_f32_e32 v192, v211, v192
	v_add_f32_e32 v194, v192, v49
	v_add_f32_e32 v196, v193, v194
	v_cvt_f32_i32_e32 v192, v208
	v_mul_f32_e32 v197, v196, v196
	v_sub_f32_e32 v193, v196, v193
	v_fmamk_f32 v49, v197, 0x3e9b6dac, v180
	v_sub_f32_e32 v193, v194, v193
	v_fmaak_f32 v49, v197, v49, 0x3f2aaada
	v_ldexp_f32 v198, v193, 1
	v_mul_f32_e32 v193, v196, v197
	v_ldexp_f32 v195, v196, 1
	v_pk_mul_f32 v[196:197], v[192:193], v[48:49]
	s_nop 0
	v_fma_f32 v194, v192, s70, -v196
	v_fmac_f32_e32 v194, 0xb102e308, v192
	v_pk_add_f32 v[192:193], v[196:197], v[194:195]
	s_nop 0
	v_sub_f32_e32 v49, v193, v195
	v_sub_f32_e32 v49, v197, v49
	v_add_f32_e32 v199, v198, v49
	v_mov_b32_e32 v198, v196
	v_pk_add_f32 v[196:197], v[192:193], v[196:197] neg_lo:[0,1] neg_hi:[0,1]
	v_pk_add_f32 v[208:209], v[192:193], v[198:199]
	v_mov_b32_e32 v195, v192
	v_mov_b32_e32 v197, v209
	v_pk_add_f32 v[210:211], v[194:195], v[196:197] neg_lo:[0,1] neg_hi:[0,1]
	v_pk_add_f32 v[194:195], v[194:195], v[196:197]
	v_mov_b32_e32 v198, v199
	v_mov_b32_e32 v196, v195
	v_pk_add_f32 v[212:213], v[196:197], v[192:193] neg_lo:[0,1] neg_hi:[0,1]
	v_mov_b32_e32 v194, v209
	v_mov_b32_e32 v49, v212
	v_pk_add_f32 v[214:215], v[208:209], v[48:49] neg_lo:[0,1] neg_hi:[0,1]
	v_mov_b32_e32 v208, v193
	v_mov_b32_e32 v209, v212
	;; [unrolled: 1-line block ×3, first 2 shown]
	v_pk_add_f32 v[194:195], v[194:195], v[208:209] neg_lo:[0,1] neg_hi:[0,1]
	v_mov_b32_e32 v199, v192
	v_pk_add_f32 v[192:193], v[198:199], v[194:195] neg_lo:[0,1] neg_hi:[0,1]
	v_mov_b32_e32 v214, v210
	v_pk_add_f32 v[194:195], v[214:215], v[192:193]
	s_nop 0
	v_mov_b32_e32 v198, v195
	v_pk_add_f32 v[198:199], v[194:195], v[198:199]
	s_nop 0
	v_pk_add_f32 v[196:197], v[196:197], v[198:199]
	v_mov_b32_e32 v193, v198
	v_mov_b32_e32 v195, v196
	v_pk_add_f32 v[208:209], v[194:195], v[210:211] neg_lo:[0,1] neg_hi:[0,1]
	s_nop 0
	v_sub_f32_e32 v49, v194, v208
	v_pk_add_f32 v[192:193], v[192:193], v[208:209] neg_lo:[0,1] neg_hi:[0,1]
	v_sub_f32_e32 v49, v210, v49
	v_add_f32_e32 v49, v192, v49
	v_add_f32_e32 v49, v49, v193
	;; [unrolled: 1-line block ×3, first 2 shown]
	v_cndmask_b32_e32 v49, v49, v224, vcc
	v_add_f32_e32 v49, v51, v49
.LBB519_198:                            ;   in Loop: Header=BB519_174 Depth=1
	s_or_b64 exec, exec, s[58:59]
	v_bfe_u32 v51, v49, 16, 1
	v_add3_u32 v51, v49, v51, s72
	v_lshrrev_b32_e32 v51, 16, v51
	v_cmp_o_f32_e32 vcc, v49, v49
	s_nop 1
	v_cndmask_b32_e32 v49, v183, v51, vcc
	v_and_b32_e32 v51, 0xffff, v49
.LBB519_199:                            ;   in Loop: Header=BB519_174 Depth=1
	s_or_b64 exec, exec, s[62:63]
	s_waitcnt lgkmcnt(0)
	ds_bpermute_b32 v192, v177, v51
	v_cmp_le_u32_e32 vcc, v178, v50
	s_and_saveexec_b64 s[62:63], vcc
	s_cbranch_execz .LBB519_203
; %bb.200:                              ;   in Loop: Header=BB519_174 Depth=1
	s_waitcnt lgkmcnt(0)
	v_lshlrev_b32_e32 v49, 16, v192
	v_lshlrev_b32_e32 v50, 16, v51
	v_max_f32_e32 v192, v50, v50
	v_max_f32_e32 v193, v49, v49
	v_min_f32_e32 v51, v193, v192
	v_cmp_u_f32_e32 vcc, v49, v49
	v_max_f32_e32 v192, v193, v192
	v_cmp_u_f32_e64 s[58:59], v50, v50
	v_cndmask_b32_e32 v51, v51, v49, vcc
	v_cndmask_b32_e32 v192, v192, v49, vcc
	v_cndmask_b32_e64 v51, v51, v50, s[58:59]
	v_cndmask_b32_e64 v50, v192, v50, s[58:59]
	v_cmp_neq_f32_e32 vcc, v51, v50
	v_cmp_class_f32_e64 s[58:59], v51, s64
	s_or_b64 vcc, vcc, s[58:59]
	s_and_saveexec_b64 s[58:59], vcc
	s_cbranch_execz .LBB519_202
; %bb.201:                              ;   in Loop: Header=BB519_174 Depth=1
	v_sub_f32_e32 v49, v51, v50
	v_mul_f32_e32 v51, 0x3fb8aa3b, v49
	v_fma_f32 v192, v49, s65, -v51
	v_rndne_f32_e32 v193, v51
	v_fmac_f32_e32 v192, 0x32a5705f, v49
	v_sub_f32_e32 v51, v51, v193
	v_add_f32_e32 v51, v51, v192
	v_cvt_i32_f32_e32 v192, v193
	v_exp_f32_e32 v51, v51
	v_cmp_ngt_f32_e32 vcc, s66, v49
	v_ldexp_f32 v51, v51, v192
	s_nop 0
	v_cndmask_b32_e32 v51, 0, v51, vcc
	v_cmp_nlt_f32_e32 vcc, s67, v49
	s_nop 1
	v_cndmask_b32_e32 v51, v182, v51, vcc
	v_add_f32_e32 v49, 1.0, v51
	v_add_f32_e32 v192, -1.0, v49
	v_sub_f32_e32 v193, v192, v49
	v_add_f32_e32 v193, 1.0, v193
	v_sub_f32_e32 v192, v51, v192
	v_add_f32_e32 v194, v192, v193
	v_frexp_mant_f32_e32 v195, v49
	v_cvt_f64_f32_e32 v[192:193], v49
	v_frexp_exp_i32_f64_e32 v192, v[192:193]
	v_cmp_gt_f32_e32 vcc, s69, v195
	v_cmp_lt_f32_e64 s[74:75], |v51|, s71
	s_nop 0
	v_subbrev_co_u32_e32 v208, vcc, 0, v192, vcc
	v_sub_u32_e32 v192, 0, v208
	v_ldexp_f32 v49, v49, v192
	v_ldexp_f32 v192, v194, v192
	v_add_f32_e32 v194, -1.0, v49
	v_add_f32_e32 v193, 1.0, v194
	v_sub_f32_e32 v193, v49, v193
	v_add_f32_e32 v195, v192, v193
	v_add_f32_e32 v193, 1.0, v49
	v_add_f32_e32 v196, -1.0, v193
	v_sub_f32_e32 v49, v49, v196
	v_add_f32_e32 v49, v192, v49
	v_add_f32_e32 v209, v193, v49
	v_rcp_f32_e32 v210, v209
	v_sub_f32_e32 v192, v193, v209
	v_add_f32_e32 v193, v194, v195
	v_add_f32_e32 v49, v49, v192
	v_mul_f32_e32 v212, v193, v210
	v_sub_f32_e32 v192, v194, v193
	v_mul_f32_e32 v194, v209, v212
	v_fma_f32 v196, v212, v209, -v194
	v_fmac_f32_e32 v196, v212, v49
	v_add_f32_e32 v211, v195, v192
	v_add_f32_e32 v192, v194, v196
	v_sub_f32_e32 v195, v193, v192
	v_pk_add_f32 v[198:199], v[192:193], v[194:195] neg_lo:[0,1] neg_hi:[0,1]
	v_mov_b32_e32 v197, v192
	v_pk_add_f32 v[192:193], v[198:199], v[196:197] neg_lo:[0,1] neg_hi:[0,1]
	v_cmp_eq_f32_e32 vcc, s68, v51
	v_add_f32_e32 v193, v211, v193
	v_add_f32_e32 v192, v192, v193
	;; [unrolled: 1-line block ×3, first 2 shown]
	v_mul_f32_e32 v211, v210, v193
	v_mul_f32_e32 v194, v209, v211
	v_fma_f32 v196, v211, v209, -v194
	v_fmac_f32_e32 v196, v211, v49
	v_sub_f32_e32 v49, v195, v193
	v_add_f32_e32 v49, v192, v49
	v_add_f32_e32 v192, v194, v196
	v_sub_f32_e32 v195, v193, v192
	v_pk_add_f32 v[198:199], v[192:193], v[194:195] neg_lo:[0,1] neg_hi:[0,1]
	v_mov_b32_e32 v197, v192
	v_pk_add_f32 v[192:193], v[198:199], v[196:197] neg_lo:[0,1] neg_hi:[0,1]
	s_or_b64 vcc, vcc, s[74:75]
	v_add_f32_e32 v49, v49, v193
	v_add_f32_e32 v49, v192, v49
	;; [unrolled: 1-line block ×4, first 2 shown]
	v_sub_f32_e32 v192, v193, v212
	v_mul_f32_e32 v49, v210, v49
	v_sub_f32_e32 v192, v211, v192
	v_add_f32_e32 v194, v192, v49
	v_add_f32_e32 v196, v193, v194
	v_cvt_f32_i32_e32 v192, v208
	v_mul_f32_e32 v197, v196, v196
	v_sub_f32_e32 v193, v196, v193
	v_fmamk_f32 v49, v197, 0x3e9b6dac, v180
	v_sub_f32_e32 v193, v194, v193
	v_fmaak_f32 v49, v197, v49, 0x3f2aaada
	v_ldexp_f32 v198, v193, 1
	v_mul_f32_e32 v193, v196, v197
	v_ldexp_f32 v195, v196, 1
	v_pk_mul_f32 v[196:197], v[192:193], v[48:49]
	s_nop 0
	v_fma_f32 v194, v192, s70, -v196
	v_fmac_f32_e32 v194, 0xb102e308, v192
	v_pk_add_f32 v[192:193], v[196:197], v[194:195]
	s_nop 0
	v_sub_f32_e32 v49, v193, v195
	v_sub_f32_e32 v49, v197, v49
	v_add_f32_e32 v199, v198, v49
	v_mov_b32_e32 v198, v196
	v_pk_add_f32 v[196:197], v[192:193], v[196:197] neg_lo:[0,1] neg_hi:[0,1]
	v_pk_add_f32 v[208:209], v[192:193], v[198:199]
	v_mov_b32_e32 v195, v192
	v_mov_b32_e32 v197, v209
	v_pk_add_f32 v[210:211], v[194:195], v[196:197] neg_lo:[0,1] neg_hi:[0,1]
	v_pk_add_f32 v[194:195], v[194:195], v[196:197]
	v_mov_b32_e32 v198, v199
	v_mov_b32_e32 v196, v195
	v_pk_add_f32 v[212:213], v[196:197], v[192:193] neg_lo:[0,1] neg_hi:[0,1]
	v_mov_b32_e32 v194, v209
	v_mov_b32_e32 v49, v212
	v_pk_add_f32 v[214:215], v[208:209], v[48:49] neg_lo:[0,1] neg_hi:[0,1]
	v_mov_b32_e32 v208, v193
	v_mov_b32_e32 v209, v212
	;; [unrolled: 1-line block ×3, first 2 shown]
	v_pk_add_f32 v[194:195], v[194:195], v[208:209] neg_lo:[0,1] neg_hi:[0,1]
	v_mov_b32_e32 v199, v192
	v_pk_add_f32 v[192:193], v[198:199], v[194:195] neg_lo:[0,1] neg_hi:[0,1]
	v_mov_b32_e32 v214, v210
	v_pk_add_f32 v[194:195], v[214:215], v[192:193]
	s_nop 0
	v_mov_b32_e32 v198, v195
	v_pk_add_f32 v[198:199], v[194:195], v[198:199]
	s_nop 0
	v_pk_add_f32 v[196:197], v[196:197], v[198:199]
	v_mov_b32_e32 v193, v198
	v_mov_b32_e32 v195, v196
	v_pk_add_f32 v[208:209], v[194:195], v[210:211] neg_lo:[0,1] neg_hi:[0,1]
	s_nop 0
	v_sub_f32_e32 v49, v194, v208
	v_pk_add_f32 v[192:193], v[192:193], v[208:209] neg_lo:[0,1] neg_hi:[0,1]
	v_sub_f32_e32 v49, v210, v49
	v_add_f32_e32 v49, v192, v49
	v_add_f32_e32 v49, v49, v193
	;; [unrolled: 1-line block ×3, first 2 shown]
	v_cndmask_b32_e32 v49, v49, v51, vcc
	v_add_f32_e32 v49, v50, v49
.LBB519_202:                            ;   in Loop: Header=BB519_174 Depth=1
	s_or_b64 exec, exec, s[58:59]
	v_bfe_u32 v50, v49, 16, 1
	v_add3_u32 v50, v49, v50, s72
	v_lshrrev_b32_e32 v50, 16, v50
	v_cmp_o_f32_e32 vcc, v49, v49
	s_nop 1
	v_cndmask_b32_e32 v49, v183, v50, vcc
.LBB519_203:                            ;   in Loop: Header=BB519_174 Depth=1
	s_or_b64 exec, exec, s[62:63]
	v_lshlrev_b32_e32 v49, 16, v49
	v_lshlrev_b32_e32 v50, 16, v179
	s_waitcnt lgkmcnt(0)
	v_max_f32_e32 v192, v50, v50
	v_max_f32_e32 v193, v49, v49
	v_min_f32_e32 v51, v193, v192
	v_cmp_u_f32_e32 vcc, v49, v49
	v_max_f32_e32 v192, v193, v192
	v_cmp_u_f32_e64 s[58:59], v50, v50
	v_cndmask_b32_e32 v51, v51, v49, vcc
	v_cndmask_b32_e32 v192, v192, v49, vcc
	v_cndmask_b32_e64 v51, v51, v50, s[58:59]
	v_cndmask_b32_e64 v50, v192, v50, s[58:59]
	v_cmp_neq_f32_e32 vcc, v51, v50
	v_cmp_class_f32_e64 s[58:59], v51, s64
	s_or_b64 vcc, vcc, s[58:59]
	s_and_saveexec_b64 s[58:59], vcc
	s_cbranch_execz .LBB519_205
; %bb.204:                              ;   in Loop: Header=BB519_174 Depth=1
	v_sub_f32_e32 v49, v51, v50
	v_mul_f32_e32 v51, 0x3fb8aa3b, v49
	v_fma_f32 v192, v49, s65, -v51
	v_rndne_f32_e32 v193, v51
	v_fmac_f32_e32 v192, 0x32a5705f, v49
	v_sub_f32_e32 v51, v51, v193
	v_add_f32_e32 v51, v51, v192
	v_cvt_i32_f32_e32 v192, v193
	v_exp_f32_e32 v51, v51
	v_cmp_ngt_f32_e32 vcc, s66, v49
	v_ldexp_f32 v51, v51, v192
	s_nop 0
	v_cndmask_b32_e32 v51, 0, v51, vcc
	v_cmp_nlt_f32_e32 vcc, s67, v49
	s_nop 1
	v_cndmask_b32_e32 v51, v182, v51, vcc
	v_add_f32_e32 v49, 1.0, v51
	v_add_f32_e32 v192, -1.0, v49
	v_sub_f32_e32 v193, v192, v49
	v_add_f32_e32 v193, 1.0, v193
	v_sub_f32_e32 v192, v51, v192
	v_add_f32_e32 v194, v192, v193
	v_frexp_mant_f32_e32 v195, v49
	v_cvt_f64_f32_e32 v[192:193], v49
	v_frexp_exp_i32_f64_e32 v192, v[192:193]
	v_cmp_gt_f32_e32 vcc, s69, v195
	v_cmp_lt_f32_e64 s[62:63], |v51|, s71
	s_nop 0
	v_subbrev_co_u32_e32 v208, vcc, 0, v192, vcc
	v_sub_u32_e32 v192, 0, v208
	v_ldexp_f32 v49, v49, v192
	v_ldexp_f32 v192, v194, v192
	v_add_f32_e32 v194, -1.0, v49
	v_add_f32_e32 v193, 1.0, v194
	v_sub_f32_e32 v193, v49, v193
	v_add_f32_e32 v195, v192, v193
	v_add_f32_e32 v193, 1.0, v49
	v_add_f32_e32 v196, -1.0, v193
	v_sub_f32_e32 v49, v49, v196
	v_add_f32_e32 v49, v192, v49
	v_add_f32_e32 v209, v193, v49
	v_rcp_f32_e32 v210, v209
	v_sub_f32_e32 v192, v193, v209
	v_add_f32_e32 v193, v194, v195
	v_add_f32_e32 v49, v49, v192
	v_mul_f32_e32 v212, v193, v210
	v_sub_f32_e32 v192, v194, v193
	v_mul_f32_e32 v194, v209, v212
	v_fma_f32 v196, v212, v209, -v194
	v_fmac_f32_e32 v196, v212, v49
	v_add_f32_e32 v211, v195, v192
	v_add_f32_e32 v192, v194, v196
	v_sub_f32_e32 v195, v193, v192
	v_pk_add_f32 v[198:199], v[192:193], v[194:195] neg_lo:[0,1] neg_hi:[0,1]
	v_mov_b32_e32 v197, v192
	v_pk_add_f32 v[192:193], v[198:199], v[196:197] neg_lo:[0,1] neg_hi:[0,1]
	v_cmp_eq_f32_e32 vcc, s68, v51
	v_add_f32_e32 v193, v211, v193
	v_add_f32_e32 v192, v192, v193
	;; [unrolled: 1-line block ×3, first 2 shown]
	v_mul_f32_e32 v211, v210, v193
	v_mul_f32_e32 v194, v209, v211
	v_fma_f32 v196, v211, v209, -v194
	v_fmac_f32_e32 v196, v211, v49
	v_sub_f32_e32 v49, v195, v193
	v_add_f32_e32 v49, v192, v49
	v_add_f32_e32 v192, v194, v196
	v_sub_f32_e32 v195, v193, v192
	v_pk_add_f32 v[198:199], v[192:193], v[194:195] neg_lo:[0,1] neg_hi:[0,1]
	v_mov_b32_e32 v197, v192
	v_pk_add_f32 v[192:193], v[198:199], v[196:197] neg_lo:[0,1] neg_hi:[0,1]
	s_or_b64 vcc, vcc, s[62:63]
	v_add_f32_e32 v49, v49, v193
	v_add_f32_e32 v49, v192, v49
	;; [unrolled: 1-line block ×4, first 2 shown]
	v_sub_f32_e32 v192, v193, v212
	v_mul_f32_e32 v49, v210, v49
	v_sub_f32_e32 v192, v211, v192
	v_add_f32_e32 v194, v192, v49
	v_add_f32_e32 v196, v193, v194
	v_cvt_f32_i32_e32 v192, v208
	v_mul_f32_e32 v197, v196, v196
	v_sub_f32_e32 v193, v196, v193
	v_fmamk_f32 v49, v197, 0x3e9b6dac, v180
	v_sub_f32_e32 v193, v194, v193
	v_fmaak_f32 v49, v197, v49, 0x3f2aaada
	v_ldexp_f32 v198, v193, 1
	v_mul_f32_e32 v193, v196, v197
	v_ldexp_f32 v195, v196, 1
	v_pk_mul_f32 v[196:197], v[192:193], v[48:49]
	s_nop 0
	v_fma_f32 v194, v192, s70, -v196
	v_fmac_f32_e32 v194, 0xb102e308, v192
	v_pk_add_f32 v[192:193], v[196:197], v[194:195]
	s_nop 0
	v_sub_f32_e32 v49, v193, v195
	v_sub_f32_e32 v49, v197, v49
	v_add_f32_e32 v199, v198, v49
	v_mov_b32_e32 v198, v196
	v_pk_add_f32 v[196:197], v[192:193], v[196:197] neg_lo:[0,1] neg_hi:[0,1]
	v_pk_add_f32 v[208:209], v[192:193], v[198:199]
	v_mov_b32_e32 v195, v192
	v_mov_b32_e32 v197, v209
	v_pk_add_f32 v[210:211], v[194:195], v[196:197] neg_lo:[0,1] neg_hi:[0,1]
	v_pk_add_f32 v[194:195], v[194:195], v[196:197]
	v_mov_b32_e32 v198, v199
	v_mov_b32_e32 v196, v195
	v_pk_add_f32 v[212:213], v[196:197], v[192:193] neg_lo:[0,1] neg_hi:[0,1]
	v_mov_b32_e32 v194, v209
	v_mov_b32_e32 v49, v212
	v_pk_add_f32 v[214:215], v[208:209], v[48:49] neg_lo:[0,1] neg_hi:[0,1]
	v_mov_b32_e32 v208, v193
	v_mov_b32_e32 v209, v212
	;; [unrolled: 1-line block ×3, first 2 shown]
	v_pk_add_f32 v[194:195], v[194:195], v[208:209] neg_lo:[0,1] neg_hi:[0,1]
	v_mov_b32_e32 v199, v192
	v_pk_add_f32 v[192:193], v[198:199], v[194:195] neg_lo:[0,1] neg_hi:[0,1]
	v_mov_b32_e32 v214, v210
	v_pk_add_f32 v[194:195], v[214:215], v[192:193]
	s_nop 0
	v_mov_b32_e32 v198, v195
	v_pk_add_f32 v[198:199], v[194:195], v[198:199]
	s_nop 0
	v_pk_add_f32 v[196:197], v[196:197], v[198:199]
	v_mov_b32_e32 v193, v198
	v_mov_b32_e32 v195, v196
	v_pk_add_f32 v[208:209], v[194:195], v[210:211] neg_lo:[0,1] neg_hi:[0,1]
	s_nop 0
	v_sub_f32_e32 v49, v194, v208
	v_pk_add_f32 v[192:193], v[192:193], v[208:209] neg_lo:[0,1] neg_hi:[0,1]
	v_sub_f32_e32 v49, v210, v49
	v_add_f32_e32 v49, v192, v49
	v_add_f32_e32 v49, v49, v193
	;; [unrolled: 1-line block ×3, first 2 shown]
	v_cndmask_b32_e32 v49, v49, v51, vcc
	v_add_f32_e32 v49, v50, v49
.LBB519_205:                            ;   in Loop: Header=BB519_174 Depth=1
	s_or_b64 exec, exec, s[58:59]
	v_bfe_u32 v50, v49, 16, 1
	v_add3_u32 v50, v49, v50, s72
	v_lshrrev_b32_e32 v50, 16, v50
	v_cmp_o_f32_e32 vcc, v49, v49
	v_subrev_u32_e32 v36, 64, v36
	s_nop 0
	v_cndmask_b32_e32 v50, v183, v50, vcc
	s_branch .LBB519_174
.LBB519_206:
	s_and_saveexec_b64 s[62:63], s[56:57]
	s_cbranch_execz .LBB519_210
; %bb.207:
	v_lshlrev_b32_e32 v36, 16, v179
	v_lshlrev_b32_e32 v31, 16, v150
	v_max_f32_e32 v38, v31, v31
	v_max_f32_e32 v39, v36, v36
	v_min_f32_e32 v37, v39, v38
	v_cmp_u_f32_e32 vcc, v36, v36
	v_max_f32_e32 v38, v39, v38
	v_cmp_u_f32_e64 s[58:59], v31, v31
	v_cndmask_b32_e32 v37, v37, v36, vcc
	v_cndmask_b32_e32 v38, v38, v36, vcc
	v_cndmask_b32_e64 v37, v37, v31, s[58:59]
	v_cndmask_b32_e64 v31, v38, v31, s[58:59]
	s_movk_i32 s58, 0x1f8
	v_cmp_neq_f32_e32 vcc, v37, v31
	v_cmp_class_f32_e64 s[58:59], v37, s58
	s_or_b64 vcc, vcc, s[58:59]
	s_and_saveexec_b64 s[58:59], vcc
	s_cbranch_execz .LBB519_209
; %bb.208:
	v_sub_f32_e32 v36, v37, v31
	s_mov_b32 s64, 0x3fb8aa3b
	v_mul_f32_e32 v37, 0x3fb8aa3b, v36
	v_fma_f32 v38, v36, s64, -v37
	v_rndne_f32_e32 v39, v37
	v_fmamk_f32 v38, v36, 0x32a5705f, v38
	v_sub_f32_e32 v37, v37, v39
	v_add_f32_e32 v37, v37, v38
	v_exp_f32_e32 v37, v37
	v_cvt_i32_f32_e32 v38, v39
	s_mov_b32 s64, 0xc2ce8ed0
	v_cmp_ngt_f32_e32 vcc, s64, v36
	s_mov_b32 s64, 0x42b17218
	v_ldexp_f32 v37, v37, v38
	v_cndmask_b32_e32 v37, 0, v37, vcc
	v_mov_b32_e32 v38, 0x7f800000
	v_cmp_nlt_f32_e32 vcc, s64, v36
	s_mov_b32 s64, 0x3f2aaaab
	s_mov_b32 s65, 0x7f800000
	v_cndmask_b32_e32 v166, v38, v37, vcc
	v_add_f32_e32 v38, 1.0, v166
	v_add_f32_e32 v36, -1.0, v38
	v_sub_f32_e32 v37, v36, v38
	v_add_f32_e32 v37, 1.0, v37
	v_sub_f32_e32 v36, v166, v36
	v_add_f32_e32 v39, v36, v37
	v_frexp_mant_f32_e32 v48, v38
	v_cvt_f64_f32_e32 v[36:37], v38
	v_frexp_exp_i32_f64_e32 v36, v[36:37]
	v_cmp_gt_f32_e32 vcc, s64, v48
	s_mov_b32 s64, 0x3f317218
	s_nop 0
	v_subbrev_co_u32_e32 v150, vcc, 0, v36, vcc
	v_sub_u32_e32 v36, 0, v150
	v_ldexp_f32 v37, v38, v36
	v_add_f32_e32 v38, -1.0, v37
	v_add_f32_e32 v48, 1.0, v37
	v_ldexp_f32 v36, v39, v36
	v_add_f32_e32 v39, 1.0, v38
	v_add_f32_e32 v49, -1.0, v48
	v_sub_f32_e32 v39, v37, v39
	v_sub_f32_e32 v37, v37, v49
	v_add_f32_e32 v39, v36, v39
	v_add_f32_e32 v36, v36, v37
	;; [unrolled: 1-line block ×3, first 2 shown]
	v_rcp_f32_e32 v161, v151
	v_sub_f32_e32 v37, v48, v151
	v_add_f32_e32 v160, v36, v37
	v_add_f32_e32 v37, v38, v39
	v_mul_f32_e32 v163, v37, v161
	v_sub_f32_e32 v36, v38, v37
	v_mul_f32_e32 v38, v151, v163
	v_fma_f32 v48, v163, v151, -v38
	v_fmac_f32_e32 v48, v163, v160
	v_add_f32_e32 v162, v39, v36
	v_add_f32_e32 v36, v38, v48
	v_sub_f32_e32 v39, v37, v36
	v_pk_add_f32 v[50:51], v[36:37], v[38:39] neg_lo:[0,1] neg_hi:[0,1]
	v_mov_b32_e32 v49, v36
	v_pk_add_f32 v[36:37], v[50:51], v[48:49] neg_lo:[0,1] neg_hi:[0,1]
	v_cmp_eq_f32_e32 vcc, s65, v166
	v_add_f32_e32 v37, v162, v37
	v_add_f32_e32 v36, v36, v37
	;; [unrolled: 1-line block ×3, first 2 shown]
	v_mul_f32_e32 v162, v161, v37
	v_mul_f32_e32 v38, v151, v162
	v_fma_f32 v48, v162, v151, -v38
	v_fmac_f32_e32 v48, v162, v160
	v_sub_f32_e32 v39, v39, v37
	v_add_f32_e32 v151, v36, v39
	v_add_f32_e32 v36, v38, v48
	v_sub_f32_e32 v39, v37, v36
	v_pk_add_f32 v[50:51], v[36:37], v[38:39] neg_lo:[0,1] neg_hi:[0,1]
	v_mov_b32_e32 v49, v36
	v_pk_add_f32 v[36:37], v[50:51], v[48:49] neg_lo:[0,1] neg_hi:[0,1]
	v_cvt_f32_i32_e32 v38, v150
	v_add_f32_e32 v37, v151, v37
	v_add_f32_e32 v36, v36, v37
	;; [unrolled: 1-line block ×4, first 2 shown]
	v_sub_f32_e32 v37, v39, v163
	v_mul_f32_e32 v36, v161, v36
	v_sub_f32_e32 v37, v162, v37
	v_add_f32_e32 v36, v37, v36
	v_add_f32_e32 v48, v39, v36
	v_mul_f32_e32 v50, v48, v48
	v_mov_b32_e32 v37, 0x3ecc95a3
	v_sub_f32_e32 v39, v48, v39
	v_fmac_f32_e32 v37, 0x3e9b6dac, v50
	v_sub_f32_e32 v36, v36, v39
	v_fmaak_f32 v37, v50, v37, 0x3f2aaada
	v_ldexp_f32 v51, v36, 1
	v_mul_f32_e32 v39, v48, v50
	v_mov_b32_e32 v36, 0x3f317218
	v_pk_mul_f32 v[36:37], v[38:39], v[36:37]
	v_ldexp_f32 v49, v48, 1
	v_fma_f32 v39, v38, s64, -v36
	v_fmamk_f32 v48, v38, 0xb102e308, v39
	v_pk_add_f32 v[38:39], v[36:37], v[48:49]
	v_mov_b32_e32 v50, v36
	v_sub_f32_e32 v49, v39, v49
	v_sub_f32_e32 v49, v37, v49
	v_add_f32_e32 v51, v51, v49
	v_pk_add_f32 v[36:37], v[38:39], v[36:37] neg_lo:[0,1] neg_hi:[0,1]
	v_pk_add_f32 v[150:151], v[38:39], v[50:51]
	v_mov_b32_e32 v49, v38
	v_mov_b32_e32 v37, v151
	v_pk_add_f32 v[160:161], v[48:49], v[36:37] neg_lo:[0,1] neg_hi:[0,1]
	v_pk_add_f32 v[36:37], v[48:49], v[36:37]
	v_mov_b32_e32 v50, v51
	v_mov_b32_e32 v48, v37
	v_pk_add_f32 v[162:163], v[48:49], v[38:39] neg_lo:[0,1] neg_hi:[0,1]
	v_mov_b32_e32 v36, v151
	v_mov_b32_e32 v49, v162
	v_pk_add_f32 v[164:165], v[150:151], v[48:49] neg_lo:[0,1] neg_hi:[0,1]
	v_mov_b32_e32 v150, v39
	v_mov_b32_e32 v151, v162
	;; [unrolled: 1-line block ×3, first 2 shown]
	v_pk_add_f32 v[36:37], v[36:37], v[150:151] neg_lo:[0,1] neg_hi:[0,1]
	v_mov_b32_e32 v51, v38
	v_pk_add_f32 v[36:37], v[50:51], v[36:37] neg_lo:[0,1] neg_hi:[0,1]
	v_mov_b32_e32 v164, v160
	v_pk_add_f32 v[38:39], v[164:165], v[36:37]
	s_mov_b32 s64, 0x33800000
	v_mov_b32_e32 v50, v39
	v_pk_add_f32 v[50:51], v[38:39], v[50:51]
	v_cmp_lt_f32_e64 s[64:65], |v166|, s64
	v_pk_add_f32 v[48:49], v[48:49], v[50:51]
	v_mov_b32_e32 v37, v50
	v_mov_b32_e32 v39, v48
	v_pk_add_f32 v[150:151], v[38:39], v[160:161] neg_lo:[0,1] neg_hi:[0,1]
	s_or_b64 vcc, vcc, s[64:65]
	v_sub_f32_e32 v38, v38, v150
	v_pk_add_f32 v[36:37], v[36:37], v[150:151] neg_lo:[0,1] neg_hi:[0,1]
	v_sub_f32_e32 v38, v160, v38
	v_add_f32_e32 v36, v36, v38
	v_add_f32_e32 v36, v36, v37
	;; [unrolled: 1-line block ×3, first 2 shown]
	v_cndmask_b32_e32 v36, v36, v166, vcc
	v_add_f32_e32 v36, v31, v36
.LBB519_209:
	s_or_b64 exec, exec, s[58:59]
	v_bfe_u32 v31, v36, 16, 1
	s_movk_i32 vcc_lo, 0x7fff
	v_add3_u32 v37, v36, v31, vcc_lo
	s_mov_b32 vcc_lo, 0x20000
	v_mov_b32_e32 v31, 0
	v_or_b32_sdwa v37, v37, vcc_lo dst_sel:DWORD dst_unused:UNUSED_PAD src0_sel:WORD_1 src1_sel:DWORD
	v_mov_b32_e32 v38, 0x27fc0
	v_cmp_o_f32_e32 vcc, v36, v36
	v_lshl_add_u64 v[30:31], v[30:31], 2, v[28:29]
	s_nop 0
	v_cndmask_b32_e32 v36, v38, v37, vcc
	flat_store_dword v[30:31], v36 sc1
.LBB519_210:
	s_or_b64 exec, exec, s[62:63]
	s_and_b64 exec, exec, s[4:5]
	s_cbranch_execz .LBB519_212
; %bb.211:
	v_mov_b32_e32 v30, 0
	ds_write_b16 v30, v179 offset:6
.LBB519_212:
	s_or_b64 exec, exec, s[60:61]
	v_mov_b32_e32 v30, 0
	s_waitcnt lgkmcnt(0)
	s_barrier
	ds_read_u16 v30, v30 offset:6
	s_and_saveexec_b64 s[58:59], s[2:3]
	s_cbranch_execz .LBB519_216
; %bb.213:
	v_cndmask_b32_e64 v31, v149, v148, s[56:57]
	v_lshlrev_b32_e32 v36, 16, v31
	v_max_f32_e32 v31, v36, v36
	v_min_f32_e32 v37, v31, v147
	v_cmp_u_f32_e32 vcc, v36, v36
	v_max_f32_e32 v31, v31, v147
	s_nop 0
	v_cndmask_b32_e32 v37, v37, v36, vcc
	v_cndmask_b32_e32 v31, v31, v36, vcc
	v_cndmask_b32_e64 v37, v37, v146, s[54:55]
	v_cndmask_b32_e64 v31, v31, v146, s[54:55]
	s_movk_i32 s54, 0x1f8
	v_cmp_neq_f32_e32 vcc, v37, v31
	v_cmp_class_f32_e64 s[54:55], v37, s54
	s_or_b64 vcc, vcc, s[54:55]
	s_and_saveexec_b64 s[54:55], vcc
	s_cbranch_execz .LBB519_215
; %bb.214:
	v_sub_f32_e32 v36, v37, v31
	s_mov_b32 s56, 0x3fb8aa3b
	v_mul_f32_e32 v37, 0x3fb8aa3b, v36
	v_fma_f32 v38, v36, s56, -v37
	v_rndne_f32_e32 v39, v37
	v_fmamk_f32 v38, v36, 0x32a5705f, v38
	v_sub_f32_e32 v37, v37, v39
	v_add_f32_e32 v37, v37, v38
	v_exp_f32_e32 v37, v37
	v_cvt_i32_f32_e32 v38, v39
	s_mov_b32 s56, 0xc2ce8ed0
	v_cmp_ngt_f32_e32 vcc, s56, v36
	s_mov_b32 s56, 0x42b17218
	v_ldexp_f32 v37, v37, v38
	v_cndmask_b32_e32 v37, 0, v37, vcc
	v_mov_b32_e32 v38, 0x7f800000
	v_cmp_nlt_f32_e32 vcc, s56, v36
	s_mov_b32 s56, 0x3f2aaaab
	s_mov_b32 s57, 0x7f800000
	v_cndmask_b32_e32 v162, v38, v37, vcc
	v_add_f32_e32 v38, 1.0, v162
	v_add_f32_e32 v36, -1.0, v38
	v_sub_f32_e32 v37, v36, v38
	v_add_f32_e32 v37, 1.0, v37
	v_sub_f32_e32 v36, v162, v36
	v_add_f32_e32 v39, v36, v37
	v_frexp_mant_f32_e32 v48, v38
	v_cvt_f64_f32_e32 v[36:37], v38
	v_frexp_exp_i32_f64_e32 v36, v[36:37]
	v_cmp_gt_f32_e32 vcc, s56, v48
	s_mov_b32 s56, 0x3f317218
	s_nop 0
	v_subbrev_co_u32_e32 v146, vcc, 0, v36, vcc
	v_sub_u32_e32 v36, 0, v146
	v_ldexp_f32 v37, v38, v36
	v_add_f32_e32 v38, -1.0, v37
	v_add_f32_e32 v48, 1.0, v37
	v_ldexp_f32 v36, v39, v36
	v_add_f32_e32 v39, 1.0, v38
	v_add_f32_e32 v49, -1.0, v48
	v_sub_f32_e32 v39, v37, v39
	v_sub_f32_e32 v37, v37, v49
	v_add_f32_e32 v39, v36, v39
	v_add_f32_e32 v36, v36, v37
	;; [unrolled: 1-line block ×3, first 2 shown]
	v_rcp_f32_e32 v149, v147
	v_sub_f32_e32 v37, v48, v147
	v_add_f32_e32 v148, v36, v37
	v_add_f32_e32 v37, v38, v39
	v_mul_f32_e32 v151, v37, v149
	v_sub_f32_e32 v36, v38, v37
	v_mul_f32_e32 v38, v147, v151
	v_fma_f32 v48, v151, v147, -v38
	v_fmac_f32_e32 v48, v151, v148
	v_add_f32_e32 v150, v39, v36
	v_add_f32_e32 v36, v38, v48
	v_sub_f32_e32 v39, v37, v36
	v_pk_add_f32 v[50:51], v[36:37], v[38:39] neg_lo:[0,1] neg_hi:[0,1]
	v_mov_b32_e32 v49, v36
	v_pk_add_f32 v[36:37], v[50:51], v[48:49] neg_lo:[0,1] neg_hi:[0,1]
	v_cmp_eq_f32_e32 vcc, s57, v162
	v_add_f32_e32 v37, v150, v37
	v_add_f32_e32 v36, v36, v37
	v_add_f32_e32 v37, v39, v36
	v_mul_f32_e32 v150, v149, v37
	v_mul_f32_e32 v38, v147, v150
	v_fma_f32 v48, v150, v147, -v38
	v_fmac_f32_e32 v48, v150, v148
	v_sub_f32_e32 v39, v39, v37
	v_add_f32_e32 v147, v36, v39
	v_add_f32_e32 v36, v38, v48
	v_sub_f32_e32 v39, v37, v36
	v_pk_add_f32 v[50:51], v[36:37], v[38:39] neg_lo:[0,1] neg_hi:[0,1]
	v_mov_b32_e32 v49, v36
	v_pk_add_f32 v[36:37], v[50:51], v[48:49] neg_lo:[0,1] neg_hi:[0,1]
	v_cvt_f32_i32_e32 v38, v146
	v_add_f32_e32 v37, v147, v37
	v_add_f32_e32 v36, v36, v37
	;; [unrolled: 1-line block ×4, first 2 shown]
	v_sub_f32_e32 v37, v39, v151
	v_mul_f32_e32 v36, v149, v36
	v_sub_f32_e32 v37, v150, v37
	v_add_f32_e32 v36, v37, v36
	v_add_f32_e32 v48, v39, v36
	v_mul_f32_e32 v50, v48, v48
	v_mov_b32_e32 v37, 0x3ecc95a3
	v_sub_f32_e32 v39, v48, v39
	v_fmac_f32_e32 v37, 0x3e9b6dac, v50
	v_sub_f32_e32 v36, v36, v39
	v_fmaak_f32 v37, v50, v37, 0x3f2aaada
	v_ldexp_f32 v51, v36, 1
	v_mul_f32_e32 v39, v48, v50
	v_mov_b32_e32 v36, 0x3f317218
	v_pk_mul_f32 v[36:37], v[38:39], v[36:37]
	v_ldexp_f32 v49, v48, 1
	v_fma_f32 v39, v38, s56, -v36
	v_fmamk_f32 v48, v38, 0xb102e308, v39
	v_pk_add_f32 v[38:39], v[36:37], v[48:49]
	v_mov_b32_e32 v50, v36
	v_sub_f32_e32 v49, v39, v49
	v_sub_f32_e32 v49, v37, v49
	v_add_f32_e32 v51, v51, v49
	v_pk_add_f32 v[36:37], v[38:39], v[36:37] neg_lo:[0,1] neg_hi:[0,1]
	v_pk_add_f32 v[146:147], v[38:39], v[50:51]
	v_mov_b32_e32 v49, v38
	v_mov_b32_e32 v37, v147
	v_pk_add_f32 v[148:149], v[48:49], v[36:37] neg_lo:[0,1] neg_hi:[0,1]
	v_pk_add_f32 v[36:37], v[48:49], v[36:37]
	v_mov_b32_e32 v50, v51
	v_mov_b32_e32 v48, v37
	v_pk_add_f32 v[150:151], v[48:49], v[38:39] neg_lo:[0,1] neg_hi:[0,1]
	v_mov_b32_e32 v36, v147
	v_mov_b32_e32 v49, v150
	v_pk_add_f32 v[160:161], v[146:147], v[48:49] neg_lo:[0,1] neg_hi:[0,1]
	v_mov_b32_e32 v146, v39
	v_mov_b32_e32 v147, v150
	;; [unrolled: 1-line block ×3, first 2 shown]
	v_pk_add_f32 v[36:37], v[36:37], v[146:147] neg_lo:[0,1] neg_hi:[0,1]
	v_mov_b32_e32 v51, v38
	v_pk_add_f32 v[36:37], v[50:51], v[36:37] neg_lo:[0,1] neg_hi:[0,1]
	v_mov_b32_e32 v160, v148
	v_pk_add_f32 v[38:39], v[160:161], v[36:37]
	s_mov_b32 s56, 0x33800000
	v_mov_b32_e32 v50, v39
	v_pk_add_f32 v[50:51], v[38:39], v[50:51]
	v_cmp_lt_f32_e64 s[56:57], |v162|, s56
	v_pk_add_f32 v[48:49], v[48:49], v[50:51]
	v_mov_b32_e32 v37, v50
	v_mov_b32_e32 v39, v48
	v_pk_add_f32 v[146:147], v[38:39], v[148:149] neg_lo:[0,1] neg_hi:[0,1]
	s_or_b64 vcc, vcc, s[56:57]
	v_sub_f32_e32 v38, v38, v146
	v_pk_add_f32 v[36:37], v[36:37], v[146:147] neg_lo:[0,1] neg_hi:[0,1]
	v_sub_f32_e32 v38, v148, v38
	v_add_f32_e32 v36, v36, v38
	v_add_f32_e32 v36, v36, v37
	;; [unrolled: 1-line block ×3, first 2 shown]
	v_cndmask_b32_e32 v36, v36, v162, vcc
	v_add_f32_e32 v36, v31, v36
.LBB519_215:
	s_or_b64 exec, exec, s[54:55]
	v_bfe_u32 v31, v36, 16, 1
	s_movk_i32 vcc_lo, 0x7fff
	v_add3_u32 v31, v36, v31, vcc_lo
	v_and_b32_e32 v31, 0xffff0000, v31
	v_mov_b32_e32 v37, 0x7fc00000
	v_cmp_o_f32_e32 vcc, v36, v36
	s_nop 1
	v_cndmask_b32_e32 v146, v37, v31, vcc
.LBB519_216:
	s_or_b64 exec, exec, s[58:59]
	s_waitcnt lgkmcnt(0)
	v_lshlrev_b32_e32 v36, 16, v30
	v_max_f32_e32 v30, v146, v146
	v_max_f32_e32 v37, v36, v36
	v_min_f32_e32 v31, v37, v30
	v_cmp_u_f32_e32 vcc, v36, v36
	v_max_f32_e32 v30, v37, v30
	v_cmp_u_f32_e64 s[54:55], v146, v146
	v_cndmask_b32_e32 v31, v31, v36, vcc
	v_cndmask_b32_e32 v30, v30, v36, vcc
	v_cndmask_b32_e64 v31, v31, v146, s[54:55]
	v_cndmask_b32_e64 v30, v30, v146, s[54:55]
	s_movk_i32 s56, 0x1f8
	v_cmp_neq_f32_e32 vcc, v31, v30
	v_cmp_class_f32_e64 s[54:55], v31, s56
	s_or_b64 vcc, vcc, s[54:55]
	s_and_saveexec_b64 s[54:55], vcc
	s_cbranch_execz .LBB519_218
; %bb.217:
	v_sub_f32_e32 v31, v31, v30
	s_mov_b32 s57, 0x3fb8aa3b
	v_mul_f32_e32 v36, 0x3fb8aa3b, v31
	v_fma_f32 v37, v31, s57, -v36
	v_rndne_f32_e32 v38, v36
	v_fmamk_f32 v37, v31, 0x32a5705f, v37
	v_sub_f32_e32 v36, v36, v38
	v_add_f32_e32 v36, v36, v37
	v_exp_f32_e32 v36, v36
	v_cvt_i32_f32_e32 v37, v38
	s_mov_b32 s57, 0xc2ce8ed0
	v_cmp_ngt_f32_e32 vcc, s57, v31
	s_mov_b32 s57, 0x42b17218
	v_ldexp_f32 v36, v36, v37
	v_cndmask_b32_e32 v36, 0, v36, vcc
	v_mov_b32_e32 v37, 0x7f800000
	v_cmp_nlt_f32_e32 vcc, s57, v31
	s_mov_b32 s57, 0x3f2aaaab
	s_mov_b32 s58, 0x7f800000
	v_cndmask_b32_e32 v162, v37, v36, vcc
	v_add_f32_e32 v31, 1.0, v162
	v_add_f32_e32 v36, -1.0, v31
	v_sub_f32_e32 v37, v36, v31
	v_add_f32_e32 v37, 1.0, v37
	v_sub_f32_e32 v36, v162, v36
	v_add_f32_e32 v38, v36, v37
	v_frexp_mant_f32_e32 v39, v31
	v_cvt_f64_f32_e32 v[36:37], v31
	v_frexp_exp_i32_f64_e32 v36, v[36:37]
	v_cmp_gt_f32_e32 vcc, s57, v39
	s_mov_b32 s57, 0x3f317218
	s_nop 0
	v_subbrev_co_u32_e32 v146, vcc, 0, v36, vcc
	v_sub_u32_e32 v36, 0, v146
	v_ldexp_f32 v31, v31, v36
	v_ldexp_f32 v36, v38, v36
	v_add_f32_e32 v38, -1.0, v31
	v_add_f32_e32 v37, 1.0, v38
	v_sub_f32_e32 v37, v31, v37
	v_add_f32_e32 v39, v36, v37
	v_add_f32_e32 v37, 1.0, v31
	v_add_f32_e32 v48, -1.0, v37
	v_sub_f32_e32 v31, v31, v48
	v_add_f32_e32 v31, v36, v31
	v_add_f32_e32 v147, v37, v31
	v_rcp_f32_e32 v148, v147
	v_sub_f32_e32 v36, v37, v147
	v_add_f32_e32 v37, v38, v39
	v_add_f32_e32 v31, v31, v36
	v_mul_f32_e32 v150, v37, v148
	v_sub_f32_e32 v36, v38, v37
	v_mul_f32_e32 v38, v147, v150
	v_fma_f32 v48, v150, v147, -v38
	v_fmac_f32_e32 v48, v150, v31
	v_add_f32_e32 v149, v39, v36
	v_add_f32_e32 v36, v38, v48
	v_sub_f32_e32 v39, v37, v36
	v_pk_add_f32 v[50:51], v[36:37], v[38:39] neg_lo:[0,1] neg_hi:[0,1]
	v_mov_b32_e32 v49, v36
	v_pk_add_f32 v[36:37], v[50:51], v[48:49] neg_lo:[0,1] neg_hi:[0,1]
	v_cmp_eq_f32_e32 vcc, s58, v162
	v_add_f32_e32 v37, v149, v37
	v_add_f32_e32 v36, v36, v37
	;; [unrolled: 1-line block ×3, first 2 shown]
	v_mul_f32_e32 v149, v148, v37
	v_mul_f32_e32 v38, v147, v149
	v_fma_f32 v48, v149, v147, -v38
	v_fmac_f32_e32 v48, v149, v31
	v_sub_f32_e32 v31, v39, v37
	v_add_f32_e32 v31, v36, v31
	v_add_f32_e32 v36, v38, v48
	v_sub_f32_e32 v39, v37, v36
	v_pk_add_f32 v[50:51], v[36:37], v[38:39] neg_lo:[0,1] neg_hi:[0,1]
	v_mov_b32_e32 v49, v36
	v_pk_add_f32 v[36:37], v[50:51], v[48:49] neg_lo:[0,1] neg_hi:[0,1]
	v_cvt_f32_i32_e32 v38, v146
	v_add_f32_e32 v31, v31, v37
	v_add_f32_e32 v31, v36, v31
	;; [unrolled: 1-line block ×4, first 2 shown]
	v_sub_f32_e32 v37, v36, v150
	v_mul_f32_e32 v31, v148, v31
	v_sub_f32_e32 v37, v149, v37
	v_add_f32_e32 v31, v37, v31
	v_add_f32_e32 v39, v36, v31
	v_mul_f32_e32 v48, v39, v39
	v_mov_b32_e32 v37, 0x3ecc95a3
	v_fmac_f32_e32 v37, 0x3e9b6dac, v48
	v_sub_f32_e32 v36, v39, v36
	v_fmaak_f32 v37, v48, v37, 0x3f2aaada
	v_sub_f32_e32 v31, v31, v36
	v_ldexp_f32 v49, v39, 1
	v_mul_f32_e32 v39, v39, v48
	v_mov_b32_e32 v36, 0x3f317218
	v_pk_mul_f32 v[36:37], v[38:39], v[36:37]
	v_ldexp_f32 v31, v31, 1
	v_fma_f32 v39, v38, s57, -v36
	v_fmamk_f32 v48, v38, 0xb102e308, v39
	v_pk_add_f32 v[38:39], v[36:37], v[48:49]
	v_mov_b32_e32 v50, v36
	v_sub_f32_e32 v49, v39, v49
	v_sub_f32_e32 v49, v37, v49
	v_add_f32_e32 v51, v31, v49
	v_pk_add_f32 v[36:37], v[38:39], v[36:37] neg_lo:[0,1] neg_hi:[0,1]
	v_pk_add_f32 v[146:147], v[38:39], v[50:51]
	v_mov_b32_e32 v49, v38
	v_mov_b32_e32 v37, v147
	v_pk_add_f32 v[148:149], v[48:49], v[36:37] neg_lo:[0,1] neg_hi:[0,1]
	v_pk_add_f32 v[36:37], v[48:49], v[36:37]
	v_mov_b32_e32 v50, v51
	v_mov_b32_e32 v48, v37
	v_pk_add_f32 v[150:151], v[48:49], v[38:39] neg_lo:[0,1] neg_hi:[0,1]
	v_mov_b32_e32 v36, v147
	v_mov_b32_e32 v31, v150
	v_pk_add_f32 v[160:161], v[146:147], v[30:31] neg_lo:[0,1] neg_hi:[0,1]
	v_mov_b32_e32 v146, v39
	v_mov_b32_e32 v147, v150
	;; [unrolled: 1-line block ×3, first 2 shown]
	v_pk_add_f32 v[36:37], v[36:37], v[146:147] neg_lo:[0,1] neg_hi:[0,1]
	v_mov_b32_e32 v51, v38
	v_pk_add_f32 v[36:37], v[50:51], v[36:37] neg_lo:[0,1] neg_hi:[0,1]
	v_mov_b32_e32 v160, v148
	v_pk_add_f32 v[38:39], v[160:161], v[36:37]
	s_mov_b32 s57, 0x33800000
	v_mov_b32_e32 v50, v39
	v_pk_add_f32 v[50:51], v[38:39], v[50:51]
	v_cmp_lt_f32_e64 s[58:59], |v162|, s57
	v_pk_add_f32 v[48:49], v[48:49], v[50:51]
	v_mov_b32_e32 v37, v50
	v_mov_b32_e32 v39, v48
	v_pk_add_f32 v[146:147], v[38:39], v[148:149] neg_lo:[0,1] neg_hi:[0,1]
	s_or_b64 vcc, vcc, s[58:59]
	v_sub_f32_e32 v31, v38, v146
	v_pk_add_f32 v[36:37], v[36:37], v[146:147] neg_lo:[0,1] neg_hi:[0,1]
	v_sub_f32_e32 v31, v148, v31
	v_add_f32_e32 v31, v36, v31
	v_add_f32_e32 v31, v31, v37
	v_add_f32_e32 v31, v48, v31
	v_cndmask_b32_e32 v31, v31, v162, vcc
	v_add_f32_e32 v36, v30, v31
.LBB519_218:
	s_or_b64 exec, exec, s[54:55]
	v_bfe_u32 v30, v36, 16, 1
	s_movk_i32 s54, 0x7fff
	v_add3_u32 v30, v36, v30, s54
	v_lshrrev_b32_e32 v30, 16, v30
	v_mov_b32_e32 v31, 0x7fc0
	v_cmp_o_f32_e32 vcc, v36, v36
	s_nop 1
	v_cndmask_b32_e32 v30, v31, v30, vcc
	v_lshlrev_b32_e32 v36, 16, v30
	v_max_f32_e32 v38, v36, v36
	v_min_f32_e32 v37, v38, v53
	v_cmp_u_f32_e32 vcc, v36, v36
	v_max_f32_e32 v38, v38, v53
	s_nop 0
	v_cndmask_b32_e32 v37, v37, v36, vcc
	v_cndmask_b32_e32 v38, v38, v36, vcc
	v_cndmask_b32_e64 v37, v37, v33, s[6:7]
	v_cndmask_b32_e64 v33, v38, v33, s[6:7]
	v_cmp_neq_f32_e32 vcc, v37, v33
	v_cmp_class_f32_e64 s[6:7], v37, s56
	s_or_b64 vcc, vcc, s[6:7]
	s_and_saveexec_b64 s[6:7], vcc
	s_cbranch_execz .LBB519_220
; %bb.219:
	v_sub_f32_e32 v36, v37, v33
	s_mov_b32 s55, 0x3fb8aa3b
	v_mul_f32_e32 v37, 0x3fb8aa3b, v36
	v_fma_f32 v38, v36, s55, -v37
	v_rndne_f32_e32 v39, v37
	v_fmamk_f32 v38, v36, 0x32a5705f, v38
	v_sub_f32_e32 v37, v37, v39
	v_add_f32_e32 v37, v37, v38
	v_exp_f32_e32 v37, v37
	v_cvt_i32_f32_e32 v38, v39
	s_mov_b32 s55, 0xc2ce8ed0
	v_cmp_ngt_f32_e32 vcc, s55, v36
	s_mov_b32 s55, 0x42b17218
	v_ldexp_f32 v37, v37, v38
	v_cndmask_b32_e32 v37, 0, v37, vcc
	v_mov_b32_e32 v38, 0x7f800000
	v_cmp_nlt_f32_e32 vcc, s55, v36
	s_mov_b32 s55, 0x3f2aaaab
	s_mov_b32 s56, 0x7f800000
	v_cndmask_b32_e32 v53, v38, v37, vcc
	v_add_f32_e32 v38, 1.0, v53
	v_add_f32_e32 v36, -1.0, v38
	v_sub_f32_e32 v37, v36, v38
	v_add_f32_e32 v37, 1.0, v37
	v_sub_f32_e32 v36, v53, v36
	v_add_f32_e32 v39, v36, v37
	v_frexp_mant_f32_e32 v48, v38
	v_cvt_f64_f32_e32 v[36:37], v38
	v_frexp_exp_i32_f64_e32 v36, v[36:37]
	v_cmp_gt_f32_e32 vcc, s55, v48
	s_mov_b32 s55, 0x3f317218
	s_nop 0
	v_subbrev_co_u32_e32 v146, vcc, 0, v36, vcc
	v_sub_u32_e32 v36, 0, v146
	v_ldexp_f32 v37, v38, v36
	v_add_f32_e32 v38, -1.0, v37
	v_add_f32_e32 v48, 1.0, v37
	v_ldexp_f32 v36, v39, v36
	v_add_f32_e32 v39, 1.0, v38
	v_add_f32_e32 v49, -1.0, v48
	v_sub_f32_e32 v39, v37, v39
	v_sub_f32_e32 v37, v37, v49
	v_add_f32_e32 v39, v36, v39
	v_add_f32_e32 v36, v36, v37
	;; [unrolled: 1-line block ×3, first 2 shown]
	v_rcp_f32_e32 v149, v147
	v_sub_f32_e32 v37, v48, v147
	v_add_f32_e32 v148, v36, v37
	v_add_f32_e32 v37, v38, v39
	v_mul_f32_e32 v151, v37, v149
	v_sub_f32_e32 v36, v38, v37
	v_mul_f32_e32 v38, v147, v151
	v_fma_f32 v48, v151, v147, -v38
	v_fmac_f32_e32 v48, v151, v148
	v_add_f32_e32 v150, v39, v36
	v_add_f32_e32 v36, v38, v48
	v_sub_f32_e32 v39, v37, v36
	v_pk_add_f32 v[50:51], v[36:37], v[38:39] neg_lo:[0,1] neg_hi:[0,1]
	v_mov_b32_e32 v49, v36
	v_pk_add_f32 v[36:37], v[50:51], v[48:49] neg_lo:[0,1] neg_hi:[0,1]
	v_cmp_eq_f32_e32 vcc, s56, v53
	v_add_f32_e32 v37, v150, v37
	v_add_f32_e32 v36, v36, v37
	;; [unrolled: 1-line block ×3, first 2 shown]
	v_mul_f32_e32 v150, v149, v37
	v_mul_f32_e32 v38, v147, v150
	v_fma_f32 v48, v150, v147, -v38
	v_fmac_f32_e32 v48, v150, v148
	v_sub_f32_e32 v39, v39, v37
	v_add_f32_e32 v147, v36, v39
	v_add_f32_e32 v36, v38, v48
	v_sub_f32_e32 v39, v37, v36
	v_pk_add_f32 v[50:51], v[36:37], v[38:39] neg_lo:[0,1] neg_hi:[0,1]
	v_mov_b32_e32 v49, v36
	v_pk_add_f32 v[36:37], v[50:51], v[48:49] neg_lo:[0,1] neg_hi:[0,1]
	v_cvt_f32_i32_e32 v38, v146
	v_add_f32_e32 v37, v147, v37
	v_add_f32_e32 v36, v36, v37
	;; [unrolled: 1-line block ×4, first 2 shown]
	v_sub_f32_e32 v37, v39, v151
	v_mul_f32_e32 v36, v149, v36
	v_sub_f32_e32 v37, v150, v37
	v_add_f32_e32 v36, v37, v36
	v_add_f32_e32 v48, v39, v36
	v_mul_f32_e32 v50, v48, v48
	v_mov_b32_e32 v37, 0x3ecc95a3
	v_sub_f32_e32 v39, v48, v39
	v_fmac_f32_e32 v37, 0x3e9b6dac, v50
	v_sub_f32_e32 v36, v36, v39
	v_fmaak_f32 v37, v50, v37, 0x3f2aaada
	v_ldexp_f32 v51, v36, 1
	v_mul_f32_e32 v39, v48, v50
	v_mov_b32_e32 v36, 0x3f317218
	v_pk_mul_f32 v[36:37], v[38:39], v[36:37]
	v_ldexp_f32 v49, v48, 1
	v_fma_f32 v39, v38, s55, -v36
	v_fmamk_f32 v48, v38, 0xb102e308, v39
	v_pk_add_f32 v[38:39], v[36:37], v[48:49]
	v_mov_b32_e32 v50, v36
	v_sub_f32_e32 v49, v39, v49
	v_sub_f32_e32 v49, v37, v49
	v_add_f32_e32 v51, v51, v49
	v_pk_add_f32 v[36:37], v[38:39], v[36:37] neg_lo:[0,1] neg_hi:[0,1]
	v_pk_add_f32 v[146:147], v[38:39], v[50:51]
	v_mov_b32_e32 v49, v38
	v_mov_b32_e32 v37, v147
	v_pk_add_f32 v[148:149], v[48:49], v[36:37] neg_lo:[0,1] neg_hi:[0,1]
	v_pk_add_f32 v[36:37], v[48:49], v[36:37]
	v_mov_b32_e32 v50, v51
	v_mov_b32_e32 v48, v37
	v_pk_add_f32 v[150:151], v[48:49], v[38:39] neg_lo:[0,1] neg_hi:[0,1]
	v_mov_b32_e32 v36, v147
	v_mov_b32_e32 v49, v150
	v_pk_add_f32 v[160:161], v[146:147], v[48:49] neg_lo:[0,1] neg_hi:[0,1]
	v_mov_b32_e32 v146, v39
	v_mov_b32_e32 v147, v150
	v_mov_b32_e32 v149, v37
	v_pk_add_f32 v[36:37], v[36:37], v[146:147] neg_lo:[0,1] neg_hi:[0,1]
	v_mov_b32_e32 v51, v38
	v_pk_add_f32 v[36:37], v[50:51], v[36:37] neg_lo:[0,1] neg_hi:[0,1]
	v_mov_b32_e32 v160, v148
	v_pk_add_f32 v[38:39], v[160:161], v[36:37]
	s_mov_b32 s55, 0x33800000
	v_mov_b32_e32 v50, v39
	v_pk_add_f32 v[50:51], v[38:39], v[50:51]
	v_cmp_lt_f32_e64 s[56:57], |v53|, s55
	v_pk_add_f32 v[48:49], v[48:49], v[50:51]
	v_mov_b32_e32 v37, v50
	v_mov_b32_e32 v39, v48
	v_pk_add_f32 v[146:147], v[38:39], v[148:149] neg_lo:[0,1] neg_hi:[0,1]
	s_or_b64 vcc, vcc, s[56:57]
	v_sub_f32_e32 v38, v38, v146
	v_pk_add_f32 v[36:37], v[36:37], v[146:147] neg_lo:[0,1] neg_hi:[0,1]
	v_sub_f32_e32 v38, v148, v38
	v_add_f32_e32 v36, v36, v38
	v_add_f32_e32 v36, v36, v37
	;; [unrolled: 1-line block ×3, first 2 shown]
	v_cndmask_b32_e32 v36, v36, v53, vcc
	v_add_f32_e32 v36, v33, v36
.LBB519_220:
	s_or_b64 exec, exec, s[6:7]
	v_bfe_u32 v33, v36, 16, 1
	v_add3_u32 v33, v36, v33, s54
	v_lshrrev_b32_e32 v33, 16, v33
	v_cmp_o_f32_e32 vcc, v36, v36
	s_nop 1
	v_cndmask_b32_e32 v31, v31, v33, vcc
	v_lshlrev_b32_e32 v37, 16, v31
	v_max_f32_e32 v33, v37, v37
	v_min_f32_e32 v36, v33, v66
	v_cmp_u_f32_e32 vcc, v37, v37
	v_max_f32_e32 v33, v33, v66
	s_nop 0
	v_cndmask_b32_e32 v36, v36, v37, vcc
	v_cndmask_b32_e32 v33, v33, v37, vcc
	v_cndmask_b32_e64 v36, v36, v54, s[8:9]
	v_cndmask_b32_e64 v33, v33, v54, s[8:9]
	s_movk_i32 s8, 0x1f8
	v_cmp_neq_f32_e32 vcc, v36, v33
	v_cmp_class_f32_e64 s[6:7], v36, s8
	s_or_b64 vcc, vcc, s[6:7]
	s_and_saveexec_b64 s[6:7], vcc
	s_cbranch_execz .LBB519_222
; %bb.221:
	v_sub_f32_e32 v36, v36, v33
	s_mov_b32 s9, 0x3fb8aa3b
	v_mul_f32_e32 v37, 0x3fb8aa3b, v36
	v_fma_f32 v38, v36, s9, -v37
	v_rndne_f32_e32 v39, v37
	v_fmamk_f32 v38, v36, 0x32a5705f, v38
	v_sub_f32_e32 v37, v37, v39
	v_add_f32_e32 v37, v37, v38
	v_exp_f32_e32 v37, v37
	v_cvt_i32_f32_e32 v38, v39
	s_mov_b32 s9, 0xc2ce8ed0
	v_cmp_ngt_f32_e32 vcc, s9, v36
	s_mov_b32 s9, 0x42b17218
	v_ldexp_f32 v37, v37, v38
	v_cndmask_b32_e32 v37, 0, v37, vcc
	v_mov_b32_e32 v38, 0x7f800000
	v_cmp_nlt_f32_e32 vcc, s9, v36
	s_mov_b32 s9, 0x3f2aaaab
	s_mov_b32 s54, 0x7f800000
	v_cndmask_b32_e32 v53, v38, v37, vcc
	v_add_f32_e32 v38, 1.0, v53
	v_add_f32_e32 v36, -1.0, v38
	v_sub_f32_e32 v37, v36, v38
	v_add_f32_e32 v37, 1.0, v37
	v_sub_f32_e32 v36, v53, v36
	v_add_f32_e32 v39, v36, v37
	v_frexp_mant_f32_e32 v48, v38
	v_cvt_f64_f32_e32 v[36:37], v38
	v_frexp_exp_i32_f64_e32 v36, v[36:37]
	v_cmp_gt_f32_e32 vcc, s9, v48
	s_mov_b32 s9, 0x3f317218
	s_nop 0
	v_subbrev_co_u32_e32 v54, vcc, 0, v36, vcc
	v_sub_u32_e32 v36, 0, v54
	v_ldexp_f32 v37, v38, v36
	v_add_f32_e32 v38, -1.0, v37
	v_add_f32_e32 v48, 1.0, v37
	v_ldexp_f32 v36, v39, v36
	v_add_f32_e32 v39, 1.0, v38
	v_add_f32_e32 v49, -1.0, v48
	v_sub_f32_e32 v39, v37, v39
	v_sub_f32_e32 v37, v37, v49
	v_add_f32_e32 v39, v36, v39
	v_add_f32_e32 v36, v36, v37
	;; [unrolled: 1-line block ×3, first 2 shown]
	v_rcp_f32_e32 v147, v66
	v_sub_f32_e32 v37, v48, v66
	v_add_f32_e32 v146, v36, v37
	v_add_f32_e32 v37, v38, v39
	v_mul_f32_e32 v149, v37, v147
	v_sub_f32_e32 v36, v38, v37
	v_mul_f32_e32 v38, v66, v149
	v_fma_f32 v48, v149, v66, -v38
	v_fmac_f32_e32 v48, v149, v146
	v_add_f32_e32 v148, v39, v36
	v_add_f32_e32 v36, v38, v48
	v_sub_f32_e32 v39, v37, v36
	v_pk_add_f32 v[50:51], v[36:37], v[38:39] neg_lo:[0,1] neg_hi:[0,1]
	v_mov_b32_e32 v49, v36
	v_pk_add_f32 v[36:37], v[50:51], v[48:49] neg_lo:[0,1] neg_hi:[0,1]
	v_cmp_eq_f32_e32 vcc, s54, v53
	v_add_f32_e32 v37, v148, v37
	v_add_f32_e32 v36, v36, v37
	;; [unrolled: 1-line block ×3, first 2 shown]
	v_mul_f32_e32 v148, v147, v37
	v_mul_f32_e32 v38, v66, v148
	v_fma_f32 v48, v148, v66, -v38
	v_fmac_f32_e32 v48, v148, v146
	v_sub_f32_e32 v39, v39, v37
	v_add_f32_e32 v66, v36, v39
	v_add_f32_e32 v36, v38, v48
	v_sub_f32_e32 v39, v37, v36
	v_pk_add_f32 v[50:51], v[36:37], v[38:39] neg_lo:[0,1] neg_hi:[0,1]
	v_mov_b32_e32 v49, v36
	v_pk_add_f32 v[36:37], v[50:51], v[48:49] neg_lo:[0,1] neg_hi:[0,1]
	v_cvt_f32_i32_e32 v38, v54
	v_add_f32_e32 v37, v66, v37
	v_add_f32_e32 v36, v36, v37
	;; [unrolled: 1-line block ×4, first 2 shown]
	v_sub_f32_e32 v37, v39, v149
	v_mul_f32_e32 v36, v147, v36
	v_sub_f32_e32 v37, v148, v37
	v_add_f32_e32 v36, v37, v36
	v_add_f32_e32 v48, v39, v36
	v_mul_f32_e32 v50, v48, v48
	v_mov_b32_e32 v37, 0x3ecc95a3
	v_sub_f32_e32 v39, v48, v39
	v_fmac_f32_e32 v37, 0x3e9b6dac, v50
	v_sub_f32_e32 v36, v36, v39
	v_fmaak_f32 v37, v50, v37, 0x3f2aaada
	v_ldexp_f32 v51, v36, 1
	v_mul_f32_e32 v39, v48, v50
	v_mov_b32_e32 v36, 0x3f317218
	v_pk_mul_f32 v[36:37], v[38:39], v[36:37]
	v_ldexp_f32 v49, v48, 1
	v_fma_f32 v39, v38, s9, -v36
	v_fmamk_f32 v48, v38, 0xb102e308, v39
	v_pk_add_f32 v[38:39], v[36:37], v[48:49]
	v_mov_b32_e32 v50, v36
	v_sub_f32_e32 v49, v39, v49
	v_sub_f32_e32 v49, v37, v49
	v_add_f32_e32 v51, v51, v49
	v_pk_add_f32 v[36:37], v[38:39], v[36:37] neg_lo:[0,1] neg_hi:[0,1]
	v_pk_add_f32 v[146:147], v[38:39], v[50:51]
	v_mov_b32_e32 v49, v38
	v_mov_b32_e32 v37, v147
	v_pk_add_f32 v[148:149], v[48:49], v[36:37] neg_lo:[0,1] neg_hi:[0,1]
	v_pk_add_f32 v[36:37], v[48:49], v[36:37]
	v_mov_b32_e32 v50, v51
	v_mov_b32_e32 v48, v37
	v_pk_add_f32 v[150:151], v[48:49], v[38:39] neg_lo:[0,1] neg_hi:[0,1]
	v_mov_b32_e32 v36, v147
	v_mov_b32_e32 v49, v150
	v_pk_add_f32 v[160:161], v[146:147], v[48:49] neg_lo:[0,1] neg_hi:[0,1]
	v_mov_b32_e32 v146, v39
	v_mov_b32_e32 v147, v150
	v_mov_b32_e32 v149, v37
	v_pk_add_f32 v[36:37], v[36:37], v[146:147] neg_lo:[0,1] neg_hi:[0,1]
	v_mov_b32_e32 v51, v38
	v_pk_add_f32 v[36:37], v[50:51], v[36:37] neg_lo:[0,1] neg_hi:[0,1]
	v_mov_b32_e32 v160, v148
	v_pk_add_f32 v[38:39], v[160:161], v[36:37]
	s_mov_b32 s9, 0x33800000
	v_mov_b32_e32 v50, v39
	v_pk_add_f32 v[50:51], v[38:39], v[50:51]
	v_cmp_lt_f32_e64 s[54:55], |v53|, s9
	v_pk_add_f32 v[48:49], v[48:49], v[50:51]
	v_mov_b32_e32 v37, v50
	v_mov_b32_e32 v39, v48
	v_pk_add_f32 v[146:147], v[38:39], v[148:149] neg_lo:[0,1] neg_hi:[0,1]
	s_or_b64 vcc, vcc, s[54:55]
	v_sub_f32_e32 v38, v38, v146
	v_pk_add_f32 v[36:37], v[36:37], v[146:147] neg_lo:[0,1] neg_hi:[0,1]
	v_sub_f32_e32 v38, v148, v38
	v_add_f32_e32 v36, v36, v38
	v_add_f32_e32 v36, v36, v37
	;; [unrolled: 1-line block ×3, first 2 shown]
	v_cndmask_b32_e32 v36, v36, v53, vcc
	v_add_f32_e32 v37, v33, v36
.LBB519_222:
	s_or_b64 exec, exec, s[6:7]
	v_bfe_u32 v33, v37, 16, 1
	s_movk_i32 s9, 0x7fff
	v_add3_u32 v33, v37, v33, s9
	v_lshrrev_b32_e32 v33, 16, v33
	v_mov_b32_e32 v36, 0x7fc0
	v_cmp_o_f32_e32 vcc, v37, v37
	s_nop 1
	v_cndmask_b32_e32 v33, v36, v33, vcc
	v_lshlrev_b32_e32 v38, 16, v33
	v_max_f32_e32 v37, v38, v38
	v_min_f32_e32 v39, v37, v67
	v_cmp_u_f32_e32 vcc, v38, v38
	v_max_f32_e32 v37, v37, v67
	s_nop 0
	v_cndmask_b32_e32 v39, v39, v38, vcc
	v_cndmask_b32_e32 v37, v37, v38, vcc
	v_cndmask_b32_e64 v39, v39, v55, s[10:11]
	v_cndmask_b32_e64 v37, v37, v55, s[10:11]
	v_cmp_neq_f32_e32 vcc, v39, v37
	v_cmp_class_f32_e64 s[6:7], v39, s8
	s_or_b64 s[10:11], vcc, s[6:7]
	s_and_saveexec_b64 s[6:7], s[10:11]
	s_cbranch_execz .LBB519_224
; %bb.223:
	v_sub_f32_e32 v38, v39, v37
	s_mov_b32 s8, 0x3fb8aa3b
	v_mul_f32_e32 v39, 0x3fb8aa3b, v38
	v_fma_f32 v48, v38, s8, -v39
	v_rndne_f32_e32 v49, v39
	v_fmamk_f32 v48, v38, 0x32a5705f, v48
	v_sub_f32_e32 v39, v39, v49
	v_add_f32_e32 v39, v39, v48
	v_exp_f32_e32 v39, v39
	v_cvt_i32_f32_e32 v48, v49
	s_mov_b32 s8, 0xc2ce8ed0
	v_cmp_ngt_f32_e32 vcc, s8, v38
	s_mov_b32 s8, 0x42b17218
	v_ldexp_f32 v39, v39, v48
	v_cndmask_b32_e32 v39, 0, v39, vcc
	v_mov_b32_e32 v48, 0x7f800000
	v_cmp_nlt_f32_e32 vcc, s8, v38
	s_mov_b32 s8, 0x3f2aaaab
	s_mov_b32 s10, 0x7f800000
	v_cndmask_b32_e32 v53, v48, v39, vcc
	v_add_f32_e32 v48, 1.0, v53
	v_add_f32_e32 v38, -1.0, v48
	v_sub_f32_e32 v39, v38, v48
	v_add_f32_e32 v39, 1.0, v39
	v_sub_f32_e32 v38, v53, v38
	v_add_f32_e32 v49, v38, v39
	v_frexp_mant_f32_e32 v50, v48
	v_cvt_f64_f32_e32 v[38:39], v48
	v_frexp_exp_i32_f64_e32 v38, v[38:39]
	v_cmp_gt_f32_e32 vcc, s8, v50
	s_mov_b32 s8, 0x3f317218
	s_nop 0
	v_subbrev_co_u32_e32 v66, vcc, 0, v38, vcc
	v_sub_u32_e32 v38, 0, v66
	v_ldexp_f32 v39, v48, v38
	v_add_f32_e32 v48, -1.0, v39
	v_add_f32_e32 v50, 1.0, v39
	v_ldexp_f32 v38, v49, v38
	v_add_f32_e32 v49, 1.0, v48
	v_add_f32_e32 v51, -1.0, v50
	v_sub_f32_e32 v49, v39, v49
	v_sub_f32_e32 v39, v39, v51
	v_add_f32_e32 v49, v38, v49
	v_add_f32_e32 v38, v38, v39
	;; [unrolled: 1-line block ×3, first 2 shown]
	v_rcp_f32_e32 v147, v67
	v_sub_f32_e32 v39, v50, v67
	v_add_f32_e32 v146, v38, v39
	v_add_f32_e32 v39, v48, v49
	v_mul_f32_e32 v149, v39, v147
	v_sub_f32_e32 v38, v48, v39
	v_mul_f32_e32 v48, v67, v149
	v_fma_f32 v50, v149, v67, -v48
	v_fmac_f32_e32 v50, v149, v146
	v_add_f32_e32 v148, v49, v38
	v_add_f32_e32 v38, v48, v50
	v_sub_f32_e32 v49, v39, v38
	v_pk_add_f32 v[54:55], v[38:39], v[48:49] neg_lo:[0,1] neg_hi:[0,1]
	v_mov_b32_e32 v51, v38
	v_pk_add_f32 v[38:39], v[54:55], v[50:51] neg_lo:[0,1] neg_hi:[0,1]
	v_cmp_eq_f32_e32 vcc, s10, v53
	v_add_f32_e32 v39, v148, v39
	v_add_f32_e32 v38, v38, v39
	;; [unrolled: 1-line block ×3, first 2 shown]
	v_mul_f32_e32 v148, v147, v39
	v_mul_f32_e32 v48, v67, v148
	v_fma_f32 v50, v148, v67, -v48
	v_fmac_f32_e32 v50, v148, v146
	v_sub_f32_e32 v49, v49, v39
	v_add_f32_e32 v67, v38, v49
	v_add_f32_e32 v38, v48, v50
	v_sub_f32_e32 v49, v39, v38
	v_pk_add_f32 v[54:55], v[38:39], v[48:49] neg_lo:[0,1] neg_hi:[0,1]
	v_mov_b32_e32 v51, v38
	v_pk_add_f32 v[38:39], v[54:55], v[50:51] neg_lo:[0,1] neg_hi:[0,1]
	v_cvt_f32_i32_e32 v48, v66
	v_add_f32_e32 v39, v67, v39
	v_add_f32_e32 v38, v38, v39
	;; [unrolled: 1-line block ×4, first 2 shown]
	v_sub_f32_e32 v39, v49, v149
	v_mul_f32_e32 v38, v147, v38
	v_sub_f32_e32 v39, v148, v39
	v_add_f32_e32 v38, v39, v38
	v_add_f32_e32 v50, v49, v38
	v_mul_f32_e32 v54, v50, v50
	v_mov_b32_e32 v39, 0x3ecc95a3
	v_sub_f32_e32 v49, v50, v49
	v_fmac_f32_e32 v39, 0x3e9b6dac, v54
	v_sub_f32_e32 v38, v38, v49
	v_fmaak_f32 v39, v54, v39, 0x3f2aaada
	v_ldexp_f32 v55, v38, 1
	v_mul_f32_e32 v49, v50, v54
	v_mov_b32_e32 v38, 0x3f317218
	v_pk_mul_f32 v[38:39], v[48:49], v[38:39]
	v_ldexp_f32 v51, v50, 1
	v_fma_f32 v49, v48, s8, -v38
	v_fmamk_f32 v50, v48, 0xb102e308, v49
	v_pk_add_f32 v[48:49], v[38:39], v[50:51]
	v_mov_b32_e32 v54, v38
	v_sub_f32_e32 v51, v49, v51
	v_sub_f32_e32 v51, v39, v51
	v_add_f32_e32 v55, v55, v51
	v_pk_add_f32 v[38:39], v[48:49], v[38:39] neg_lo:[0,1] neg_hi:[0,1]
	v_pk_add_f32 v[66:67], v[48:49], v[54:55]
	v_mov_b32_e32 v51, v48
	v_mov_b32_e32 v39, v67
	v_pk_add_f32 v[146:147], v[50:51], v[38:39] neg_lo:[0,1] neg_hi:[0,1]
	v_pk_add_f32 v[38:39], v[50:51], v[38:39]
	v_mov_b32_e32 v54, v55
	v_mov_b32_e32 v50, v39
	v_pk_add_f32 v[148:149], v[50:51], v[48:49] neg_lo:[0,1] neg_hi:[0,1]
	v_mov_b32_e32 v38, v67
	v_mov_b32_e32 v51, v148
	v_pk_add_f32 v[150:151], v[66:67], v[50:51] neg_lo:[0,1] neg_hi:[0,1]
	v_mov_b32_e32 v66, v49
	v_mov_b32_e32 v67, v148
	;; [unrolled: 1-line block ×3, first 2 shown]
	v_pk_add_f32 v[38:39], v[38:39], v[66:67] neg_lo:[0,1] neg_hi:[0,1]
	v_mov_b32_e32 v55, v48
	v_pk_add_f32 v[38:39], v[54:55], v[38:39] neg_lo:[0,1] neg_hi:[0,1]
	v_mov_b32_e32 v150, v146
	v_pk_add_f32 v[48:49], v[150:151], v[38:39]
	s_mov_b32 s8, 0x33800000
	v_mov_b32_e32 v54, v49
	v_pk_add_f32 v[54:55], v[48:49], v[54:55]
	v_cmp_lt_f32_e64 s[10:11], |v53|, s8
	v_pk_add_f32 v[50:51], v[50:51], v[54:55]
	v_mov_b32_e32 v39, v54
	v_mov_b32_e32 v49, v50
	v_pk_add_f32 v[66:67], v[48:49], v[146:147] neg_lo:[0,1] neg_hi:[0,1]
	s_or_b64 vcc, vcc, s[10:11]
	v_sub_f32_e32 v48, v48, v66
	v_pk_add_f32 v[38:39], v[38:39], v[66:67] neg_lo:[0,1] neg_hi:[0,1]
	v_sub_f32_e32 v48, v146, v48
	v_add_f32_e32 v38, v38, v48
	v_add_f32_e32 v38, v38, v39
	v_add_f32_e32 v38, v50, v38
	v_cndmask_b32_e32 v38, v38, v53, vcc
	v_add_f32_e32 v38, v37, v38
.LBB519_224:
	s_or_b64 exec, exec, s[6:7]
	v_bfe_u32 v37, v38, 16, 1
	v_add3_u32 v37, v38, v37, s9
	v_lshrrev_b32_e32 v37, 16, v37
	v_cmp_o_f32_e32 vcc, v38, v38
	s_movk_i32 s8, 0x1f8
	s_nop 0
	v_cndmask_b32_e32 v36, v36, v37, vcc
	v_lshlrev_b32_e32 v39, 16, v36
	v_max_f32_e32 v37, v39, v39
	v_min_f32_e32 v38, v37, v70
	v_cmp_u_f32_e32 vcc, v39, v39
	v_max_f32_e32 v37, v37, v70
	s_nop 0
	v_cndmask_b32_e32 v38, v38, v39, vcc
	v_cndmask_b32_e32 v37, v37, v39, vcc
	v_cndmask_b32_e64 v38, v38, v64, s[12:13]
	v_cndmask_b32_e64 v37, v37, v64, s[12:13]
	v_cmp_neq_f32_e32 vcc, v38, v37
	v_cmp_class_f32_e64 s[6:7], v38, s8
	s_or_b64 s[10:11], vcc, s[6:7]
	s_and_saveexec_b64 s[6:7], s[10:11]
	s_cbranch_execz .LBB519_226
; %bb.225:
	v_sub_f32_e32 v38, v38, v37
	s_mov_b32 s9, 0x3fb8aa3b
	v_mul_f32_e32 v39, 0x3fb8aa3b, v38
	v_fma_f32 v48, v38, s9, -v39
	v_rndne_f32_e32 v49, v39
	v_fmamk_f32 v48, v38, 0x32a5705f, v48
	v_sub_f32_e32 v39, v39, v49
	v_add_f32_e32 v39, v39, v48
	v_exp_f32_e32 v39, v39
	v_cvt_i32_f32_e32 v48, v49
	s_mov_b32 s9, 0xc2ce8ed0
	v_cmp_ngt_f32_e32 vcc, s9, v38
	s_mov_b32 s9, 0x42b17218
	v_ldexp_f32 v39, v39, v48
	v_cndmask_b32_e32 v39, 0, v39, vcc
	v_mov_b32_e32 v48, 0x7f800000
	v_cmp_nlt_f32_e32 vcc, s9, v38
	s_mov_b32 s9, 0x3f2aaaab
	s_mov_b32 s10, 0x7f800000
	v_cndmask_b32_e32 v53, v48, v39, vcc
	v_add_f32_e32 v48, 1.0, v53
	v_add_f32_e32 v38, -1.0, v48
	v_sub_f32_e32 v39, v38, v48
	v_add_f32_e32 v39, 1.0, v39
	v_sub_f32_e32 v38, v53, v38
	v_add_f32_e32 v49, v38, v39
	v_frexp_mant_f32_e32 v50, v48
	v_cvt_f64_f32_e32 v[38:39], v48
	v_frexp_exp_i32_f64_e32 v38, v[38:39]
	v_cmp_gt_f32_e32 vcc, s9, v50
	s_mov_b32 s9, 0x3f317218
	s_nop 0
	v_subbrev_co_u32_e32 v64, vcc, 0, v38, vcc
	v_sub_u32_e32 v38, 0, v64
	v_ldexp_f32 v39, v48, v38
	v_add_f32_e32 v48, -1.0, v39
	v_add_f32_e32 v50, 1.0, v39
	v_ldexp_f32 v38, v49, v38
	v_add_f32_e32 v49, 1.0, v48
	v_add_f32_e32 v51, -1.0, v50
	v_sub_f32_e32 v49, v39, v49
	v_sub_f32_e32 v39, v39, v51
	v_add_f32_e32 v49, v38, v49
	v_add_f32_e32 v38, v38, v39
	;; [unrolled: 1-line block ×3, first 2 shown]
	v_rcp_f32_e32 v70, v66
	v_sub_f32_e32 v39, v50, v66
	v_add_f32_e32 v67, v38, v39
	v_add_f32_e32 v39, v48, v49
	v_mul_f32_e32 v147, v39, v70
	v_sub_f32_e32 v38, v48, v39
	v_mul_f32_e32 v48, v66, v147
	v_fma_f32 v50, v147, v66, -v48
	v_fmac_f32_e32 v50, v147, v67
	v_add_f32_e32 v146, v49, v38
	v_add_f32_e32 v38, v48, v50
	v_sub_f32_e32 v49, v39, v38
	v_pk_add_f32 v[54:55], v[38:39], v[48:49] neg_lo:[0,1] neg_hi:[0,1]
	v_mov_b32_e32 v51, v38
	v_pk_add_f32 v[38:39], v[54:55], v[50:51] neg_lo:[0,1] neg_hi:[0,1]
	v_cmp_eq_f32_e32 vcc, s10, v53
	v_add_f32_e32 v39, v146, v39
	v_add_f32_e32 v38, v38, v39
	v_add_f32_e32 v39, v49, v38
	v_mul_f32_e32 v146, v70, v39
	v_mul_f32_e32 v48, v66, v146
	v_fma_f32 v50, v146, v66, -v48
	v_fmac_f32_e32 v50, v146, v67
	v_sub_f32_e32 v49, v49, v39
	v_add_f32_e32 v66, v38, v49
	v_add_f32_e32 v38, v48, v50
	v_sub_f32_e32 v49, v39, v38
	v_pk_add_f32 v[54:55], v[38:39], v[48:49] neg_lo:[0,1] neg_hi:[0,1]
	v_mov_b32_e32 v51, v38
	v_pk_add_f32 v[38:39], v[54:55], v[50:51] neg_lo:[0,1] neg_hi:[0,1]
	v_cvt_f32_i32_e32 v48, v64
	v_add_f32_e32 v39, v66, v39
	v_add_f32_e32 v38, v38, v39
	;; [unrolled: 1-line block ×4, first 2 shown]
	v_sub_f32_e32 v39, v49, v147
	v_mul_f32_e32 v38, v70, v38
	v_sub_f32_e32 v39, v146, v39
	v_add_f32_e32 v38, v39, v38
	v_add_f32_e32 v50, v49, v38
	v_mul_f32_e32 v54, v50, v50
	v_mov_b32_e32 v39, 0x3ecc95a3
	v_sub_f32_e32 v49, v50, v49
	v_fmac_f32_e32 v39, 0x3e9b6dac, v54
	v_sub_f32_e32 v38, v38, v49
	v_fmaak_f32 v39, v54, v39, 0x3f2aaada
	v_ldexp_f32 v55, v38, 1
	v_mul_f32_e32 v49, v50, v54
	v_mov_b32_e32 v38, 0x3f317218
	v_pk_mul_f32 v[38:39], v[48:49], v[38:39]
	v_ldexp_f32 v51, v50, 1
	v_fma_f32 v49, v48, s9, -v38
	v_fmamk_f32 v50, v48, 0xb102e308, v49
	v_pk_add_f32 v[48:49], v[38:39], v[50:51]
	v_mov_b32_e32 v54, v38
	v_sub_f32_e32 v51, v49, v51
	v_sub_f32_e32 v51, v39, v51
	v_add_f32_e32 v55, v55, v51
	v_pk_add_f32 v[38:39], v[48:49], v[38:39] neg_lo:[0,1] neg_hi:[0,1]
	v_pk_add_f32 v[66:67], v[48:49], v[54:55]
	v_mov_b32_e32 v51, v48
	v_mov_b32_e32 v39, v67
	v_pk_add_f32 v[146:147], v[50:51], v[38:39] neg_lo:[0,1] neg_hi:[0,1]
	v_pk_add_f32 v[38:39], v[50:51], v[38:39]
	v_mov_b32_e32 v54, v55
	v_mov_b32_e32 v50, v39
	v_pk_add_f32 v[148:149], v[50:51], v[48:49] neg_lo:[0,1] neg_hi:[0,1]
	v_mov_b32_e32 v38, v67
	v_mov_b32_e32 v51, v148
	v_pk_add_f32 v[150:151], v[66:67], v[50:51] neg_lo:[0,1] neg_hi:[0,1]
	v_mov_b32_e32 v66, v49
	v_mov_b32_e32 v67, v148
	;; [unrolled: 1-line block ×3, first 2 shown]
	v_pk_add_f32 v[38:39], v[38:39], v[66:67] neg_lo:[0,1] neg_hi:[0,1]
	v_mov_b32_e32 v55, v48
	v_pk_add_f32 v[38:39], v[54:55], v[38:39] neg_lo:[0,1] neg_hi:[0,1]
	v_mov_b32_e32 v150, v146
	v_pk_add_f32 v[48:49], v[150:151], v[38:39]
	s_mov_b32 s9, 0x33800000
	v_mov_b32_e32 v54, v49
	v_pk_add_f32 v[54:55], v[48:49], v[54:55]
	v_cmp_lt_f32_e64 s[10:11], |v53|, s9
	v_pk_add_f32 v[50:51], v[50:51], v[54:55]
	v_mov_b32_e32 v39, v54
	v_mov_b32_e32 v49, v50
	v_pk_add_f32 v[66:67], v[48:49], v[146:147] neg_lo:[0,1] neg_hi:[0,1]
	s_or_b64 vcc, vcc, s[10:11]
	v_sub_f32_e32 v48, v48, v66
	v_pk_add_f32 v[38:39], v[38:39], v[66:67] neg_lo:[0,1] neg_hi:[0,1]
	v_sub_f32_e32 v48, v146, v48
	v_add_f32_e32 v38, v38, v48
	v_add_f32_e32 v38, v38, v39
	;; [unrolled: 1-line block ×3, first 2 shown]
	v_cndmask_b32_e32 v38, v38, v53, vcc
	v_add_f32_e32 v39, v37, v38
.LBB519_226:
	s_or_b64 exec, exec, s[6:7]
	v_bfe_u32 v37, v39, 16, 1
	s_movk_i32 s9, 0x7fff
	v_add3_u32 v37, v39, v37, s9
	v_lshrrev_b32_e32 v37, 16, v37
	v_mov_b32_e32 v38, 0x7fc0
	v_cmp_o_f32_e32 vcc, v39, v39
	s_nop 1
	v_cndmask_b32_e32 v37, v38, v37, vcc
	v_lshlrev_b32_e32 v48, 16, v37
	v_max_f32_e32 v39, v48, v48
	v_min_f32_e32 v49, v39, v71
	v_cmp_u_f32_e32 vcc, v48, v48
	v_max_f32_e32 v39, v39, v71
	s_nop 0
	v_cndmask_b32_e32 v49, v49, v48, vcc
	v_cndmask_b32_e32 v39, v39, v48, vcc
	v_cndmask_b32_e64 v49, v49, v65, s[14:15]
	v_cndmask_b32_e64 v39, v39, v65, s[14:15]
	v_cmp_neq_f32_e32 vcc, v49, v39
	v_cmp_class_f32_e64 s[6:7], v49, s8
	s_or_b64 s[10:11], vcc, s[6:7]
	s_and_saveexec_b64 s[6:7], s[10:11]
	s_cbranch_execz .LBB519_228
; %bb.227:
	v_sub_f32_e32 v48, v49, v39
	s_mov_b32 s8, 0x3fb8aa3b
	v_mul_f32_e32 v49, 0x3fb8aa3b, v48
	v_fma_f32 v50, v48, s8, -v49
	v_rndne_f32_e32 v51, v49
	v_fmamk_f32 v50, v48, 0x32a5705f, v50
	v_sub_f32_e32 v49, v49, v51
	v_add_f32_e32 v49, v49, v50
	v_exp_f32_e32 v49, v49
	v_cvt_i32_f32_e32 v50, v51
	s_mov_b32 s8, 0xc2ce8ed0
	v_cmp_ngt_f32_e32 vcc, s8, v48
	s_mov_b32 s8, 0x42b17218
	v_ldexp_f32 v49, v49, v50
	v_cndmask_b32_e32 v49, 0, v49, vcc
	v_mov_b32_e32 v50, 0x7f800000
	v_cmp_nlt_f32_e32 vcc, s8, v48
	s_mov_b32 s8, 0x3f2aaaab
	s_mov_b32 s10, 0x7f800000
	v_cndmask_b32_e32 v150, v50, v49, vcc
	v_add_f32_e32 v50, 1.0, v150
	v_add_f32_e32 v48, -1.0, v50
	v_sub_f32_e32 v49, v48, v50
	v_add_f32_e32 v49, 1.0, v49
	v_sub_f32_e32 v48, v150, v48
	v_add_f32_e32 v51, v48, v49
	v_frexp_mant_f32_e32 v53, v50
	v_cvt_f64_f32_e32 v[48:49], v50
	v_frexp_exp_i32_f64_e32 v48, v[48:49]
	v_cmp_gt_f32_e32 vcc, s8, v53
	s_mov_b32 s8, 0x3f317218
	s_nop 0
	v_subbrev_co_u32_e32 v53, vcc, 0, v48, vcc
	v_sub_u32_e32 v48, 0, v53
	v_ldexp_f32 v49, v50, v48
	v_add_f32_e32 v50, -1.0, v49
	v_add_f32_e32 v54, 1.0, v49
	v_ldexp_f32 v48, v51, v48
	v_add_f32_e32 v51, 1.0, v50
	v_add_f32_e32 v55, -1.0, v54
	v_sub_f32_e32 v51, v49, v51
	v_sub_f32_e32 v49, v49, v55
	v_add_f32_e32 v51, v48, v51
	v_add_f32_e32 v48, v48, v49
	;; [unrolled: 1-line block ×3, first 2 shown]
	v_rcp_f32_e32 v70, v66
	v_sub_f32_e32 v49, v54, v66
	v_add_f32_e32 v67, v48, v49
	v_add_f32_e32 v49, v50, v51
	v_mul_f32_e32 v146, v49, v70
	v_sub_f32_e32 v48, v50, v49
	v_mul_f32_e32 v50, v66, v146
	v_fma_f32 v54, v146, v66, -v50
	v_fmac_f32_e32 v54, v146, v67
	v_add_f32_e32 v71, v51, v48
	v_add_f32_e32 v48, v50, v54
	v_sub_f32_e32 v51, v49, v48
	v_pk_add_f32 v[64:65], v[48:49], v[50:51] neg_lo:[0,1] neg_hi:[0,1]
	v_mov_b32_e32 v55, v48
	v_pk_add_f32 v[48:49], v[64:65], v[54:55] neg_lo:[0,1] neg_hi:[0,1]
	v_cmp_eq_f32_e32 vcc, s10, v150
	v_add_f32_e32 v49, v71, v49
	v_add_f32_e32 v48, v48, v49
	v_add_f32_e32 v49, v51, v48
	v_mul_f32_e32 v71, v70, v49
	v_mul_f32_e32 v50, v66, v71
	v_fma_f32 v54, v71, v66, -v50
	v_fmac_f32_e32 v54, v71, v67
	v_sub_f32_e32 v51, v51, v49
	v_add_f32_e32 v66, v48, v51
	v_add_f32_e32 v48, v50, v54
	v_sub_f32_e32 v51, v49, v48
	v_pk_add_f32 v[64:65], v[48:49], v[50:51] neg_lo:[0,1] neg_hi:[0,1]
	v_mov_b32_e32 v55, v48
	v_pk_add_f32 v[48:49], v[64:65], v[54:55] neg_lo:[0,1] neg_hi:[0,1]
	v_cvt_f32_i32_e32 v50, v53
	v_add_f32_e32 v49, v66, v49
	v_add_f32_e32 v48, v48, v49
	;; [unrolled: 1-line block ×4, first 2 shown]
	v_sub_f32_e32 v49, v51, v146
	v_mul_f32_e32 v48, v70, v48
	v_sub_f32_e32 v49, v71, v49
	v_add_f32_e32 v48, v49, v48
	v_add_f32_e32 v54, v51, v48
	v_mul_f32_e32 v64, v54, v54
	v_mov_b32_e32 v49, 0x3ecc95a3
	v_sub_f32_e32 v51, v54, v51
	v_fmac_f32_e32 v49, 0x3e9b6dac, v64
	v_sub_f32_e32 v48, v48, v51
	v_fmaak_f32 v49, v64, v49, 0x3f2aaada
	v_ldexp_f32 v53, v48, 1
	v_mul_f32_e32 v51, v54, v64
	v_mov_b32_e32 v48, 0x3f317218
	v_pk_mul_f32 v[48:49], v[50:51], v[48:49]
	v_ldexp_f32 v55, v54, 1
	v_fma_f32 v51, v50, s8, -v48
	v_fmamk_f32 v54, v50, 0xb102e308, v51
	v_pk_add_f32 v[50:51], v[48:49], v[54:55]
	v_mov_b32_e32 v64, v48
	v_sub_f32_e32 v55, v51, v55
	v_sub_f32_e32 v55, v49, v55
	v_add_f32_e32 v65, v53, v55
	v_pk_add_f32 v[48:49], v[50:51], v[48:49] neg_lo:[0,1] neg_hi:[0,1]
	v_pk_add_f32 v[66:67], v[50:51], v[64:65]
	v_mov_b32_e32 v55, v50
	v_mov_b32_e32 v49, v67
	v_pk_add_f32 v[70:71], v[54:55], v[48:49] neg_lo:[0,1] neg_hi:[0,1]
	v_pk_add_f32 v[48:49], v[54:55], v[48:49]
	v_mov_b32_e32 v64, v65
	v_mov_b32_e32 v54, v49
	v_pk_add_f32 v[146:147], v[54:55], v[50:51] neg_lo:[0,1] neg_hi:[0,1]
	v_mov_b32_e32 v48, v67
	v_mov_b32_e32 v53, v146
	v_pk_add_f32 v[148:149], v[66:67], v[52:53] neg_lo:[0,1] neg_hi:[0,1]
	v_mov_b32_e32 v66, v51
	v_mov_b32_e32 v67, v146
	v_mov_b32_e32 v71, v49
	v_pk_add_f32 v[48:49], v[48:49], v[66:67] neg_lo:[0,1] neg_hi:[0,1]
	v_mov_b32_e32 v65, v50
	v_pk_add_f32 v[48:49], v[64:65], v[48:49] neg_lo:[0,1] neg_hi:[0,1]
	v_mov_b32_e32 v148, v70
	v_pk_add_f32 v[50:51], v[148:149], v[48:49]
	s_mov_b32 s8, 0x33800000
	v_mov_b32_e32 v64, v51
	v_pk_add_f32 v[64:65], v[50:51], v[64:65]
	v_cmp_lt_f32_e64 s[10:11], |v150|, s8
	v_pk_add_f32 v[54:55], v[54:55], v[64:65]
	v_mov_b32_e32 v49, v64
	v_mov_b32_e32 v51, v54
	v_pk_add_f32 v[66:67], v[50:51], v[70:71] neg_lo:[0,1] neg_hi:[0,1]
	s_or_b64 vcc, vcc, s[10:11]
	v_sub_f32_e32 v50, v50, v66
	v_pk_add_f32 v[48:49], v[48:49], v[66:67] neg_lo:[0,1] neg_hi:[0,1]
	v_sub_f32_e32 v50, v70, v50
	v_add_f32_e32 v48, v48, v50
	v_add_f32_e32 v48, v48, v49
	;; [unrolled: 1-line block ×3, first 2 shown]
	v_cndmask_b32_e32 v48, v48, v150, vcc
	v_add_f32_e32 v48, v39, v48
.LBB519_228:
	s_or_b64 exec, exec, s[6:7]
	v_bfe_u32 v39, v48, 16, 1
	v_add3_u32 v39, v48, v39, s9
	v_lshrrev_b32_e32 v39, 16, v39
	v_cmp_o_f32_e32 vcc, v48, v48
	s_movk_i32 s8, 0x1f8
	s_nop 0
	v_cndmask_b32_e32 v38, v38, v39, vcc
	v_lshlrev_b32_e32 v49, 16, v38
	v_max_f32_e32 v39, v49, v49
	v_min_f32_e32 v48, v39, v82
	v_cmp_u_f32_e32 vcc, v49, v49
	v_max_f32_e32 v39, v39, v82
	s_nop 0
	v_cndmask_b32_e32 v48, v48, v49, vcc
	v_cndmask_b32_e32 v39, v39, v49, vcc
	v_cndmask_b32_e64 v48, v48, v68, s[16:17]
	v_cndmask_b32_e64 v39, v39, v68, s[16:17]
	v_cmp_neq_f32_e32 vcc, v48, v39
	v_cmp_class_f32_e64 s[6:7], v48, s8
	s_or_b64 s[10:11], vcc, s[6:7]
	s_and_saveexec_b64 s[6:7], s[10:11]
	s_cbranch_execz .LBB519_230
; %bb.229:
	v_sub_f32_e32 v48, v48, v39
	s_mov_b32 s9, 0x3fb8aa3b
	v_mul_f32_e32 v49, 0x3fb8aa3b, v48
	v_fma_f32 v50, v48, s9, -v49
	v_rndne_f32_e32 v51, v49
	v_fmamk_f32 v50, v48, 0x32a5705f, v50
	v_sub_f32_e32 v49, v49, v51
	v_add_f32_e32 v49, v49, v50
	v_exp_f32_e32 v49, v49
	v_cvt_i32_f32_e32 v50, v51
	s_mov_b32 s9, 0xc2ce8ed0
	v_cmp_ngt_f32_e32 vcc, s9, v48
	s_mov_b32 s9, 0x42b17218
	v_ldexp_f32 v49, v49, v50
	v_cndmask_b32_e32 v49, 0, v49, vcc
	v_mov_b32_e32 v50, 0x7f800000
	v_cmp_nlt_f32_e32 vcc, s9, v48
	s_mov_b32 s9, 0x3f2aaaab
	s_mov_b32 s10, 0x7f800000
	v_cndmask_b32_e32 v68, v50, v49, vcc
	v_add_f32_e32 v50, 1.0, v68
	v_add_f32_e32 v48, -1.0, v50
	v_sub_f32_e32 v49, v48, v50
	v_add_f32_e32 v49, 1.0, v49
	v_sub_f32_e32 v48, v68, v48
	v_add_f32_e32 v51, v48, v49
	v_frexp_mant_f32_e32 v53, v50
	v_cvt_f64_f32_e32 v[48:49], v50
	v_frexp_exp_i32_f64_e32 v48, v[48:49]
	v_cmp_gt_f32_e32 vcc, s9, v53
	s_mov_b32 s9, 0x3f317218
	s_nop 0
	v_subbrev_co_u32_e32 v53, vcc, 0, v48, vcc
	v_sub_u32_e32 v48, 0, v53
	v_ldexp_f32 v49, v50, v48
	v_add_f32_e32 v50, -1.0, v49
	v_add_f32_e32 v54, 1.0, v49
	v_ldexp_f32 v48, v51, v48
	v_add_f32_e32 v51, 1.0, v50
	v_add_f32_e32 v55, -1.0, v54
	v_sub_f32_e32 v51, v49, v51
	v_sub_f32_e32 v49, v49, v55
	v_add_f32_e32 v51, v48, v51
	v_add_f32_e32 v48, v48, v49
	;; [unrolled: 1-line block ×3, first 2 shown]
	v_rcp_f32_e32 v70, v66
	v_sub_f32_e32 v49, v54, v66
	v_add_f32_e32 v67, v48, v49
	v_add_f32_e32 v49, v50, v51
	v_mul_f32_e32 v82, v49, v70
	v_sub_f32_e32 v48, v50, v49
	v_mul_f32_e32 v50, v66, v82
	v_fma_f32 v54, v82, v66, -v50
	v_fmac_f32_e32 v54, v82, v67
	v_add_f32_e32 v71, v51, v48
	v_add_f32_e32 v48, v50, v54
	v_sub_f32_e32 v51, v49, v48
	v_pk_add_f32 v[64:65], v[48:49], v[50:51] neg_lo:[0,1] neg_hi:[0,1]
	v_mov_b32_e32 v55, v48
	v_pk_add_f32 v[48:49], v[64:65], v[54:55] neg_lo:[0,1] neg_hi:[0,1]
	v_cmp_eq_f32_e32 vcc, s10, v68
	v_add_f32_e32 v49, v71, v49
	v_add_f32_e32 v48, v48, v49
	;; [unrolled: 1-line block ×3, first 2 shown]
	v_mul_f32_e32 v71, v70, v49
	v_mul_f32_e32 v50, v66, v71
	v_fma_f32 v54, v71, v66, -v50
	v_fmac_f32_e32 v54, v71, v67
	v_sub_f32_e32 v51, v51, v49
	v_add_f32_e32 v66, v48, v51
	v_add_f32_e32 v48, v50, v54
	v_sub_f32_e32 v51, v49, v48
	v_pk_add_f32 v[64:65], v[48:49], v[50:51] neg_lo:[0,1] neg_hi:[0,1]
	v_mov_b32_e32 v55, v48
	v_pk_add_f32 v[48:49], v[64:65], v[54:55] neg_lo:[0,1] neg_hi:[0,1]
	v_cvt_f32_i32_e32 v50, v53
	v_add_f32_e32 v49, v66, v49
	v_add_f32_e32 v48, v48, v49
	;; [unrolled: 1-line block ×4, first 2 shown]
	v_sub_f32_e32 v49, v51, v82
	v_mul_f32_e32 v48, v70, v48
	v_sub_f32_e32 v49, v71, v49
	v_add_f32_e32 v48, v49, v48
	v_add_f32_e32 v54, v51, v48
	v_mul_f32_e32 v64, v54, v54
	v_mov_b32_e32 v49, 0x3ecc95a3
	v_sub_f32_e32 v51, v54, v51
	v_fmac_f32_e32 v49, 0x3e9b6dac, v64
	v_sub_f32_e32 v48, v48, v51
	v_fmaak_f32 v49, v64, v49, 0x3f2aaada
	v_ldexp_f32 v53, v48, 1
	v_mul_f32_e32 v51, v54, v64
	v_mov_b32_e32 v48, 0x3f317218
	v_pk_mul_f32 v[48:49], v[50:51], v[48:49]
	v_ldexp_f32 v55, v54, 1
	v_fma_f32 v51, v50, s9, -v48
	v_fmamk_f32 v54, v50, 0xb102e308, v51
	v_pk_add_f32 v[50:51], v[48:49], v[54:55]
	v_mov_b32_e32 v64, v48
	v_sub_f32_e32 v55, v51, v55
	v_sub_f32_e32 v55, v49, v55
	v_add_f32_e32 v65, v53, v55
	v_pk_add_f32 v[48:49], v[50:51], v[48:49] neg_lo:[0,1] neg_hi:[0,1]
	v_pk_add_f32 v[66:67], v[50:51], v[64:65]
	v_mov_b32_e32 v55, v50
	v_mov_b32_e32 v49, v67
	v_pk_add_f32 v[70:71], v[54:55], v[48:49] neg_lo:[0,1] neg_hi:[0,1]
	v_pk_add_f32 v[48:49], v[54:55], v[48:49]
	v_mov_b32_e32 v64, v65
	v_mov_b32_e32 v54, v49
	v_pk_add_f32 v[146:147], v[54:55], v[50:51] neg_lo:[0,1] neg_hi:[0,1]
	v_mov_b32_e32 v48, v67
	v_mov_b32_e32 v53, v146
	v_pk_add_f32 v[148:149], v[66:67], v[52:53] neg_lo:[0,1] neg_hi:[0,1]
	v_mov_b32_e32 v66, v51
	v_mov_b32_e32 v67, v146
	v_mov_b32_e32 v71, v49
	v_pk_add_f32 v[48:49], v[48:49], v[66:67] neg_lo:[0,1] neg_hi:[0,1]
	v_mov_b32_e32 v65, v50
	v_pk_add_f32 v[48:49], v[64:65], v[48:49] neg_lo:[0,1] neg_hi:[0,1]
	v_mov_b32_e32 v148, v70
	v_pk_add_f32 v[50:51], v[148:149], v[48:49]
	s_mov_b32 s9, 0x33800000
	v_mov_b32_e32 v64, v51
	v_pk_add_f32 v[64:65], v[50:51], v[64:65]
	v_cmp_lt_f32_e64 s[10:11], |v68|, s9
	v_pk_add_f32 v[54:55], v[54:55], v[64:65]
	v_mov_b32_e32 v49, v64
	v_mov_b32_e32 v51, v54
	v_pk_add_f32 v[66:67], v[50:51], v[70:71] neg_lo:[0,1] neg_hi:[0,1]
	s_or_b64 vcc, vcc, s[10:11]
	v_sub_f32_e32 v50, v50, v66
	v_pk_add_f32 v[48:49], v[48:49], v[66:67] neg_lo:[0,1] neg_hi:[0,1]
	v_sub_f32_e32 v50, v70, v50
	v_add_f32_e32 v48, v48, v50
	v_add_f32_e32 v48, v48, v49
	;; [unrolled: 1-line block ×3, first 2 shown]
	v_cndmask_b32_e32 v48, v48, v68, vcc
	v_add_f32_e32 v49, v39, v48
.LBB519_230:
	s_or_b64 exec, exec, s[6:7]
	v_bfe_u32 v39, v49, 16, 1
	s_movk_i32 s9, 0x7fff
	v_add3_u32 v39, v49, v39, s9
	v_lshrrev_b32_e32 v39, 16, v39
	v_mov_b32_e32 v48, 0x7fc0
	v_cmp_o_f32_e32 vcc, v49, v49
	s_nop 1
	v_cndmask_b32_e32 v39, v48, v39, vcc
	v_lshlrev_b32_e32 v50, 16, v39
	v_max_f32_e32 v49, v50, v50
	v_min_f32_e32 v51, v49, v83
	v_cmp_u_f32_e32 vcc, v50, v50
	v_max_f32_e32 v49, v49, v83
	s_nop 0
	v_cndmask_b32_e32 v51, v51, v50, vcc
	v_cndmask_b32_e32 v49, v49, v50, vcc
	v_cndmask_b32_e64 v51, v51, v69, s[18:19]
	v_cndmask_b32_e64 v49, v49, v69, s[18:19]
	v_cmp_neq_f32_e32 vcc, v51, v49
	v_cmp_class_f32_e64 s[6:7], v51, s8
	s_or_b64 s[10:11], vcc, s[6:7]
	s_and_saveexec_b64 s[6:7], s[10:11]
	s_cbranch_execz .LBB519_232
; %bb.231:
	v_sub_f32_e32 v50, v51, v49
	s_mov_b32 s8, 0x3fb8aa3b
	v_mul_f32_e32 v51, 0x3fb8aa3b, v50
	v_fma_f32 v53, v50, s8, -v51
	v_rndne_f32_e32 v54, v51
	v_fmamk_f32 v53, v50, 0x32a5705f, v53
	v_sub_f32_e32 v51, v51, v54
	v_add_f32_e32 v51, v51, v53
	v_exp_f32_e32 v51, v51
	v_cvt_i32_f32_e32 v53, v54
	s_mov_b32 s8, 0xc2ce8ed0
	v_cmp_ngt_f32_e32 vcc, s8, v50
	s_mov_b32 s8, 0x42b17218
	v_ldexp_f32 v51, v51, v53
	v_cndmask_b32_e32 v51, 0, v51, vcc
	v_mov_b32_e32 v53, 0x7f800000
	v_cmp_nlt_f32_e32 vcc, s8, v50
	s_mov_b32 s8, 0x3f2aaaab
	s_mov_b32 s10, 0x7f800000
	v_cndmask_b32_e32 v148, v53, v51, vcc
	v_add_f32_e32 v53, 1.0, v148
	v_add_f32_e32 v50, -1.0, v53
	v_sub_f32_e32 v51, v50, v53
	v_add_f32_e32 v51, 1.0, v51
	v_sub_f32_e32 v50, v148, v50
	v_add_f32_e32 v54, v50, v51
	v_frexp_mant_f32_e32 v55, v53
	v_cvt_f64_f32_e32 v[50:51], v53
	v_frexp_exp_i32_f64_e32 v50, v[50:51]
	v_cmp_gt_f32_e32 vcc, s8, v55
	s_mov_b32 s8, 0x3f317218
	s_nop 0
	v_subbrev_co_u32_e32 v68, vcc, 0, v50, vcc
	v_sub_u32_e32 v50, 0, v68
	v_ldexp_f32 v51, v53, v50
	v_add_f32_e32 v53, -1.0, v51
	v_add_f32_e32 v55, 1.0, v51
	v_ldexp_f32 v50, v54, v50
	v_add_f32_e32 v54, 1.0, v53
	v_add_f32_e32 v64, -1.0, v55
	v_sub_f32_e32 v54, v51, v54
	v_sub_f32_e32 v51, v51, v64
	v_add_f32_e32 v54, v50, v54
	v_add_f32_e32 v50, v50, v51
	;; [unrolled: 1-line block ×3, first 2 shown]
	v_rcp_f32_e32 v71, v69
	v_sub_f32_e32 v51, v55, v69
	v_add_f32_e32 v70, v50, v51
	v_add_f32_e32 v51, v53, v54
	v_sub_f32_e32 v50, v53, v51
	v_mul_f32_e32 v82, v51, v71
	v_add_f32_e32 v53, v54, v50
	v_mul_f32_e32 v54, v69, v82
	v_fma_f32 v64, v82, v69, -v54
	v_fmac_f32_e32 v64, v82, v70
	v_add_f32_e32 v50, v54, v64
	v_sub_f32_e32 v55, v51, v50
	v_pk_add_f32 v[66:67], v[50:51], v[54:55] neg_lo:[0,1] neg_hi:[0,1]
	v_mov_b32_e32 v65, v50
	v_pk_add_f32 v[50:51], v[66:67], v[64:65] neg_lo:[0,1] neg_hi:[0,1]
	v_cmp_eq_f32_e32 vcc, s10, v148
	v_add_f32_e32 v51, v53, v51
	v_add_f32_e32 v50, v50, v51
	;; [unrolled: 1-line block ×3, first 2 shown]
	v_mul_f32_e32 v53, v71, v51
	v_mul_f32_e32 v54, v69, v53
	v_fma_f32 v64, v53, v69, -v54
	v_fmac_f32_e32 v64, v53, v70
	v_sub_f32_e32 v55, v55, v51
	v_add_f32_e32 v69, v50, v55
	v_add_f32_e32 v50, v54, v64
	v_sub_f32_e32 v55, v51, v50
	v_pk_add_f32 v[66:67], v[50:51], v[54:55] neg_lo:[0,1] neg_hi:[0,1]
	v_mov_b32_e32 v65, v50
	v_pk_add_f32 v[50:51], v[66:67], v[64:65] neg_lo:[0,1] neg_hi:[0,1]
	v_cvt_f32_i32_e32 v54, v68
	v_add_f32_e32 v51, v69, v51
	v_add_f32_e32 v50, v50, v51
	;; [unrolled: 1-line block ×4, first 2 shown]
	v_sub_f32_e32 v51, v55, v82
	v_mul_f32_e32 v50, v71, v50
	v_sub_f32_e32 v51, v53, v51
	v_add_f32_e32 v50, v51, v50
	v_add_f32_e32 v53, v55, v50
	v_mul_f32_e32 v64, v53, v53
	v_mov_b32_e32 v51, 0x3ecc95a3
	v_sub_f32_e32 v55, v53, v55
	v_fmac_f32_e32 v51, 0x3e9b6dac, v64
	v_sub_f32_e32 v50, v50, v55
	v_fmaak_f32 v51, v64, v51, 0x3f2aaada
	v_ldexp_f32 v66, v50, 1
	v_mul_f32_e32 v55, v53, v64
	v_mov_b32_e32 v50, 0x3f317218
	v_pk_mul_f32 v[50:51], v[54:55], v[50:51]
	v_ldexp_f32 v65, v53, 1
	v_fma_f32 v53, v54, s8, -v50
	v_fmamk_f32 v64, v54, 0xb102e308, v53
	v_pk_add_f32 v[54:55], v[50:51], v[64:65]
	s_mov_b32 s8, 0x33800000
	v_sub_f32_e32 v53, v55, v65
	v_sub_f32_e32 v53, v51, v53
	v_add_f32_e32 v67, v66, v53
	v_mov_b32_e32 v66, v50
	v_pk_add_f32 v[50:51], v[54:55], v[50:51] neg_lo:[0,1] neg_hi:[0,1]
	v_pk_add_f32 v[68:69], v[54:55], v[66:67]
	v_mov_b32_e32 v65, v54
	v_mov_b32_e32 v51, v69
	v_pk_add_f32 v[70:71], v[64:65], v[50:51] neg_lo:[0,1] neg_hi:[0,1]
	v_pk_add_f32 v[50:51], v[64:65], v[50:51]
	v_mov_b32_e32 v66, v67
	v_mov_b32_e32 v64, v51
	v_pk_add_f32 v[82:83], v[64:65], v[54:55] neg_lo:[0,1] neg_hi:[0,1]
	v_mov_b32_e32 v50, v69
	v_mov_b32_e32 v53, v82
	v_pk_add_f32 v[146:147], v[68:69], v[52:53] neg_lo:[0,1] neg_hi:[0,1]
	v_mov_b32_e32 v68, v55
	v_mov_b32_e32 v69, v82
	;; [unrolled: 1-line block ×3, first 2 shown]
	v_pk_add_f32 v[50:51], v[50:51], v[68:69] neg_lo:[0,1] neg_hi:[0,1]
	v_mov_b32_e32 v67, v54
	v_pk_add_f32 v[50:51], v[66:67], v[50:51] neg_lo:[0,1] neg_hi:[0,1]
	v_mov_b32_e32 v146, v70
	v_pk_add_f32 v[54:55], v[146:147], v[50:51]
	v_cmp_lt_f32_e64 s[10:11], |v148|, s8
	v_mov_b32_e32 v66, v55
	v_pk_add_f32 v[66:67], v[54:55], v[66:67]
	s_or_b64 vcc, vcc, s[10:11]
	v_pk_add_f32 v[64:65], v[64:65], v[66:67]
	v_mov_b32_e32 v51, v66
	v_mov_b32_e32 v55, v64
	v_pk_add_f32 v[68:69], v[54:55], v[70:71] neg_lo:[0,1] neg_hi:[0,1]
	s_nop 0
	v_sub_f32_e32 v53, v54, v68
	v_pk_add_f32 v[50:51], v[50:51], v[68:69] neg_lo:[0,1] neg_hi:[0,1]
	v_sub_f32_e32 v53, v70, v53
	v_add_f32_e32 v50, v50, v53
	v_add_f32_e32 v50, v50, v51
	;; [unrolled: 1-line block ×3, first 2 shown]
	v_cndmask_b32_e32 v50, v50, v148, vcc
	v_add_f32_e32 v50, v49, v50
.LBB519_232:
	s_or_b64 exec, exec, s[6:7]
	v_bfe_u32 v49, v50, 16, 1
	v_add3_u32 v49, v50, v49, s9
	v_lshrrev_b32_e32 v49, 16, v49
	v_cmp_o_f32_e32 vcc, v50, v50
	s_movk_i32 s8, 0x1f8
	s_nop 0
	v_cndmask_b32_e32 v49, v48, v49, vcc
	v_lshlrev_b32_e32 v51, 16, v49
	v_max_f32_e32 v48, v51, v51
	v_min_f32_e32 v50, v48, v86
	v_cmp_u_f32_e32 vcc, v51, v51
	v_max_f32_e32 v48, v48, v86
	s_nop 0
	v_cndmask_b32_e32 v50, v50, v51, vcc
	v_cndmask_b32_e32 v48, v48, v51, vcc
	v_cndmask_b32_e64 v50, v50, v80, s[20:21]
	v_cndmask_b32_e64 v48, v48, v80, s[20:21]
	v_cmp_neq_f32_e32 vcc, v50, v48
	v_cmp_class_f32_e64 s[6:7], v50, s8
	s_or_b64 s[10:11], vcc, s[6:7]
	s_and_saveexec_b64 s[6:7], s[10:11]
	s_cbranch_execz .LBB519_234
; %bb.233:
	v_sub_f32_e32 v50, v50, v48
	s_mov_b32 s9, 0x3fb8aa3b
	v_mul_f32_e32 v51, 0x3fb8aa3b, v50
	v_fma_f32 v53, v50, s9, -v51
	v_rndne_f32_e32 v54, v51
	v_fmamk_f32 v53, v50, 0x32a5705f, v53
	v_sub_f32_e32 v51, v51, v54
	v_add_f32_e32 v51, v51, v53
	v_exp_f32_e32 v51, v51
	v_cvt_i32_f32_e32 v53, v54
	s_mov_b32 s9, 0xc2ce8ed0
	v_cmp_ngt_f32_e32 vcc, s9, v50
	s_mov_b32 s9, 0x42b17218
	v_ldexp_f32 v51, v51, v53
	v_cndmask_b32_e32 v51, 0, v51, vcc
	v_mov_b32_e32 v53, 0x7f800000
	v_cmp_nlt_f32_e32 vcc, s9, v50
	s_mov_b32 s9, 0x3f2aaaab
	s_mov_b32 s10, 0x7f800000
	v_cndmask_b32_e32 v80, v53, v51, vcc
	v_add_f32_e32 v53, 1.0, v80
	v_add_f32_e32 v50, -1.0, v53
	v_sub_f32_e32 v51, v50, v53
	v_add_f32_e32 v51, 1.0, v51
	v_sub_f32_e32 v50, v80, v50
	v_add_f32_e32 v54, v50, v51
	v_frexp_mant_f32_e32 v55, v53
	v_cvt_f64_f32_e32 v[50:51], v53
	v_frexp_exp_i32_f64_e32 v50, v[50:51]
	v_cmp_gt_f32_e32 vcc, s9, v55
	s_mov_b32 s9, 0x3f317218
	s_nop 0
	v_subbrev_co_u32_e32 v68, vcc, 0, v50, vcc
	v_sub_u32_e32 v50, 0, v68
	v_ldexp_f32 v51, v53, v50
	v_add_f32_e32 v53, -1.0, v51
	v_add_f32_e32 v55, 1.0, v51
	v_ldexp_f32 v50, v54, v50
	v_add_f32_e32 v54, 1.0, v53
	v_add_f32_e32 v64, -1.0, v55
	v_sub_f32_e32 v54, v51, v54
	v_sub_f32_e32 v51, v51, v64
	v_add_f32_e32 v54, v50, v54
	v_add_f32_e32 v50, v50, v51
	;; [unrolled: 1-line block ×3, first 2 shown]
	v_rcp_f32_e32 v71, v69
	v_sub_f32_e32 v51, v55, v69
	v_add_f32_e32 v70, v50, v51
	v_add_f32_e32 v51, v53, v54
	v_sub_f32_e32 v50, v53, v51
	v_mul_f32_e32 v82, v51, v71
	v_add_f32_e32 v53, v54, v50
	v_mul_f32_e32 v54, v69, v82
	v_fma_f32 v64, v82, v69, -v54
	v_fmac_f32_e32 v64, v82, v70
	v_add_f32_e32 v50, v54, v64
	v_sub_f32_e32 v55, v51, v50
	v_pk_add_f32 v[66:67], v[50:51], v[54:55] neg_lo:[0,1] neg_hi:[0,1]
	v_mov_b32_e32 v65, v50
	v_pk_add_f32 v[50:51], v[66:67], v[64:65] neg_lo:[0,1] neg_hi:[0,1]
	v_cmp_eq_f32_e32 vcc, s10, v80
	v_add_f32_e32 v51, v53, v51
	v_add_f32_e32 v50, v50, v51
	;; [unrolled: 1-line block ×3, first 2 shown]
	v_mul_f32_e32 v53, v71, v51
	v_mul_f32_e32 v54, v69, v53
	v_fma_f32 v64, v53, v69, -v54
	v_fmac_f32_e32 v64, v53, v70
	v_sub_f32_e32 v55, v55, v51
	v_add_f32_e32 v69, v50, v55
	v_add_f32_e32 v50, v54, v64
	v_sub_f32_e32 v55, v51, v50
	v_pk_add_f32 v[66:67], v[50:51], v[54:55] neg_lo:[0,1] neg_hi:[0,1]
	v_mov_b32_e32 v65, v50
	v_pk_add_f32 v[50:51], v[66:67], v[64:65] neg_lo:[0,1] neg_hi:[0,1]
	v_cvt_f32_i32_e32 v54, v68
	v_add_f32_e32 v51, v69, v51
	v_add_f32_e32 v50, v50, v51
	v_add_f32_e32 v50, v55, v50
	v_add_f32_e32 v55, v82, v53
	v_sub_f32_e32 v51, v55, v82
	v_mul_f32_e32 v50, v71, v50
	v_sub_f32_e32 v51, v53, v51
	v_add_f32_e32 v50, v51, v50
	v_add_f32_e32 v53, v55, v50
	v_mul_f32_e32 v64, v53, v53
	v_mov_b32_e32 v51, 0x3ecc95a3
	v_sub_f32_e32 v55, v53, v55
	v_fmac_f32_e32 v51, 0x3e9b6dac, v64
	v_sub_f32_e32 v50, v50, v55
	v_fmaak_f32 v51, v64, v51, 0x3f2aaada
	v_ldexp_f32 v66, v50, 1
	v_mul_f32_e32 v55, v53, v64
	v_mov_b32_e32 v50, 0x3f317218
	v_pk_mul_f32 v[50:51], v[54:55], v[50:51]
	v_ldexp_f32 v65, v53, 1
	v_fma_f32 v53, v54, s9, -v50
	v_fmamk_f32 v64, v54, 0xb102e308, v53
	v_pk_add_f32 v[54:55], v[50:51], v[64:65]
	s_mov_b32 s9, 0x33800000
	v_sub_f32_e32 v53, v55, v65
	v_sub_f32_e32 v53, v51, v53
	v_add_f32_e32 v67, v66, v53
	v_mov_b32_e32 v66, v50
	v_pk_add_f32 v[50:51], v[54:55], v[50:51] neg_lo:[0,1] neg_hi:[0,1]
	v_pk_add_f32 v[68:69], v[54:55], v[66:67]
	v_mov_b32_e32 v65, v54
	v_mov_b32_e32 v51, v69
	v_pk_add_f32 v[70:71], v[64:65], v[50:51] neg_lo:[0,1] neg_hi:[0,1]
	v_pk_add_f32 v[50:51], v[64:65], v[50:51]
	v_mov_b32_e32 v66, v67
	v_mov_b32_e32 v64, v51
	v_pk_add_f32 v[82:83], v[64:65], v[54:55] neg_lo:[0,1] neg_hi:[0,1]
	v_mov_b32_e32 v50, v69
	v_mov_b32_e32 v53, v82
	v_pk_add_f32 v[146:147], v[68:69], v[52:53] neg_lo:[0,1] neg_hi:[0,1]
	v_mov_b32_e32 v68, v55
	v_mov_b32_e32 v69, v82
	v_mov_b32_e32 v71, v51
	v_pk_add_f32 v[50:51], v[50:51], v[68:69] neg_lo:[0,1] neg_hi:[0,1]
	v_mov_b32_e32 v67, v54
	v_pk_add_f32 v[50:51], v[66:67], v[50:51] neg_lo:[0,1] neg_hi:[0,1]
	v_mov_b32_e32 v146, v70
	v_pk_add_f32 v[54:55], v[146:147], v[50:51]
	v_cmp_lt_f32_e64 s[10:11], |v80|, s9
	v_mov_b32_e32 v66, v55
	v_pk_add_f32 v[66:67], v[54:55], v[66:67]
	s_or_b64 vcc, vcc, s[10:11]
	v_pk_add_f32 v[64:65], v[64:65], v[66:67]
	v_mov_b32_e32 v51, v66
	v_mov_b32_e32 v55, v64
	v_pk_add_f32 v[68:69], v[54:55], v[70:71] neg_lo:[0,1] neg_hi:[0,1]
	s_nop 0
	v_sub_f32_e32 v53, v54, v68
	v_pk_add_f32 v[50:51], v[50:51], v[68:69] neg_lo:[0,1] neg_hi:[0,1]
	v_sub_f32_e32 v53, v70, v53
	v_add_f32_e32 v50, v50, v53
	v_add_f32_e32 v50, v50, v51
	;; [unrolled: 1-line block ×3, first 2 shown]
	v_cndmask_b32_e32 v50, v50, v80, vcc
	v_add_f32_e32 v51, v48, v50
.LBB519_234:
	s_or_b64 exec, exec, s[6:7]
	v_bfe_u32 v48, v51, 16, 1
	s_movk_i32 s9, 0x7fff
	v_add3_u32 v48, v51, v48, s9
	v_lshrrev_b32_e32 v48, 16, v48
	v_mov_b32_e32 v50, 0x7fc0
	v_cmp_o_f32_e32 vcc, v51, v51
	s_nop 1
	v_cndmask_b32_e32 v48, v50, v48, vcc
	v_lshlrev_b32_e32 v53, 16, v48
	v_max_f32_e32 v51, v53, v53
	v_min_f32_e32 v54, v51, v87
	v_cmp_u_f32_e32 vcc, v53, v53
	v_max_f32_e32 v51, v51, v87
	s_nop 0
	v_cndmask_b32_e32 v54, v54, v53, vcc
	v_cndmask_b32_e32 v51, v51, v53, vcc
	v_cndmask_b32_e64 v54, v54, v81, s[22:23]
	v_cndmask_b32_e64 v51, v51, v81, s[22:23]
	v_cmp_neq_f32_e32 vcc, v54, v51
	v_cmp_class_f32_e64 s[6:7], v54, s8
	s_or_b64 s[10:11], vcc, s[6:7]
	s_and_saveexec_b64 s[6:7], s[10:11]
	s_cbranch_execz .LBB519_236
; %bb.235:
	v_sub_f32_e32 v53, v54, v51
	s_mov_b32 s8, 0x3fb8aa3b
	v_mul_f32_e32 v54, 0x3fb8aa3b, v53
	v_fma_f32 v55, v53, s8, -v54
	v_rndne_f32_e32 v64, v54
	v_fmamk_f32 v55, v53, 0x32a5705f, v55
	v_sub_f32_e32 v54, v54, v64
	v_add_f32_e32 v54, v54, v55
	v_exp_f32_e32 v54, v54
	v_cvt_i32_f32_e32 v55, v64
	s_mov_b32 s8, 0xc2ce8ed0
	v_cmp_ngt_f32_e32 vcc, s8, v53
	s_mov_b32 s8, 0x42b17218
	v_ldexp_f32 v54, v54, v55
	v_cndmask_b32_e32 v54, 0, v54, vcc
	v_mov_b32_e32 v55, 0x7f800000
	v_cmp_nlt_f32_e32 vcc, s8, v53
	s_mov_b32 s8, 0x3f2aaaab
	s_mov_b32 s10, 0x7f800000
	v_cndmask_b32_e32 v146, v55, v54, vcc
	v_add_f32_e32 v53, 1.0, v146
	v_add_f32_e32 v54, -1.0, v53
	v_sub_f32_e32 v55, v54, v53
	v_add_f32_e32 v55, 1.0, v55
	v_sub_f32_e32 v54, v146, v54
	v_add_f32_e32 v64, v54, v55
	v_frexp_mant_f32_e32 v65, v53
	v_cvt_f64_f32_e32 v[54:55], v53
	v_frexp_exp_i32_f64_e32 v54, v[54:55]
	v_cmp_gt_f32_e32 vcc, s8, v65
	s_mov_b32 s8, 0x3f317218
	s_nop 0
	v_subbrev_co_u32_e32 v70, vcc, 0, v54, vcc
	v_sub_u32_e32 v54, 0, v70
	v_ldexp_f32 v53, v53, v54
	v_ldexp_f32 v54, v64, v54
	v_add_f32_e32 v64, -1.0, v53
	v_add_f32_e32 v55, 1.0, v64
	v_sub_f32_e32 v55, v53, v55
	v_add_f32_e32 v65, v54, v55
	v_add_f32_e32 v55, 1.0, v53
	v_add_f32_e32 v66, -1.0, v55
	v_sub_f32_e32 v53, v53, v66
	v_add_f32_e32 v53, v54, v53
	v_add_f32_e32 v71, v55, v53
	v_rcp_f32_e32 v80, v71
	v_sub_f32_e32 v54, v55, v71
	v_add_f32_e32 v55, v64, v65
	v_add_f32_e32 v53, v53, v54
	v_mul_f32_e32 v82, v55, v80
	v_sub_f32_e32 v54, v64, v55
	v_mul_f32_e32 v64, v71, v82
	v_fma_f32 v66, v82, v71, -v64
	v_fmac_f32_e32 v66, v82, v53
	v_add_f32_e32 v81, v65, v54
	v_add_f32_e32 v54, v64, v66
	v_sub_f32_e32 v65, v55, v54
	v_pk_add_f32 v[68:69], v[54:55], v[64:65] neg_lo:[0,1] neg_hi:[0,1]
	v_mov_b32_e32 v67, v54
	v_pk_add_f32 v[54:55], v[68:69], v[66:67] neg_lo:[0,1] neg_hi:[0,1]
	v_cmp_eq_f32_e32 vcc, s10, v146
	v_add_f32_e32 v55, v81, v55
	v_add_f32_e32 v54, v54, v55
	;; [unrolled: 1-line block ×3, first 2 shown]
	v_mul_f32_e32 v81, v80, v55
	v_mul_f32_e32 v64, v71, v81
	v_fma_f32 v66, v81, v71, -v64
	v_fmac_f32_e32 v66, v81, v53
	v_sub_f32_e32 v53, v65, v55
	v_add_f32_e32 v53, v54, v53
	v_add_f32_e32 v54, v64, v66
	v_sub_f32_e32 v65, v55, v54
	v_pk_add_f32 v[68:69], v[54:55], v[64:65] neg_lo:[0,1] neg_hi:[0,1]
	v_mov_b32_e32 v67, v54
	v_pk_add_f32 v[54:55], v[68:69], v[66:67] neg_lo:[0,1] neg_hi:[0,1]
	v_cvt_f32_i32_e32 v64, v70
	v_add_f32_e32 v53, v53, v55
	v_add_f32_e32 v53, v54, v53
	;; [unrolled: 1-line block ×4, first 2 shown]
	v_sub_f32_e32 v55, v54, v82
	v_mul_f32_e32 v53, v80, v53
	v_sub_f32_e32 v55, v81, v55
	v_add_f32_e32 v53, v55, v53
	v_add_f32_e32 v65, v54, v53
	v_mul_f32_e32 v66, v65, v65
	v_mov_b32_e32 v55, 0x3ecc95a3
	v_fmac_f32_e32 v55, 0x3e9b6dac, v66
	v_sub_f32_e32 v54, v65, v54
	v_fmaak_f32 v55, v66, v55, 0x3f2aaada
	v_sub_f32_e32 v53, v53, v54
	v_ldexp_f32 v67, v65, 1
	v_mul_f32_e32 v65, v65, v66
	v_mov_b32_e32 v54, 0x3f317218
	v_pk_mul_f32 v[54:55], v[64:65], v[54:55]
	v_ldexp_f32 v53, v53, 1
	v_fma_f32 v65, v64, s8, -v54
	v_fmamk_f32 v66, v64, 0xb102e308, v65
	v_pk_add_f32 v[64:65], v[54:55], v[66:67]
	v_mov_b32_e32 v68, v54
	v_sub_f32_e32 v67, v65, v67
	v_sub_f32_e32 v67, v55, v67
	v_add_f32_e32 v69, v53, v67
	v_pk_add_f32 v[54:55], v[64:65], v[54:55] neg_lo:[0,1] neg_hi:[0,1]
	v_pk_add_f32 v[70:71], v[64:65], v[68:69]
	v_mov_b32_e32 v67, v64
	v_mov_b32_e32 v55, v71
	v_pk_add_f32 v[80:81], v[66:67], v[54:55] neg_lo:[0,1] neg_hi:[0,1]
	v_pk_add_f32 v[54:55], v[66:67], v[54:55]
	v_mov_b32_e32 v68, v69
	v_mov_b32_e32 v66, v55
	v_pk_add_f32 v[82:83], v[66:67], v[64:65] neg_lo:[0,1] neg_hi:[0,1]
	v_mov_b32_e32 v54, v71
	v_mov_b32_e32 v53, v82
	v_pk_add_f32 v[86:87], v[70:71], v[52:53] neg_lo:[0,1] neg_hi:[0,1]
	v_mov_b32_e32 v70, v65
	v_mov_b32_e32 v71, v82
	v_mov_b32_e32 v81, v55
	v_pk_add_f32 v[54:55], v[54:55], v[70:71] neg_lo:[0,1] neg_hi:[0,1]
	v_mov_b32_e32 v69, v64
	v_pk_add_f32 v[54:55], v[68:69], v[54:55] neg_lo:[0,1] neg_hi:[0,1]
	v_mov_b32_e32 v86, v80
	v_pk_add_f32 v[64:65], v[86:87], v[54:55]
	s_mov_b32 s8, 0x33800000
	v_mov_b32_e32 v68, v65
	v_pk_add_f32 v[68:69], v[64:65], v[68:69]
	v_cmp_lt_f32_e64 s[10:11], |v146|, s8
	v_pk_add_f32 v[66:67], v[66:67], v[68:69]
	v_mov_b32_e32 v55, v68
	v_mov_b32_e32 v65, v66
	v_pk_add_f32 v[70:71], v[64:65], v[80:81] neg_lo:[0,1] neg_hi:[0,1]
	s_or_b64 vcc, vcc, s[10:11]
	v_sub_f32_e32 v53, v64, v70
	v_pk_add_f32 v[54:55], v[54:55], v[70:71] neg_lo:[0,1] neg_hi:[0,1]
	v_sub_f32_e32 v53, v80, v53
	v_add_f32_e32 v53, v54, v53
	v_add_f32_e32 v53, v53, v55
	;; [unrolled: 1-line block ×3, first 2 shown]
	v_cndmask_b32_e32 v53, v53, v146, vcc
	v_add_f32_e32 v53, v51, v53
.LBB519_236:
	s_or_b64 exec, exec, s[6:7]
	v_bfe_u32 v51, v53, 16, 1
	v_add3_u32 v51, v53, v51, s9
	v_lshrrev_b32_e32 v51, 16, v51
	v_cmp_o_f32_e32 vcc, v53, v53
	s_movk_i32 s8, 0x1f8
	s_nop 0
	v_cndmask_b32_e32 v51, v50, v51, vcc
	v_lshlrev_b32_e32 v54, 16, v51
	v_max_f32_e32 v50, v54, v54
	v_min_f32_e32 v53, v50, v98
	v_cmp_u_f32_e32 vcc, v54, v54
	v_max_f32_e32 v50, v50, v98
	s_nop 0
	v_cndmask_b32_e32 v53, v53, v54, vcc
	v_cndmask_b32_e32 v50, v50, v54, vcc
	v_cndmask_b32_e64 v53, v53, v84, s[24:25]
	v_cndmask_b32_e64 v50, v50, v84, s[24:25]
	v_cmp_neq_f32_e32 vcc, v53, v50
	v_cmp_class_f32_e64 s[6:7], v53, s8
	s_or_b64 s[10:11], vcc, s[6:7]
	s_and_saveexec_b64 s[6:7], s[10:11]
	s_cbranch_execz .LBB519_238
; %bb.237:
	v_sub_f32_e32 v53, v53, v50
	s_mov_b32 s9, 0x3fb8aa3b
	v_mul_f32_e32 v54, 0x3fb8aa3b, v53
	v_fma_f32 v55, v53, s9, -v54
	v_rndne_f32_e32 v64, v54
	v_fmamk_f32 v55, v53, 0x32a5705f, v55
	v_sub_f32_e32 v54, v54, v64
	v_add_f32_e32 v54, v54, v55
	v_exp_f32_e32 v54, v54
	v_cvt_i32_f32_e32 v55, v64
	s_mov_b32 s9, 0xc2ce8ed0
	v_cmp_ngt_f32_e32 vcc, s9, v53
	s_mov_b32 s9, 0x42b17218
	v_ldexp_f32 v54, v54, v55
	v_cndmask_b32_e32 v54, 0, v54, vcc
	v_mov_b32_e32 v55, 0x7f800000
	v_cmp_nlt_f32_e32 vcc, s9, v53
	s_mov_b32 s9, 0x3f2aaaab
	s_mov_b32 s10, 0x7f800000
	v_cndmask_b32_e32 v84, v55, v54, vcc
	v_add_f32_e32 v53, 1.0, v84
	v_add_f32_e32 v54, -1.0, v53
	v_sub_f32_e32 v55, v54, v53
	v_add_f32_e32 v55, 1.0, v55
	v_sub_f32_e32 v54, v84, v54
	v_add_f32_e32 v64, v54, v55
	v_frexp_mant_f32_e32 v65, v53
	v_cvt_f64_f32_e32 v[54:55], v53
	v_frexp_exp_i32_f64_e32 v54, v[54:55]
	v_cmp_gt_f32_e32 vcc, s9, v65
	s_mov_b32 s9, 0x3f317218
	s_nop 0
	v_subbrev_co_u32_e32 v70, vcc, 0, v54, vcc
	v_sub_u32_e32 v54, 0, v70
	v_ldexp_f32 v53, v53, v54
	v_ldexp_f32 v54, v64, v54
	v_add_f32_e32 v64, -1.0, v53
	v_add_f32_e32 v55, 1.0, v64
	v_sub_f32_e32 v55, v53, v55
	v_add_f32_e32 v65, v54, v55
	v_add_f32_e32 v55, 1.0, v53
	v_add_f32_e32 v66, -1.0, v55
	v_sub_f32_e32 v53, v53, v66
	v_add_f32_e32 v53, v54, v53
	v_add_f32_e32 v71, v55, v53
	v_rcp_f32_e32 v80, v71
	v_sub_f32_e32 v54, v55, v71
	v_add_f32_e32 v55, v64, v65
	v_add_f32_e32 v53, v53, v54
	v_mul_f32_e32 v82, v55, v80
	v_sub_f32_e32 v54, v64, v55
	v_mul_f32_e32 v64, v71, v82
	v_fma_f32 v66, v82, v71, -v64
	v_fmac_f32_e32 v66, v82, v53
	v_add_f32_e32 v81, v65, v54
	v_add_f32_e32 v54, v64, v66
	v_sub_f32_e32 v65, v55, v54
	v_pk_add_f32 v[68:69], v[54:55], v[64:65] neg_lo:[0,1] neg_hi:[0,1]
	v_mov_b32_e32 v67, v54
	v_pk_add_f32 v[54:55], v[68:69], v[66:67] neg_lo:[0,1] neg_hi:[0,1]
	v_cmp_eq_f32_e32 vcc, s10, v84
	v_add_f32_e32 v55, v81, v55
	v_add_f32_e32 v54, v54, v55
	;; [unrolled: 1-line block ×3, first 2 shown]
	v_mul_f32_e32 v81, v80, v55
	v_mul_f32_e32 v64, v71, v81
	v_fma_f32 v66, v81, v71, -v64
	v_fmac_f32_e32 v66, v81, v53
	v_sub_f32_e32 v53, v65, v55
	v_add_f32_e32 v53, v54, v53
	v_add_f32_e32 v54, v64, v66
	v_sub_f32_e32 v65, v55, v54
	v_pk_add_f32 v[68:69], v[54:55], v[64:65] neg_lo:[0,1] neg_hi:[0,1]
	v_mov_b32_e32 v67, v54
	v_pk_add_f32 v[54:55], v[68:69], v[66:67] neg_lo:[0,1] neg_hi:[0,1]
	v_cvt_f32_i32_e32 v64, v70
	v_add_f32_e32 v53, v53, v55
	v_add_f32_e32 v53, v54, v53
	;; [unrolled: 1-line block ×4, first 2 shown]
	v_sub_f32_e32 v55, v54, v82
	v_mul_f32_e32 v53, v80, v53
	v_sub_f32_e32 v55, v81, v55
	v_add_f32_e32 v53, v55, v53
	v_add_f32_e32 v65, v54, v53
	v_mul_f32_e32 v66, v65, v65
	v_mov_b32_e32 v55, 0x3ecc95a3
	v_fmac_f32_e32 v55, 0x3e9b6dac, v66
	v_sub_f32_e32 v54, v65, v54
	v_fmaak_f32 v55, v66, v55, 0x3f2aaada
	v_sub_f32_e32 v53, v53, v54
	v_ldexp_f32 v67, v65, 1
	v_mul_f32_e32 v65, v65, v66
	v_mov_b32_e32 v54, 0x3f317218
	v_pk_mul_f32 v[54:55], v[64:65], v[54:55]
	v_ldexp_f32 v53, v53, 1
	v_fma_f32 v65, v64, s9, -v54
	v_fmamk_f32 v66, v64, 0xb102e308, v65
	v_pk_add_f32 v[64:65], v[54:55], v[66:67]
	v_mov_b32_e32 v68, v54
	v_sub_f32_e32 v67, v65, v67
	v_sub_f32_e32 v67, v55, v67
	v_add_f32_e32 v69, v53, v67
	v_pk_add_f32 v[54:55], v[64:65], v[54:55] neg_lo:[0,1] neg_hi:[0,1]
	v_pk_add_f32 v[70:71], v[64:65], v[68:69]
	v_mov_b32_e32 v67, v64
	v_mov_b32_e32 v55, v71
	v_pk_add_f32 v[80:81], v[66:67], v[54:55] neg_lo:[0,1] neg_hi:[0,1]
	v_pk_add_f32 v[54:55], v[66:67], v[54:55]
	v_mov_b32_e32 v68, v69
	v_mov_b32_e32 v66, v55
	v_pk_add_f32 v[82:83], v[66:67], v[64:65] neg_lo:[0,1] neg_hi:[0,1]
	v_mov_b32_e32 v54, v71
	v_mov_b32_e32 v53, v82
	v_pk_add_f32 v[86:87], v[70:71], v[52:53] neg_lo:[0,1] neg_hi:[0,1]
	v_mov_b32_e32 v70, v65
	v_mov_b32_e32 v71, v82
	;; [unrolled: 1-line block ×3, first 2 shown]
	v_pk_add_f32 v[54:55], v[54:55], v[70:71] neg_lo:[0,1] neg_hi:[0,1]
	v_mov_b32_e32 v69, v64
	v_pk_add_f32 v[54:55], v[68:69], v[54:55] neg_lo:[0,1] neg_hi:[0,1]
	v_mov_b32_e32 v86, v80
	v_pk_add_f32 v[64:65], v[86:87], v[54:55]
	s_mov_b32 s9, 0x33800000
	v_mov_b32_e32 v68, v65
	v_pk_add_f32 v[68:69], v[64:65], v[68:69]
	v_cmp_lt_f32_e64 s[10:11], |v84|, s9
	v_pk_add_f32 v[66:67], v[66:67], v[68:69]
	v_mov_b32_e32 v55, v68
	v_mov_b32_e32 v65, v66
	v_pk_add_f32 v[70:71], v[64:65], v[80:81] neg_lo:[0,1] neg_hi:[0,1]
	s_or_b64 vcc, vcc, s[10:11]
	v_sub_f32_e32 v53, v64, v70
	v_pk_add_f32 v[54:55], v[54:55], v[70:71] neg_lo:[0,1] neg_hi:[0,1]
	v_sub_f32_e32 v53, v80, v53
	v_add_f32_e32 v53, v54, v53
	v_add_f32_e32 v53, v53, v55
	;; [unrolled: 1-line block ×3, first 2 shown]
	v_cndmask_b32_e32 v53, v53, v84, vcc
	v_add_f32_e32 v54, v50, v53
.LBB519_238:
	s_or_b64 exec, exec, s[6:7]
	v_bfe_u32 v50, v54, 16, 1
	s_movk_i32 s9, 0x7fff
	v_add3_u32 v50, v54, v50, s9
	v_lshrrev_b32_e32 v50, 16, v50
	v_mov_b32_e32 v53, 0x7fc0
	v_cmp_o_f32_e32 vcc, v54, v54
	s_nop 1
	v_cndmask_b32_e32 v50, v53, v50, vcc
	v_lshlrev_b32_e32 v55, 16, v50
	v_max_f32_e32 v54, v55, v55
	v_min_f32_e32 v64, v54, v99
	v_cmp_u_f32_e32 vcc, v55, v55
	v_max_f32_e32 v54, v54, v99
	s_nop 0
	v_cndmask_b32_e32 v64, v64, v55, vcc
	v_cndmask_b32_e32 v54, v54, v55, vcc
	v_cndmask_b32_e64 v64, v64, v85, s[26:27]
	v_cndmask_b32_e64 v54, v54, v85, s[26:27]
	v_cmp_neq_f32_e32 vcc, v64, v54
	v_cmp_class_f32_e64 s[6:7], v64, s8
	s_or_b64 s[10:11], vcc, s[6:7]
	s_and_saveexec_b64 s[6:7], s[10:11]
	s_cbranch_execz .LBB519_240
; %bb.239:
	v_sub_f32_e32 v55, v64, v54
	s_mov_b32 s8, 0x3fb8aa3b
	v_mul_f32_e32 v64, 0x3fb8aa3b, v55
	v_fma_f32 v65, v55, s8, -v64
	v_rndne_f32_e32 v66, v64
	v_fmamk_f32 v65, v55, 0x32a5705f, v65
	v_sub_f32_e32 v64, v64, v66
	v_add_f32_e32 v64, v64, v65
	v_exp_f32_e32 v64, v64
	v_cvt_i32_f32_e32 v65, v66
	s_mov_b32 s8, 0xc2ce8ed0
	v_cmp_ngt_f32_e32 vcc, s8, v55
	s_mov_b32 s8, 0x42b17218
	v_ldexp_f32 v64, v64, v65
	v_cndmask_b32_e32 v64, 0, v64, vcc
	v_mov_b32_e32 v65, 0x7f800000
	v_cmp_nlt_f32_e32 vcc, s8, v55
	s_mov_b32 s8, 0x3f2aaaab
	s_mov_b32 s10, 0x7f800000
	v_cndmask_b32_e32 v98, v65, v64, vcc
	v_add_f32_e32 v55, 1.0, v98
	v_add_f32_e32 v64, -1.0, v55
	v_sub_f32_e32 v65, v64, v55
	v_add_f32_e32 v65, 1.0, v65
	v_sub_f32_e32 v64, v98, v64
	v_add_f32_e32 v66, v64, v65
	v_frexp_mant_f32_e32 v67, v55
	v_cvt_f64_f32_e32 v[64:65], v55
	v_frexp_exp_i32_f64_e32 v64, v[64:65]
	v_cmp_gt_f32_e32 vcc, s8, v67
	s_mov_b32 s8, 0x3f317218
	s_nop 0
	v_subbrev_co_u32_e32 v80, vcc, 0, v64, vcc
	v_sub_u32_e32 v64, 0, v80
	v_ldexp_f32 v55, v55, v64
	v_ldexp_f32 v64, v66, v64
	v_add_f32_e32 v66, -1.0, v55
	v_add_f32_e32 v65, 1.0, v66
	v_sub_f32_e32 v65, v55, v65
	v_add_f32_e32 v67, v64, v65
	v_add_f32_e32 v65, 1.0, v55
	v_add_f32_e32 v68, -1.0, v65
	v_sub_f32_e32 v55, v55, v68
	v_add_f32_e32 v55, v64, v55
	v_add_f32_e32 v81, v65, v55
	v_rcp_f32_e32 v82, v81
	v_sub_f32_e32 v64, v65, v81
	v_add_f32_e32 v65, v66, v67
	v_add_f32_e32 v55, v55, v64
	v_mul_f32_e32 v84, v65, v82
	v_sub_f32_e32 v64, v66, v65
	v_mul_f32_e32 v66, v81, v84
	v_fma_f32 v68, v84, v81, -v66
	v_fmac_f32_e32 v68, v84, v55
	v_add_f32_e32 v83, v67, v64
	v_add_f32_e32 v64, v66, v68
	v_sub_f32_e32 v67, v65, v64
	v_pk_add_f32 v[70:71], v[64:65], v[66:67] neg_lo:[0,1] neg_hi:[0,1]
	v_mov_b32_e32 v69, v64
	v_pk_add_f32 v[64:65], v[70:71], v[68:69] neg_lo:[0,1] neg_hi:[0,1]
	v_cmp_eq_f32_e32 vcc, s10, v98
	v_add_f32_e32 v65, v83, v65
	v_add_f32_e32 v64, v64, v65
	v_add_f32_e32 v65, v67, v64
	v_mul_f32_e32 v83, v82, v65
	v_mul_f32_e32 v66, v81, v83
	v_fma_f32 v68, v83, v81, -v66
	v_fmac_f32_e32 v68, v83, v55
	v_sub_f32_e32 v55, v67, v65
	v_add_f32_e32 v55, v64, v55
	v_add_f32_e32 v64, v66, v68
	v_sub_f32_e32 v67, v65, v64
	v_pk_add_f32 v[70:71], v[64:65], v[66:67] neg_lo:[0,1] neg_hi:[0,1]
	v_mov_b32_e32 v69, v64
	v_pk_add_f32 v[64:65], v[70:71], v[68:69] neg_lo:[0,1] neg_hi:[0,1]
	v_cvt_f32_i32_e32 v66, v80
	v_add_f32_e32 v55, v55, v65
	v_add_f32_e32 v55, v64, v55
	;; [unrolled: 1-line block ×4, first 2 shown]
	v_sub_f32_e32 v65, v64, v84
	v_mul_f32_e32 v55, v82, v55
	v_sub_f32_e32 v65, v83, v65
	v_add_f32_e32 v55, v65, v55
	v_add_f32_e32 v67, v64, v55
	v_mul_f32_e32 v68, v67, v67
	v_mov_b32_e32 v65, 0x3ecc95a3
	v_fmac_f32_e32 v65, 0x3e9b6dac, v68
	v_sub_f32_e32 v64, v67, v64
	v_fmaak_f32 v65, v68, v65, 0x3f2aaada
	v_sub_f32_e32 v55, v55, v64
	v_ldexp_f32 v69, v67, 1
	v_mul_f32_e32 v67, v67, v68
	v_mov_b32_e32 v64, 0x3f317218
	v_pk_mul_f32 v[64:65], v[66:67], v[64:65]
	v_ldexp_f32 v55, v55, 1
	v_fma_f32 v67, v66, s8, -v64
	v_fmamk_f32 v68, v66, 0xb102e308, v67
	v_pk_add_f32 v[66:67], v[64:65], v[68:69]
	v_mov_b32_e32 v70, v64
	v_sub_f32_e32 v69, v67, v69
	v_sub_f32_e32 v69, v65, v69
	v_add_f32_e32 v71, v55, v69
	v_pk_add_f32 v[64:65], v[66:67], v[64:65] neg_lo:[0,1] neg_hi:[0,1]
	v_pk_add_f32 v[80:81], v[66:67], v[70:71]
	v_mov_b32_e32 v69, v66
	v_mov_b32_e32 v65, v81
	v_pk_add_f32 v[82:83], v[68:69], v[64:65] neg_lo:[0,1] neg_hi:[0,1]
	v_pk_add_f32 v[64:65], v[68:69], v[64:65]
	v_mov_b32_e32 v70, v71
	v_mov_b32_e32 v68, v65
	v_pk_add_f32 v[84:85], v[68:69], v[66:67] neg_lo:[0,1] neg_hi:[0,1]
	v_mov_b32_e32 v64, v81
	v_mov_b32_e32 v55, v84
	v_pk_add_f32 v[86:87], v[80:81], v[54:55] neg_lo:[0,1] neg_hi:[0,1]
	v_mov_b32_e32 v80, v67
	v_mov_b32_e32 v81, v84
	;; [unrolled: 1-line block ×3, first 2 shown]
	v_pk_add_f32 v[64:65], v[64:65], v[80:81] neg_lo:[0,1] neg_hi:[0,1]
	v_mov_b32_e32 v71, v66
	v_pk_add_f32 v[64:65], v[70:71], v[64:65] neg_lo:[0,1] neg_hi:[0,1]
	v_mov_b32_e32 v86, v82
	v_pk_add_f32 v[66:67], v[86:87], v[64:65]
	s_mov_b32 s8, 0x33800000
	v_mov_b32_e32 v70, v67
	v_pk_add_f32 v[70:71], v[66:67], v[70:71]
	v_cmp_lt_f32_e64 s[10:11], |v98|, s8
	v_pk_add_f32 v[68:69], v[68:69], v[70:71]
	v_mov_b32_e32 v65, v70
	v_mov_b32_e32 v67, v68
	v_pk_add_f32 v[80:81], v[66:67], v[82:83] neg_lo:[0,1] neg_hi:[0,1]
	s_or_b64 vcc, vcc, s[10:11]
	v_sub_f32_e32 v55, v66, v80
	v_pk_add_f32 v[64:65], v[64:65], v[80:81] neg_lo:[0,1] neg_hi:[0,1]
	v_sub_f32_e32 v55, v82, v55
	v_add_f32_e32 v55, v64, v55
	v_add_f32_e32 v55, v55, v65
	;; [unrolled: 1-line block ×3, first 2 shown]
	v_cndmask_b32_e32 v55, v55, v98, vcc
	v_add_f32_e32 v55, v54, v55
.LBB519_240:
	s_or_b64 exec, exec, s[6:7]
	v_bfe_u32 v54, v55, 16, 1
	v_add3_u32 v54, v55, v54, s9
	v_lshrrev_b32_e32 v54, 16, v54
	v_cmp_o_f32_e32 vcc, v55, v55
	s_movk_i32 s8, 0x1f8
	s_nop 0
	v_cndmask_b32_e32 v53, v53, v54, vcc
	v_lshlrev_b32_e32 v64, 16, v53
	v_max_f32_e32 v54, v64, v64
	v_min_f32_e32 v55, v54, v102
	v_cmp_u_f32_e32 vcc, v64, v64
	v_max_f32_e32 v54, v54, v102
	s_nop 0
	v_cndmask_b32_e32 v55, v55, v64, vcc
	v_cndmask_b32_e32 v54, v54, v64, vcc
	v_cndmask_b32_e64 v55, v55, v96, s[28:29]
	v_cndmask_b32_e64 v54, v54, v96, s[28:29]
	v_cmp_neq_f32_e32 vcc, v55, v54
	v_cmp_class_f32_e64 s[6:7], v55, s8
	s_or_b64 s[10:11], vcc, s[6:7]
	s_and_saveexec_b64 s[6:7], s[10:11]
	s_cbranch_execz .LBB519_242
; %bb.241:
	v_sub_f32_e32 v55, v55, v54
	s_mov_b32 s9, 0x3fb8aa3b
	v_mul_f32_e32 v64, 0x3fb8aa3b, v55
	v_fma_f32 v65, v55, s9, -v64
	v_rndne_f32_e32 v66, v64
	v_fmamk_f32 v65, v55, 0x32a5705f, v65
	v_sub_f32_e32 v64, v64, v66
	v_add_f32_e32 v64, v64, v65
	v_exp_f32_e32 v64, v64
	v_cvt_i32_f32_e32 v65, v66
	s_mov_b32 s9, 0xc2ce8ed0
	v_cmp_ngt_f32_e32 vcc, s9, v55
	s_mov_b32 s9, 0x42b17218
	v_ldexp_f32 v64, v64, v65
	v_cndmask_b32_e32 v64, 0, v64, vcc
	v_mov_b32_e32 v65, 0x7f800000
	v_cmp_nlt_f32_e32 vcc, s9, v55
	s_mov_b32 s9, 0x3f2aaaab
	s_mov_b32 s10, 0x7f800000
	v_cndmask_b32_e32 v96, v65, v64, vcc
	v_add_f32_e32 v55, 1.0, v96
	v_add_f32_e32 v64, -1.0, v55
	v_sub_f32_e32 v65, v64, v55
	v_add_f32_e32 v65, 1.0, v65
	v_sub_f32_e32 v64, v96, v64
	v_add_f32_e32 v66, v64, v65
	v_frexp_mant_f32_e32 v67, v55
	v_cvt_f64_f32_e32 v[64:65], v55
	v_frexp_exp_i32_f64_e32 v64, v[64:65]
	v_cmp_gt_f32_e32 vcc, s9, v67
	s_mov_b32 s9, 0x3f317218
	s_nop 0
	v_subbrev_co_u32_e32 v80, vcc, 0, v64, vcc
	v_sub_u32_e32 v64, 0, v80
	v_ldexp_f32 v55, v55, v64
	v_ldexp_f32 v64, v66, v64
	v_add_f32_e32 v66, -1.0, v55
	v_add_f32_e32 v65, 1.0, v66
	v_sub_f32_e32 v65, v55, v65
	v_add_f32_e32 v67, v64, v65
	v_add_f32_e32 v65, 1.0, v55
	v_add_f32_e32 v68, -1.0, v65
	v_sub_f32_e32 v55, v55, v68
	v_add_f32_e32 v55, v64, v55
	v_add_f32_e32 v81, v65, v55
	v_rcp_f32_e32 v82, v81
	v_sub_f32_e32 v64, v65, v81
	v_add_f32_e32 v65, v66, v67
	v_add_f32_e32 v55, v55, v64
	v_mul_f32_e32 v84, v65, v82
	v_sub_f32_e32 v64, v66, v65
	v_mul_f32_e32 v66, v81, v84
	v_fma_f32 v68, v84, v81, -v66
	v_fmac_f32_e32 v68, v84, v55
	v_add_f32_e32 v83, v67, v64
	v_add_f32_e32 v64, v66, v68
	v_sub_f32_e32 v67, v65, v64
	v_pk_add_f32 v[70:71], v[64:65], v[66:67] neg_lo:[0,1] neg_hi:[0,1]
	v_mov_b32_e32 v69, v64
	v_pk_add_f32 v[64:65], v[70:71], v[68:69] neg_lo:[0,1] neg_hi:[0,1]
	v_cmp_eq_f32_e32 vcc, s10, v96
	v_add_f32_e32 v65, v83, v65
	v_add_f32_e32 v64, v64, v65
	;; [unrolled: 1-line block ×3, first 2 shown]
	v_mul_f32_e32 v83, v82, v65
	v_mul_f32_e32 v66, v81, v83
	v_fma_f32 v68, v83, v81, -v66
	v_fmac_f32_e32 v68, v83, v55
	v_sub_f32_e32 v55, v67, v65
	v_add_f32_e32 v55, v64, v55
	v_add_f32_e32 v64, v66, v68
	v_sub_f32_e32 v67, v65, v64
	v_pk_add_f32 v[70:71], v[64:65], v[66:67] neg_lo:[0,1] neg_hi:[0,1]
	v_mov_b32_e32 v69, v64
	v_pk_add_f32 v[64:65], v[70:71], v[68:69] neg_lo:[0,1] neg_hi:[0,1]
	v_cvt_f32_i32_e32 v66, v80
	v_add_f32_e32 v55, v55, v65
	v_add_f32_e32 v55, v64, v55
	;; [unrolled: 1-line block ×4, first 2 shown]
	v_sub_f32_e32 v65, v64, v84
	v_mul_f32_e32 v55, v82, v55
	v_sub_f32_e32 v65, v83, v65
	v_add_f32_e32 v55, v65, v55
	v_add_f32_e32 v67, v64, v55
	v_mul_f32_e32 v68, v67, v67
	v_mov_b32_e32 v65, 0x3ecc95a3
	v_fmac_f32_e32 v65, 0x3e9b6dac, v68
	v_sub_f32_e32 v64, v67, v64
	v_fmaak_f32 v65, v68, v65, 0x3f2aaada
	v_sub_f32_e32 v55, v55, v64
	v_ldexp_f32 v69, v67, 1
	v_mul_f32_e32 v67, v67, v68
	v_mov_b32_e32 v64, 0x3f317218
	v_pk_mul_f32 v[64:65], v[66:67], v[64:65]
	v_ldexp_f32 v55, v55, 1
	v_fma_f32 v67, v66, s9, -v64
	v_fmamk_f32 v68, v66, 0xb102e308, v67
	v_pk_add_f32 v[66:67], v[64:65], v[68:69]
	v_mov_b32_e32 v70, v64
	v_sub_f32_e32 v69, v67, v69
	v_sub_f32_e32 v69, v65, v69
	v_add_f32_e32 v71, v55, v69
	v_pk_add_f32 v[64:65], v[66:67], v[64:65] neg_lo:[0,1] neg_hi:[0,1]
	v_pk_add_f32 v[80:81], v[66:67], v[70:71]
	v_mov_b32_e32 v69, v66
	v_mov_b32_e32 v65, v81
	v_pk_add_f32 v[82:83], v[68:69], v[64:65] neg_lo:[0,1] neg_hi:[0,1]
	v_pk_add_f32 v[64:65], v[68:69], v[64:65]
	v_mov_b32_e32 v70, v71
	v_mov_b32_e32 v68, v65
	v_pk_add_f32 v[84:85], v[68:69], v[66:67] neg_lo:[0,1] neg_hi:[0,1]
	v_mov_b32_e32 v64, v81
	v_mov_b32_e32 v55, v84
	v_pk_add_f32 v[86:87], v[80:81], v[54:55] neg_lo:[0,1] neg_hi:[0,1]
	v_mov_b32_e32 v80, v67
	v_mov_b32_e32 v81, v84
	v_mov_b32_e32 v83, v65
	v_pk_add_f32 v[64:65], v[64:65], v[80:81] neg_lo:[0,1] neg_hi:[0,1]
	v_mov_b32_e32 v71, v66
	v_pk_add_f32 v[64:65], v[70:71], v[64:65] neg_lo:[0,1] neg_hi:[0,1]
	v_mov_b32_e32 v86, v82
	v_pk_add_f32 v[66:67], v[86:87], v[64:65]
	s_mov_b32 s9, 0x33800000
	v_mov_b32_e32 v70, v67
	v_pk_add_f32 v[70:71], v[66:67], v[70:71]
	v_cmp_lt_f32_e64 s[10:11], |v96|, s9
	v_pk_add_f32 v[68:69], v[68:69], v[70:71]
	v_mov_b32_e32 v65, v70
	v_mov_b32_e32 v67, v68
	v_pk_add_f32 v[80:81], v[66:67], v[82:83] neg_lo:[0,1] neg_hi:[0,1]
	s_or_b64 vcc, vcc, s[10:11]
	v_sub_f32_e32 v55, v66, v80
	v_pk_add_f32 v[64:65], v[64:65], v[80:81] neg_lo:[0,1] neg_hi:[0,1]
	v_sub_f32_e32 v55, v82, v55
	v_add_f32_e32 v55, v64, v55
	v_add_f32_e32 v55, v55, v65
	;; [unrolled: 1-line block ×3, first 2 shown]
	v_cndmask_b32_e32 v55, v55, v96, vcc
	v_add_f32_e32 v64, v54, v55
.LBB519_242:
	s_or_b64 exec, exec, s[6:7]
	v_bfe_u32 v54, v64, 16, 1
	s_movk_i32 s9, 0x7fff
	v_add3_u32 v54, v64, v54, s9
	v_lshrrev_b32_e32 v54, 16, v54
	v_mov_b32_e32 v55, 0x7fc0
	v_cmp_o_f32_e32 vcc, v64, v64
	s_nop 1
	v_cndmask_b32_e32 v54, v55, v54, vcc
	v_lshlrev_b32_e32 v65, 16, v54
	v_max_f32_e32 v64, v65, v65
	v_min_f32_e32 v66, v64, v103
	v_cmp_u_f32_e32 vcc, v65, v65
	v_max_f32_e32 v64, v64, v103
	s_nop 0
	v_cndmask_b32_e32 v66, v66, v65, vcc
	v_cndmask_b32_e32 v64, v64, v65, vcc
	v_cndmask_b32_e64 v66, v66, v97, s[30:31]
	v_cndmask_b32_e64 v64, v64, v97, s[30:31]
	v_cmp_neq_f32_e32 vcc, v66, v64
	v_cmp_class_f32_e64 s[6:7], v66, s8
	s_or_b64 s[10:11], vcc, s[6:7]
	s_and_saveexec_b64 s[6:7], s[10:11]
	s_cbranch_execz .LBB519_244
; %bb.243:
	v_sub_f32_e32 v65, v66, v64
	s_mov_b32 s8, 0x3fb8aa3b
	v_mul_f32_e32 v66, 0x3fb8aa3b, v65
	v_fma_f32 v67, v65, s8, -v66
	v_rndne_f32_e32 v68, v66
	v_fmamk_f32 v67, v65, 0x32a5705f, v67
	v_sub_f32_e32 v66, v66, v68
	v_add_f32_e32 v66, v66, v67
	v_exp_f32_e32 v66, v66
	v_cvt_i32_f32_e32 v67, v68
	s_mov_b32 s8, 0xc2ce8ed0
	v_cmp_ngt_f32_e32 vcc, s8, v65
	s_mov_b32 s8, 0x42b17218
	v_ldexp_f32 v66, v66, v67
	v_cndmask_b32_e32 v66, 0, v66, vcc
	v_mov_b32_e32 v67, 0x7f800000
	v_cmp_nlt_f32_e32 vcc, s8, v65
	s_mov_b32 s8, 0x3f2aaaab
	s_mov_b32 s10, 0x7f800000
	v_cndmask_b32_e32 v98, v67, v66, vcc
	v_add_f32_e32 v65, 1.0, v98
	v_add_f32_e32 v66, -1.0, v65
	v_sub_f32_e32 v67, v66, v65
	v_add_f32_e32 v67, 1.0, v67
	v_sub_f32_e32 v66, v98, v66
	v_add_f32_e32 v68, v66, v67
	v_frexp_mant_f32_e32 v69, v65
	v_cvt_f64_f32_e32 v[66:67], v65
	v_frexp_exp_i32_f64_e32 v66, v[66:67]
	v_cmp_gt_f32_e32 vcc, s8, v69
	s_mov_b32 s8, 0x3f317218
	s_nop 0
	v_subbrev_co_u32_e32 v82, vcc, 0, v66, vcc
	v_sub_u32_e32 v66, 0, v82
	v_ldexp_f32 v65, v65, v66
	v_ldexp_f32 v66, v68, v66
	v_add_f32_e32 v68, -1.0, v65
	v_add_f32_e32 v67, 1.0, v68
	v_sub_f32_e32 v67, v65, v67
	v_add_f32_e32 v69, v66, v67
	v_add_f32_e32 v67, 1.0, v65
	v_add_f32_e32 v70, -1.0, v67
	v_sub_f32_e32 v65, v65, v70
	v_add_f32_e32 v65, v66, v65
	v_add_f32_e32 v83, v67, v65
	v_rcp_f32_e32 v84, v83
	v_sub_f32_e32 v66, v67, v83
	v_add_f32_e32 v67, v68, v69
	v_add_f32_e32 v65, v65, v66
	v_mul_f32_e32 v86, v67, v84
	v_sub_f32_e32 v66, v68, v67
	v_mul_f32_e32 v68, v83, v86
	v_fma_f32 v70, v86, v83, -v68
	v_fmac_f32_e32 v70, v86, v65
	v_add_f32_e32 v85, v69, v66
	v_add_f32_e32 v66, v68, v70
	v_sub_f32_e32 v69, v67, v66
	v_pk_add_f32 v[80:81], v[66:67], v[68:69] neg_lo:[0,1] neg_hi:[0,1]
	v_mov_b32_e32 v71, v66
	v_pk_add_f32 v[66:67], v[80:81], v[70:71] neg_lo:[0,1] neg_hi:[0,1]
	v_cmp_eq_f32_e32 vcc, s10, v98
	v_add_f32_e32 v67, v85, v67
	v_add_f32_e32 v66, v66, v67
	v_add_f32_e32 v67, v69, v66
	v_mul_f32_e32 v85, v84, v67
	v_mul_f32_e32 v68, v83, v85
	v_fma_f32 v70, v85, v83, -v68
	v_fmac_f32_e32 v70, v85, v65
	v_sub_f32_e32 v65, v69, v67
	v_add_f32_e32 v65, v66, v65
	v_add_f32_e32 v66, v68, v70
	v_sub_f32_e32 v69, v67, v66
	v_pk_add_f32 v[80:81], v[66:67], v[68:69] neg_lo:[0,1] neg_hi:[0,1]
	v_mov_b32_e32 v71, v66
	v_pk_add_f32 v[66:67], v[80:81], v[70:71] neg_lo:[0,1] neg_hi:[0,1]
	v_cvt_f32_i32_e32 v68, v82
	v_add_f32_e32 v65, v65, v67
	v_add_f32_e32 v65, v66, v65
	;; [unrolled: 1-line block ×4, first 2 shown]
	v_sub_f32_e32 v67, v66, v86
	v_mul_f32_e32 v65, v84, v65
	v_sub_f32_e32 v67, v85, v67
	v_add_f32_e32 v65, v67, v65
	v_add_f32_e32 v69, v66, v65
	v_mul_f32_e32 v70, v69, v69
	v_mov_b32_e32 v67, 0x3ecc95a3
	v_fmac_f32_e32 v67, 0x3e9b6dac, v70
	v_sub_f32_e32 v66, v69, v66
	v_fmaak_f32 v67, v70, v67, 0x3f2aaada
	v_sub_f32_e32 v65, v65, v66
	v_ldexp_f32 v71, v69, 1
	v_mul_f32_e32 v69, v69, v70
	v_mov_b32_e32 v66, 0x3f317218
	v_pk_mul_f32 v[66:67], v[68:69], v[66:67]
	v_ldexp_f32 v65, v65, 1
	v_fma_f32 v69, v68, s8, -v66
	v_fmamk_f32 v70, v68, 0xb102e308, v69
	v_pk_add_f32 v[68:69], v[66:67], v[70:71]
	v_mov_b32_e32 v80, v66
	v_sub_f32_e32 v71, v69, v71
	v_sub_f32_e32 v71, v67, v71
	v_add_f32_e32 v81, v65, v71
	v_pk_add_f32 v[66:67], v[68:69], v[66:67] neg_lo:[0,1] neg_hi:[0,1]
	v_pk_add_f32 v[82:83], v[68:69], v[80:81]
	v_mov_b32_e32 v71, v68
	v_mov_b32_e32 v67, v83
	v_pk_add_f32 v[84:85], v[70:71], v[66:67] neg_lo:[0,1] neg_hi:[0,1]
	v_pk_add_f32 v[66:67], v[70:71], v[66:67]
	v_mov_b32_e32 v80, v81
	v_mov_b32_e32 v70, v67
	v_pk_add_f32 v[86:87], v[70:71], v[68:69] neg_lo:[0,1] neg_hi:[0,1]
	v_mov_b32_e32 v66, v83
	v_mov_b32_e32 v65, v86
	v_pk_add_f32 v[96:97], v[82:83], v[64:65] neg_lo:[0,1] neg_hi:[0,1]
	v_mov_b32_e32 v82, v69
	v_mov_b32_e32 v83, v86
	;; [unrolled: 1-line block ×3, first 2 shown]
	v_pk_add_f32 v[66:67], v[66:67], v[82:83] neg_lo:[0,1] neg_hi:[0,1]
	v_mov_b32_e32 v81, v68
	v_pk_add_f32 v[66:67], v[80:81], v[66:67] neg_lo:[0,1] neg_hi:[0,1]
	v_mov_b32_e32 v96, v84
	v_pk_add_f32 v[68:69], v[96:97], v[66:67]
	s_mov_b32 s8, 0x33800000
	v_mov_b32_e32 v80, v69
	v_pk_add_f32 v[80:81], v[68:69], v[80:81]
	v_cmp_lt_f32_e64 s[10:11], |v98|, s8
	v_pk_add_f32 v[70:71], v[70:71], v[80:81]
	v_mov_b32_e32 v67, v80
	v_mov_b32_e32 v69, v70
	v_pk_add_f32 v[82:83], v[68:69], v[84:85] neg_lo:[0,1] neg_hi:[0,1]
	s_or_b64 vcc, vcc, s[10:11]
	v_sub_f32_e32 v65, v68, v82
	v_pk_add_f32 v[66:67], v[66:67], v[82:83] neg_lo:[0,1] neg_hi:[0,1]
	v_sub_f32_e32 v65, v84, v65
	v_add_f32_e32 v65, v66, v65
	v_add_f32_e32 v65, v65, v67
	;; [unrolled: 1-line block ×3, first 2 shown]
	v_cndmask_b32_e32 v65, v65, v98, vcc
	v_add_f32_e32 v65, v64, v65
.LBB519_244:
	s_or_b64 exec, exec, s[6:7]
	v_bfe_u32 v64, v65, 16, 1
	v_add3_u32 v64, v65, v64, s9
	v_lshrrev_b32_e32 v64, 16, v64
	v_cmp_o_f32_e32 vcc, v65, v65
	s_movk_i32 s8, 0x1f8
	s_nop 0
	v_cndmask_b32_e32 v55, v55, v64, vcc
	v_lshlrev_b32_e32 v66, 16, v55
	v_max_f32_e32 v64, v66, v66
	v_min_f32_e32 v65, v64, v114
	v_cmp_u_f32_e32 vcc, v66, v66
	v_max_f32_e32 v64, v64, v114
	s_nop 0
	v_cndmask_b32_e32 v65, v65, v66, vcc
	v_cndmask_b32_e32 v64, v64, v66, vcc
	v_cndmask_b32_e64 v65, v65, v100, s[34:35]
	v_cndmask_b32_e64 v64, v64, v100, s[34:35]
	v_cmp_neq_f32_e32 vcc, v65, v64
	v_cmp_class_f32_e64 s[6:7], v65, s8
	s_or_b64 s[10:11], vcc, s[6:7]
	s_and_saveexec_b64 s[6:7], s[10:11]
	s_cbranch_execz .LBB519_246
; %bb.245:
	v_sub_f32_e32 v65, v65, v64
	s_mov_b32 s9, 0x3fb8aa3b
	v_mul_f32_e32 v66, 0x3fb8aa3b, v65
	v_fma_f32 v67, v65, s9, -v66
	v_rndne_f32_e32 v68, v66
	v_fmamk_f32 v67, v65, 0x32a5705f, v67
	v_sub_f32_e32 v66, v66, v68
	v_add_f32_e32 v66, v66, v67
	v_exp_f32_e32 v66, v66
	v_cvt_i32_f32_e32 v67, v68
	s_mov_b32 s9, 0xc2ce8ed0
	v_cmp_ngt_f32_e32 vcc, s9, v65
	s_mov_b32 s9, 0x42b17218
	v_ldexp_f32 v66, v66, v67
	v_cndmask_b32_e32 v66, 0, v66, vcc
	v_mov_b32_e32 v67, 0x7f800000
	v_cmp_nlt_f32_e32 vcc, s9, v65
	s_mov_b32 s9, 0x3f2aaaab
	s_mov_b32 s10, 0x7f800000
	v_cndmask_b32_e32 v98, v67, v66, vcc
	v_add_f32_e32 v65, 1.0, v98
	v_add_f32_e32 v66, -1.0, v65
	v_sub_f32_e32 v67, v66, v65
	v_add_f32_e32 v67, 1.0, v67
	v_sub_f32_e32 v66, v98, v66
	v_add_f32_e32 v68, v66, v67
	v_frexp_mant_f32_e32 v69, v65
	v_cvt_f64_f32_e32 v[66:67], v65
	v_frexp_exp_i32_f64_e32 v66, v[66:67]
	v_cmp_gt_f32_e32 vcc, s9, v69
	s_mov_b32 s9, 0x3f317218
	s_nop 0
	v_subbrev_co_u32_e32 v82, vcc, 0, v66, vcc
	v_sub_u32_e32 v66, 0, v82
	v_ldexp_f32 v65, v65, v66
	v_ldexp_f32 v66, v68, v66
	v_add_f32_e32 v68, -1.0, v65
	v_add_f32_e32 v67, 1.0, v68
	v_sub_f32_e32 v67, v65, v67
	v_add_f32_e32 v69, v66, v67
	v_add_f32_e32 v67, 1.0, v65
	v_add_f32_e32 v70, -1.0, v67
	v_sub_f32_e32 v65, v65, v70
	v_add_f32_e32 v65, v66, v65
	v_add_f32_e32 v83, v67, v65
	v_rcp_f32_e32 v84, v83
	v_sub_f32_e32 v66, v67, v83
	v_add_f32_e32 v67, v68, v69
	v_add_f32_e32 v65, v65, v66
	v_mul_f32_e32 v86, v67, v84
	v_sub_f32_e32 v66, v68, v67
	v_mul_f32_e32 v68, v83, v86
	v_fma_f32 v70, v86, v83, -v68
	v_fmac_f32_e32 v70, v86, v65
	v_add_f32_e32 v85, v69, v66
	v_add_f32_e32 v66, v68, v70
	v_sub_f32_e32 v69, v67, v66
	v_pk_add_f32 v[80:81], v[66:67], v[68:69] neg_lo:[0,1] neg_hi:[0,1]
	v_mov_b32_e32 v71, v66
	v_pk_add_f32 v[66:67], v[80:81], v[70:71] neg_lo:[0,1] neg_hi:[0,1]
	v_cmp_eq_f32_e32 vcc, s10, v98
	v_add_f32_e32 v67, v85, v67
	v_add_f32_e32 v66, v66, v67
	;; [unrolled: 1-line block ×3, first 2 shown]
	v_mul_f32_e32 v85, v84, v67
	v_mul_f32_e32 v68, v83, v85
	v_fma_f32 v70, v85, v83, -v68
	v_fmac_f32_e32 v70, v85, v65
	v_sub_f32_e32 v65, v69, v67
	v_add_f32_e32 v65, v66, v65
	v_add_f32_e32 v66, v68, v70
	v_sub_f32_e32 v69, v67, v66
	v_pk_add_f32 v[80:81], v[66:67], v[68:69] neg_lo:[0,1] neg_hi:[0,1]
	v_mov_b32_e32 v71, v66
	v_pk_add_f32 v[66:67], v[80:81], v[70:71] neg_lo:[0,1] neg_hi:[0,1]
	v_cvt_f32_i32_e32 v68, v82
	v_add_f32_e32 v65, v65, v67
	v_add_f32_e32 v65, v66, v65
	;; [unrolled: 1-line block ×4, first 2 shown]
	v_sub_f32_e32 v67, v66, v86
	v_mul_f32_e32 v65, v84, v65
	v_sub_f32_e32 v67, v85, v67
	v_add_f32_e32 v65, v67, v65
	v_add_f32_e32 v69, v66, v65
	v_mul_f32_e32 v70, v69, v69
	v_mov_b32_e32 v67, 0x3ecc95a3
	v_fmac_f32_e32 v67, 0x3e9b6dac, v70
	v_sub_f32_e32 v66, v69, v66
	v_fmaak_f32 v67, v70, v67, 0x3f2aaada
	v_sub_f32_e32 v65, v65, v66
	v_ldexp_f32 v71, v69, 1
	v_mul_f32_e32 v69, v69, v70
	v_mov_b32_e32 v66, 0x3f317218
	v_pk_mul_f32 v[66:67], v[68:69], v[66:67]
	v_ldexp_f32 v65, v65, 1
	v_fma_f32 v69, v68, s9, -v66
	v_fmamk_f32 v70, v68, 0xb102e308, v69
	v_pk_add_f32 v[68:69], v[66:67], v[70:71]
	v_mov_b32_e32 v80, v66
	v_sub_f32_e32 v71, v69, v71
	v_sub_f32_e32 v71, v67, v71
	v_add_f32_e32 v81, v65, v71
	v_pk_add_f32 v[66:67], v[68:69], v[66:67] neg_lo:[0,1] neg_hi:[0,1]
	v_pk_add_f32 v[82:83], v[68:69], v[80:81]
	v_mov_b32_e32 v71, v68
	v_mov_b32_e32 v67, v83
	v_pk_add_f32 v[84:85], v[70:71], v[66:67] neg_lo:[0,1] neg_hi:[0,1]
	v_pk_add_f32 v[66:67], v[70:71], v[66:67]
	v_mov_b32_e32 v80, v81
	v_mov_b32_e32 v70, v67
	v_pk_add_f32 v[86:87], v[70:71], v[68:69] neg_lo:[0,1] neg_hi:[0,1]
	v_mov_b32_e32 v66, v83
	v_mov_b32_e32 v65, v86
	v_pk_add_f32 v[96:97], v[82:83], v[64:65] neg_lo:[0,1] neg_hi:[0,1]
	v_mov_b32_e32 v82, v69
	v_mov_b32_e32 v83, v86
	;; [unrolled: 1-line block ×3, first 2 shown]
	v_pk_add_f32 v[66:67], v[66:67], v[82:83] neg_lo:[0,1] neg_hi:[0,1]
	v_mov_b32_e32 v81, v68
	v_pk_add_f32 v[66:67], v[80:81], v[66:67] neg_lo:[0,1] neg_hi:[0,1]
	v_mov_b32_e32 v96, v84
	v_pk_add_f32 v[68:69], v[96:97], v[66:67]
	s_mov_b32 s9, 0x33800000
	v_mov_b32_e32 v80, v69
	v_pk_add_f32 v[80:81], v[68:69], v[80:81]
	v_cmp_lt_f32_e64 s[10:11], |v98|, s9
	v_pk_add_f32 v[70:71], v[70:71], v[80:81]
	v_mov_b32_e32 v67, v80
	v_mov_b32_e32 v69, v70
	v_pk_add_f32 v[82:83], v[68:69], v[84:85] neg_lo:[0,1] neg_hi:[0,1]
	s_or_b64 vcc, vcc, s[10:11]
	v_sub_f32_e32 v65, v68, v82
	v_pk_add_f32 v[66:67], v[66:67], v[82:83] neg_lo:[0,1] neg_hi:[0,1]
	v_sub_f32_e32 v65, v84, v65
	v_add_f32_e32 v65, v66, v65
	v_add_f32_e32 v65, v65, v67
	;; [unrolled: 1-line block ×3, first 2 shown]
	v_cndmask_b32_e32 v65, v65, v98, vcc
	v_add_f32_e32 v66, v64, v65
.LBB519_246:
	s_or_b64 exec, exec, s[6:7]
	v_bfe_u32 v64, v66, 16, 1
	s_movk_i32 s9, 0x7fff
	v_add3_u32 v64, v66, v64, s9
	v_lshrrev_b32_e32 v64, 16, v64
	v_mov_b32_e32 v65, 0x7fc0
	v_cmp_o_f32_e32 vcc, v66, v66
	s_nop 1
	v_cndmask_b32_e32 v64, v65, v64, vcc
	v_lshlrev_b32_e32 v67, 16, v64
	v_max_f32_e32 v66, v67, v67
	v_min_f32_e32 v68, v66, v115
	v_cmp_u_f32_e32 vcc, v67, v67
	v_max_f32_e32 v66, v66, v115
	s_nop 0
	v_cndmask_b32_e32 v68, v68, v67, vcc
	v_cndmask_b32_e32 v66, v66, v67, vcc
	v_cndmask_b32_e64 v68, v68, v101, s[36:37]
	v_cndmask_b32_e64 v66, v66, v101, s[36:37]
	v_cmp_neq_f32_e32 vcc, v68, v66
	v_cmp_class_f32_e64 s[6:7], v68, s8
	s_or_b64 s[10:11], vcc, s[6:7]
	s_and_saveexec_b64 s[6:7], s[10:11]
	s_cbranch_execz .LBB519_248
; %bb.247:
	v_sub_f32_e32 v67, v68, v66
	s_mov_b32 s8, 0x3fb8aa3b
	v_mul_f32_e32 v68, 0x3fb8aa3b, v67
	v_fma_f32 v69, v67, s8, -v68
	v_rndne_f32_e32 v70, v68
	v_fmamk_f32 v69, v67, 0x32a5705f, v69
	v_sub_f32_e32 v68, v68, v70
	v_add_f32_e32 v68, v68, v69
	v_exp_f32_e32 v68, v68
	v_cvt_i32_f32_e32 v69, v70
	s_mov_b32 s8, 0xc2ce8ed0
	v_cmp_ngt_f32_e32 vcc, s8, v67
	s_mov_b32 s8, 0x42b17218
	v_ldexp_f32 v68, v68, v69
	v_cndmask_b32_e32 v68, 0, v68, vcc
	v_mov_b32_e32 v69, 0x7f800000
	v_cmp_nlt_f32_e32 vcc, s8, v67
	s_mov_b32 s8, 0x3f2aaaab
	s_mov_b32 s10, 0x7f800000
	v_cndmask_b32_e32 v100, v69, v68, vcc
	v_add_f32_e32 v67, 1.0, v100
	v_add_f32_e32 v68, -1.0, v67
	v_sub_f32_e32 v69, v68, v67
	v_add_f32_e32 v69, 1.0, v69
	v_sub_f32_e32 v68, v100, v68
	v_add_f32_e32 v70, v68, v69
	v_frexp_mant_f32_e32 v71, v67
	v_cvt_f64_f32_e32 v[68:69], v67
	v_frexp_exp_i32_f64_e32 v68, v[68:69]
	v_cmp_gt_f32_e32 vcc, s8, v71
	s_mov_b32 s8, 0x3f317218
	s_nop 0
	v_subbrev_co_u32_e32 v84, vcc, 0, v68, vcc
	v_sub_u32_e32 v68, 0, v84
	v_ldexp_f32 v67, v67, v68
	v_ldexp_f32 v68, v70, v68
	v_add_f32_e32 v70, -1.0, v67
	v_add_f32_e32 v69, 1.0, v70
	v_sub_f32_e32 v69, v67, v69
	v_add_f32_e32 v71, v68, v69
	v_add_f32_e32 v69, 1.0, v67
	v_add_f32_e32 v80, -1.0, v69
	v_sub_f32_e32 v67, v67, v80
	v_add_f32_e32 v67, v68, v67
	v_add_f32_e32 v85, v69, v67
	v_rcp_f32_e32 v86, v85
	v_sub_f32_e32 v68, v69, v85
	v_add_f32_e32 v69, v70, v71
	v_add_f32_e32 v67, v67, v68
	v_mul_f32_e32 v96, v69, v86
	v_sub_f32_e32 v68, v70, v69
	v_mul_f32_e32 v70, v85, v96
	v_fma_f32 v80, v96, v85, -v70
	v_fmac_f32_e32 v80, v96, v67
	v_add_f32_e32 v87, v71, v68
	v_add_f32_e32 v68, v70, v80
	v_sub_f32_e32 v71, v69, v68
	v_pk_add_f32 v[82:83], v[68:69], v[70:71] neg_lo:[0,1] neg_hi:[0,1]
	v_mov_b32_e32 v81, v68
	v_pk_add_f32 v[68:69], v[82:83], v[80:81] neg_lo:[0,1] neg_hi:[0,1]
	v_cmp_eq_f32_e32 vcc, s10, v100
	v_add_f32_e32 v69, v87, v69
	v_add_f32_e32 v68, v68, v69
	;; [unrolled: 1-line block ×3, first 2 shown]
	v_mul_f32_e32 v87, v86, v69
	v_mul_f32_e32 v70, v85, v87
	v_fma_f32 v80, v87, v85, -v70
	v_fmac_f32_e32 v80, v87, v67
	v_sub_f32_e32 v67, v71, v69
	v_add_f32_e32 v67, v68, v67
	v_add_f32_e32 v68, v70, v80
	v_sub_f32_e32 v71, v69, v68
	v_pk_add_f32 v[82:83], v[68:69], v[70:71] neg_lo:[0,1] neg_hi:[0,1]
	v_mov_b32_e32 v81, v68
	v_pk_add_f32 v[68:69], v[82:83], v[80:81] neg_lo:[0,1] neg_hi:[0,1]
	v_cvt_f32_i32_e32 v70, v84
	v_add_f32_e32 v67, v67, v69
	v_add_f32_e32 v67, v68, v67
	;; [unrolled: 1-line block ×4, first 2 shown]
	v_sub_f32_e32 v69, v68, v96
	v_mul_f32_e32 v67, v86, v67
	v_sub_f32_e32 v69, v87, v69
	v_add_f32_e32 v67, v69, v67
	v_add_f32_e32 v71, v68, v67
	v_mul_f32_e32 v80, v71, v71
	v_mov_b32_e32 v69, 0x3ecc95a3
	v_fmac_f32_e32 v69, 0x3e9b6dac, v80
	v_sub_f32_e32 v68, v71, v68
	v_fmaak_f32 v69, v80, v69, 0x3f2aaada
	v_sub_f32_e32 v67, v67, v68
	v_ldexp_f32 v81, v71, 1
	v_mul_f32_e32 v71, v71, v80
	v_mov_b32_e32 v68, 0x3f317218
	v_pk_mul_f32 v[68:69], v[70:71], v[68:69]
	v_ldexp_f32 v67, v67, 1
	v_fma_f32 v71, v70, s8, -v68
	v_fmamk_f32 v80, v70, 0xb102e308, v71
	v_pk_add_f32 v[70:71], v[68:69], v[80:81]
	v_mov_b32_e32 v82, v68
	v_sub_f32_e32 v81, v71, v81
	v_sub_f32_e32 v81, v69, v81
	v_add_f32_e32 v83, v67, v81
	v_pk_add_f32 v[68:69], v[70:71], v[68:69] neg_lo:[0,1] neg_hi:[0,1]
	v_pk_add_f32 v[84:85], v[70:71], v[82:83]
	v_mov_b32_e32 v81, v70
	v_mov_b32_e32 v69, v85
	v_pk_add_f32 v[86:87], v[80:81], v[68:69] neg_lo:[0,1] neg_hi:[0,1]
	v_pk_add_f32 v[68:69], v[80:81], v[68:69]
	v_mov_b32_e32 v82, v83
	v_mov_b32_e32 v80, v69
	v_pk_add_f32 v[96:97], v[80:81], v[70:71] neg_lo:[0,1] neg_hi:[0,1]
	v_mov_b32_e32 v68, v85
	v_mov_b32_e32 v67, v96
	v_pk_add_f32 v[98:99], v[84:85], v[66:67] neg_lo:[0,1] neg_hi:[0,1]
	v_mov_b32_e32 v84, v71
	v_mov_b32_e32 v85, v96
	;; [unrolled: 1-line block ×3, first 2 shown]
	v_pk_add_f32 v[68:69], v[68:69], v[84:85] neg_lo:[0,1] neg_hi:[0,1]
	v_mov_b32_e32 v83, v70
	v_pk_add_f32 v[68:69], v[82:83], v[68:69] neg_lo:[0,1] neg_hi:[0,1]
	v_mov_b32_e32 v98, v86
	v_pk_add_f32 v[70:71], v[98:99], v[68:69]
	s_mov_b32 s8, 0x33800000
	v_mov_b32_e32 v82, v71
	v_pk_add_f32 v[82:83], v[70:71], v[82:83]
	v_cmp_lt_f32_e64 s[10:11], |v100|, s8
	v_pk_add_f32 v[80:81], v[80:81], v[82:83]
	v_mov_b32_e32 v69, v82
	v_mov_b32_e32 v71, v80
	v_pk_add_f32 v[84:85], v[70:71], v[86:87] neg_lo:[0,1] neg_hi:[0,1]
	s_or_b64 vcc, vcc, s[10:11]
	v_sub_f32_e32 v67, v70, v84
	v_pk_add_f32 v[68:69], v[68:69], v[84:85] neg_lo:[0,1] neg_hi:[0,1]
	v_sub_f32_e32 v67, v86, v67
	v_add_f32_e32 v67, v68, v67
	v_add_f32_e32 v67, v67, v69
	v_add_f32_e32 v67, v80, v67
	v_cndmask_b32_e32 v67, v67, v100, vcc
	v_add_f32_e32 v67, v66, v67
.LBB519_248:
	s_or_b64 exec, exec, s[6:7]
	v_bfe_u32 v66, v67, 16, 1
	v_add3_u32 v66, v67, v66, s9
	v_lshrrev_b32_e32 v66, 16, v66
	v_cmp_o_f32_e32 vcc, v67, v67
	s_movk_i32 s8, 0x1f8
	s_nop 0
	v_cndmask_b32_e32 v65, v65, v66, vcc
	v_lshlrev_b32_e32 v68, 16, v65
	v_max_f32_e32 v66, v68, v68
	v_min_f32_e32 v67, v66, v118
	v_cmp_u_f32_e32 vcc, v68, v68
	v_max_f32_e32 v66, v66, v118
	s_nop 0
	v_cndmask_b32_e32 v67, v67, v68, vcc
	v_cndmask_b32_e32 v66, v66, v68, vcc
	v_cndmask_b32_e64 v67, v67, v112, s[38:39]
	v_cndmask_b32_e64 v66, v66, v112, s[38:39]
	v_cmp_neq_f32_e32 vcc, v67, v66
	v_cmp_class_f32_e64 s[6:7], v67, s8
	s_or_b64 s[10:11], vcc, s[6:7]
	s_and_saveexec_b64 s[6:7], s[10:11]
	s_cbranch_execz .LBB519_250
; %bb.249:
	v_sub_f32_e32 v67, v67, v66
	s_mov_b32 s9, 0x3fb8aa3b
	v_mul_f32_e32 v68, 0x3fb8aa3b, v67
	v_fma_f32 v69, v67, s9, -v68
	v_rndne_f32_e32 v70, v68
	v_fmamk_f32 v69, v67, 0x32a5705f, v69
	v_sub_f32_e32 v68, v68, v70
	v_add_f32_e32 v68, v68, v69
	v_exp_f32_e32 v68, v68
	v_cvt_i32_f32_e32 v69, v70
	s_mov_b32 s9, 0xc2ce8ed0
	v_cmp_ngt_f32_e32 vcc, s9, v67
	s_mov_b32 s9, 0x42b17218
	v_ldexp_f32 v68, v68, v69
	v_cndmask_b32_e32 v68, 0, v68, vcc
	v_mov_b32_e32 v69, 0x7f800000
	v_cmp_nlt_f32_e32 vcc, s9, v67
	s_mov_b32 s9, 0x3f2aaaab
	s_mov_b32 s10, 0x7f800000
	v_cndmask_b32_e32 v100, v69, v68, vcc
	v_add_f32_e32 v67, 1.0, v100
	v_add_f32_e32 v68, -1.0, v67
	v_sub_f32_e32 v69, v68, v67
	v_add_f32_e32 v69, 1.0, v69
	v_sub_f32_e32 v68, v100, v68
	v_add_f32_e32 v70, v68, v69
	v_frexp_mant_f32_e32 v71, v67
	v_cvt_f64_f32_e32 v[68:69], v67
	v_frexp_exp_i32_f64_e32 v68, v[68:69]
	v_cmp_gt_f32_e32 vcc, s9, v71
	s_mov_b32 s9, 0x3f317218
	s_nop 0
	v_subbrev_co_u32_e32 v84, vcc, 0, v68, vcc
	v_sub_u32_e32 v68, 0, v84
	v_ldexp_f32 v67, v67, v68
	v_ldexp_f32 v68, v70, v68
	v_add_f32_e32 v70, -1.0, v67
	v_add_f32_e32 v69, 1.0, v70
	v_sub_f32_e32 v69, v67, v69
	v_add_f32_e32 v71, v68, v69
	v_add_f32_e32 v69, 1.0, v67
	v_add_f32_e32 v80, -1.0, v69
	v_sub_f32_e32 v67, v67, v80
	v_add_f32_e32 v67, v68, v67
	v_add_f32_e32 v85, v69, v67
	v_rcp_f32_e32 v86, v85
	v_sub_f32_e32 v68, v69, v85
	v_add_f32_e32 v69, v70, v71
	v_add_f32_e32 v67, v67, v68
	v_mul_f32_e32 v96, v69, v86
	v_sub_f32_e32 v68, v70, v69
	v_mul_f32_e32 v70, v85, v96
	v_fma_f32 v80, v96, v85, -v70
	v_fmac_f32_e32 v80, v96, v67
	v_add_f32_e32 v87, v71, v68
	v_add_f32_e32 v68, v70, v80
	v_sub_f32_e32 v71, v69, v68
	v_pk_add_f32 v[82:83], v[68:69], v[70:71] neg_lo:[0,1] neg_hi:[0,1]
	v_mov_b32_e32 v81, v68
	v_pk_add_f32 v[68:69], v[82:83], v[80:81] neg_lo:[0,1] neg_hi:[0,1]
	v_cmp_eq_f32_e32 vcc, s10, v100
	v_add_f32_e32 v69, v87, v69
	v_add_f32_e32 v68, v68, v69
	;; [unrolled: 1-line block ×3, first 2 shown]
	v_mul_f32_e32 v87, v86, v69
	v_mul_f32_e32 v70, v85, v87
	v_fma_f32 v80, v87, v85, -v70
	v_fmac_f32_e32 v80, v87, v67
	v_sub_f32_e32 v67, v71, v69
	v_add_f32_e32 v67, v68, v67
	v_add_f32_e32 v68, v70, v80
	v_sub_f32_e32 v71, v69, v68
	v_pk_add_f32 v[82:83], v[68:69], v[70:71] neg_lo:[0,1] neg_hi:[0,1]
	v_mov_b32_e32 v81, v68
	v_pk_add_f32 v[68:69], v[82:83], v[80:81] neg_lo:[0,1] neg_hi:[0,1]
	v_cvt_f32_i32_e32 v70, v84
	v_add_f32_e32 v67, v67, v69
	v_add_f32_e32 v67, v68, v67
	;; [unrolled: 1-line block ×4, first 2 shown]
	v_sub_f32_e32 v69, v68, v96
	v_mul_f32_e32 v67, v86, v67
	v_sub_f32_e32 v69, v87, v69
	v_add_f32_e32 v67, v69, v67
	v_add_f32_e32 v71, v68, v67
	v_mul_f32_e32 v80, v71, v71
	v_mov_b32_e32 v69, 0x3ecc95a3
	v_fmac_f32_e32 v69, 0x3e9b6dac, v80
	v_sub_f32_e32 v68, v71, v68
	v_fmaak_f32 v69, v80, v69, 0x3f2aaada
	v_sub_f32_e32 v67, v67, v68
	v_ldexp_f32 v81, v71, 1
	v_mul_f32_e32 v71, v71, v80
	v_mov_b32_e32 v68, 0x3f317218
	v_pk_mul_f32 v[68:69], v[70:71], v[68:69]
	v_ldexp_f32 v67, v67, 1
	v_fma_f32 v71, v70, s9, -v68
	v_fmamk_f32 v80, v70, 0xb102e308, v71
	v_pk_add_f32 v[70:71], v[68:69], v[80:81]
	v_mov_b32_e32 v82, v68
	v_sub_f32_e32 v81, v71, v81
	v_sub_f32_e32 v81, v69, v81
	v_add_f32_e32 v83, v67, v81
	v_pk_add_f32 v[68:69], v[70:71], v[68:69] neg_lo:[0,1] neg_hi:[0,1]
	v_pk_add_f32 v[84:85], v[70:71], v[82:83]
	v_mov_b32_e32 v81, v70
	v_mov_b32_e32 v69, v85
	v_pk_add_f32 v[86:87], v[80:81], v[68:69] neg_lo:[0,1] neg_hi:[0,1]
	v_pk_add_f32 v[68:69], v[80:81], v[68:69]
	v_mov_b32_e32 v82, v83
	v_mov_b32_e32 v80, v69
	v_pk_add_f32 v[96:97], v[80:81], v[70:71] neg_lo:[0,1] neg_hi:[0,1]
	v_mov_b32_e32 v68, v85
	v_mov_b32_e32 v67, v96
	v_pk_add_f32 v[98:99], v[84:85], v[66:67] neg_lo:[0,1] neg_hi:[0,1]
	v_mov_b32_e32 v84, v71
	v_mov_b32_e32 v85, v96
	;; [unrolled: 1-line block ×3, first 2 shown]
	v_pk_add_f32 v[68:69], v[68:69], v[84:85] neg_lo:[0,1] neg_hi:[0,1]
	v_mov_b32_e32 v83, v70
	v_pk_add_f32 v[68:69], v[82:83], v[68:69] neg_lo:[0,1] neg_hi:[0,1]
	v_mov_b32_e32 v98, v86
	v_pk_add_f32 v[70:71], v[98:99], v[68:69]
	s_mov_b32 s9, 0x33800000
	v_mov_b32_e32 v82, v71
	v_pk_add_f32 v[82:83], v[70:71], v[82:83]
	v_cmp_lt_f32_e64 s[10:11], |v100|, s9
	v_pk_add_f32 v[80:81], v[80:81], v[82:83]
	v_mov_b32_e32 v69, v82
	v_mov_b32_e32 v71, v80
	v_pk_add_f32 v[84:85], v[70:71], v[86:87] neg_lo:[0,1] neg_hi:[0,1]
	s_or_b64 vcc, vcc, s[10:11]
	v_sub_f32_e32 v67, v70, v84
	v_pk_add_f32 v[68:69], v[68:69], v[84:85] neg_lo:[0,1] neg_hi:[0,1]
	v_sub_f32_e32 v67, v86, v67
	v_add_f32_e32 v67, v68, v67
	v_add_f32_e32 v67, v67, v69
	;; [unrolled: 1-line block ×3, first 2 shown]
	v_cndmask_b32_e32 v67, v67, v100, vcc
	v_add_f32_e32 v68, v66, v67
.LBB519_250:
	s_or_b64 exec, exec, s[6:7]
	v_bfe_u32 v66, v68, 16, 1
	s_movk_i32 s9, 0x7fff
	v_add3_u32 v66, v68, v66, s9
	v_lshrrev_b32_e32 v66, 16, v66
	v_mov_b32_e32 v67, 0x7fc0
	v_cmp_o_f32_e32 vcc, v68, v68
	s_nop 1
	v_cndmask_b32_e32 v66, v67, v66, vcc
	v_lshlrev_b32_e32 v69, 16, v66
	v_max_f32_e32 v68, v69, v69
	v_min_f32_e32 v70, v68, v119
	v_cmp_u_f32_e32 vcc, v69, v69
	v_max_f32_e32 v68, v68, v119
	s_nop 0
	v_cndmask_b32_e32 v70, v70, v69, vcc
	v_cndmask_b32_e32 v68, v68, v69, vcc
	v_cndmask_b32_e64 v70, v70, v113, s[40:41]
	v_cndmask_b32_e64 v68, v68, v113, s[40:41]
	v_cmp_neq_f32_e32 vcc, v70, v68
	v_cmp_class_f32_e64 s[6:7], v70, s8
	s_or_b64 s[10:11], vcc, s[6:7]
	s_and_saveexec_b64 s[6:7], s[10:11]
	s_cbranch_execz .LBB519_252
; %bb.251:
	v_sub_f32_e32 v69, v70, v68
	s_mov_b32 s8, 0x3fb8aa3b
	v_mul_f32_e32 v70, 0x3fb8aa3b, v69
	v_fma_f32 v71, v69, s8, -v70
	v_rndne_f32_e32 v80, v70
	v_fmamk_f32 v71, v69, 0x32a5705f, v71
	v_sub_f32_e32 v70, v70, v80
	v_add_f32_e32 v70, v70, v71
	v_exp_f32_e32 v70, v70
	v_cvt_i32_f32_e32 v71, v80
	s_mov_b32 s8, 0xc2ce8ed0
	v_cmp_ngt_f32_e32 vcc, s8, v69
	s_mov_b32 s8, 0x42b17218
	v_ldexp_f32 v70, v70, v71
	v_cndmask_b32_e32 v70, 0, v70, vcc
	v_mov_b32_e32 v71, 0x7f800000
	v_cmp_nlt_f32_e32 vcc, s8, v69
	s_mov_b32 s8, 0x3f2aaaab
	s_mov_b32 s10, 0x7f800000
	v_cndmask_b32_e32 v102, v71, v70, vcc
	v_add_f32_e32 v69, 1.0, v102
	v_add_f32_e32 v70, -1.0, v69
	v_sub_f32_e32 v71, v70, v69
	v_add_f32_e32 v71, 1.0, v71
	v_sub_f32_e32 v70, v102, v70
	v_add_f32_e32 v80, v70, v71
	v_frexp_mant_f32_e32 v81, v69
	v_cvt_f64_f32_e32 v[70:71], v69
	v_frexp_exp_i32_f64_e32 v70, v[70:71]
	v_cmp_gt_f32_e32 vcc, s8, v81
	s_mov_b32 s8, 0x3f317218
	s_nop 0
	v_subbrev_co_u32_e32 v86, vcc, 0, v70, vcc
	v_sub_u32_e32 v70, 0, v86
	v_ldexp_f32 v69, v69, v70
	v_ldexp_f32 v70, v80, v70
	v_add_f32_e32 v80, -1.0, v69
	v_add_f32_e32 v71, 1.0, v80
	v_sub_f32_e32 v71, v69, v71
	v_add_f32_e32 v81, v70, v71
	v_add_f32_e32 v71, 1.0, v69
	v_add_f32_e32 v82, -1.0, v71
	v_sub_f32_e32 v69, v69, v82
	v_add_f32_e32 v69, v70, v69
	v_add_f32_e32 v87, v71, v69
	v_rcp_f32_e32 v96, v87
	v_sub_f32_e32 v70, v71, v87
	v_add_f32_e32 v71, v80, v81
	v_add_f32_e32 v69, v69, v70
	v_mul_f32_e32 v98, v71, v96
	v_sub_f32_e32 v70, v80, v71
	v_mul_f32_e32 v80, v87, v98
	v_fma_f32 v82, v98, v87, -v80
	v_fmac_f32_e32 v82, v98, v69
	v_add_f32_e32 v97, v81, v70
	v_add_f32_e32 v70, v80, v82
	v_sub_f32_e32 v81, v71, v70
	v_pk_add_f32 v[84:85], v[70:71], v[80:81] neg_lo:[0,1] neg_hi:[0,1]
	v_mov_b32_e32 v83, v70
	v_pk_add_f32 v[70:71], v[84:85], v[82:83] neg_lo:[0,1] neg_hi:[0,1]
	v_cmp_eq_f32_e32 vcc, s10, v102
	v_add_f32_e32 v71, v97, v71
	v_add_f32_e32 v70, v70, v71
	;; [unrolled: 1-line block ×3, first 2 shown]
	v_mul_f32_e32 v97, v96, v71
	v_mul_f32_e32 v80, v87, v97
	v_fma_f32 v82, v97, v87, -v80
	v_fmac_f32_e32 v82, v97, v69
	v_sub_f32_e32 v69, v81, v71
	v_add_f32_e32 v69, v70, v69
	v_add_f32_e32 v70, v80, v82
	v_sub_f32_e32 v81, v71, v70
	v_pk_add_f32 v[84:85], v[70:71], v[80:81] neg_lo:[0,1] neg_hi:[0,1]
	v_mov_b32_e32 v83, v70
	v_pk_add_f32 v[70:71], v[84:85], v[82:83] neg_lo:[0,1] neg_hi:[0,1]
	v_cvt_f32_i32_e32 v80, v86
	v_add_f32_e32 v69, v69, v71
	v_add_f32_e32 v69, v70, v69
	;; [unrolled: 1-line block ×4, first 2 shown]
	v_sub_f32_e32 v71, v70, v98
	v_mul_f32_e32 v69, v96, v69
	v_sub_f32_e32 v71, v97, v71
	v_add_f32_e32 v69, v71, v69
	v_add_f32_e32 v81, v70, v69
	v_mul_f32_e32 v82, v81, v81
	v_mov_b32_e32 v71, 0x3ecc95a3
	v_fmac_f32_e32 v71, 0x3e9b6dac, v82
	v_sub_f32_e32 v70, v81, v70
	v_fmaak_f32 v71, v82, v71, 0x3f2aaada
	v_sub_f32_e32 v69, v69, v70
	v_ldexp_f32 v83, v81, 1
	v_mul_f32_e32 v81, v81, v82
	v_mov_b32_e32 v70, 0x3f317218
	v_pk_mul_f32 v[70:71], v[80:81], v[70:71]
	v_ldexp_f32 v69, v69, 1
	v_fma_f32 v81, v80, s8, -v70
	v_fmamk_f32 v82, v80, 0xb102e308, v81
	v_pk_add_f32 v[80:81], v[70:71], v[82:83]
	v_mov_b32_e32 v84, v70
	v_sub_f32_e32 v83, v81, v83
	v_sub_f32_e32 v83, v71, v83
	v_add_f32_e32 v85, v69, v83
	v_pk_add_f32 v[70:71], v[80:81], v[70:71] neg_lo:[0,1] neg_hi:[0,1]
	v_pk_add_f32 v[86:87], v[80:81], v[84:85]
	v_mov_b32_e32 v83, v80
	v_mov_b32_e32 v71, v87
	v_pk_add_f32 v[96:97], v[82:83], v[70:71] neg_lo:[0,1] neg_hi:[0,1]
	v_pk_add_f32 v[70:71], v[82:83], v[70:71]
	v_mov_b32_e32 v84, v85
	v_mov_b32_e32 v82, v71
	v_pk_add_f32 v[98:99], v[82:83], v[80:81] neg_lo:[0,1] neg_hi:[0,1]
	v_mov_b32_e32 v70, v87
	v_mov_b32_e32 v69, v98
	v_pk_add_f32 v[100:101], v[86:87], v[68:69] neg_lo:[0,1] neg_hi:[0,1]
	v_mov_b32_e32 v86, v81
	v_mov_b32_e32 v87, v98
	;; [unrolled: 1-line block ×3, first 2 shown]
	v_pk_add_f32 v[70:71], v[70:71], v[86:87] neg_lo:[0,1] neg_hi:[0,1]
	v_mov_b32_e32 v85, v80
	v_pk_add_f32 v[70:71], v[84:85], v[70:71] neg_lo:[0,1] neg_hi:[0,1]
	v_mov_b32_e32 v100, v96
	v_pk_add_f32 v[80:81], v[100:101], v[70:71]
	s_mov_b32 s8, 0x33800000
	v_mov_b32_e32 v84, v81
	v_pk_add_f32 v[84:85], v[80:81], v[84:85]
	v_cmp_lt_f32_e64 s[10:11], |v102|, s8
	v_pk_add_f32 v[82:83], v[82:83], v[84:85]
	v_mov_b32_e32 v71, v84
	v_mov_b32_e32 v81, v82
	v_pk_add_f32 v[86:87], v[80:81], v[96:97] neg_lo:[0,1] neg_hi:[0,1]
	s_or_b64 vcc, vcc, s[10:11]
	v_sub_f32_e32 v69, v80, v86
	v_pk_add_f32 v[70:71], v[70:71], v[86:87] neg_lo:[0,1] neg_hi:[0,1]
	v_sub_f32_e32 v69, v96, v69
	v_add_f32_e32 v69, v70, v69
	v_add_f32_e32 v69, v69, v71
	;; [unrolled: 1-line block ×3, first 2 shown]
	v_cndmask_b32_e32 v69, v69, v102, vcc
	v_add_f32_e32 v69, v68, v69
.LBB519_252:
	s_or_b64 exec, exec, s[6:7]
	v_bfe_u32 v68, v69, 16, 1
	v_add3_u32 v68, v69, v68, s9
	v_lshrrev_b32_e32 v68, 16, v68
	v_cmp_o_f32_e32 vcc, v69, v69
	s_movk_i32 s8, 0x1f8
	s_nop 0
	v_cndmask_b32_e32 v67, v67, v68, vcc
	v_lshlrev_b32_e32 v70, 16, v67
	v_max_f32_e32 v68, v70, v70
	v_min_f32_e32 v69, v68, v130
	v_cmp_u_f32_e32 vcc, v70, v70
	v_max_f32_e32 v68, v68, v130
	s_nop 0
	v_cndmask_b32_e32 v69, v69, v70, vcc
	v_cndmask_b32_e32 v68, v68, v70, vcc
	v_cndmask_b32_e64 v69, v69, v116, s[42:43]
	v_cndmask_b32_e64 v68, v68, v116, s[42:43]
	v_cmp_neq_f32_e32 vcc, v69, v68
	v_cmp_class_f32_e64 s[6:7], v69, s8
	s_or_b64 s[10:11], vcc, s[6:7]
	s_and_saveexec_b64 s[6:7], s[10:11]
	s_cbranch_execz .LBB519_254
; %bb.253:
	v_sub_f32_e32 v69, v69, v68
	s_mov_b32 s9, 0x3fb8aa3b
	v_mul_f32_e32 v70, 0x3fb8aa3b, v69
	v_fma_f32 v71, v69, s9, -v70
	v_rndne_f32_e32 v80, v70
	v_fmamk_f32 v71, v69, 0x32a5705f, v71
	v_sub_f32_e32 v70, v70, v80
	v_add_f32_e32 v70, v70, v71
	v_exp_f32_e32 v70, v70
	v_cvt_i32_f32_e32 v71, v80
	s_mov_b32 s9, 0xc2ce8ed0
	v_cmp_ngt_f32_e32 vcc, s9, v69
	s_mov_b32 s9, 0x42b17218
	v_ldexp_f32 v70, v70, v71
	v_cndmask_b32_e32 v70, 0, v70, vcc
	v_mov_b32_e32 v71, 0x7f800000
	v_cmp_nlt_f32_e32 vcc, s9, v69
	s_mov_b32 s9, 0x3f2aaaab
	s_mov_b32 s10, 0x7f800000
	v_cndmask_b32_e32 v102, v71, v70, vcc
	v_add_f32_e32 v69, 1.0, v102
	v_add_f32_e32 v70, -1.0, v69
	v_sub_f32_e32 v71, v70, v69
	v_add_f32_e32 v71, 1.0, v71
	v_sub_f32_e32 v70, v102, v70
	v_add_f32_e32 v80, v70, v71
	v_frexp_mant_f32_e32 v81, v69
	v_cvt_f64_f32_e32 v[70:71], v69
	v_frexp_exp_i32_f64_e32 v70, v[70:71]
	v_cmp_gt_f32_e32 vcc, s9, v81
	s_mov_b32 s9, 0x3f317218
	s_nop 0
	v_subbrev_co_u32_e32 v86, vcc, 0, v70, vcc
	v_sub_u32_e32 v70, 0, v86
	v_ldexp_f32 v69, v69, v70
	v_ldexp_f32 v70, v80, v70
	v_add_f32_e32 v80, -1.0, v69
	v_add_f32_e32 v71, 1.0, v80
	v_sub_f32_e32 v71, v69, v71
	v_add_f32_e32 v81, v70, v71
	v_add_f32_e32 v71, 1.0, v69
	v_add_f32_e32 v82, -1.0, v71
	v_sub_f32_e32 v69, v69, v82
	v_add_f32_e32 v69, v70, v69
	v_add_f32_e32 v87, v71, v69
	v_rcp_f32_e32 v96, v87
	v_sub_f32_e32 v70, v71, v87
	v_add_f32_e32 v71, v80, v81
	v_add_f32_e32 v69, v69, v70
	v_mul_f32_e32 v98, v71, v96
	v_sub_f32_e32 v70, v80, v71
	v_mul_f32_e32 v80, v87, v98
	v_fma_f32 v82, v98, v87, -v80
	v_fmac_f32_e32 v82, v98, v69
	v_add_f32_e32 v97, v81, v70
	v_add_f32_e32 v70, v80, v82
	v_sub_f32_e32 v81, v71, v70
	v_pk_add_f32 v[84:85], v[70:71], v[80:81] neg_lo:[0,1] neg_hi:[0,1]
	v_mov_b32_e32 v83, v70
	v_pk_add_f32 v[70:71], v[84:85], v[82:83] neg_lo:[0,1] neg_hi:[0,1]
	v_cmp_eq_f32_e32 vcc, s10, v102
	v_add_f32_e32 v71, v97, v71
	v_add_f32_e32 v70, v70, v71
	;; [unrolled: 1-line block ×3, first 2 shown]
	v_mul_f32_e32 v97, v96, v71
	v_mul_f32_e32 v80, v87, v97
	v_fma_f32 v82, v97, v87, -v80
	v_fmac_f32_e32 v82, v97, v69
	v_sub_f32_e32 v69, v81, v71
	v_add_f32_e32 v69, v70, v69
	v_add_f32_e32 v70, v80, v82
	v_sub_f32_e32 v81, v71, v70
	v_pk_add_f32 v[84:85], v[70:71], v[80:81] neg_lo:[0,1] neg_hi:[0,1]
	v_mov_b32_e32 v83, v70
	v_pk_add_f32 v[70:71], v[84:85], v[82:83] neg_lo:[0,1] neg_hi:[0,1]
	v_cvt_f32_i32_e32 v80, v86
	v_add_f32_e32 v69, v69, v71
	v_add_f32_e32 v69, v70, v69
	;; [unrolled: 1-line block ×4, first 2 shown]
	v_sub_f32_e32 v71, v70, v98
	v_mul_f32_e32 v69, v96, v69
	v_sub_f32_e32 v71, v97, v71
	v_add_f32_e32 v69, v71, v69
	v_add_f32_e32 v81, v70, v69
	v_mul_f32_e32 v82, v81, v81
	v_mov_b32_e32 v71, 0x3ecc95a3
	v_fmac_f32_e32 v71, 0x3e9b6dac, v82
	v_sub_f32_e32 v70, v81, v70
	v_fmaak_f32 v71, v82, v71, 0x3f2aaada
	v_sub_f32_e32 v69, v69, v70
	v_ldexp_f32 v83, v81, 1
	v_mul_f32_e32 v81, v81, v82
	v_mov_b32_e32 v70, 0x3f317218
	v_pk_mul_f32 v[70:71], v[80:81], v[70:71]
	v_ldexp_f32 v69, v69, 1
	v_fma_f32 v81, v80, s9, -v70
	v_fmamk_f32 v82, v80, 0xb102e308, v81
	v_pk_add_f32 v[80:81], v[70:71], v[82:83]
	v_mov_b32_e32 v84, v70
	v_sub_f32_e32 v83, v81, v83
	v_sub_f32_e32 v83, v71, v83
	v_add_f32_e32 v85, v69, v83
	v_pk_add_f32 v[70:71], v[80:81], v[70:71] neg_lo:[0,1] neg_hi:[0,1]
	v_pk_add_f32 v[86:87], v[80:81], v[84:85]
	v_mov_b32_e32 v83, v80
	v_mov_b32_e32 v71, v87
	v_pk_add_f32 v[96:97], v[82:83], v[70:71] neg_lo:[0,1] neg_hi:[0,1]
	v_pk_add_f32 v[70:71], v[82:83], v[70:71]
	v_mov_b32_e32 v84, v85
	v_mov_b32_e32 v82, v71
	v_pk_add_f32 v[98:99], v[82:83], v[80:81] neg_lo:[0,1] neg_hi:[0,1]
	v_mov_b32_e32 v70, v87
	v_mov_b32_e32 v69, v98
	v_pk_add_f32 v[100:101], v[86:87], v[68:69] neg_lo:[0,1] neg_hi:[0,1]
	v_mov_b32_e32 v86, v81
	v_mov_b32_e32 v87, v98
	v_mov_b32_e32 v97, v71
	v_pk_add_f32 v[70:71], v[70:71], v[86:87] neg_lo:[0,1] neg_hi:[0,1]
	v_mov_b32_e32 v85, v80
	v_pk_add_f32 v[70:71], v[84:85], v[70:71] neg_lo:[0,1] neg_hi:[0,1]
	v_mov_b32_e32 v100, v96
	v_pk_add_f32 v[80:81], v[100:101], v[70:71]
	s_mov_b32 s9, 0x33800000
	v_mov_b32_e32 v84, v81
	v_pk_add_f32 v[84:85], v[80:81], v[84:85]
	v_cmp_lt_f32_e64 s[10:11], |v102|, s9
	v_pk_add_f32 v[82:83], v[82:83], v[84:85]
	v_mov_b32_e32 v71, v84
	v_mov_b32_e32 v81, v82
	v_pk_add_f32 v[86:87], v[80:81], v[96:97] neg_lo:[0,1] neg_hi:[0,1]
	s_or_b64 vcc, vcc, s[10:11]
	v_sub_f32_e32 v69, v80, v86
	v_pk_add_f32 v[70:71], v[70:71], v[86:87] neg_lo:[0,1] neg_hi:[0,1]
	v_sub_f32_e32 v69, v96, v69
	v_add_f32_e32 v69, v70, v69
	v_add_f32_e32 v69, v69, v71
	;; [unrolled: 1-line block ×3, first 2 shown]
	v_cndmask_b32_e32 v69, v69, v102, vcc
	v_add_f32_e32 v70, v68, v69
.LBB519_254:
	s_or_b64 exec, exec, s[6:7]
	v_bfe_u32 v68, v70, 16, 1
	s_movk_i32 s9, 0x7fff
	v_add3_u32 v68, v70, v68, s9
	v_lshrrev_b32_e32 v68, 16, v68
	v_mov_b32_e32 v69, 0x7fc0
	v_cmp_o_f32_e32 vcc, v70, v70
	s_nop 1
	v_cndmask_b32_e32 v68, v69, v68, vcc
	v_lshlrev_b32_e32 v71, 16, v68
	v_max_f32_e32 v70, v71, v71
	v_min_f32_e32 v80, v70, v131
	v_cmp_u_f32_e32 vcc, v71, v71
	v_max_f32_e32 v70, v70, v131
	s_nop 0
	v_cndmask_b32_e32 v80, v80, v71, vcc
	v_cndmask_b32_e32 v70, v70, v71, vcc
	v_cndmask_b32_e64 v80, v80, v117, s[44:45]
	v_cndmask_b32_e64 v70, v70, v117, s[44:45]
	v_cmp_neq_f32_e32 vcc, v80, v70
	v_cmp_class_f32_e64 s[6:7], v80, s8
	s_or_b64 s[10:11], vcc, s[6:7]
	s_and_saveexec_b64 s[6:7], s[10:11]
	s_cbranch_execz .LBB519_256
; %bb.255:
	v_sub_f32_e32 v71, v80, v70
	s_mov_b32 s8, 0x3fb8aa3b
	v_mul_f32_e32 v80, 0x3fb8aa3b, v71
	v_fma_f32 v81, v71, s8, -v80
	v_rndne_f32_e32 v82, v80
	v_fmamk_f32 v81, v71, 0x32a5705f, v81
	v_sub_f32_e32 v80, v80, v82
	v_add_f32_e32 v80, v80, v81
	v_exp_f32_e32 v80, v80
	v_cvt_i32_f32_e32 v81, v82
	s_mov_b32 s8, 0xc2ce8ed0
	v_cmp_ngt_f32_e32 vcc, s8, v71
	s_mov_b32 s8, 0x42b17218
	v_ldexp_f32 v80, v80, v81
	v_cndmask_b32_e32 v80, 0, v80, vcc
	v_mov_b32_e32 v81, 0x7f800000
	v_cmp_nlt_f32_e32 vcc, s8, v71
	s_mov_b32 s8, 0x3f2aaaab
	s_mov_b32 s10, 0x7f800000
	v_cndmask_b32_e32 v112, v81, v80, vcc
	v_add_f32_e32 v71, 1.0, v112
	v_add_f32_e32 v80, -1.0, v71
	v_sub_f32_e32 v81, v80, v71
	v_add_f32_e32 v81, 1.0, v81
	v_sub_f32_e32 v80, v112, v80
	v_add_f32_e32 v82, v80, v81
	v_frexp_mant_f32_e32 v83, v71
	v_cvt_f64_f32_e32 v[80:81], v71
	v_frexp_exp_i32_f64_e32 v80, v[80:81]
	v_cmp_gt_f32_e32 vcc, s8, v83
	s_mov_b32 s8, 0x3f317218
	s_nop 0
	v_subbrev_co_u32_e32 v96, vcc, 0, v80, vcc
	v_sub_u32_e32 v80, 0, v96
	v_ldexp_f32 v71, v71, v80
	v_ldexp_f32 v80, v82, v80
	v_add_f32_e32 v82, -1.0, v71
	v_add_f32_e32 v81, 1.0, v82
	v_sub_f32_e32 v81, v71, v81
	v_add_f32_e32 v83, v80, v81
	v_add_f32_e32 v81, 1.0, v71
	v_add_f32_e32 v84, -1.0, v81
	v_sub_f32_e32 v71, v71, v84
	v_add_f32_e32 v71, v80, v71
	v_add_f32_e32 v97, v81, v71
	v_rcp_f32_e32 v98, v97
	v_sub_f32_e32 v80, v81, v97
	v_add_f32_e32 v81, v82, v83
	v_add_f32_e32 v71, v71, v80
	v_mul_f32_e32 v100, v81, v98
	v_sub_f32_e32 v80, v82, v81
	v_mul_f32_e32 v82, v97, v100
	v_fma_f32 v84, v100, v97, -v82
	v_fmac_f32_e32 v84, v100, v71
	v_add_f32_e32 v99, v83, v80
	v_add_f32_e32 v80, v82, v84
	v_sub_f32_e32 v83, v81, v80
	v_pk_add_f32 v[86:87], v[80:81], v[82:83] neg_lo:[0,1] neg_hi:[0,1]
	v_mov_b32_e32 v85, v80
	v_pk_add_f32 v[80:81], v[86:87], v[84:85] neg_lo:[0,1] neg_hi:[0,1]
	v_cmp_eq_f32_e32 vcc, s10, v112
	v_add_f32_e32 v81, v99, v81
	v_add_f32_e32 v80, v80, v81
	;; [unrolled: 1-line block ×3, first 2 shown]
	v_mul_f32_e32 v99, v98, v81
	v_mul_f32_e32 v82, v97, v99
	v_fma_f32 v84, v99, v97, -v82
	v_fmac_f32_e32 v84, v99, v71
	v_sub_f32_e32 v71, v83, v81
	v_add_f32_e32 v71, v80, v71
	v_add_f32_e32 v80, v82, v84
	v_sub_f32_e32 v83, v81, v80
	v_pk_add_f32 v[86:87], v[80:81], v[82:83] neg_lo:[0,1] neg_hi:[0,1]
	v_mov_b32_e32 v85, v80
	v_pk_add_f32 v[80:81], v[86:87], v[84:85] neg_lo:[0,1] neg_hi:[0,1]
	v_cvt_f32_i32_e32 v82, v96
	v_add_f32_e32 v71, v71, v81
	v_add_f32_e32 v71, v80, v71
	;; [unrolled: 1-line block ×4, first 2 shown]
	v_sub_f32_e32 v81, v80, v100
	v_mul_f32_e32 v71, v98, v71
	v_sub_f32_e32 v81, v99, v81
	v_add_f32_e32 v71, v81, v71
	v_add_f32_e32 v83, v80, v71
	v_mul_f32_e32 v84, v83, v83
	v_mov_b32_e32 v81, 0x3ecc95a3
	v_fmac_f32_e32 v81, 0x3e9b6dac, v84
	v_sub_f32_e32 v80, v83, v80
	v_fmaak_f32 v81, v84, v81, 0x3f2aaada
	v_sub_f32_e32 v71, v71, v80
	v_ldexp_f32 v85, v83, 1
	v_mul_f32_e32 v83, v83, v84
	v_mov_b32_e32 v80, 0x3f317218
	v_pk_mul_f32 v[80:81], v[82:83], v[80:81]
	v_ldexp_f32 v71, v71, 1
	v_fma_f32 v83, v82, s8, -v80
	v_fmamk_f32 v84, v82, 0xb102e308, v83
	v_pk_add_f32 v[82:83], v[80:81], v[84:85]
	v_mov_b32_e32 v86, v80
	v_sub_f32_e32 v85, v83, v85
	v_sub_f32_e32 v85, v81, v85
	v_add_f32_e32 v87, v71, v85
	v_pk_add_f32 v[80:81], v[82:83], v[80:81] neg_lo:[0,1] neg_hi:[0,1]
	v_pk_add_f32 v[96:97], v[82:83], v[86:87]
	v_mov_b32_e32 v85, v82
	v_mov_b32_e32 v81, v97
	v_pk_add_f32 v[98:99], v[84:85], v[80:81] neg_lo:[0,1] neg_hi:[0,1]
	v_pk_add_f32 v[80:81], v[84:85], v[80:81]
	v_mov_b32_e32 v86, v87
	v_mov_b32_e32 v84, v81
	v_pk_add_f32 v[100:101], v[84:85], v[82:83] neg_lo:[0,1] neg_hi:[0,1]
	v_mov_b32_e32 v80, v97
	v_mov_b32_e32 v71, v100
	v_pk_add_f32 v[102:103], v[96:97], v[70:71] neg_lo:[0,1] neg_hi:[0,1]
	v_mov_b32_e32 v96, v83
	v_mov_b32_e32 v97, v100
	;; [unrolled: 1-line block ×3, first 2 shown]
	v_pk_add_f32 v[80:81], v[80:81], v[96:97] neg_lo:[0,1] neg_hi:[0,1]
	v_mov_b32_e32 v87, v82
	v_pk_add_f32 v[80:81], v[86:87], v[80:81] neg_lo:[0,1] neg_hi:[0,1]
	v_mov_b32_e32 v102, v98
	v_pk_add_f32 v[82:83], v[102:103], v[80:81]
	s_mov_b32 s8, 0x33800000
	v_mov_b32_e32 v86, v83
	v_pk_add_f32 v[86:87], v[82:83], v[86:87]
	v_cmp_lt_f32_e64 s[10:11], |v112|, s8
	v_pk_add_f32 v[84:85], v[84:85], v[86:87]
	v_mov_b32_e32 v81, v86
	v_mov_b32_e32 v83, v84
	v_pk_add_f32 v[96:97], v[82:83], v[98:99] neg_lo:[0,1] neg_hi:[0,1]
	s_or_b64 vcc, vcc, s[10:11]
	v_sub_f32_e32 v71, v82, v96
	v_pk_add_f32 v[80:81], v[80:81], v[96:97] neg_lo:[0,1] neg_hi:[0,1]
	v_sub_f32_e32 v71, v98, v71
	v_add_f32_e32 v71, v80, v71
	v_add_f32_e32 v71, v71, v81
	;; [unrolled: 1-line block ×3, first 2 shown]
	v_cndmask_b32_e32 v71, v71, v112, vcc
	v_add_f32_e32 v71, v70, v71
.LBB519_256:
	s_or_b64 exec, exec, s[6:7]
	v_bfe_u32 v70, v71, 16, 1
	v_add3_u32 v70, v71, v70, s9
	v_lshrrev_b32_e32 v70, 16, v70
	v_cmp_o_f32_e32 vcc, v71, v71
	s_movk_i32 s8, 0x1f8
	s_nop 0
	v_cndmask_b32_e32 v69, v69, v70, vcc
	v_lshlrev_b32_e32 v80, 16, v69
	v_max_f32_e32 v70, v80, v80
	v_min_f32_e32 v71, v70, v134
	v_cmp_u_f32_e32 vcc, v80, v80
	v_max_f32_e32 v70, v70, v134
	s_nop 0
	v_cndmask_b32_e32 v71, v71, v80, vcc
	v_cndmask_b32_e32 v70, v70, v80, vcc
	v_cndmask_b32_e64 v71, v71, v128, s[46:47]
	v_cndmask_b32_e64 v70, v70, v128, s[46:47]
	v_cmp_neq_f32_e32 vcc, v71, v70
	v_cmp_class_f32_e64 s[6:7], v71, s8
	s_or_b64 s[10:11], vcc, s[6:7]
	s_and_saveexec_b64 s[6:7], s[10:11]
	s_cbranch_execz .LBB519_258
; %bb.257:
	v_sub_f32_e32 v71, v71, v70
	s_mov_b32 s9, 0x3fb8aa3b
	v_mul_f32_e32 v80, 0x3fb8aa3b, v71
	v_fma_f32 v81, v71, s9, -v80
	v_rndne_f32_e32 v82, v80
	v_fmamk_f32 v81, v71, 0x32a5705f, v81
	v_sub_f32_e32 v80, v80, v82
	v_add_f32_e32 v80, v80, v81
	v_exp_f32_e32 v80, v80
	v_cvt_i32_f32_e32 v81, v82
	s_mov_b32 s9, 0xc2ce8ed0
	v_cmp_ngt_f32_e32 vcc, s9, v71
	s_mov_b32 s9, 0x42b17218
	v_ldexp_f32 v80, v80, v81
	v_cndmask_b32_e32 v80, 0, v80, vcc
	v_mov_b32_e32 v81, 0x7f800000
	v_cmp_nlt_f32_e32 vcc, s9, v71
	s_mov_b32 s9, 0x3f2aaaab
	s_mov_b32 s10, 0x7f800000
	v_cndmask_b32_e32 v112, v81, v80, vcc
	v_add_f32_e32 v71, 1.0, v112
	v_add_f32_e32 v80, -1.0, v71
	v_sub_f32_e32 v81, v80, v71
	v_add_f32_e32 v81, 1.0, v81
	v_sub_f32_e32 v80, v112, v80
	v_add_f32_e32 v82, v80, v81
	v_frexp_mant_f32_e32 v83, v71
	v_cvt_f64_f32_e32 v[80:81], v71
	v_frexp_exp_i32_f64_e32 v80, v[80:81]
	v_cmp_gt_f32_e32 vcc, s9, v83
	s_mov_b32 s9, 0x3f317218
	s_nop 0
	v_subbrev_co_u32_e32 v96, vcc, 0, v80, vcc
	v_sub_u32_e32 v80, 0, v96
	v_ldexp_f32 v71, v71, v80
	v_ldexp_f32 v80, v82, v80
	v_add_f32_e32 v82, -1.0, v71
	v_add_f32_e32 v81, 1.0, v82
	v_sub_f32_e32 v81, v71, v81
	v_add_f32_e32 v83, v80, v81
	v_add_f32_e32 v81, 1.0, v71
	v_add_f32_e32 v84, -1.0, v81
	v_sub_f32_e32 v71, v71, v84
	v_add_f32_e32 v71, v80, v71
	v_add_f32_e32 v97, v81, v71
	v_rcp_f32_e32 v98, v97
	v_sub_f32_e32 v80, v81, v97
	v_add_f32_e32 v81, v82, v83
	v_add_f32_e32 v71, v71, v80
	v_mul_f32_e32 v100, v81, v98
	v_sub_f32_e32 v80, v82, v81
	v_mul_f32_e32 v82, v97, v100
	v_fma_f32 v84, v100, v97, -v82
	v_fmac_f32_e32 v84, v100, v71
	v_add_f32_e32 v99, v83, v80
	v_add_f32_e32 v80, v82, v84
	v_sub_f32_e32 v83, v81, v80
	v_pk_add_f32 v[86:87], v[80:81], v[82:83] neg_lo:[0,1] neg_hi:[0,1]
	v_mov_b32_e32 v85, v80
	v_pk_add_f32 v[80:81], v[86:87], v[84:85] neg_lo:[0,1] neg_hi:[0,1]
	v_cmp_eq_f32_e32 vcc, s10, v112
	v_add_f32_e32 v81, v99, v81
	v_add_f32_e32 v80, v80, v81
	;; [unrolled: 1-line block ×3, first 2 shown]
	v_mul_f32_e32 v99, v98, v81
	v_mul_f32_e32 v82, v97, v99
	v_fma_f32 v84, v99, v97, -v82
	v_fmac_f32_e32 v84, v99, v71
	v_sub_f32_e32 v71, v83, v81
	v_add_f32_e32 v71, v80, v71
	v_add_f32_e32 v80, v82, v84
	v_sub_f32_e32 v83, v81, v80
	v_pk_add_f32 v[86:87], v[80:81], v[82:83] neg_lo:[0,1] neg_hi:[0,1]
	v_mov_b32_e32 v85, v80
	v_pk_add_f32 v[80:81], v[86:87], v[84:85] neg_lo:[0,1] neg_hi:[0,1]
	v_cvt_f32_i32_e32 v82, v96
	v_add_f32_e32 v71, v71, v81
	v_add_f32_e32 v71, v80, v71
	;; [unrolled: 1-line block ×4, first 2 shown]
	v_sub_f32_e32 v81, v80, v100
	v_mul_f32_e32 v71, v98, v71
	v_sub_f32_e32 v81, v99, v81
	v_add_f32_e32 v71, v81, v71
	v_add_f32_e32 v83, v80, v71
	v_mul_f32_e32 v84, v83, v83
	v_mov_b32_e32 v81, 0x3ecc95a3
	v_fmac_f32_e32 v81, 0x3e9b6dac, v84
	v_sub_f32_e32 v80, v83, v80
	v_fmaak_f32 v81, v84, v81, 0x3f2aaada
	v_sub_f32_e32 v71, v71, v80
	v_ldexp_f32 v85, v83, 1
	v_mul_f32_e32 v83, v83, v84
	v_mov_b32_e32 v80, 0x3f317218
	v_pk_mul_f32 v[80:81], v[82:83], v[80:81]
	v_ldexp_f32 v71, v71, 1
	v_fma_f32 v83, v82, s9, -v80
	v_fmamk_f32 v84, v82, 0xb102e308, v83
	v_pk_add_f32 v[82:83], v[80:81], v[84:85]
	v_mov_b32_e32 v86, v80
	v_sub_f32_e32 v85, v83, v85
	v_sub_f32_e32 v85, v81, v85
	v_add_f32_e32 v87, v71, v85
	v_pk_add_f32 v[80:81], v[82:83], v[80:81] neg_lo:[0,1] neg_hi:[0,1]
	v_pk_add_f32 v[96:97], v[82:83], v[86:87]
	v_mov_b32_e32 v85, v82
	v_mov_b32_e32 v81, v97
	v_pk_add_f32 v[98:99], v[84:85], v[80:81] neg_lo:[0,1] neg_hi:[0,1]
	v_pk_add_f32 v[80:81], v[84:85], v[80:81]
	v_mov_b32_e32 v86, v87
	v_mov_b32_e32 v84, v81
	v_pk_add_f32 v[100:101], v[84:85], v[82:83] neg_lo:[0,1] neg_hi:[0,1]
	v_mov_b32_e32 v80, v97
	v_mov_b32_e32 v71, v100
	v_pk_add_f32 v[102:103], v[96:97], v[70:71] neg_lo:[0,1] neg_hi:[0,1]
	v_mov_b32_e32 v96, v83
	v_mov_b32_e32 v97, v100
	;; [unrolled: 1-line block ×3, first 2 shown]
	v_pk_add_f32 v[80:81], v[80:81], v[96:97] neg_lo:[0,1] neg_hi:[0,1]
	v_mov_b32_e32 v87, v82
	v_pk_add_f32 v[80:81], v[86:87], v[80:81] neg_lo:[0,1] neg_hi:[0,1]
	v_mov_b32_e32 v102, v98
	v_pk_add_f32 v[82:83], v[102:103], v[80:81]
	s_mov_b32 s9, 0x33800000
	v_mov_b32_e32 v86, v83
	v_pk_add_f32 v[86:87], v[82:83], v[86:87]
	v_cmp_lt_f32_e64 s[10:11], |v112|, s9
	v_pk_add_f32 v[84:85], v[84:85], v[86:87]
	v_mov_b32_e32 v81, v86
	v_mov_b32_e32 v83, v84
	v_pk_add_f32 v[96:97], v[82:83], v[98:99] neg_lo:[0,1] neg_hi:[0,1]
	s_or_b64 vcc, vcc, s[10:11]
	v_sub_f32_e32 v71, v82, v96
	v_pk_add_f32 v[80:81], v[80:81], v[96:97] neg_lo:[0,1] neg_hi:[0,1]
	v_sub_f32_e32 v71, v98, v71
	v_add_f32_e32 v71, v80, v71
	v_add_f32_e32 v71, v71, v81
	;; [unrolled: 1-line block ×3, first 2 shown]
	v_cndmask_b32_e32 v71, v71, v112, vcc
	v_add_f32_e32 v80, v70, v71
.LBB519_258:
	s_or_b64 exec, exec, s[6:7]
	v_bfe_u32 v70, v80, 16, 1
	s_movk_i32 s9, 0x7fff
	v_add3_u32 v70, v80, v70, s9
	v_lshrrev_b32_e32 v70, 16, v70
	v_mov_b32_e32 v71, 0x7fc0
	v_cmp_o_f32_e32 vcc, v80, v80
	s_nop 1
	v_cndmask_b32_e32 v70, v71, v70, vcc
	v_lshlrev_b32_e32 v81, 16, v70
	v_max_f32_e32 v80, v81, v81
	v_min_f32_e32 v82, v80, v135
	v_cmp_u_f32_e32 vcc, v81, v81
	v_max_f32_e32 v80, v80, v135
	s_nop 0
	v_cndmask_b32_e32 v82, v82, v81, vcc
	v_cndmask_b32_e32 v80, v80, v81, vcc
	v_cndmask_b32_e64 v82, v82, v129, s[48:49]
	v_cndmask_b32_e64 v80, v80, v129, s[48:49]
	v_cmp_neq_f32_e32 vcc, v82, v80
	v_cmp_class_f32_e64 s[6:7], v82, s8
	s_or_b64 s[10:11], vcc, s[6:7]
	s_and_saveexec_b64 s[6:7], s[10:11]
	s_cbranch_execz .LBB519_260
; %bb.259:
	v_sub_f32_e32 v81, v82, v80
	s_mov_b32 s8, 0x3fb8aa3b
	v_mul_f32_e32 v82, 0x3fb8aa3b, v81
	v_fma_f32 v83, v81, s8, -v82
	v_rndne_f32_e32 v84, v82
	v_fmamk_f32 v83, v81, 0x32a5705f, v83
	v_sub_f32_e32 v82, v82, v84
	v_add_f32_e32 v82, v82, v83
	v_exp_f32_e32 v82, v82
	v_cvt_i32_f32_e32 v83, v84
	s_mov_b32 s8, 0xc2ce8ed0
	v_cmp_ngt_f32_e32 vcc, s8, v81
	s_mov_b32 s8, 0x42b17218
	v_ldexp_f32 v82, v82, v83
	v_cndmask_b32_e32 v82, 0, v82, vcc
	v_mov_b32_e32 v83, 0x7f800000
	v_cmp_nlt_f32_e32 vcc, s8, v81
	s_mov_b32 s8, 0x3f2aaaab
	s_mov_b32 s10, 0x7f800000
	v_cndmask_b32_e32 v114, v83, v82, vcc
	v_add_f32_e32 v81, 1.0, v114
	v_add_f32_e32 v82, -1.0, v81
	v_sub_f32_e32 v83, v82, v81
	v_add_f32_e32 v83, 1.0, v83
	v_sub_f32_e32 v82, v114, v82
	v_add_f32_e32 v84, v82, v83
	v_frexp_mant_f32_e32 v85, v81
	v_cvt_f64_f32_e32 v[82:83], v81
	v_frexp_exp_i32_f64_e32 v82, v[82:83]
	v_cmp_gt_f32_e32 vcc, s8, v85
	s_mov_b32 s8, 0x3f317218
	s_nop 0
	v_subbrev_co_u32_e32 v98, vcc, 0, v82, vcc
	v_sub_u32_e32 v82, 0, v98
	v_ldexp_f32 v81, v81, v82
	v_ldexp_f32 v82, v84, v82
	v_add_f32_e32 v84, -1.0, v81
	v_add_f32_e32 v83, 1.0, v84
	v_sub_f32_e32 v83, v81, v83
	v_add_f32_e32 v85, v82, v83
	v_add_f32_e32 v83, 1.0, v81
	v_add_f32_e32 v86, -1.0, v83
	v_sub_f32_e32 v81, v81, v86
	v_add_f32_e32 v81, v82, v81
	v_add_f32_e32 v99, v83, v81
	v_rcp_f32_e32 v100, v99
	v_sub_f32_e32 v82, v83, v99
	v_add_f32_e32 v83, v84, v85
	v_add_f32_e32 v81, v81, v82
	v_mul_f32_e32 v102, v83, v100
	v_sub_f32_e32 v82, v84, v83
	v_mul_f32_e32 v84, v99, v102
	v_fma_f32 v86, v102, v99, -v84
	v_fmac_f32_e32 v86, v102, v81
	v_add_f32_e32 v101, v85, v82
	v_add_f32_e32 v82, v84, v86
	v_sub_f32_e32 v85, v83, v82
	v_pk_add_f32 v[96:97], v[82:83], v[84:85] neg_lo:[0,1] neg_hi:[0,1]
	v_mov_b32_e32 v87, v82
	v_pk_add_f32 v[82:83], v[96:97], v[86:87] neg_lo:[0,1] neg_hi:[0,1]
	v_cmp_eq_f32_e32 vcc, s10, v114
	v_add_f32_e32 v83, v101, v83
	v_add_f32_e32 v82, v82, v83
	;; [unrolled: 1-line block ×3, first 2 shown]
	v_mul_f32_e32 v101, v100, v83
	v_mul_f32_e32 v84, v99, v101
	v_fma_f32 v86, v101, v99, -v84
	v_fmac_f32_e32 v86, v101, v81
	v_sub_f32_e32 v81, v85, v83
	v_add_f32_e32 v81, v82, v81
	v_add_f32_e32 v82, v84, v86
	v_sub_f32_e32 v85, v83, v82
	v_pk_add_f32 v[96:97], v[82:83], v[84:85] neg_lo:[0,1] neg_hi:[0,1]
	v_mov_b32_e32 v87, v82
	v_pk_add_f32 v[82:83], v[96:97], v[86:87] neg_lo:[0,1] neg_hi:[0,1]
	v_cvt_f32_i32_e32 v84, v98
	v_add_f32_e32 v81, v81, v83
	v_add_f32_e32 v81, v82, v81
	;; [unrolled: 1-line block ×4, first 2 shown]
	v_sub_f32_e32 v83, v82, v102
	v_mul_f32_e32 v81, v100, v81
	v_sub_f32_e32 v83, v101, v83
	v_add_f32_e32 v81, v83, v81
	v_add_f32_e32 v85, v82, v81
	v_mul_f32_e32 v86, v85, v85
	v_mov_b32_e32 v83, 0x3ecc95a3
	v_fmac_f32_e32 v83, 0x3e9b6dac, v86
	v_sub_f32_e32 v82, v85, v82
	v_fmaak_f32 v83, v86, v83, 0x3f2aaada
	v_sub_f32_e32 v81, v81, v82
	v_ldexp_f32 v87, v85, 1
	v_mul_f32_e32 v85, v85, v86
	v_mov_b32_e32 v82, 0x3f317218
	v_pk_mul_f32 v[82:83], v[84:85], v[82:83]
	v_ldexp_f32 v81, v81, 1
	v_fma_f32 v85, v84, s8, -v82
	v_fmamk_f32 v86, v84, 0xb102e308, v85
	v_pk_add_f32 v[84:85], v[82:83], v[86:87]
	v_mov_b32_e32 v96, v82
	v_sub_f32_e32 v87, v85, v87
	v_sub_f32_e32 v87, v83, v87
	v_add_f32_e32 v97, v81, v87
	v_pk_add_f32 v[82:83], v[84:85], v[82:83] neg_lo:[0,1] neg_hi:[0,1]
	v_pk_add_f32 v[98:99], v[84:85], v[96:97]
	v_mov_b32_e32 v87, v84
	v_mov_b32_e32 v83, v99
	v_pk_add_f32 v[100:101], v[86:87], v[82:83] neg_lo:[0,1] neg_hi:[0,1]
	v_pk_add_f32 v[82:83], v[86:87], v[82:83]
	v_mov_b32_e32 v96, v97
	v_mov_b32_e32 v86, v83
	v_pk_add_f32 v[102:103], v[86:87], v[84:85] neg_lo:[0,1] neg_hi:[0,1]
	v_mov_b32_e32 v82, v99
	v_mov_b32_e32 v81, v102
	v_pk_add_f32 v[112:113], v[98:99], v[80:81] neg_lo:[0,1] neg_hi:[0,1]
	v_mov_b32_e32 v98, v85
	v_mov_b32_e32 v99, v102
	;; [unrolled: 1-line block ×3, first 2 shown]
	v_pk_add_f32 v[82:83], v[82:83], v[98:99] neg_lo:[0,1] neg_hi:[0,1]
	v_mov_b32_e32 v97, v84
	v_pk_add_f32 v[82:83], v[96:97], v[82:83] neg_lo:[0,1] neg_hi:[0,1]
	v_mov_b32_e32 v112, v100
	v_pk_add_f32 v[84:85], v[112:113], v[82:83]
	s_mov_b32 s8, 0x33800000
	v_mov_b32_e32 v96, v85
	v_pk_add_f32 v[96:97], v[84:85], v[96:97]
	v_cmp_lt_f32_e64 s[10:11], |v114|, s8
	v_pk_add_f32 v[86:87], v[86:87], v[96:97]
	v_mov_b32_e32 v83, v96
	v_mov_b32_e32 v85, v86
	v_pk_add_f32 v[98:99], v[84:85], v[100:101] neg_lo:[0,1] neg_hi:[0,1]
	s_or_b64 vcc, vcc, s[10:11]
	v_sub_f32_e32 v81, v84, v98
	v_pk_add_f32 v[82:83], v[82:83], v[98:99] neg_lo:[0,1] neg_hi:[0,1]
	v_sub_f32_e32 v81, v100, v81
	v_add_f32_e32 v81, v82, v81
	v_add_f32_e32 v81, v81, v83
	;; [unrolled: 1-line block ×3, first 2 shown]
	v_cndmask_b32_e32 v81, v81, v114, vcc
	v_add_f32_e32 v81, v80, v81
.LBB519_260:
	s_or_b64 exec, exec, s[6:7]
	v_bfe_u32 v80, v81, 16, 1
	v_add3_u32 v80, v81, v80, s9
	v_lshrrev_b32_e32 v80, 16, v80
	v_cmp_o_f32_e32 vcc, v81, v81
	s_movk_i32 s8, 0x1f8
	s_nop 0
	v_cndmask_b32_e32 v71, v71, v80, vcc
	v_lshlrev_b32_e32 v82, 16, v71
	v_max_f32_e32 v80, v82, v82
	v_min_f32_e32 v81, v80, v144
	v_cmp_u_f32_e32 vcc, v82, v82
	v_max_f32_e32 v80, v80, v144
	s_nop 0
	v_cndmask_b32_e32 v81, v81, v82, vcc
	v_cndmask_b32_e32 v80, v80, v82, vcc
	v_cndmask_b32_e64 v81, v81, v132, s[50:51]
	v_cndmask_b32_e64 v80, v80, v132, s[50:51]
	v_cmp_neq_f32_e32 vcc, v81, v80
	v_cmp_class_f32_e64 s[6:7], v81, s8
	s_or_b64 s[10:11], vcc, s[6:7]
	s_and_saveexec_b64 s[6:7], s[10:11]
	s_cbranch_execz .LBB519_262
; %bb.261:
	v_sub_f32_e32 v81, v81, v80
	s_mov_b32 s9, 0x3fb8aa3b
	v_mul_f32_e32 v82, 0x3fb8aa3b, v81
	v_fma_f32 v83, v81, s9, -v82
	v_rndne_f32_e32 v84, v82
	v_fmamk_f32 v83, v81, 0x32a5705f, v83
	v_sub_f32_e32 v82, v82, v84
	v_add_f32_e32 v82, v82, v83
	v_exp_f32_e32 v82, v82
	v_cvt_i32_f32_e32 v83, v84
	s_mov_b32 s9, 0xc2ce8ed0
	v_cmp_ngt_f32_e32 vcc, s9, v81
	s_mov_b32 s9, 0x42b17218
	v_ldexp_f32 v82, v82, v83
	v_cndmask_b32_e32 v82, 0, v82, vcc
	v_mov_b32_e32 v83, 0x7f800000
	v_cmp_nlt_f32_e32 vcc, s9, v81
	s_mov_b32 s9, 0x3f2aaaab
	s_mov_b32 s10, 0x7f800000
	v_cndmask_b32_e32 v114, v83, v82, vcc
	v_add_f32_e32 v81, 1.0, v114
	v_add_f32_e32 v82, -1.0, v81
	v_sub_f32_e32 v83, v82, v81
	v_add_f32_e32 v83, 1.0, v83
	v_sub_f32_e32 v82, v114, v82
	v_add_f32_e32 v84, v82, v83
	v_frexp_mant_f32_e32 v85, v81
	v_cvt_f64_f32_e32 v[82:83], v81
	v_frexp_exp_i32_f64_e32 v82, v[82:83]
	v_cmp_gt_f32_e32 vcc, s9, v85
	s_mov_b32 s9, 0x3f317218
	s_nop 0
	v_subbrev_co_u32_e32 v98, vcc, 0, v82, vcc
	v_sub_u32_e32 v82, 0, v98
	v_ldexp_f32 v81, v81, v82
	v_ldexp_f32 v82, v84, v82
	v_add_f32_e32 v84, -1.0, v81
	v_add_f32_e32 v83, 1.0, v84
	v_sub_f32_e32 v83, v81, v83
	v_add_f32_e32 v85, v82, v83
	v_add_f32_e32 v83, 1.0, v81
	v_add_f32_e32 v86, -1.0, v83
	v_sub_f32_e32 v81, v81, v86
	v_add_f32_e32 v81, v82, v81
	v_add_f32_e32 v99, v83, v81
	v_rcp_f32_e32 v100, v99
	v_sub_f32_e32 v82, v83, v99
	v_add_f32_e32 v83, v84, v85
	v_add_f32_e32 v81, v81, v82
	v_mul_f32_e32 v102, v83, v100
	v_sub_f32_e32 v82, v84, v83
	v_mul_f32_e32 v84, v99, v102
	v_fma_f32 v86, v102, v99, -v84
	v_fmac_f32_e32 v86, v102, v81
	v_add_f32_e32 v101, v85, v82
	v_add_f32_e32 v82, v84, v86
	v_sub_f32_e32 v85, v83, v82
	v_pk_add_f32 v[96:97], v[82:83], v[84:85] neg_lo:[0,1] neg_hi:[0,1]
	v_mov_b32_e32 v87, v82
	v_pk_add_f32 v[82:83], v[96:97], v[86:87] neg_lo:[0,1] neg_hi:[0,1]
	v_cmp_eq_f32_e32 vcc, s10, v114
	v_add_f32_e32 v83, v101, v83
	v_add_f32_e32 v82, v82, v83
	;; [unrolled: 1-line block ×3, first 2 shown]
	v_mul_f32_e32 v101, v100, v83
	v_mul_f32_e32 v84, v99, v101
	v_fma_f32 v86, v101, v99, -v84
	v_fmac_f32_e32 v86, v101, v81
	v_sub_f32_e32 v81, v85, v83
	v_add_f32_e32 v81, v82, v81
	v_add_f32_e32 v82, v84, v86
	v_sub_f32_e32 v85, v83, v82
	v_pk_add_f32 v[96:97], v[82:83], v[84:85] neg_lo:[0,1] neg_hi:[0,1]
	v_mov_b32_e32 v87, v82
	v_pk_add_f32 v[82:83], v[96:97], v[86:87] neg_lo:[0,1] neg_hi:[0,1]
	v_cvt_f32_i32_e32 v84, v98
	v_add_f32_e32 v81, v81, v83
	v_add_f32_e32 v81, v82, v81
	;; [unrolled: 1-line block ×4, first 2 shown]
	v_sub_f32_e32 v83, v82, v102
	v_mul_f32_e32 v81, v100, v81
	v_sub_f32_e32 v83, v101, v83
	v_add_f32_e32 v81, v83, v81
	v_add_f32_e32 v85, v82, v81
	v_mul_f32_e32 v86, v85, v85
	v_mov_b32_e32 v83, 0x3ecc95a3
	v_fmac_f32_e32 v83, 0x3e9b6dac, v86
	v_sub_f32_e32 v82, v85, v82
	v_fmaak_f32 v83, v86, v83, 0x3f2aaada
	v_sub_f32_e32 v81, v81, v82
	v_ldexp_f32 v87, v85, 1
	v_mul_f32_e32 v85, v85, v86
	v_mov_b32_e32 v82, 0x3f317218
	v_pk_mul_f32 v[82:83], v[84:85], v[82:83]
	v_ldexp_f32 v81, v81, 1
	v_fma_f32 v85, v84, s9, -v82
	v_fmamk_f32 v86, v84, 0xb102e308, v85
	v_pk_add_f32 v[84:85], v[82:83], v[86:87]
	v_mov_b32_e32 v96, v82
	v_sub_f32_e32 v87, v85, v87
	v_sub_f32_e32 v87, v83, v87
	v_add_f32_e32 v97, v81, v87
	v_pk_add_f32 v[82:83], v[84:85], v[82:83] neg_lo:[0,1] neg_hi:[0,1]
	v_pk_add_f32 v[98:99], v[84:85], v[96:97]
	v_mov_b32_e32 v87, v84
	v_mov_b32_e32 v83, v99
	v_pk_add_f32 v[100:101], v[86:87], v[82:83] neg_lo:[0,1] neg_hi:[0,1]
	v_pk_add_f32 v[82:83], v[86:87], v[82:83]
	v_mov_b32_e32 v96, v97
	v_mov_b32_e32 v86, v83
	v_pk_add_f32 v[102:103], v[86:87], v[84:85] neg_lo:[0,1] neg_hi:[0,1]
	v_mov_b32_e32 v82, v99
	v_mov_b32_e32 v81, v102
	v_pk_add_f32 v[112:113], v[98:99], v[80:81] neg_lo:[0,1] neg_hi:[0,1]
	v_mov_b32_e32 v98, v85
	v_mov_b32_e32 v99, v102
	;; [unrolled: 1-line block ×3, first 2 shown]
	v_pk_add_f32 v[82:83], v[82:83], v[98:99] neg_lo:[0,1] neg_hi:[0,1]
	v_mov_b32_e32 v97, v84
	v_pk_add_f32 v[82:83], v[96:97], v[82:83] neg_lo:[0,1] neg_hi:[0,1]
	v_mov_b32_e32 v112, v100
	v_pk_add_f32 v[84:85], v[112:113], v[82:83]
	s_mov_b32 s9, 0x33800000
	v_mov_b32_e32 v96, v85
	v_pk_add_f32 v[96:97], v[84:85], v[96:97]
	v_cmp_lt_f32_e64 s[10:11], |v114|, s9
	v_pk_add_f32 v[86:87], v[86:87], v[96:97]
	v_mov_b32_e32 v83, v96
	v_mov_b32_e32 v85, v86
	v_pk_add_f32 v[98:99], v[84:85], v[100:101] neg_lo:[0,1] neg_hi:[0,1]
	s_or_b64 vcc, vcc, s[10:11]
	v_sub_f32_e32 v81, v84, v98
	v_pk_add_f32 v[82:83], v[82:83], v[98:99] neg_lo:[0,1] neg_hi:[0,1]
	v_sub_f32_e32 v81, v100, v81
	v_add_f32_e32 v81, v82, v81
	v_add_f32_e32 v81, v81, v83
	;; [unrolled: 1-line block ×3, first 2 shown]
	v_cndmask_b32_e32 v81, v81, v114, vcc
	v_add_f32_e32 v82, v80, v81
.LBB519_262:
	s_or_b64 exec, exec, s[6:7]
	v_bfe_u32 v80, v82, 16, 1
	s_movk_i32 s9, 0x7fff
	v_add3_u32 v80, v82, v80, s9
	v_lshrrev_b32_e32 v80, 16, v80
	v_mov_b32_e32 v81, 0x7fc0
	v_cmp_o_f32_e32 vcc, v82, v82
	s_nop 1
	v_cndmask_b32_e32 v80, v81, v80, vcc
	v_lshlrev_b32_e32 v83, 16, v80
	v_max_f32_e32 v82, v83, v83
	v_min_f32_e32 v84, v82, v145
	v_cmp_u_f32_e32 vcc, v83, v83
	v_max_f32_e32 v82, v82, v145
	s_nop 0
	v_cndmask_b32_e32 v84, v84, v83, vcc
	v_cndmask_b32_e32 v82, v82, v83, vcc
	v_cndmask_b32_e64 v84, v84, v133, s[52:53]
	v_cndmask_b32_e64 v82, v82, v133, s[52:53]
	v_cmp_neq_f32_e32 vcc, v84, v82
	v_cmp_class_f32_e64 s[6:7], v84, s8
	s_or_b64 s[10:11], vcc, s[6:7]
	s_and_saveexec_b64 s[6:7], s[10:11]
	s_cbranch_execz .LBB519_264
; %bb.263:
	v_sub_f32_e32 v83, v84, v82
	s_mov_b32 s8, 0x3fb8aa3b
	v_mul_f32_e32 v84, 0x3fb8aa3b, v83
	v_fma_f32 v85, v83, s8, -v84
	v_rndne_f32_e32 v86, v84
	v_fmamk_f32 v85, v83, 0x32a5705f, v85
	v_sub_f32_e32 v84, v84, v86
	v_add_f32_e32 v84, v84, v85
	v_exp_f32_e32 v84, v84
	v_cvt_i32_f32_e32 v85, v86
	s_mov_b32 s8, 0xc2ce8ed0
	v_cmp_ngt_f32_e32 vcc, s8, v83
	s_mov_b32 s8, 0x42b17218
	v_ldexp_f32 v84, v84, v85
	v_cndmask_b32_e32 v84, 0, v84, vcc
	v_mov_b32_e32 v85, 0x7f800000
	v_cmp_nlt_f32_e32 vcc, s8, v83
	s_mov_b32 s8, 0x3f2aaaab
	s_mov_b32 s10, 0x7f800000
	v_cndmask_b32_e32 v116, v85, v84, vcc
	v_add_f32_e32 v83, 1.0, v116
	v_add_f32_e32 v84, -1.0, v83
	v_sub_f32_e32 v85, v84, v83
	v_add_f32_e32 v85, 1.0, v85
	v_sub_f32_e32 v84, v116, v84
	v_add_f32_e32 v86, v84, v85
	v_frexp_mant_f32_e32 v87, v83
	v_cvt_f64_f32_e32 v[84:85], v83
	v_frexp_exp_i32_f64_e32 v84, v[84:85]
	v_cmp_gt_f32_e32 vcc, s8, v87
	s_mov_b32 s8, 0x3f317218
	s_nop 0
	v_subbrev_co_u32_e32 v100, vcc, 0, v84, vcc
	v_sub_u32_e32 v84, 0, v100
	v_ldexp_f32 v83, v83, v84
	v_ldexp_f32 v84, v86, v84
	v_add_f32_e32 v86, -1.0, v83
	v_add_f32_e32 v85, 1.0, v86
	v_sub_f32_e32 v85, v83, v85
	v_add_f32_e32 v87, v84, v85
	v_add_f32_e32 v85, 1.0, v83
	v_add_f32_e32 v96, -1.0, v85
	v_sub_f32_e32 v83, v83, v96
	v_add_f32_e32 v83, v84, v83
	v_add_f32_e32 v101, v85, v83
	v_rcp_f32_e32 v102, v101
	v_sub_f32_e32 v84, v85, v101
	v_add_f32_e32 v85, v86, v87
	v_add_f32_e32 v83, v83, v84
	v_mul_f32_e32 v112, v85, v102
	v_sub_f32_e32 v84, v86, v85
	v_mul_f32_e32 v86, v101, v112
	v_fma_f32 v96, v112, v101, -v86
	v_fmac_f32_e32 v96, v112, v83
	v_add_f32_e32 v103, v87, v84
	v_add_f32_e32 v84, v86, v96
	v_sub_f32_e32 v87, v85, v84
	v_pk_add_f32 v[98:99], v[84:85], v[86:87] neg_lo:[0,1] neg_hi:[0,1]
	v_mov_b32_e32 v97, v84
	v_pk_add_f32 v[84:85], v[98:99], v[96:97] neg_lo:[0,1] neg_hi:[0,1]
	v_cmp_eq_f32_e32 vcc, s10, v116
	v_add_f32_e32 v85, v103, v85
	v_add_f32_e32 v84, v84, v85
	;; [unrolled: 1-line block ×3, first 2 shown]
	v_mul_f32_e32 v103, v102, v85
	v_mul_f32_e32 v86, v101, v103
	v_fma_f32 v96, v103, v101, -v86
	v_fmac_f32_e32 v96, v103, v83
	v_sub_f32_e32 v83, v87, v85
	v_add_f32_e32 v83, v84, v83
	v_add_f32_e32 v84, v86, v96
	v_sub_f32_e32 v87, v85, v84
	v_pk_add_f32 v[98:99], v[84:85], v[86:87] neg_lo:[0,1] neg_hi:[0,1]
	v_mov_b32_e32 v97, v84
	v_pk_add_f32 v[84:85], v[98:99], v[96:97] neg_lo:[0,1] neg_hi:[0,1]
	v_cvt_f32_i32_e32 v86, v100
	v_add_f32_e32 v83, v83, v85
	v_add_f32_e32 v83, v84, v83
	;; [unrolled: 1-line block ×4, first 2 shown]
	v_sub_f32_e32 v85, v84, v112
	v_mul_f32_e32 v83, v102, v83
	v_sub_f32_e32 v85, v103, v85
	v_add_f32_e32 v83, v85, v83
	v_add_f32_e32 v87, v84, v83
	v_mul_f32_e32 v96, v87, v87
	v_mov_b32_e32 v85, 0x3ecc95a3
	v_fmac_f32_e32 v85, 0x3e9b6dac, v96
	v_sub_f32_e32 v84, v87, v84
	v_fmaak_f32 v85, v96, v85, 0x3f2aaada
	v_sub_f32_e32 v83, v83, v84
	v_ldexp_f32 v97, v87, 1
	v_mul_f32_e32 v87, v87, v96
	v_mov_b32_e32 v84, 0x3f317218
	v_pk_mul_f32 v[84:85], v[86:87], v[84:85]
	v_ldexp_f32 v83, v83, 1
	v_fma_f32 v87, v86, s8, -v84
	v_fmamk_f32 v96, v86, 0xb102e308, v87
	v_pk_add_f32 v[86:87], v[84:85], v[96:97]
	v_mov_b32_e32 v98, v84
	v_sub_f32_e32 v97, v87, v97
	v_sub_f32_e32 v97, v85, v97
	v_add_f32_e32 v99, v83, v97
	v_pk_add_f32 v[84:85], v[86:87], v[84:85] neg_lo:[0,1] neg_hi:[0,1]
	v_pk_add_f32 v[100:101], v[86:87], v[98:99]
	v_mov_b32_e32 v97, v86
	v_mov_b32_e32 v85, v101
	v_pk_add_f32 v[102:103], v[96:97], v[84:85] neg_lo:[0,1] neg_hi:[0,1]
	v_pk_add_f32 v[84:85], v[96:97], v[84:85]
	v_mov_b32_e32 v98, v99
	v_mov_b32_e32 v96, v85
	v_pk_add_f32 v[112:113], v[96:97], v[86:87] neg_lo:[0,1] neg_hi:[0,1]
	v_mov_b32_e32 v84, v101
	v_mov_b32_e32 v83, v112
	v_pk_add_f32 v[114:115], v[100:101], v[82:83] neg_lo:[0,1] neg_hi:[0,1]
	v_mov_b32_e32 v100, v87
	v_mov_b32_e32 v101, v112
	;; [unrolled: 1-line block ×3, first 2 shown]
	v_pk_add_f32 v[84:85], v[84:85], v[100:101] neg_lo:[0,1] neg_hi:[0,1]
	v_mov_b32_e32 v99, v86
	v_pk_add_f32 v[84:85], v[98:99], v[84:85] neg_lo:[0,1] neg_hi:[0,1]
	v_mov_b32_e32 v114, v102
	v_pk_add_f32 v[86:87], v[114:115], v[84:85]
	s_mov_b32 s8, 0x33800000
	v_mov_b32_e32 v98, v87
	v_pk_add_f32 v[98:99], v[86:87], v[98:99]
	v_cmp_lt_f32_e64 s[10:11], |v116|, s8
	v_pk_add_f32 v[96:97], v[96:97], v[98:99]
	v_mov_b32_e32 v85, v98
	v_mov_b32_e32 v87, v96
	v_pk_add_f32 v[100:101], v[86:87], v[102:103] neg_lo:[0,1] neg_hi:[0,1]
	s_or_b64 vcc, vcc, s[10:11]
	v_sub_f32_e32 v83, v86, v100
	v_pk_add_f32 v[84:85], v[84:85], v[100:101] neg_lo:[0,1] neg_hi:[0,1]
	v_sub_f32_e32 v83, v102, v83
	v_add_f32_e32 v83, v84, v83
	v_add_f32_e32 v83, v83, v85
	;; [unrolled: 1-line block ×3, first 2 shown]
	v_cndmask_b32_e32 v83, v83, v116, vcc
	v_add_f32_e32 v83, v82, v83
.LBB519_264:
	s_or_b64 exec, exec, s[6:7]
	v_bfe_u32 v82, v83, 16, 1
	v_add3_u32 v82, v83, v82, s9
	v_lshrrev_b32_e32 v82, 16, v82
	v_cmp_o_f32_e32 vcc, v83, v83
	s_nop 1
	v_cndmask_b32_e32 v81, v81, v82, vcc
	s_branch .LBB519_409
.LBB519_265:
                                        ; implicit-def: $vgpr30
                                        ; implicit-def: $vgpr31
                                        ; implicit-def: $vgpr33
                                        ; implicit-def: $vgpr36
                                        ; implicit-def: $vgpr37
                                        ; implicit-def: $vgpr38
                                        ; implicit-def: $vgpr39
                                        ; implicit-def: $vgpr49
                                        ; implicit-def: $vgpr48
                                        ; implicit-def: $vgpr51
                                        ; implicit-def: $vgpr50
                                        ; implicit-def: $vgpr53
                                        ; implicit-def: $vgpr54
                                        ; implicit-def: $vgpr55
                                        ; implicit-def: $vgpr64
                                        ; implicit-def: $vgpr65
                                        ; implicit-def: $vgpr66
                                        ; implicit-def: $vgpr67
                                        ; implicit-def: $vgpr68
                                        ; implicit-def: $vgpr69
                                        ; implicit-def: $vgpr70
                                        ; implicit-def: $vgpr71
                                        ; implicit-def: $vgpr80
                                        ; implicit-def: $vgpr81
	s_cbranch_execz .LBB519_409
; %bb.266:
	v_cmp_ne_u64_e32 vcc, 0, v[6:7]
	s_and_b64 s[6:7], s[4:5], vcc
	v_mov_b32_e32 v30, v24
	s_and_saveexec_b64 s[4:5], s[6:7]
	s_cbranch_execz .LBB519_270
; %bb.267:
	flat_load_ushort v2, v[2:3]
	v_lshlrev_b32_e32 v7, 16, v24
	v_max_f32_e32 v6, v7, v7
	s_movk_i32 s6, 0x1f8
	s_waitcnt vmcnt(0) lgkmcnt(0)
	v_lshlrev_b32_e32 v3, 16, v2
	v_max_f32_e32 v2, v3, v3
	v_min_f32_e32 v30, v2, v6
	v_max_f32_e32 v2, v2, v6
	v_cmp_u_f32_e32 vcc, v3, v3
	s_nop 1
	v_cndmask_b32_e32 v6, v30, v3, vcc
	v_cndmask_b32_e32 v2, v2, v3, vcc
	v_cmp_u_f32_e32 vcc, v7, v7
	s_nop 1
	v_cndmask_b32_e32 v6, v6, v7, vcc
	v_cndmask_b32_e32 v2, v2, v7, vcc
	v_cmp_neq_f32_e32 vcc, v6, v2
	v_cmp_class_f32_e64 s[6:7], v6, s6
	s_or_b64 s[8:9], vcc, s[6:7]
	s_and_saveexec_b64 s[6:7], s[8:9]
	s_cbranch_execz .LBB519_269
; %bb.268:
	v_sub_f32_e32 v3, v6, v2
	s_mov_b32 s8, 0x3fb8aa3b
	v_mul_f32_e32 v6, 0x3fb8aa3b, v3
	v_fma_f32 v7, v3, s8, -v6
	v_rndne_f32_e32 v30, v6
	v_fmamk_f32 v7, v3, 0x32a5705f, v7
	v_sub_f32_e32 v6, v6, v30
	v_add_f32_e32 v6, v6, v7
	v_exp_f32_e32 v6, v6
	v_cvt_i32_f32_e32 v7, v30
	s_mov_b32 s8, 0xc2ce8ed0
	v_cmp_ngt_f32_e32 vcc, s8, v3
	s_mov_b32 s8, 0x42b17218
	v_ldexp_f32 v6, v6, v7
	v_cndmask_b32_e32 v6, 0, v6, vcc
	v_mov_b32_e32 v7, 0x7f800000
	v_cmp_nlt_f32_e32 vcc, s8, v3
	s_mov_b32 s8, 0x3f2aaaab
	s_mov_b32 s9, 0x7f800000
	v_cndmask_b32_e32 v33, v7, v6, vcc
	v_add_f32_e32 v3, 1.0, v33
	v_add_f32_e32 v6, -1.0, v3
	v_sub_f32_e32 v7, v6, v3
	v_add_f32_e32 v7, 1.0, v7
	v_sub_f32_e32 v6, v33, v6
	v_add_f32_e32 v30, v6, v7
	v_frexp_mant_f32_e32 v31, v3
	v_cvt_f64_f32_e32 v[6:7], v3
	v_frexp_exp_i32_f64_e32 v6, v[6:7]
	v_cmp_gt_f32_e32 vcc, s8, v31
	s_mov_b32 s8, 0x3f317218
	s_nop 0
	v_subbrev_co_u32_e32 v48, vcc, 0, v6, vcc
	v_sub_u32_e32 v6, 0, v48
	v_ldexp_f32 v3, v3, v6
	v_ldexp_f32 v6, v30, v6
	v_add_f32_e32 v30, -1.0, v3
	v_add_f32_e32 v7, 1.0, v30
	v_sub_f32_e32 v7, v3, v7
	v_add_f32_e32 v31, v6, v7
	v_add_f32_e32 v7, 1.0, v3
	v_add_f32_e32 v36, -1.0, v7
	v_sub_f32_e32 v3, v3, v36
	v_add_f32_e32 v3, v6, v3
	v_add_f32_e32 v49, v7, v3
	v_rcp_f32_e32 v50, v49
	v_sub_f32_e32 v6, v7, v49
	v_add_f32_e32 v7, v30, v31
	v_add_f32_e32 v3, v3, v6
	v_mul_f32_e32 v53, v7, v50
	v_sub_f32_e32 v6, v30, v7
	v_mul_f32_e32 v30, v49, v53
	v_fma_f32 v36, v53, v49, -v30
	v_fmac_f32_e32 v36, v53, v3
	v_add_f32_e32 v51, v31, v6
	v_add_f32_e32 v6, v30, v36
	v_sub_f32_e32 v31, v7, v6
	v_pk_add_f32 v[38:39], v[6:7], v[30:31] neg_lo:[0,1] neg_hi:[0,1]
	v_mov_b32_e32 v37, v6
	v_pk_add_f32 v[6:7], v[38:39], v[36:37] neg_lo:[0,1] neg_hi:[0,1]
	v_cmp_eq_f32_e32 vcc, s9, v33
	v_add_f32_e32 v7, v51, v7
	v_add_f32_e32 v6, v6, v7
	;; [unrolled: 1-line block ×3, first 2 shown]
	v_mul_f32_e32 v51, v50, v7
	v_mul_f32_e32 v30, v49, v51
	v_fma_f32 v36, v51, v49, -v30
	v_fmac_f32_e32 v36, v51, v3
	v_sub_f32_e32 v3, v31, v7
	v_add_f32_e32 v3, v6, v3
	v_add_f32_e32 v6, v30, v36
	v_sub_f32_e32 v31, v7, v6
	v_pk_add_f32 v[38:39], v[6:7], v[30:31] neg_lo:[0,1] neg_hi:[0,1]
	v_mov_b32_e32 v37, v6
	v_pk_add_f32 v[6:7], v[38:39], v[36:37] neg_lo:[0,1] neg_hi:[0,1]
	v_cvt_f32_i32_e32 v30, v48
	v_add_f32_e32 v3, v3, v7
	v_add_f32_e32 v3, v6, v3
	;; [unrolled: 1-line block ×4, first 2 shown]
	v_sub_f32_e32 v7, v6, v53
	v_mul_f32_e32 v3, v50, v3
	v_sub_f32_e32 v7, v51, v7
	v_add_f32_e32 v3, v7, v3
	v_add_f32_e32 v31, v6, v3
	v_mul_f32_e32 v36, v31, v31
	v_mov_b32_e32 v7, 0x3ecc95a3
	v_fmac_f32_e32 v7, 0x3e9b6dac, v36
	v_sub_f32_e32 v6, v31, v6
	v_fmaak_f32 v7, v36, v7, 0x3f2aaada
	v_sub_f32_e32 v3, v3, v6
	v_ldexp_f32 v37, v31, 1
	v_mul_f32_e32 v31, v31, v36
	v_mov_b32_e32 v6, 0x3f317218
	v_pk_mul_f32 v[6:7], v[30:31], v[6:7]
	v_ldexp_f32 v3, v3, 1
	v_fma_f32 v31, v30, s8, -v6
	v_fmamk_f32 v36, v30, 0xb102e308, v31
	v_pk_add_f32 v[30:31], v[6:7], v[36:37]
	v_mov_b32_e32 v38, v6
	v_sub_f32_e32 v37, v31, v37
	v_sub_f32_e32 v37, v7, v37
	v_add_f32_e32 v39, v3, v37
	v_pk_add_f32 v[6:7], v[30:31], v[6:7] neg_lo:[0,1] neg_hi:[0,1]
	v_pk_add_f32 v[48:49], v[30:31], v[38:39]
	v_mov_b32_e32 v37, v30
	v_mov_b32_e32 v7, v49
	v_pk_add_f32 v[50:51], v[36:37], v[6:7] neg_lo:[0,1] neg_hi:[0,1]
	v_pk_add_f32 v[6:7], v[36:37], v[6:7]
	v_mov_b32_e32 v38, v39
	v_mov_b32_e32 v36, v7
	v_pk_add_f32 v[54:55], v[36:37], v[30:31] neg_lo:[0,1] neg_hi:[0,1]
	v_mov_b32_e32 v6, v49
	v_mov_b32_e32 v3, v54
	v_pk_add_f32 v[64:65], v[48:49], v[2:3] neg_lo:[0,1] neg_hi:[0,1]
	v_mov_b32_e32 v48, v31
	v_mov_b32_e32 v49, v54
	;; [unrolled: 1-line block ×3, first 2 shown]
	v_pk_add_f32 v[6:7], v[6:7], v[48:49] neg_lo:[0,1] neg_hi:[0,1]
	v_mov_b32_e32 v39, v30
	v_pk_add_f32 v[6:7], v[38:39], v[6:7] neg_lo:[0,1] neg_hi:[0,1]
	v_mov_b32_e32 v64, v50
	v_pk_add_f32 v[30:31], v[64:65], v[6:7]
	s_mov_b32 s8, 0x33800000
	v_mov_b32_e32 v38, v31
	v_pk_add_f32 v[38:39], v[30:31], v[38:39]
	v_cmp_lt_f32_e64 s[8:9], |v33|, s8
	v_pk_add_f32 v[36:37], v[36:37], v[38:39]
	v_mov_b32_e32 v7, v38
	v_mov_b32_e32 v31, v36
	v_pk_add_f32 v[48:49], v[30:31], v[50:51] neg_lo:[0,1] neg_hi:[0,1]
	s_or_b64 vcc, vcc, s[8:9]
	v_sub_f32_e32 v3, v30, v48
	v_pk_add_f32 v[6:7], v[6:7], v[48:49] neg_lo:[0,1] neg_hi:[0,1]
	v_sub_f32_e32 v3, v50, v3
	v_add_f32_e32 v3, v6, v3
	v_add_f32_e32 v3, v3, v7
	;; [unrolled: 1-line block ×3, first 2 shown]
	v_cndmask_b32_e32 v3, v3, v33, vcc
	v_add_f32_e32 v3, v2, v3
.LBB519_269:
	s_or_b64 exec, exec, s[6:7]
	v_bfe_u32 v2, v3, 16, 1
	s_movk_i32 s6, 0x7fff
	v_add3_u32 v2, v3, v2, s6
	v_lshrrev_b32_e32 v2, 16, v2
	v_mov_b32_e32 v6, 0x7fc0
	v_cmp_o_f32_e32 vcc, v3, v3
	s_nop 1
	v_cndmask_b32_e32 v30, v6, v2, vcc
.LBB519_270:
	s_or_b64 exec, exec, s[4:5]
	v_mov_b32_e32 v3, 16
	v_lshlrev_b32_e32 v33, 16, v30
	v_lshlrev_b32_sdwa v2, v3, v24 dst_sel:DWORD dst_unused:UNUSED_PAD src0_sel:DWORD src1_sel:WORD_1
	v_max_f32_e32 v31, v2, v2
	v_max_f32_e32 v99, v33, v33
	v_min_f32_e32 v98, v99, v31
	v_cmp_u_f32_e64 s[50:51], v33, v33
	v_cmp_u_f32_e32 vcc, v2, v2
	v_max_f32_e32 v100, v99, v31
	v_cndmask_b32_e64 v6, v98, v33, s[50:51]
	v_cndmask_b32_e32 v24, v6, v2, vcc
	v_cndmask_b32_e64 v6, v100, v33, s[50:51]
	v_cndmask_b32_e32 v6, v6, v2, vcc
	s_movk_i32 s8, 0x1f8
	v_cmp_neq_f32_e64 s[4:5], v24, v6
	v_cmp_class_f32_e64 s[6:7], v24, s8
	s_or_b64 s[4:5], s[4:5], s[6:7]
	v_mov_b32_e32 v7, v33
	s_and_saveexec_b64 s[6:7], s[4:5]
	s_cbranch_execz .LBB519_272
; %bb.271:
	v_sub_f32_e32 v7, v24, v6
	s_mov_b32 s4, 0x3fb8aa3b
	v_mul_f32_e32 v24, 0x3fb8aa3b, v7
	v_fma_f32 v36, v7, s4, -v24
	v_rndne_f32_e32 v37, v24
	v_fmamk_f32 v36, v7, 0x32a5705f, v36
	v_sub_f32_e32 v24, v24, v37
	v_add_f32_e32 v24, v24, v36
	v_exp_f32_e32 v24, v24
	v_cvt_i32_f32_e32 v36, v37
	s_mov_b32 s4, 0xc2ce8ed0
	v_cmp_ngt_f32_e64 s[4:5], s4, v7
	s_mov_b32 s9, 0x7f800000
	v_ldexp_f32 v24, v24, v36
	v_cndmask_b32_e64 v24, 0, v24, s[4:5]
	s_mov_b32 s4, 0x42b17218
	v_mov_b32_e32 v36, 0x7f800000
	v_cmp_nlt_f32_e64 s[4:5], s4, v7
	s_nop 1
	v_cndmask_b32_e64 v53, v36, v24, s[4:5]
	v_add_f32_e32 v7, 1.0, v53
	v_add_f32_e32 v24, -1.0, v7
	v_sub_f32_e32 v36, v24, v7
	v_add_f32_e32 v36, 1.0, v36
	v_sub_f32_e32 v24, v53, v24
	v_add_f32_e32 v24, v24, v36
	v_frexp_mant_f32_e32 v38, v7
	s_mov_b32 s4, 0x3f2aaaab
	v_cvt_f64_f32_e32 v[36:37], v7
	v_frexp_exp_i32_f64_e32 v36, v[36:37]
	v_cmp_gt_f32_e64 s[4:5], s4, v38
	s_nop 1
	v_subbrev_co_u32_e64 v54, s[4:5], 0, v36, s[4:5]
	v_sub_u32_e32 v36, 0, v54
	v_ldexp_f32 v7, v7, v36
	v_ldexp_f32 v24, v24, v36
	v_add_f32_e32 v36, -1.0, v7
	v_add_f32_e32 v37, 1.0, v36
	v_sub_f32_e32 v37, v7, v37
	v_add_f32_e32 v38, v24, v37
	v_add_f32_e32 v37, 1.0, v7
	v_add_f32_e32 v39, -1.0, v37
	v_sub_f32_e32 v7, v7, v39
	v_add_f32_e32 v7, v24, v7
	v_add_f32_e32 v24, v37, v7
	v_rcp_f32_e32 v55, v24
	v_sub_f32_e32 v37, v37, v24
	v_add_f32_e32 v7, v7, v37
	v_add_f32_e32 v37, v36, v38
	v_sub_f32_e32 v36, v36, v37
	v_mul_f32_e32 v65, v37, v55
	v_add_f32_e32 v64, v38, v36
	v_mul_f32_e32 v38, v24, v65
	v_fma_f32 v48, v65, v24, -v38
	v_fmac_f32_e32 v48, v65, v7
	v_add_f32_e32 v36, v38, v48
	v_sub_f32_e32 v39, v37, v36
	v_pk_add_f32 v[50:51], v[36:37], v[38:39] neg_lo:[0,1] neg_hi:[0,1]
	v_mov_b32_e32 v49, v36
	v_pk_add_f32 v[36:37], v[50:51], v[48:49] neg_lo:[0,1] neg_hi:[0,1]
	s_mov_b32 s4, 0x3f317218
	v_add_f32_e32 v37, v64, v37
	v_add_f32_e32 v36, v36, v37
	;; [unrolled: 1-line block ×3, first 2 shown]
	v_mul_f32_e32 v64, v55, v37
	v_mul_f32_e32 v38, v24, v64
	v_fma_f32 v48, v64, v24, -v38
	v_fmac_f32_e32 v48, v64, v7
	v_sub_f32_e32 v7, v39, v37
	v_add_f32_e32 v7, v36, v7
	v_add_f32_e32 v36, v38, v48
	v_sub_f32_e32 v39, v37, v36
	v_pk_add_f32 v[50:51], v[36:37], v[38:39] neg_lo:[0,1] neg_hi:[0,1]
	v_mov_b32_e32 v49, v36
	v_pk_add_f32 v[36:37], v[50:51], v[48:49] neg_lo:[0,1] neg_hi:[0,1]
	v_add_f32_e32 v24, v65, v64
	v_add_f32_e32 v7, v7, v37
	v_add_f32_e32 v7, v36, v7
	v_add_f32_e32 v7, v39, v7
	v_sub_f32_e32 v36, v24, v65
	v_mul_f32_e32 v7, v55, v7
	v_sub_f32_e32 v36, v64, v36
	v_add_f32_e32 v7, v36, v7
	v_add_f32_e32 v36, v24, v7
	v_cvt_f32_i32_e32 v38, v54
	v_mul_f32_e32 v39, v36, v36
	v_mov_b32_e32 v37, 0x3ecc95a3
	v_fmac_f32_e32 v37, 0x3e9b6dac, v39
	v_fmaak_f32 v37, v39, v37, 0x3f2aaada
	v_sub_f32_e32 v24, v36, v24
	v_ldexp_f32 v49, v36, 1
	v_mul_f32_e32 v39, v36, v39
	v_mov_b32_e32 v36, 0x3f317218
	v_pk_mul_f32 v[36:37], v[38:39], v[36:37]
	v_sub_f32_e32 v7, v7, v24
	v_fma_f32 v24, v38, s4, -v36
	v_fmamk_f32 v48, v38, 0xb102e308, v24
	v_pk_add_f32 v[38:39], v[36:37], v[48:49]
	v_ldexp_f32 v7, v7, 1
	v_sub_f32_e32 v24, v39, v49
	v_sub_f32_e32 v24, v37, v24
	v_add_f32_e32 v51, v7, v24
	v_mov_b32_e32 v50, v36
	v_pk_add_f32 v[36:37], v[38:39], v[36:37] neg_lo:[0,1] neg_hi:[0,1]
	v_pk_add_f32 v[54:55], v[38:39], v[50:51]
	v_mov_b32_e32 v49, v38
	v_mov_b32_e32 v37, v55
	v_pk_add_f32 v[64:65], v[48:49], v[36:37] neg_lo:[0,1] neg_hi:[0,1]
	v_pk_add_f32 v[36:37], v[48:49], v[36:37]
	v_cmp_eq_f32_e64 s[4:5], s9, v53
	v_mov_b32_e32 v24, v37
	v_pk_add_f32 v[48:49], v[24:25], v[38:39] neg_lo:[0,1] neg_hi:[0,1]
	v_mov_b32_e32 v36, v55
	v_mov_b32_e32 v7, v48
	v_pk_add_f32 v[66:67], v[54:55], v[6:7] neg_lo:[0,1] neg_hi:[0,1]
	v_mov_b32_e32 v54, v39
	v_mov_b32_e32 v55, v48
	;; [unrolled: 1-line block ×3, first 2 shown]
	v_pk_add_f32 v[36:37], v[36:37], v[54:55] neg_lo:[0,1] neg_hi:[0,1]
	v_mov_b32_e32 v48, v51
	v_mov_b32_e32 v49, v38
	v_pk_add_f32 v[36:37], v[48:49], v[36:37] neg_lo:[0,1] neg_hi:[0,1]
	v_mov_b32_e32 v66, v64
	v_pk_add_f32 v[38:39], v[66:67], v[36:37]
	s_mov_b32 s9, 0x33800000
	v_mov_b32_e32 v48, v39
	v_pk_add_f32 v[48:49], v[38:39], v[48:49]
	v_cmp_lt_f32_e64 s[10:11], |v53|, s9
	v_pk_add_f32 v[50:51], v[24:25], v[48:49]
	v_mov_b32_e32 v37, v48
	v_mov_b32_e32 v39, v50
	v_pk_add_f32 v[54:55], v[38:39], v[64:65] neg_lo:[0,1] neg_hi:[0,1]
	s_or_b64 s[4:5], s[4:5], s[10:11]
	v_sub_f32_e32 v7, v38, v54
	v_pk_add_f32 v[36:37], v[36:37], v[54:55] neg_lo:[0,1] neg_hi:[0,1]
	v_sub_f32_e32 v7, v64, v7
	v_add_f32_e32 v7, v36, v7
	v_add_f32_e32 v7, v7, v37
	v_add_f32_e32 v7, v50, v7
	v_cndmask_b32_e64 v7, v7, v53, s[4:5]
	v_add_f32_e32 v7, v6, v7
.LBB519_272:
	s_or_b64 exec, exec, s[6:7]
	v_bfe_u32 v6, v7, 16, 1
	s_movk_i32 s10, 0x7fff
	v_add3_u32 v6, v7, v6, s10
	v_and_b32_e32 v24, 0xffff0000, v6
	v_mov_b32_e32 v6, 0x7fc00000
	v_cmp_o_f32_e64 s[4:5], v7, v7
	v_lshlrev_b32_sdwa v3, v3, v25 dst_sel:DWORD dst_unused:UNUSED_PAD src0_sel:DWORD src1_sel:WORD_0
	s_nop 0
	v_cndmask_b32_e64 v36, v6, v24, s[4:5]
	v_max_f32_e32 v7, v36, v36
	v_max_f32_e32 v24, v3, v3
	v_min_f32_e32 v37, v7, v24
	v_cmp_u_f32_e64 s[6:7], v36, v36
	v_max_f32_e32 v7, v7, v24
	v_cmp_u_f32_e64 s[4:5], v3, v3
	v_cndmask_b32_e64 v37, v37, v36, s[6:7]
	v_cndmask_b32_e64 v7, v7, v36, s[6:7]
	;; [unrolled: 1-line block ×4, first 2 shown]
	v_cmp_neq_f32_e64 s[6:7], v37, v7
	v_cmp_class_f32_e64 s[8:9], v37, s8
	s_or_b64 s[6:7], s[6:7], s[8:9]
	s_and_saveexec_b64 s[8:9], s[6:7]
	s_cbranch_execz .LBB519_274
; %bb.273:
	v_sub_f32_e32 v36, v37, v7
	s_mov_b32 s6, 0x3fb8aa3b
	v_mul_f32_e32 v37, 0x3fb8aa3b, v36
	v_fma_f32 v38, v36, s6, -v37
	v_rndne_f32_e32 v39, v37
	v_fmamk_f32 v38, v36, 0x32a5705f, v38
	v_sub_f32_e32 v37, v37, v39
	v_add_f32_e32 v37, v37, v38
	v_exp_f32_e32 v37, v37
	v_cvt_i32_f32_e32 v38, v39
	s_mov_b32 s6, 0xc2ce8ed0
	v_cmp_ngt_f32_e64 s[6:7], s6, v36
	s_mov_b32 s11, 0x7f800000
	v_ldexp_f32 v37, v37, v38
	v_cndmask_b32_e64 v37, 0, v37, s[6:7]
	s_mov_b32 s6, 0x42b17218
	v_mov_b32_e32 v38, 0x7f800000
	v_cmp_nlt_f32_e64 s[6:7], s6, v36
	s_nop 1
	v_cndmask_b32_e64 v53, v38, v37, s[6:7]
	v_add_f32_e32 v38, 1.0, v53
	v_add_f32_e32 v36, -1.0, v38
	v_sub_f32_e32 v37, v36, v38
	v_add_f32_e32 v37, 1.0, v37
	v_sub_f32_e32 v36, v53, v36
	v_add_f32_e32 v39, v36, v37
	v_frexp_mant_f32_e32 v48, v38
	s_mov_b32 s6, 0x3f2aaaab
	v_cvt_f64_f32_e32 v[36:37], v38
	v_frexp_exp_i32_f64_e32 v36, v[36:37]
	v_cmp_gt_f32_e64 s[6:7], s6, v48
	s_nop 1
	v_subbrev_co_u32_e64 v54, s[6:7], 0, v36, s[6:7]
	v_sub_u32_e32 v36, 0, v54
	v_ldexp_f32 v37, v38, v36
	v_add_f32_e32 v38, -1.0, v37
	v_add_f32_e32 v48, 1.0, v37
	v_ldexp_f32 v36, v39, v36
	v_add_f32_e32 v39, 1.0, v38
	v_add_f32_e32 v49, -1.0, v48
	v_sub_f32_e32 v39, v37, v39
	v_sub_f32_e32 v37, v37, v49
	v_add_f32_e32 v39, v36, v39
	v_add_f32_e32 v36, v36, v37
	;; [unrolled: 1-line block ×3, first 2 shown]
	v_rcp_f32_e32 v65, v55
	v_sub_f32_e32 v37, v48, v55
	v_add_f32_e32 v64, v36, v37
	v_add_f32_e32 v37, v38, v39
	v_mul_f32_e32 v67, v37, v65
	v_sub_f32_e32 v36, v38, v37
	v_mul_f32_e32 v38, v55, v67
	v_fma_f32 v48, v67, v55, -v38
	v_fmac_f32_e32 v48, v67, v64
	v_add_f32_e32 v66, v39, v36
	v_add_f32_e32 v36, v38, v48
	v_sub_f32_e32 v39, v37, v36
	v_pk_add_f32 v[50:51], v[36:37], v[38:39] neg_lo:[0,1] neg_hi:[0,1]
	v_mov_b32_e32 v49, v36
	v_pk_add_f32 v[36:37], v[50:51], v[48:49] neg_lo:[0,1] neg_hi:[0,1]
	s_mov_b32 s6, 0x3f317218
	v_add_f32_e32 v37, v66, v37
	v_add_f32_e32 v36, v36, v37
	;; [unrolled: 1-line block ×3, first 2 shown]
	v_mul_f32_e32 v66, v65, v37
	v_mul_f32_e32 v38, v55, v66
	v_fma_f32 v48, v66, v55, -v38
	v_fmac_f32_e32 v48, v66, v64
	v_sub_f32_e32 v39, v39, v37
	v_add_f32_e32 v55, v36, v39
	v_add_f32_e32 v36, v38, v48
	v_sub_f32_e32 v39, v37, v36
	v_pk_add_f32 v[50:51], v[36:37], v[38:39] neg_lo:[0,1] neg_hi:[0,1]
	v_mov_b32_e32 v49, v36
	v_pk_add_f32 v[36:37], v[50:51], v[48:49] neg_lo:[0,1] neg_hi:[0,1]
	v_cvt_f32_i32_e32 v38, v54
	v_add_f32_e32 v37, v55, v37
	v_add_f32_e32 v36, v36, v37
	;; [unrolled: 1-line block ×4, first 2 shown]
	v_sub_f32_e32 v37, v39, v67
	v_mul_f32_e32 v36, v65, v36
	v_sub_f32_e32 v37, v66, v37
	v_add_f32_e32 v36, v37, v36
	v_add_f32_e32 v48, v39, v36
	v_mul_f32_e32 v50, v48, v48
	v_mov_b32_e32 v37, 0x3ecc95a3
	v_sub_f32_e32 v39, v48, v39
	v_fmac_f32_e32 v37, 0x3e9b6dac, v50
	v_sub_f32_e32 v36, v36, v39
	v_fmaak_f32 v37, v50, v37, 0x3f2aaada
	v_ldexp_f32 v51, v36, 1
	v_mul_f32_e32 v39, v48, v50
	v_mov_b32_e32 v36, 0x3f317218
	v_pk_mul_f32 v[36:37], v[38:39], v[36:37]
	v_ldexp_f32 v49, v48, 1
	v_fma_f32 v39, v38, s6, -v36
	v_fmamk_f32 v48, v38, 0xb102e308, v39
	v_pk_add_f32 v[38:39], v[36:37], v[48:49]
	v_mov_b32_e32 v50, v36
	v_sub_f32_e32 v49, v39, v49
	v_sub_f32_e32 v49, v37, v49
	v_add_f32_e32 v51, v51, v49
	v_pk_add_f32 v[36:37], v[38:39], v[36:37] neg_lo:[0,1] neg_hi:[0,1]
	v_pk_add_f32 v[54:55], v[38:39], v[50:51]
	v_mov_b32_e32 v49, v38
	v_mov_b32_e32 v37, v55
	v_pk_add_f32 v[64:65], v[48:49], v[36:37] neg_lo:[0,1] neg_hi:[0,1]
	v_pk_add_f32 v[36:37], v[48:49], v[36:37]
	v_mov_b32_e32 v50, v51
	v_mov_b32_e32 v48, v37
	v_pk_add_f32 v[66:67], v[48:49], v[38:39] neg_lo:[0,1] neg_hi:[0,1]
	v_mov_b32_e32 v36, v55
	v_mov_b32_e32 v49, v66
	v_pk_add_f32 v[68:69], v[54:55], v[48:49] neg_lo:[0,1] neg_hi:[0,1]
	v_mov_b32_e32 v54, v39
	v_mov_b32_e32 v55, v66
	;; [unrolled: 1-line block ×3, first 2 shown]
	v_pk_add_f32 v[36:37], v[36:37], v[54:55] neg_lo:[0,1] neg_hi:[0,1]
	v_mov_b32_e32 v51, v38
	v_pk_add_f32 v[36:37], v[50:51], v[36:37] neg_lo:[0,1] neg_hi:[0,1]
	v_mov_b32_e32 v68, v64
	v_pk_add_f32 v[38:39], v[68:69], v[36:37]
	v_cmp_eq_f32_e64 s[6:7], s11, v53
	v_mov_b32_e32 v50, v39
	v_pk_add_f32 v[50:51], v[38:39], v[50:51]
	s_mov_b32 s11, 0x33800000
	v_pk_add_f32 v[48:49], v[48:49], v[50:51]
	v_mov_b32_e32 v37, v50
	v_mov_b32_e32 v39, v48
	v_pk_add_f32 v[54:55], v[38:39], v[64:65] neg_lo:[0,1] neg_hi:[0,1]
	v_cmp_lt_f32_e64 s[12:13], |v53|, s11
	v_sub_f32_e32 v38, v38, v54
	v_pk_add_f32 v[36:37], v[36:37], v[54:55] neg_lo:[0,1] neg_hi:[0,1]
	v_sub_f32_e32 v38, v64, v38
	v_add_f32_e32 v36, v36, v38
	v_add_f32_e32 v36, v36, v37
	v_add_f32_e32 v36, v48, v36
	s_or_b64 s[6:7], s[6:7], s[12:13]
	v_cndmask_b32_e64 v36, v36, v53, s[6:7]
	v_add_f32_e32 v36, v7, v36
.LBB519_274:
	s_or_b64 exec, exec, s[8:9]
	v_bfe_u32 v7, v36, 16, 1
	v_add3_u32 v7, v36, v7, s10
	v_and_b32_e32 v7, 0xffff0000, v7
	v_cmp_o_f32_e64 s[6:7], v36, v36
	s_movk_i32 s12, 0x1f8
	s_nop 0
	v_cndmask_b32_e64 v37, v6, v7, s[6:7]
	v_mov_b32_e32 v7, 16
	v_lshlrev_b32_sdwa v6, v7, v25 dst_sel:DWORD dst_unused:UNUSED_PAD src0_sel:DWORD src1_sel:WORD_1
	v_max_f32_e32 v25, v37, v37
	v_max_f32_e32 v36, v6, v6
	v_min_f32_e32 v38, v25, v36
	v_cmp_u_f32_e64 s[8:9], v37, v37
	v_max_f32_e32 v25, v25, v36
	v_cmp_u_f32_e64 s[6:7], v6, v6
	v_cndmask_b32_e64 v38, v38, v37, s[8:9]
	v_cndmask_b32_e64 v25, v25, v37, s[8:9]
	;; [unrolled: 1-line block ×4, first 2 shown]
	v_cmp_neq_f32_e64 s[8:9], v38, v25
	v_cmp_class_f32_e64 s[10:11], v38, s12
	s_or_b64 s[8:9], s[8:9], s[10:11]
	s_and_saveexec_b64 s[10:11], s[8:9]
	s_cbranch_execz .LBB519_276
; %bb.275:
	v_sub_f32_e32 v37, v38, v25
	s_mov_b32 s8, 0x3fb8aa3b
	v_mul_f32_e32 v38, 0x3fb8aa3b, v37
	v_fma_f32 v39, v37, s8, -v38
	v_rndne_f32_e32 v48, v38
	v_fmamk_f32 v39, v37, 0x32a5705f, v39
	v_sub_f32_e32 v38, v38, v48
	v_add_f32_e32 v38, v38, v39
	v_exp_f32_e32 v38, v38
	v_cvt_i32_f32_e32 v39, v48
	s_mov_b32 s8, 0xc2ce8ed0
	v_cmp_ngt_f32_e64 s[8:9], s8, v37
	s_mov_b32 s13, 0x7f800000
	v_ldexp_f32 v38, v38, v39
	v_cndmask_b32_e64 v38, 0, v38, s[8:9]
	s_mov_b32 s8, 0x42b17218
	v_mov_b32_e32 v39, 0x7f800000
	v_cmp_nlt_f32_e64 s[8:9], s8, v37
	s_nop 1
	v_cndmask_b32_e64 v53, v39, v38, s[8:9]
	v_add_f32_e32 v37, 1.0, v53
	v_add_f32_e32 v38, -1.0, v37
	v_sub_f32_e32 v39, v38, v37
	v_add_f32_e32 v39, 1.0, v39
	v_sub_f32_e32 v38, v53, v38
	v_add_f32_e32 v48, v38, v39
	v_frexp_mant_f32_e32 v49, v37
	s_mov_b32 s8, 0x3f2aaaab
	v_cvt_f64_f32_e32 v[38:39], v37
	v_frexp_exp_i32_f64_e32 v38, v[38:39]
	v_cmp_gt_f32_e64 s[8:9], s8, v49
	s_nop 1
	v_subbrev_co_u32_e64 v64, s[8:9], 0, v38, s[8:9]
	v_sub_u32_e32 v38, 0, v64
	v_ldexp_f32 v37, v37, v38
	v_ldexp_f32 v38, v48, v38
	v_add_f32_e32 v48, -1.0, v37
	v_add_f32_e32 v39, 1.0, v48
	v_sub_f32_e32 v39, v37, v39
	v_add_f32_e32 v49, v38, v39
	v_add_f32_e32 v39, 1.0, v37
	v_add_f32_e32 v50, -1.0, v39
	v_sub_f32_e32 v37, v37, v50
	v_add_f32_e32 v37, v38, v37
	v_add_f32_e32 v65, v39, v37
	v_rcp_f32_e32 v66, v65
	v_sub_f32_e32 v38, v39, v65
	v_add_f32_e32 v39, v48, v49
	v_add_f32_e32 v37, v37, v38
	v_mul_f32_e32 v68, v39, v66
	v_sub_f32_e32 v38, v48, v39
	v_mul_f32_e32 v48, v65, v68
	v_fma_f32 v50, v68, v65, -v48
	v_fmac_f32_e32 v50, v68, v37
	v_add_f32_e32 v67, v49, v38
	v_add_f32_e32 v38, v48, v50
	v_sub_f32_e32 v49, v39, v38
	v_pk_add_f32 v[54:55], v[38:39], v[48:49] neg_lo:[0,1] neg_hi:[0,1]
	v_mov_b32_e32 v51, v38
	v_pk_add_f32 v[38:39], v[54:55], v[50:51] neg_lo:[0,1] neg_hi:[0,1]
	s_mov_b32 s8, 0x3f317218
	v_add_f32_e32 v39, v67, v39
	v_add_f32_e32 v38, v38, v39
	;; [unrolled: 1-line block ×3, first 2 shown]
	v_mul_f32_e32 v67, v66, v39
	v_mul_f32_e32 v48, v65, v67
	v_fma_f32 v50, v67, v65, -v48
	v_fmac_f32_e32 v50, v67, v37
	v_sub_f32_e32 v37, v49, v39
	v_add_f32_e32 v37, v38, v37
	v_add_f32_e32 v38, v48, v50
	v_sub_f32_e32 v49, v39, v38
	v_pk_add_f32 v[54:55], v[38:39], v[48:49] neg_lo:[0,1] neg_hi:[0,1]
	v_mov_b32_e32 v51, v38
	v_pk_add_f32 v[38:39], v[54:55], v[50:51] neg_lo:[0,1] neg_hi:[0,1]
	v_cvt_f32_i32_e32 v48, v64
	v_add_f32_e32 v37, v37, v39
	v_add_f32_e32 v37, v38, v37
	;; [unrolled: 1-line block ×4, first 2 shown]
	v_sub_f32_e32 v39, v38, v68
	v_mul_f32_e32 v37, v66, v37
	v_sub_f32_e32 v39, v67, v39
	v_add_f32_e32 v37, v39, v37
	v_add_f32_e32 v49, v38, v37
	v_mul_f32_e32 v50, v49, v49
	v_mov_b32_e32 v39, 0x3ecc95a3
	v_fmac_f32_e32 v39, 0x3e9b6dac, v50
	v_sub_f32_e32 v38, v49, v38
	v_fmaak_f32 v39, v50, v39, 0x3f2aaada
	v_sub_f32_e32 v37, v37, v38
	v_ldexp_f32 v51, v49, 1
	v_mul_f32_e32 v49, v49, v50
	v_mov_b32_e32 v38, 0x3f317218
	v_pk_mul_f32 v[38:39], v[48:49], v[38:39]
	v_ldexp_f32 v37, v37, 1
	v_fma_f32 v49, v48, s8, -v38
	v_fmamk_f32 v50, v48, 0xb102e308, v49
	v_pk_add_f32 v[48:49], v[38:39], v[50:51]
	v_mov_b32_e32 v54, v38
	v_sub_f32_e32 v51, v49, v51
	v_sub_f32_e32 v51, v39, v51
	v_add_f32_e32 v55, v37, v51
	v_pk_add_f32 v[38:39], v[48:49], v[38:39] neg_lo:[0,1] neg_hi:[0,1]
	v_pk_add_f32 v[64:65], v[48:49], v[54:55]
	v_mov_b32_e32 v51, v48
	v_mov_b32_e32 v39, v65
	v_pk_add_f32 v[66:67], v[50:51], v[38:39] neg_lo:[0,1] neg_hi:[0,1]
	v_pk_add_f32 v[38:39], v[50:51], v[38:39]
	v_mov_b32_e32 v54, v55
	v_mov_b32_e32 v50, v39
	v_pk_add_f32 v[68:69], v[50:51], v[48:49] neg_lo:[0,1] neg_hi:[0,1]
	v_mov_b32_e32 v38, v65
	v_mov_b32_e32 v37, v68
	v_pk_add_f32 v[70:71], v[64:65], v[36:37] neg_lo:[0,1] neg_hi:[0,1]
	v_mov_b32_e32 v64, v49
	v_mov_b32_e32 v65, v68
	;; [unrolled: 1-line block ×3, first 2 shown]
	v_pk_add_f32 v[38:39], v[38:39], v[64:65] neg_lo:[0,1] neg_hi:[0,1]
	v_mov_b32_e32 v55, v48
	v_pk_add_f32 v[38:39], v[54:55], v[38:39] neg_lo:[0,1] neg_hi:[0,1]
	v_mov_b32_e32 v70, v66
	v_pk_add_f32 v[48:49], v[70:71], v[38:39]
	v_cmp_eq_f32_e64 s[8:9], s13, v53
	v_mov_b32_e32 v54, v49
	v_pk_add_f32 v[54:55], v[48:49], v[54:55]
	s_mov_b32 s13, 0x33800000
	v_pk_add_f32 v[50:51], v[50:51], v[54:55]
	v_mov_b32_e32 v39, v54
	v_mov_b32_e32 v49, v50
	v_pk_add_f32 v[64:65], v[48:49], v[66:67] neg_lo:[0,1] neg_hi:[0,1]
	v_cmp_lt_f32_e64 s[14:15], |v53|, s13
	v_sub_f32_e32 v37, v48, v64
	v_pk_add_f32 v[38:39], v[38:39], v[64:65] neg_lo:[0,1] neg_hi:[0,1]
	v_sub_f32_e32 v37, v66, v37
	v_add_f32_e32 v37, v38, v37
	v_add_f32_e32 v37, v37, v39
	;; [unrolled: 1-line block ×3, first 2 shown]
	s_or_b64 s[8:9], s[8:9], s[14:15]
	v_cndmask_b32_e64 v37, v37, v53, s[8:9]
	v_add_f32_e32 v37, v25, v37
.LBB519_276:
	s_or_b64 exec, exec, s[10:11]
	v_bfe_u32 v25, v37, 16, 1
	s_movk_i32 s14, 0x7fff
	v_add3_u32 v25, v37, v25, s14
	v_and_b32_e32 v38, 0xffff0000, v25
	v_mov_b32_e32 v25, 0x7fc00000
	v_cmp_o_f32_e64 s[8:9], v37, v37
	v_lshlrev_b32_sdwa v7, v7, v26 dst_sel:DWORD dst_unused:UNUSED_PAD src0_sel:DWORD src1_sel:WORD_0
	v_max_f32_e32 v37, v7, v7
	v_cndmask_b32_e64 v39, v25, v38, s[8:9]
	v_max_f32_e32 v38, v39, v39
	v_min_f32_e32 v48, v38, v37
	v_cmp_u_f32_e64 s[10:11], v39, v39
	v_max_f32_e32 v38, v38, v37
	v_cmp_u_f32_e64 s[8:9], v7, v7
	v_cndmask_b32_e64 v48, v48, v39, s[10:11]
	v_cndmask_b32_e64 v38, v38, v39, s[10:11]
	;; [unrolled: 1-line block ×4, first 2 shown]
	v_cmp_neq_f32_e64 s[10:11], v48, v38
	v_cmp_class_f32_e64 s[12:13], v48, s12
	s_or_b64 s[10:11], s[10:11], s[12:13]
	s_and_saveexec_b64 s[12:13], s[10:11]
	s_cbranch_execz .LBB519_278
; %bb.277:
	v_sub_f32_e32 v39, v48, v38
	s_mov_b32 s10, 0x3fb8aa3b
	v_mul_f32_e32 v48, 0x3fb8aa3b, v39
	v_fma_f32 v49, v39, s10, -v48
	v_rndne_f32_e32 v50, v48
	v_fmamk_f32 v49, v39, 0x32a5705f, v49
	v_sub_f32_e32 v48, v48, v50
	v_add_f32_e32 v48, v48, v49
	v_exp_f32_e32 v48, v48
	v_cvt_i32_f32_e32 v49, v50
	s_mov_b32 s10, 0xc2ce8ed0
	v_cmp_ngt_f32_e64 s[10:11], s10, v39
	s_mov_b32 s15, 0x7f800000
	v_ldexp_f32 v48, v48, v49
	v_cndmask_b32_e64 v48, 0, v48, s[10:11]
	s_mov_b32 s10, 0x42b17218
	v_mov_b32_e32 v49, 0x7f800000
	v_cmp_nlt_f32_e64 s[10:11], s10, v39
	s_nop 1
	v_cndmask_b32_e64 v53, v49, v48, s[10:11]
	v_add_f32_e32 v39, 1.0, v53
	v_add_f32_e32 v48, -1.0, v39
	v_sub_f32_e32 v49, v48, v39
	v_add_f32_e32 v49, 1.0, v49
	v_sub_f32_e32 v48, v53, v48
	v_add_f32_e32 v50, v48, v49
	v_frexp_mant_f32_e32 v51, v39
	s_mov_b32 s10, 0x3f2aaaab
	v_cvt_f64_f32_e32 v[48:49], v39
	v_frexp_exp_i32_f64_e32 v48, v[48:49]
	v_cmp_gt_f32_e64 s[10:11], s10, v51
	s_nop 1
	v_subbrev_co_u32_e64 v66, s[10:11], 0, v48, s[10:11]
	v_sub_u32_e32 v48, 0, v66
	v_ldexp_f32 v39, v39, v48
	v_ldexp_f32 v48, v50, v48
	v_add_f32_e32 v50, -1.0, v39
	v_add_f32_e32 v49, 1.0, v50
	v_sub_f32_e32 v49, v39, v49
	v_add_f32_e32 v51, v48, v49
	v_add_f32_e32 v49, 1.0, v39
	v_add_f32_e32 v54, -1.0, v49
	v_sub_f32_e32 v39, v39, v54
	v_add_f32_e32 v39, v48, v39
	v_add_f32_e32 v67, v49, v39
	v_rcp_f32_e32 v68, v67
	v_sub_f32_e32 v48, v49, v67
	v_add_f32_e32 v49, v50, v51
	v_add_f32_e32 v39, v39, v48
	v_mul_f32_e32 v70, v49, v68
	v_sub_f32_e32 v48, v50, v49
	v_mul_f32_e32 v50, v67, v70
	v_fma_f32 v54, v70, v67, -v50
	v_fmac_f32_e32 v54, v70, v39
	v_add_f32_e32 v69, v51, v48
	v_add_f32_e32 v48, v50, v54
	v_sub_f32_e32 v51, v49, v48
	v_pk_add_f32 v[64:65], v[48:49], v[50:51] neg_lo:[0,1] neg_hi:[0,1]
	v_mov_b32_e32 v55, v48
	v_pk_add_f32 v[48:49], v[64:65], v[54:55] neg_lo:[0,1] neg_hi:[0,1]
	s_mov_b32 s10, 0x3f317218
	v_add_f32_e32 v49, v69, v49
	v_add_f32_e32 v48, v48, v49
	;; [unrolled: 1-line block ×3, first 2 shown]
	v_mul_f32_e32 v69, v68, v49
	v_mul_f32_e32 v50, v67, v69
	v_fma_f32 v54, v69, v67, -v50
	v_fmac_f32_e32 v54, v69, v39
	v_sub_f32_e32 v39, v51, v49
	v_add_f32_e32 v39, v48, v39
	v_add_f32_e32 v48, v50, v54
	v_sub_f32_e32 v51, v49, v48
	v_pk_add_f32 v[64:65], v[48:49], v[50:51] neg_lo:[0,1] neg_hi:[0,1]
	v_mov_b32_e32 v55, v48
	v_pk_add_f32 v[48:49], v[64:65], v[54:55] neg_lo:[0,1] neg_hi:[0,1]
	v_cvt_f32_i32_e32 v50, v66
	v_add_f32_e32 v39, v39, v49
	v_add_f32_e32 v39, v48, v39
	;; [unrolled: 1-line block ×4, first 2 shown]
	v_sub_f32_e32 v49, v48, v70
	v_mul_f32_e32 v39, v68, v39
	v_sub_f32_e32 v49, v69, v49
	v_add_f32_e32 v39, v49, v39
	v_add_f32_e32 v51, v48, v39
	v_mul_f32_e32 v54, v51, v51
	v_mov_b32_e32 v49, 0x3ecc95a3
	v_fmac_f32_e32 v49, 0x3e9b6dac, v54
	v_sub_f32_e32 v48, v51, v48
	v_fmaak_f32 v49, v54, v49, 0x3f2aaada
	v_sub_f32_e32 v39, v39, v48
	v_ldexp_f32 v55, v51, 1
	v_mul_f32_e32 v51, v51, v54
	v_mov_b32_e32 v48, 0x3f317218
	v_pk_mul_f32 v[48:49], v[50:51], v[48:49]
	v_ldexp_f32 v39, v39, 1
	v_fma_f32 v51, v50, s10, -v48
	v_fmamk_f32 v54, v50, 0xb102e308, v51
	v_pk_add_f32 v[50:51], v[48:49], v[54:55]
	v_mov_b32_e32 v64, v48
	v_sub_f32_e32 v55, v51, v55
	v_sub_f32_e32 v55, v49, v55
	v_add_f32_e32 v65, v39, v55
	v_pk_add_f32 v[48:49], v[50:51], v[48:49] neg_lo:[0,1] neg_hi:[0,1]
	v_pk_add_f32 v[66:67], v[50:51], v[64:65]
	v_mov_b32_e32 v55, v50
	v_mov_b32_e32 v49, v67
	v_pk_add_f32 v[68:69], v[54:55], v[48:49] neg_lo:[0,1] neg_hi:[0,1]
	v_pk_add_f32 v[48:49], v[54:55], v[48:49]
	v_mov_b32_e32 v64, v65
	v_mov_b32_e32 v54, v49
	v_pk_add_f32 v[70:71], v[54:55], v[50:51] neg_lo:[0,1] neg_hi:[0,1]
	v_mov_b32_e32 v48, v67
	v_mov_b32_e32 v39, v70
	v_pk_add_f32 v[80:81], v[66:67], v[38:39] neg_lo:[0,1] neg_hi:[0,1]
	v_mov_b32_e32 v66, v51
	v_mov_b32_e32 v67, v70
	;; [unrolled: 1-line block ×3, first 2 shown]
	v_pk_add_f32 v[48:49], v[48:49], v[66:67] neg_lo:[0,1] neg_hi:[0,1]
	v_mov_b32_e32 v65, v50
	v_pk_add_f32 v[48:49], v[64:65], v[48:49] neg_lo:[0,1] neg_hi:[0,1]
	v_mov_b32_e32 v80, v68
	v_pk_add_f32 v[50:51], v[80:81], v[48:49]
	v_cmp_eq_f32_e64 s[10:11], s15, v53
	v_mov_b32_e32 v64, v51
	v_pk_add_f32 v[64:65], v[50:51], v[64:65]
	s_mov_b32 s15, 0x33800000
	v_pk_add_f32 v[54:55], v[54:55], v[64:65]
	v_mov_b32_e32 v49, v64
	v_mov_b32_e32 v51, v54
	v_pk_add_f32 v[66:67], v[50:51], v[68:69] neg_lo:[0,1] neg_hi:[0,1]
	v_cmp_lt_f32_e64 s[16:17], |v53|, s15
	v_sub_f32_e32 v39, v50, v66
	v_pk_add_f32 v[48:49], v[48:49], v[66:67] neg_lo:[0,1] neg_hi:[0,1]
	v_sub_f32_e32 v39, v68, v39
	v_add_f32_e32 v39, v48, v39
	v_add_f32_e32 v39, v39, v49
	v_add_f32_e32 v39, v54, v39
	s_or_b64 s[10:11], s[10:11], s[16:17]
	v_cndmask_b32_e64 v39, v39, v53, s[10:11]
	v_add_f32_e32 v39, v38, v39
.LBB519_278:
	s_or_b64 exec, exec, s[12:13]
	v_bfe_u32 v38, v39, 16, 1
	v_add3_u32 v38, v39, v38, s14
	v_and_b32_e32 v38, 0xffff0000, v38
	v_cmp_o_f32_e64 s[10:11], v39, v39
	v_mov_b32_e32 v39, 16
	s_movk_i32 s16, 0x1f8
	v_cndmask_b32_e64 v49, v25, v38, s[10:11]
	v_lshlrev_b32_sdwa v25, v39, v26 dst_sel:DWORD dst_unused:UNUSED_PAD src0_sel:DWORD src1_sel:WORD_1
	v_max_f32_e32 v26, v49, v49
	v_max_f32_e32 v38, v25, v25
	v_min_f32_e32 v48, v26, v38
	v_cmp_u_f32_e64 s[12:13], v49, v49
	v_max_f32_e32 v26, v26, v38
	v_cmp_u_f32_e64 s[10:11], v25, v25
	v_cndmask_b32_e64 v48, v48, v49, s[12:13]
	v_cndmask_b32_e64 v26, v26, v49, s[12:13]
	;; [unrolled: 1-line block ×4, first 2 shown]
	v_cmp_neq_f32_e64 s[12:13], v48, v26
	v_cmp_class_f32_e64 s[14:15], v48, s16
	s_or_b64 s[12:13], s[12:13], s[14:15]
	s_and_saveexec_b64 s[14:15], s[12:13]
	s_cbranch_execz .LBB519_280
; %bb.279:
	v_sub_f32_e32 v48, v48, v26
	s_mov_b32 s12, 0x3fb8aa3b
	v_mul_f32_e32 v49, 0x3fb8aa3b, v48
	v_fma_f32 v50, v48, s12, -v49
	v_rndne_f32_e32 v51, v49
	v_fmamk_f32 v50, v48, 0x32a5705f, v50
	v_sub_f32_e32 v49, v49, v51
	v_add_f32_e32 v49, v49, v50
	v_exp_f32_e32 v49, v49
	v_cvt_i32_f32_e32 v50, v51
	s_mov_b32 s12, 0xc2ce8ed0
	v_cmp_ngt_f32_e64 s[12:13], s12, v48
	s_mov_b32 s17, 0x7f800000
	v_ldexp_f32 v49, v49, v50
	v_cndmask_b32_e64 v49, 0, v49, s[12:13]
	s_mov_b32 s12, 0x42b17218
	v_mov_b32_e32 v50, 0x7f800000
	v_cmp_nlt_f32_e64 s[12:13], s12, v48
	s_nop 1
	v_cndmask_b32_e64 v82, v50, v49, s[12:13]
	v_add_f32_e32 v50, 1.0, v82
	v_add_f32_e32 v48, -1.0, v50
	v_sub_f32_e32 v49, v48, v50
	v_add_f32_e32 v49, 1.0, v49
	v_sub_f32_e32 v48, v82, v48
	v_add_f32_e32 v51, v48, v49
	v_frexp_mant_f32_e32 v53, v50
	s_mov_b32 s12, 0x3f2aaaab
	v_cvt_f64_f32_e32 v[48:49], v50
	v_frexp_exp_i32_f64_e32 v48, v[48:49]
	v_cmp_gt_f32_e64 s[12:13], s12, v53
	s_nop 1
	v_subbrev_co_u32_e64 v53, s[12:13], 0, v48, s[12:13]
	v_sub_u32_e32 v48, 0, v53
	v_ldexp_f32 v49, v50, v48
	v_add_f32_e32 v50, -1.0, v49
	v_add_f32_e32 v54, 1.0, v49
	v_ldexp_f32 v48, v51, v48
	v_add_f32_e32 v51, 1.0, v50
	v_add_f32_e32 v55, -1.0, v54
	v_sub_f32_e32 v51, v49, v51
	v_sub_f32_e32 v49, v49, v55
	v_add_f32_e32 v51, v48, v51
	v_add_f32_e32 v48, v48, v49
	;; [unrolled: 1-line block ×3, first 2 shown]
	v_rcp_f32_e32 v68, v66
	v_sub_f32_e32 v49, v54, v66
	v_add_f32_e32 v67, v48, v49
	v_add_f32_e32 v49, v50, v51
	v_mul_f32_e32 v70, v49, v68
	v_sub_f32_e32 v48, v50, v49
	v_mul_f32_e32 v50, v66, v70
	v_fma_f32 v54, v70, v66, -v50
	v_fmac_f32_e32 v54, v70, v67
	v_add_f32_e32 v69, v51, v48
	v_add_f32_e32 v48, v50, v54
	v_sub_f32_e32 v51, v49, v48
	v_pk_add_f32 v[64:65], v[48:49], v[50:51] neg_lo:[0,1] neg_hi:[0,1]
	v_mov_b32_e32 v55, v48
	v_pk_add_f32 v[48:49], v[64:65], v[54:55] neg_lo:[0,1] neg_hi:[0,1]
	s_mov_b32 s12, 0x3f317218
	v_add_f32_e32 v49, v69, v49
	v_add_f32_e32 v48, v48, v49
	;; [unrolled: 1-line block ×3, first 2 shown]
	v_mul_f32_e32 v69, v68, v49
	v_mul_f32_e32 v50, v66, v69
	v_fma_f32 v54, v69, v66, -v50
	v_fmac_f32_e32 v54, v69, v67
	v_sub_f32_e32 v51, v51, v49
	v_add_f32_e32 v66, v48, v51
	v_add_f32_e32 v48, v50, v54
	v_sub_f32_e32 v51, v49, v48
	v_pk_add_f32 v[64:65], v[48:49], v[50:51] neg_lo:[0,1] neg_hi:[0,1]
	v_mov_b32_e32 v55, v48
	v_pk_add_f32 v[48:49], v[64:65], v[54:55] neg_lo:[0,1] neg_hi:[0,1]
	v_cvt_f32_i32_e32 v50, v53
	v_add_f32_e32 v49, v66, v49
	v_add_f32_e32 v48, v48, v49
	;; [unrolled: 1-line block ×4, first 2 shown]
	v_sub_f32_e32 v49, v51, v70
	v_mul_f32_e32 v48, v68, v48
	v_sub_f32_e32 v49, v69, v49
	v_add_f32_e32 v48, v49, v48
	v_add_f32_e32 v54, v51, v48
	v_mul_f32_e32 v64, v54, v54
	v_mov_b32_e32 v49, 0x3ecc95a3
	v_sub_f32_e32 v51, v54, v51
	v_fmac_f32_e32 v49, 0x3e9b6dac, v64
	v_sub_f32_e32 v48, v48, v51
	v_fmaak_f32 v49, v64, v49, 0x3f2aaada
	v_ldexp_f32 v53, v48, 1
	v_mul_f32_e32 v51, v54, v64
	v_mov_b32_e32 v48, 0x3f317218
	v_pk_mul_f32 v[48:49], v[50:51], v[48:49]
	v_ldexp_f32 v55, v54, 1
	v_fma_f32 v51, v50, s12, -v48
	v_fmamk_f32 v54, v50, 0xb102e308, v51
	v_pk_add_f32 v[50:51], v[48:49], v[54:55]
	v_mov_b32_e32 v64, v48
	v_sub_f32_e32 v55, v51, v55
	v_sub_f32_e32 v55, v49, v55
	v_add_f32_e32 v65, v53, v55
	v_pk_add_f32 v[48:49], v[50:51], v[48:49] neg_lo:[0,1] neg_hi:[0,1]
	v_pk_add_f32 v[66:67], v[50:51], v[64:65]
	v_mov_b32_e32 v55, v50
	v_mov_b32_e32 v49, v67
	v_pk_add_f32 v[68:69], v[54:55], v[48:49] neg_lo:[0,1] neg_hi:[0,1]
	v_pk_add_f32 v[48:49], v[54:55], v[48:49]
	v_mov_b32_e32 v64, v65
	v_mov_b32_e32 v54, v49
	v_pk_add_f32 v[70:71], v[54:55], v[50:51] neg_lo:[0,1] neg_hi:[0,1]
	v_mov_b32_e32 v48, v67
	v_mov_b32_e32 v53, v70
	v_pk_add_f32 v[80:81], v[66:67], v[52:53] neg_lo:[0,1] neg_hi:[0,1]
	v_mov_b32_e32 v66, v51
	v_mov_b32_e32 v67, v70
	;; [unrolled: 1-line block ×3, first 2 shown]
	v_pk_add_f32 v[48:49], v[48:49], v[66:67] neg_lo:[0,1] neg_hi:[0,1]
	v_mov_b32_e32 v65, v50
	v_pk_add_f32 v[48:49], v[64:65], v[48:49] neg_lo:[0,1] neg_hi:[0,1]
	v_mov_b32_e32 v80, v68
	v_pk_add_f32 v[50:51], v[80:81], v[48:49]
	v_cmp_eq_f32_e64 s[12:13], s17, v82
	v_mov_b32_e32 v64, v51
	v_pk_add_f32 v[64:65], v[50:51], v[64:65]
	s_mov_b32 s17, 0x33800000
	v_pk_add_f32 v[54:55], v[54:55], v[64:65]
	v_mov_b32_e32 v49, v64
	v_mov_b32_e32 v51, v54
	v_pk_add_f32 v[66:67], v[50:51], v[68:69] neg_lo:[0,1] neg_hi:[0,1]
	v_cmp_lt_f32_e64 s[18:19], |v82|, s17
	v_sub_f32_e32 v50, v50, v66
	v_pk_add_f32 v[48:49], v[48:49], v[66:67] neg_lo:[0,1] neg_hi:[0,1]
	v_sub_f32_e32 v50, v68, v50
	v_add_f32_e32 v48, v48, v50
	v_add_f32_e32 v48, v48, v49
	;; [unrolled: 1-line block ×3, first 2 shown]
	s_or_b64 s[12:13], s[12:13], s[18:19]
	v_cndmask_b32_e64 v48, v48, v82, s[12:13]
	v_add_f32_e32 v49, v26, v48
.LBB519_280:
	s_or_b64 exec, exec, s[14:15]
	v_bfe_u32 v26, v49, 16, 1
	s_movk_i32 s18, 0x7fff
	v_add3_u32 v26, v49, v26, s18
	v_and_b32_e32 v26, 0xffff0000, v26
	v_mov_b32_e32 v48, 0x7fc00000
	v_cmp_o_f32_e64 s[12:13], v49, v49
	s_nop 1
	v_cndmask_b32_e64 v50, v48, v26, s[12:13]
	v_lshlrev_b32_sdwa v26, v39, v27 dst_sel:DWORD dst_unused:UNUSED_PAD src0_sel:DWORD src1_sel:WORD_0
	v_max_f32_e32 v49, v50, v50
	v_max_f32_e32 v39, v26, v26
	v_min_f32_e32 v51, v49, v39
	v_cmp_u_f32_e64 s[14:15], v50, v50
	v_max_f32_e32 v49, v49, v39
	v_cmp_u_f32_e64 s[12:13], v26, v26
	v_cndmask_b32_e64 v51, v51, v50, s[14:15]
	v_cndmask_b32_e64 v49, v49, v50, s[14:15]
	;; [unrolled: 1-line block ×4, first 2 shown]
	v_cmp_neq_f32_e64 s[14:15], v51, v49
	v_cmp_class_f32_e64 s[16:17], v51, s16
	s_or_b64 s[14:15], s[14:15], s[16:17]
	s_and_saveexec_b64 s[16:17], s[14:15]
	s_cbranch_execz .LBB519_282
; %bb.281:
	v_sub_f32_e32 v50, v51, v49
	s_mov_b32 s14, 0x3fb8aa3b
	v_mul_f32_e32 v51, 0x3fb8aa3b, v50
	v_fma_f32 v53, v50, s14, -v51
	v_rndne_f32_e32 v54, v51
	v_fmamk_f32 v53, v50, 0x32a5705f, v53
	v_sub_f32_e32 v51, v51, v54
	v_add_f32_e32 v51, v51, v53
	v_exp_f32_e32 v51, v51
	v_cvt_i32_f32_e32 v53, v54
	s_mov_b32 s14, 0xc2ce8ed0
	v_cmp_ngt_f32_e64 s[14:15], s14, v50
	s_mov_b32 s19, 0x7f800000
	v_ldexp_f32 v51, v51, v53
	v_cndmask_b32_e64 v51, 0, v51, s[14:15]
	s_mov_b32 s14, 0x42b17218
	v_mov_b32_e32 v53, 0x7f800000
	v_cmp_nlt_f32_e64 s[14:15], s14, v50
	s_nop 1
	v_cndmask_b32_e64 v84, v53, v51, s[14:15]
	v_add_f32_e32 v53, 1.0, v84
	v_add_f32_e32 v50, -1.0, v53
	v_sub_f32_e32 v51, v50, v53
	v_add_f32_e32 v51, 1.0, v51
	v_sub_f32_e32 v50, v84, v50
	v_add_f32_e32 v54, v50, v51
	v_frexp_mant_f32_e32 v55, v53
	s_mov_b32 s14, 0x3f2aaaab
	v_cvt_f64_f32_e32 v[50:51], v53
	v_frexp_exp_i32_f64_e32 v50, v[50:51]
	v_cmp_gt_f32_e64 s[14:15], s14, v55
	s_nop 1
	v_subbrev_co_u32_e64 v68, s[14:15], 0, v50, s[14:15]
	v_sub_u32_e32 v50, 0, v68
	v_ldexp_f32 v51, v53, v50
	v_add_f32_e32 v53, -1.0, v51
	v_add_f32_e32 v55, 1.0, v51
	v_ldexp_f32 v50, v54, v50
	v_add_f32_e32 v54, 1.0, v53
	v_add_f32_e32 v64, -1.0, v55
	v_sub_f32_e32 v54, v51, v54
	v_sub_f32_e32 v51, v51, v64
	v_add_f32_e32 v54, v50, v54
	v_add_f32_e32 v50, v50, v51
	;; [unrolled: 1-line block ×3, first 2 shown]
	v_rcp_f32_e32 v71, v69
	v_sub_f32_e32 v51, v55, v69
	v_add_f32_e32 v70, v50, v51
	v_add_f32_e32 v51, v53, v54
	v_sub_f32_e32 v50, v53, v51
	v_mul_f32_e32 v80, v51, v71
	v_add_f32_e32 v53, v54, v50
	v_mul_f32_e32 v54, v69, v80
	v_fma_f32 v64, v80, v69, -v54
	v_fmac_f32_e32 v64, v80, v70
	v_add_f32_e32 v50, v54, v64
	v_sub_f32_e32 v55, v51, v50
	v_pk_add_f32 v[66:67], v[50:51], v[54:55] neg_lo:[0,1] neg_hi:[0,1]
	v_mov_b32_e32 v65, v50
	v_pk_add_f32 v[50:51], v[66:67], v[64:65] neg_lo:[0,1] neg_hi:[0,1]
	s_mov_b32 s14, 0x3f317218
	v_add_f32_e32 v51, v53, v51
	v_add_f32_e32 v50, v50, v51
	;; [unrolled: 1-line block ×3, first 2 shown]
	v_mul_f32_e32 v53, v71, v51
	v_mul_f32_e32 v54, v69, v53
	v_fma_f32 v64, v53, v69, -v54
	v_fmac_f32_e32 v64, v53, v70
	v_sub_f32_e32 v55, v55, v51
	v_add_f32_e32 v69, v50, v55
	v_add_f32_e32 v50, v54, v64
	v_sub_f32_e32 v55, v51, v50
	v_pk_add_f32 v[66:67], v[50:51], v[54:55] neg_lo:[0,1] neg_hi:[0,1]
	v_mov_b32_e32 v65, v50
	v_pk_add_f32 v[50:51], v[66:67], v[64:65] neg_lo:[0,1] neg_hi:[0,1]
	v_cvt_f32_i32_e32 v54, v68
	v_add_f32_e32 v51, v69, v51
	v_add_f32_e32 v50, v50, v51
	;; [unrolled: 1-line block ×4, first 2 shown]
	v_sub_f32_e32 v51, v55, v80
	v_mul_f32_e32 v50, v71, v50
	v_sub_f32_e32 v51, v53, v51
	v_add_f32_e32 v50, v51, v50
	v_add_f32_e32 v53, v55, v50
	v_mul_f32_e32 v64, v53, v53
	v_mov_b32_e32 v51, 0x3ecc95a3
	v_sub_f32_e32 v55, v53, v55
	v_fmac_f32_e32 v51, 0x3e9b6dac, v64
	v_sub_f32_e32 v50, v50, v55
	v_fmaak_f32 v51, v64, v51, 0x3f2aaada
	v_ldexp_f32 v66, v50, 1
	v_mul_f32_e32 v55, v53, v64
	v_mov_b32_e32 v50, 0x3f317218
	v_pk_mul_f32 v[50:51], v[54:55], v[50:51]
	v_ldexp_f32 v65, v53, 1
	v_fma_f32 v53, v54, s14, -v50
	v_fmamk_f32 v64, v54, 0xb102e308, v53
	v_pk_add_f32 v[54:55], v[50:51], v[64:65]
	v_cmp_eq_f32_e64 s[14:15], s19, v84
	v_sub_f32_e32 v53, v55, v65
	v_sub_f32_e32 v53, v51, v53
	v_add_f32_e32 v67, v66, v53
	v_mov_b32_e32 v66, v50
	v_pk_add_f32 v[50:51], v[54:55], v[50:51] neg_lo:[0,1] neg_hi:[0,1]
	v_pk_add_f32 v[68:69], v[54:55], v[66:67]
	v_mov_b32_e32 v65, v54
	v_mov_b32_e32 v51, v69
	v_pk_add_f32 v[70:71], v[64:65], v[50:51] neg_lo:[0,1] neg_hi:[0,1]
	v_pk_add_f32 v[50:51], v[64:65], v[50:51]
	v_mov_b32_e32 v66, v67
	v_mov_b32_e32 v64, v51
	v_pk_add_f32 v[80:81], v[64:65], v[54:55] neg_lo:[0,1] neg_hi:[0,1]
	v_mov_b32_e32 v50, v69
	v_mov_b32_e32 v53, v80
	v_pk_add_f32 v[82:83], v[68:69], v[52:53] neg_lo:[0,1] neg_hi:[0,1]
	v_mov_b32_e32 v68, v55
	v_mov_b32_e32 v69, v80
	;; [unrolled: 1-line block ×3, first 2 shown]
	v_pk_add_f32 v[50:51], v[50:51], v[68:69] neg_lo:[0,1] neg_hi:[0,1]
	v_mov_b32_e32 v67, v54
	v_pk_add_f32 v[50:51], v[66:67], v[50:51] neg_lo:[0,1] neg_hi:[0,1]
	v_mov_b32_e32 v82, v70
	v_pk_add_f32 v[54:55], v[82:83], v[50:51]
	s_mov_b32 s19, 0x33800000
	v_mov_b32_e32 v66, v55
	v_pk_add_f32 v[66:67], v[54:55], v[66:67]
	v_cmp_lt_f32_e64 s[20:21], |v84|, s19
	v_pk_add_f32 v[64:65], v[64:65], v[66:67]
	v_mov_b32_e32 v51, v66
	v_mov_b32_e32 v55, v64
	v_pk_add_f32 v[68:69], v[54:55], v[70:71] neg_lo:[0,1] neg_hi:[0,1]
	s_or_b64 s[14:15], s[14:15], s[20:21]
	v_sub_f32_e32 v53, v54, v68
	v_pk_add_f32 v[50:51], v[50:51], v[68:69] neg_lo:[0,1] neg_hi:[0,1]
	v_sub_f32_e32 v53, v70, v53
	v_add_f32_e32 v50, v50, v53
	v_add_f32_e32 v50, v50, v51
	;; [unrolled: 1-line block ×3, first 2 shown]
	v_cndmask_b32_e64 v50, v50, v84, s[14:15]
	v_add_f32_e32 v50, v49, v50
.LBB519_282:
	s_or_b64 exec, exec, s[16:17]
	v_bfe_u32 v49, v50, 16, 1
	v_add3_u32 v49, v50, v49, s18
	v_and_b32_e32 v49, 0xffff0000, v49
	v_cmp_o_f32_e64 s[14:15], v50, v50
	s_movk_i32 s20, 0x1f8
	s_nop 0
	v_cndmask_b32_e64 v51, v48, v49, s[14:15]
	v_mov_b32_e32 v48, 16
	v_lshlrev_b32_sdwa v27, v48, v27 dst_sel:DWORD dst_unused:UNUSED_PAD src0_sel:DWORD src1_sel:WORD_1
	v_max_f32_e32 v50, v51, v51
	v_max_f32_e32 v49, v27, v27
	v_min_f32_e32 v53, v50, v49
	v_cmp_u_f32_e64 s[16:17], v51, v51
	v_max_f32_e32 v50, v50, v49
	v_cmp_u_f32_e64 s[14:15], v27, v27
	v_cndmask_b32_e64 v53, v53, v51, s[16:17]
	v_cndmask_b32_e64 v50, v50, v51, s[16:17]
	;; [unrolled: 1-line block ×4, first 2 shown]
	v_cmp_neq_f32_e64 s[16:17], v53, v50
	v_cmp_class_f32_e64 s[18:19], v53, s20
	s_or_b64 s[16:17], s[16:17], s[18:19]
	s_and_saveexec_b64 s[18:19], s[16:17]
	s_cbranch_execz .LBB519_284
; %bb.283:
	v_sub_f32_e32 v51, v53, v50
	s_mov_b32 s16, 0x3fb8aa3b
	v_mul_f32_e32 v53, 0x3fb8aa3b, v51
	v_fma_f32 v54, v51, s16, -v53
	v_rndne_f32_e32 v55, v53
	v_fmamk_f32 v54, v51, 0x32a5705f, v54
	v_sub_f32_e32 v53, v53, v55
	v_add_f32_e32 v53, v53, v54
	v_exp_f32_e32 v53, v53
	v_cvt_i32_f32_e32 v54, v55
	s_mov_b32 s16, 0xc2ce8ed0
	v_cmp_ngt_f32_e64 s[16:17], s16, v51
	s_mov_b32 s21, 0x7f800000
	v_ldexp_f32 v53, v53, v54
	v_cndmask_b32_e64 v53, 0, v53, s[16:17]
	s_mov_b32 s16, 0x42b17218
	v_mov_b32_e32 v54, 0x7f800000
	v_cmp_nlt_f32_e64 s[16:17], s16, v51
	s_nop 1
	v_cndmask_b32_e64 v53, v54, v53, s[16:17]
	v_add_f32_e32 v51, 1.0, v53
	v_add_f32_e32 v54, -1.0, v51
	v_sub_f32_e32 v55, v54, v51
	v_add_f32_e32 v55, 1.0, v55
	v_sub_f32_e32 v54, v53, v54
	v_add_f32_e32 v64, v54, v55
	v_frexp_mant_f32_e32 v65, v51
	s_mov_b32 s16, 0x3f2aaaab
	v_cvt_f64_f32_e32 v[54:55], v51
	v_frexp_exp_i32_f64_e32 v54, v[54:55]
	v_cmp_gt_f32_e64 s[16:17], s16, v65
	s_nop 1
	v_subbrev_co_u32_e64 v70, s[16:17], 0, v54, s[16:17]
	v_sub_u32_e32 v54, 0, v70
	v_ldexp_f32 v51, v51, v54
	v_ldexp_f32 v54, v64, v54
	v_add_f32_e32 v64, -1.0, v51
	v_add_f32_e32 v55, 1.0, v64
	v_sub_f32_e32 v55, v51, v55
	v_add_f32_e32 v65, v54, v55
	v_add_f32_e32 v55, 1.0, v51
	v_add_f32_e32 v66, -1.0, v55
	v_sub_f32_e32 v51, v51, v66
	v_add_f32_e32 v51, v54, v51
	v_add_f32_e32 v71, v55, v51
	v_rcp_f32_e32 v80, v71
	v_sub_f32_e32 v54, v55, v71
	v_add_f32_e32 v55, v64, v65
	v_add_f32_e32 v51, v51, v54
	v_mul_f32_e32 v82, v55, v80
	v_sub_f32_e32 v54, v64, v55
	v_mul_f32_e32 v64, v71, v82
	v_fma_f32 v66, v82, v71, -v64
	v_fmac_f32_e32 v66, v82, v51
	v_add_f32_e32 v81, v65, v54
	v_add_f32_e32 v54, v64, v66
	v_sub_f32_e32 v65, v55, v54
	v_pk_add_f32 v[68:69], v[54:55], v[64:65] neg_lo:[0,1] neg_hi:[0,1]
	v_mov_b32_e32 v67, v54
	v_pk_add_f32 v[54:55], v[68:69], v[66:67] neg_lo:[0,1] neg_hi:[0,1]
	s_mov_b32 s16, 0x3f317218
	v_add_f32_e32 v55, v81, v55
	v_add_f32_e32 v54, v54, v55
	;; [unrolled: 1-line block ×3, first 2 shown]
	v_mul_f32_e32 v81, v80, v55
	v_mul_f32_e32 v64, v71, v81
	v_fma_f32 v66, v81, v71, -v64
	v_fmac_f32_e32 v66, v81, v51
	v_sub_f32_e32 v51, v65, v55
	v_add_f32_e32 v51, v54, v51
	v_add_f32_e32 v54, v64, v66
	v_sub_f32_e32 v65, v55, v54
	v_pk_add_f32 v[68:69], v[54:55], v[64:65] neg_lo:[0,1] neg_hi:[0,1]
	v_mov_b32_e32 v67, v54
	v_pk_add_f32 v[54:55], v[68:69], v[66:67] neg_lo:[0,1] neg_hi:[0,1]
	v_cvt_f32_i32_e32 v64, v70
	v_add_f32_e32 v51, v51, v55
	v_add_f32_e32 v51, v54, v51
	;; [unrolled: 1-line block ×4, first 2 shown]
	v_sub_f32_e32 v55, v54, v82
	v_mul_f32_e32 v51, v80, v51
	v_sub_f32_e32 v55, v81, v55
	v_add_f32_e32 v51, v55, v51
	v_add_f32_e32 v65, v54, v51
	v_mul_f32_e32 v66, v65, v65
	v_mov_b32_e32 v55, 0x3ecc95a3
	v_fmac_f32_e32 v55, 0x3e9b6dac, v66
	v_sub_f32_e32 v54, v65, v54
	v_fmaak_f32 v55, v66, v55, 0x3f2aaada
	v_sub_f32_e32 v51, v51, v54
	v_ldexp_f32 v67, v65, 1
	v_mul_f32_e32 v65, v65, v66
	v_mov_b32_e32 v54, 0x3f317218
	v_pk_mul_f32 v[54:55], v[64:65], v[54:55]
	v_ldexp_f32 v51, v51, 1
	v_fma_f32 v65, v64, s16, -v54
	v_fmamk_f32 v66, v64, 0xb102e308, v65
	v_pk_add_f32 v[64:65], v[54:55], v[66:67]
	v_mov_b32_e32 v68, v54
	v_sub_f32_e32 v67, v65, v67
	v_sub_f32_e32 v67, v55, v67
	v_add_f32_e32 v69, v51, v67
	v_pk_add_f32 v[54:55], v[64:65], v[54:55] neg_lo:[0,1] neg_hi:[0,1]
	v_pk_add_f32 v[70:71], v[64:65], v[68:69]
	v_mov_b32_e32 v67, v64
	v_mov_b32_e32 v55, v71
	v_pk_add_f32 v[80:81], v[66:67], v[54:55] neg_lo:[0,1] neg_hi:[0,1]
	v_pk_add_f32 v[54:55], v[66:67], v[54:55]
	v_mov_b32_e32 v68, v69
	v_mov_b32_e32 v66, v55
	v_pk_add_f32 v[82:83], v[66:67], v[64:65] neg_lo:[0,1] neg_hi:[0,1]
	v_mov_b32_e32 v54, v71
	v_mov_b32_e32 v51, v82
	v_pk_add_f32 v[84:85], v[70:71], v[50:51] neg_lo:[0,1] neg_hi:[0,1]
	v_mov_b32_e32 v70, v65
	v_mov_b32_e32 v71, v82
	;; [unrolled: 1-line block ×3, first 2 shown]
	v_pk_add_f32 v[54:55], v[54:55], v[70:71] neg_lo:[0,1] neg_hi:[0,1]
	v_mov_b32_e32 v69, v64
	v_pk_add_f32 v[54:55], v[68:69], v[54:55] neg_lo:[0,1] neg_hi:[0,1]
	v_mov_b32_e32 v84, v80
	v_pk_add_f32 v[64:65], v[84:85], v[54:55]
	v_cmp_eq_f32_e64 s[16:17], s21, v53
	v_mov_b32_e32 v68, v65
	v_pk_add_f32 v[68:69], v[64:65], v[68:69]
	s_mov_b32 s21, 0x33800000
	v_pk_add_f32 v[66:67], v[66:67], v[68:69]
	v_mov_b32_e32 v55, v68
	v_mov_b32_e32 v65, v66
	v_pk_add_f32 v[70:71], v[64:65], v[80:81] neg_lo:[0,1] neg_hi:[0,1]
	v_cmp_lt_f32_e64 s[22:23], |v53|, s21
	v_sub_f32_e32 v51, v64, v70
	v_pk_add_f32 v[54:55], v[54:55], v[70:71] neg_lo:[0,1] neg_hi:[0,1]
	v_sub_f32_e32 v51, v80, v51
	v_add_f32_e32 v51, v54, v51
	v_add_f32_e32 v51, v51, v55
	;; [unrolled: 1-line block ×3, first 2 shown]
	s_or_b64 s[16:17], s[16:17], s[22:23]
	v_cndmask_b32_e64 v51, v51, v53, s[16:17]
	v_add_f32_e32 v51, v50, v51
.LBB519_284:
	s_or_b64 exec, exec, s[18:19]
	v_bfe_u32 v50, v51, 16, 1
	s_movk_i32 s22, 0x7fff
	v_add3_u32 v50, v51, v50, s22
	v_and_b32_e32 v53, 0xffff0000, v50
	v_mov_b32_e32 v50, 0x7fc00000
	v_cmp_o_f32_e64 s[16:17], v51, v51
	v_lshlrev_b32_sdwa v48, v48, v20 dst_sel:DWORD dst_unused:UNUSED_PAD src0_sel:DWORD src1_sel:WORD_0
	v_max_f32_e32 v51, v48, v48
	v_cndmask_b32_e64 v54, v50, v53, s[16:17]
	v_max_f32_e32 v53, v54, v54
	v_min_f32_e32 v55, v53, v51
	v_cmp_u_f32_e64 s[18:19], v54, v54
	v_max_f32_e32 v53, v53, v51
	v_cmp_u_f32_e64 s[16:17], v48, v48
	v_cndmask_b32_e64 v55, v55, v54, s[18:19]
	v_cndmask_b32_e64 v53, v53, v54, s[18:19]
	;; [unrolled: 1-line block ×4, first 2 shown]
	v_cmp_neq_f32_e64 s[18:19], v55, v53
	v_cmp_class_f32_e64 s[20:21], v55, s20
	s_or_b64 s[18:19], s[18:19], s[20:21]
	s_and_saveexec_b64 s[20:21], s[18:19]
	s_cbranch_execz .LBB519_286
; %bb.285:
	v_sub_f32_e32 v54, v55, v53
	s_mov_b32 s18, 0x3fb8aa3b
	v_mul_f32_e32 v55, 0x3fb8aa3b, v54
	v_fma_f32 v64, v54, s18, -v55
	v_rndne_f32_e32 v65, v55
	v_fmamk_f32 v64, v54, 0x32a5705f, v64
	v_sub_f32_e32 v55, v55, v65
	v_add_f32_e32 v55, v55, v64
	v_exp_f32_e32 v55, v55
	v_cvt_i32_f32_e32 v64, v65
	s_mov_b32 s18, 0xc2ce8ed0
	v_cmp_ngt_f32_e64 s[18:19], s18, v54
	s_mov_b32 s23, 0x7f800000
	v_ldexp_f32 v55, v55, v64
	v_cndmask_b32_e64 v55, 0, v55, s[18:19]
	s_mov_b32 s18, 0x42b17218
	v_mov_b32_e32 v64, 0x7f800000
	v_cmp_nlt_f32_e64 s[18:19], s18, v54
	s_nop 1
	v_cndmask_b32_e64 v86, v64, v55, s[18:19]
	v_add_f32_e32 v64, 1.0, v86
	v_add_f32_e32 v54, -1.0, v64
	v_sub_f32_e32 v55, v54, v64
	v_add_f32_e32 v55, 1.0, v55
	v_sub_f32_e32 v54, v86, v54
	v_add_f32_e32 v65, v54, v55
	v_frexp_mant_f32_e32 v66, v64
	s_mov_b32 s18, 0x3f2aaaab
	v_cvt_f64_f32_e32 v[54:55], v64
	v_frexp_exp_i32_f64_e32 v54, v[54:55]
	v_cmp_gt_f32_e64 s[18:19], s18, v66
	s_nop 1
	v_subbrev_co_u32_e64 v70, s[18:19], 0, v54, s[18:19]
	v_sub_u32_e32 v54, 0, v70
	v_ldexp_f32 v55, v64, v54
	v_add_f32_e32 v64, -1.0, v55
	v_add_f32_e32 v66, 1.0, v55
	v_ldexp_f32 v54, v65, v54
	v_add_f32_e32 v65, 1.0, v64
	v_add_f32_e32 v67, -1.0, v66
	v_sub_f32_e32 v65, v55, v65
	v_sub_f32_e32 v55, v55, v67
	v_add_f32_e32 v65, v54, v65
	v_add_f32_e32 v54, v54, v55
	;; [unrolled: 1-line block ×3, first 2 shown]
	v_rcp_f32_e32 v81, v71
	v_sub_f32_e32 v55, v66, v71
	v_add_f32_e32 v80, v54, v55
	v_add_f32_e32 v55, v64, v65
	v_mul_f32_e32 v83, v55, v81
	v_sub_f32_e32 v54, v64, v55
	v_mul_f32_e32 v64, v71, v83
	v_fma_f32 v66, v83, v71, -v64
	v_fmac_f32_e32 v66, v83, v80
	v_add_f32_e32 v82, v65, v54
	v_add_f32_e32 v54, v64, v66
	v_sub_f32_e32 v65, v55, v54
	v_pk_add_f32 v[68:69], v[54:55], v[64:65] neg_lo:[0,1] neg_hi:[0,1]
	v_mov_b32_e32 v67, v54
	v_pk_add_f32 v[54:55], v[68:69], v[66:67] neg_lo:[0,1] neg_hi:[0,1]
	s_mov_b32 s18, 0x3f317218
	v_add_f32_e32 v55, v82, v55
	v_add_f32_e32 v54, v54, v55
	;; [unrolled: 1-line block ×3, first 2 shown]
	v_mul_f32_e32 v82, v81, v55
	v_mul_f32_e32 v64, v71, v82
	v_fma_f32 v66, v82, v71, -v64
	v_fmac_f32_e32 v66, v82, v80
	v_sub_f32_e32 v65, v65, v55
	v_add_f32_e32 v71, v54, v65
	v_add_f32_e32 v54, v64, v66
	v_sub_f32_e32 v65, v55, v54
	v_pk_add_f32 v[68:69], v[54:55], v[64:65] neg_lo:[0,1] neg_hi:[0,1]
	v_mov_b32_e32 v67, v54
	v_pk_add_f32 v[54:55], v[68:69], v[66:67] neg_lo:[0,1] neg_hi:[0,1]
	v_cvt_f32_i32_e32 v64, v70
	v_add_f32_e32 v55, v71, v55
	v_add_f32_e32 v54, v54, v55
	v_add_f32_e32 v54, v65, v54
	v_add_f32_e32 v65, v83, v82
	v_sub_f32_e32 v55, v65, v83
	v_mul_f32_e32 v54, v81, v54
	v_sub_f32_e32 v55, v82, v55
	v_add_f32_e32 v54, v55, v54
	v_add_f32_e32 v66, v65, v54
	v_mul_f32_e32 v68, v66, v66
	v_mov_b32_e32 v55, 0x3ecc95a3
	v_sub_f32_e32 v65, v66, v65
	v_fmac_f32_e32 v55, 0x3e9b6dac, v68
	v_sub_f32_e32 v54, v54, v65
	v_fmaak_f32 v55, v68, v55, 0x3f2aaada
	v_ldexp_f32 v69, v54, 1
	v_mul_f32_e32 v65, v66, v68
	v_mov_b32_e32 v54, 0x3f317218
	v_pk_mul_f32 v[54:55], v[64:65], v[54:55]
	v_ldexp_f32 v67, v66, 1
	v_fma_f32 v65, v64, s18, -v54
	v_fmamk_f32 v66, v64, 0xb102e308, v65
	v_pk_add_f32 v[64:65], v[54:55], v[66:67]
	v_mov_b32_e32 v68, v54
	v_sub_f32_e32 v67, v65, v67
	v_sub_f32_e32 v67, v55, v67
	v_add_f32_e32 v69, v69, v67
	v_pk_add_f32 v[54:55], v[64:65], v[54:55] neg_lo:[0,1] neg_hi:[0,1]
	v_pk_add_f32 v[70:71], v[64:65], v[68:69]
	v_mov_b32_e32 v67, v64
	v_mov_b32_e32 v55, v71
	v_pk_add_f32 v[80:81], v[66:67], v[54:55] neg_lo:[0,1] neg_hi:[0,1]
	v_pk_add_f32 v[54:55], v[66:67], v[54:55]
	v_mov_b32_e32 v68, v69
	v_mov_b32_e32 v66, v55
	v_pk_add_f32 v[82:83], v[66:67], v[64:65] neg_lo:[0,1] neg_hi:[0,1]
	v_mov_b32_e32 v54, v71
	v_mov_b32_e32 v67, v82
	v_pk_add_f32 v[84:85], v[70:71], v[66:67] neg_lo:[0,1] neg_hi:[0,1]
	v_mov_b32_e32 v70, v65
	v_mov_b32_e32 v71, v82
	;; [unrolled: 1-line block ×3, first 2 shown]
	v_pk_add_f32 v[54:55], v[54:55], v[70:71] neg_lo:[0,1] neg_hi:[0,1]
	v_mov_b32_e32 v69, v64
	v_pk_add_f32 v[54:55], v[68:69], v[54:55] neg_lo:[0,1] neg_hi:[0,1]
	v_mov_b32_e32 v84, v80
	v_pk_add_f32 v[64:65], v[84:85], v[54:55]
	v_cmp_eq_f32_e64 s[18:19], s23, v86
	v_mov_b32_e32 v68, v65
	v_pk_add_f32 v[68:69], v[64:65], v[68:69]
	s_mov_b32 s23, 0x33800000
	v_pk_add_f32 v[66:67], v[66:67], v[68:69]
	v_mov_b32_e32 v55, v68
	v_mov_b32_e32 v65, v66
	v_pk_add_f32 v[70:71], v[64:65], v[80:81] neg_lo:[0,1] neg_hi:[0,1]
	v_cmp_lt_f32_e64 s[24:25], |v86|, s23
	v_sub_f32_e32 v64, v64, v70
	v_pk_add_f32 v[54:55], v[54:55], v[70:71] neg_lo:[0,1] neg_hi:[0,1]
	v_sub_f32_e32 v64, v80, v64
	v_add_f32_e32 v54, v54, v64
	v_add_f32_e32 v54, v54, v55
	;; [unrolled: 1-line block ×3, first 2 shown]
	s_or_b64 s[18:19], s[18:19], s[24:25]
	v_cndmask_b32_e64 v54, v54, v86, s[18:19]
	v_add_f32_e32 v54, v53, v54
.LBB519_286:
	s_or_b64 exec, exec, s[20:21]
	v_bfe_u32 v53, v54, 16, 1
	v_add3_u32 v53, v54, v53, s22
	v_and_b32_e32 v53, 0xffff0000, v53
	v_cmp_o_f32_e64 s[18:19], v54, v54
	s_movk_i32 s24, 0x1f8
	s_nop 0
	v_cndmask_b32_e64 v55, v50, v53, s[18:19]
	v_mov_b32_e32 v50, 16
	v_lshlrev_b32_sdwa v20, v50, v20 dst_sel:DWORD dst_unused:UNUSED_PAD src0_sel:DWORD src1_sel:WORD_1
	v_max_f32_e32 v54, v55, v55
	v_max_f32_e32 v53, v20, v20
	v_min_f32_e32 v64, v54, v53
	v_cmp_u_f32_e64 s[20:21], v55, v55
	v_max_f32_e32 v54, v54, v53
	v_cmp_u_f32_e64 s[18:19], v20, v20
	v_cndmask_b32_e64 v64, v64, v55, s[20:21]
	v_cndmask_b32_e64 v54, v54, v55, s[20:21]
	;; [unrolled: 1-line block ×4, first 2 shown]
	v_cmp_neq_f32_e64 s[20:21], v64, v54
	v_cmp_class_f32_e64 s[22:23], v64, s24
	s_or_b64 s[20:21], s[20:21], s[22:23]
	s_and_saveexec_b64 s[22:23], s[20:21]
	s_cbranch_execz .LBB519_288
; %bb.287:
	v_sub_f32_e32 v55, v64, v54
	s_mov_b32 s20, 0x3fb8aa3b
	v_mul_f32_e32 v64, 0x3fb8aa3b, v55
	v_fma_f32 v65, v55, s20, -v64
	v_rndne_f32_e32 v66, v64
	v_fmamk_f32 v65, v55, 0x32a5705f, v65
	v_sub_f32_e32 v64, v64, v66
	v_add_f32_e32 v64, v64, v65
	v_exp_f32_e32 v64, v64
	v_cvt_i32_f32_e32 v65, v66
	s_mov_b32 s20, 0xc2ce8ed0
	v_cmp_ngt_f32_e64 s[20:21], s20, v55
	s_mov_b32 s25, 0x7f800000
	v_ldexp_f32 v64, v64, v65
	v_cndmask_b32_e64 v64, 0, v64, s[20:21]
	s_mov_b32 s20, 0x42b17218
	v_mov_b32_e32 v65, 0x7f800000
	v_cmp_nlt_f32_e64 s[20:21], s20, v55
	s_nop 1
	v_cndmask_b32_e64 v96, v65, v64, s[20:21]
	v_add_f32_e32 v55, 1.0, v96
	v_add_f32_e32 v64, -1.0, v55
	v_sub_f32_e32 v65, v64, v55
	v_add_f32_e32 v65, 1.0, v65
	v_sub_f32_e32 v64, v96, v64
	v_add_f32_e32 v66, v64, v65
	v_frexp_mant_f32_e32 v67, v55
	s_mov_b32 s20, 0x3f2aaaab
	v_cvt_f64_f32_e32 v[64:65], v55
	v_frexp_exp_i32_f64_e32 v64, v[64:65]
	v_cmp_gt_f32_e64 s[20:21], s20, v67
	s_nop 1
	v_subbrev_co_u32_e64 v80, s[20:21], 0, v64, s[20:21]
	v_sub_u32_e32 v64, 0, v80
	v_ldexp_f32 v55, v55, v64
	v_ldexp_f32 v64, v66, v64
	v_add_f32_e32 v66, -1.0, v55
	v_add_f32_e32 v65, 1.0, v66
	v_sub_f32_e32 v65, v55, v65
	v_add_f32_e32 v67, v64, v65
	v_add_f32_e32 v65, 1.0, v55
	v_add_f32_e32 v68, -1.0, v65
	v_sub_f32_e32 v55, v55, v68
	v_add_f32_e32 v55, v64, v55
	v_add_f32_e32 v81, v65, v55
	v_rcp_f32_e32 v82, v81
	v_sub_f32_e32 v64, v65, v81
	v_add_f32_e32 v65, v66, v67
	v_add_f32_e32 v55, v55, v64
	v_mul_f32_e32 v84, v65, v82
	v_sub_f32_e32 v64, v66, v65
	v_mul_f32_e32 v66, v81, v84
	v_fma_f32 v68, v84, v81, -v66
	v_fmac_f32_e32 v68, v84, v55
	v_add_f32_e32 v83, v67, v64
	v_add_f32_e32 v64, v66, v68
	v_sub_f32_e32 v67, v65, v64
	v_pk_add_f32 v[70:71], v[64:65], v[66:67] neg_lo:[0,1] neg_hi:[0,1]
	v_mov_b32_e32 v69, v64
	v_pk_add_f32 v[64:65], v[70:71], v[68:69] neg_lo:[0,1] neg_hi:[0,1]
	s_mov_b32 s20, 0x3f317218
	v_add_f32_e32 v65, v83, v65
	v_add_f32_e32 v64, v64, v65
	;; [unrolled: 1-line block ×3, first 2 shown]
	v_mul_f32_e32 v83, v82, v65
	v_mul_f32_e32 v66, v81, v83
	v_fma_f32 v68, v83, v81, -v66
	v_fmac_f32_e32 v68, v83, v55
	v_sub_f32_e32 v55, v67, v65
	v_add_f32_e32 v55, v64, v55
	v_add_f32_e32 v64, v66, v68
	v_sub_f32_e32 v67, v65, v64
	v_pk_add_f32 v[70:71], v[64:65], v[66:67] neg_lo:[0,1] neg_hi:[0,1]
	v_mov_b32_e32 v69, v64
	v_pk_add_f32 v[64:65], v[70:71], v[68:69] neg_lo:[0,1] neg_hi:[0,1]
	v_cvt_f32_i32_e32 v66, v80
	v_add_f32_e32 v55, v55, v65
	v_add_f32_e32 v55, v64, v55
	;; [unrolled: 1-line block ×4, first 2 shown]
	v_sub_f32_e32 v65, v64, v84
	v_mul_f32_e32 v55, v82, v55
	v_sub_f32_e32 v65, v83, v65
	v_add_f32_e32 v55, v65, v55
	v_add_f32_e32 v67, v64, v55
	v_mul_f32_e32 v68, v67, v67
	v_mov_b32_e32 v65, 0x3ecc95a3
	v_fmac_f32_e32 v65, 0x3e9b6dac, v68
	v_sub_f32_e32 v64, v67, v64
	v_fmaak_f32 v65, v68, v65, 0x3f2aaada
	v_sub_f32_e32 v55, v55, v64
	v_ldexp_f32 v69, v67, 1
	v_mul_f32_e32 v67, v67, v68
	v_mov_b32_e32 v64, 0x3f317218
	v_pk_mul_f32 v[64:65], v[66:67], v[64:65]
	v_ldexp_f32 v55, v55, 1
	v_fma_f32 v67, v66, s20, -v64
	v_fmamk_f32 v68, v66, 0xb102e308, v67
	v_pk_add_f32 v[66:67], v[64:65], v[68:69]
	v_mov_b32_e32 v70, v64
	v_sub_f32_e32 v69, v67, v69
	v_sub_f32_e32 v69, v65, v69
	v_add_f32_e32 v71, v55, v69
	v_pk_add_f32 v[64:65], v[66:67], v[64:65] neg_lo:[0,1] neg_hi:[0,1]
	v_pk_add_f32 v[80:81], v[66:67], v[70:71]
	v_mov_b32_e32 v69, v66
	v_mov_b32_e32 v65, v81
	v_pk_add_f32 v[82:83], v[68:69], v[64:65] neg_lo:[0,1] neg_hi:[0,1]
	v_pk_add_f32 v[64:65], v[68:69], v[64:65]
	v_mov_b32_e32 v70, v71
	v_mov_b32_e32 v68, v65
	v_pk_add_f32 v[84:85], v[68:69], v[66:67] neg_lo:[0,1] neg_hi:[0,1]
	v_mov_b32_e32 v64, v81
	v_mov_b32_e32 v55, v84
	v_pk_add_f32 v[86:87], v[80:81], v[54:55] neg_lo:[0,1] neg_hi:[0,1]
	v_mov_b32_e32 v80, v67
	v_mov_b32_e32 v81, v84
	;; [unrolled: 1-line block ×3, first 2 shown]
	v_pk_add_f32 v[64:65], v[64:65], v[80:81] neg_lo:[0,1] neg_hi:[0,1]
	v_mov_b32_e32 v71, v66
	v_pk_add_f32 v[64:65], v[70:71], v[64:65] neg_lo:[0,1] neg_hi:[0,1]
	v_mov_b32_e32 v86, v82
	v_pk_add_f32 v[66:67], v[86:87], v[64:65]
	v_cmp_eq_f32_e64 s[20:21], s25, v96
	v_mov_b32_e32 v70, v67
	v_pk_add_f32 v[70:71], v[66:67], v[70:71]
	s_mov_b32 s25, 0x33800000
	v_pk_add_f32 v[68:69], v[68:69], v[70:71]
	v_mov_b32_e32 v65, v70
	v_mov_b32_e32 v67, v68
	v_pk_add_f32 v[80:81], v[66:67], v[82:83] neg_lo:[0,1] neg_hi:[0,1]
	v_cmp_lt_f32_e64 s[26:27], |v96|, s25
	v_sub_f32_e32 v55, v66, v80
	v_pk_add_f32 v[64:65], v[64:65], v[80:81] neg_lo:[0,1] neg_hi:[0,1]
	v_sub_f32_e32 v55, v82, v55
	v_add_f32_e32 v55, v64, v55
	v_add_f32_e32 v55, v55, v65
	;; [unrolled: 1-line block ×3, first 2 shown]
	s_or_b64 s[20:21], s[20:21], s[26:27]
	v_cndmask_b32_e64 v55, v55, v96, s[20:21]
	v_add_f32_e32 v55, v54, v55
.LBB519_288:
	s_or_b64 exec, exec, s[22:23]
	v_bfe_u32 v54, v55, 16, 1
	s_movk_i32 s26, 0x7fff
	v_add3_u32 v54, v55, v54, s26
	v_and_b32_e32 v64, 0xffff0000, v54
	v_mov_b32_e32 v54, 0x7fc00000
	v_cmp_o_f32_e64 s[20:21], v55, v55
	v_lshlrev_b32_sdwa v50, v50, v21 dst_sel:DWORD dst_unused:UNUSED_PAD src0_sel:DWORD src1_sel:WORD_0
	v_max_f32_e32 v55, v50, v50
	v_cndmask_b32_e64 v65, v54, v64, s[20:21]
	v_max_f32_e32 v64, v65, v65
	v_min_f32_e32 v66, v64, v55
	v_cmp_u_f32_e64 s[22:23], v65, v65
	v_max_f32_e32 v64, v64, v55
	v_cmp_u_f32_e64 s[20:21], v50, v50
	v_cndmask_b32_e64 v66, v66, v65, s[22:23]
	v_cndmask_b32_e64 v64, v64, v65, s[22:23]
	;; [unrolled: 1-line block ×4, first 2 shown]
	v_cmp_neq_f32_e64 s[22:23], v66, v64
	v_cmp_class_f32_e64 s[24:25], v66, s24
	s_or_b64 s[22:23], s[22:23], s[24:25]
	s_and_saveexec_b64 s[24:25], s[22:23]
	s_cbranch_execz .LBB519_290
; %bb.289:
	v_sub_f32_e32 v65, v66, v64
	s_mov_b32 s22, 0x3fb8aa3b
	v_mul_f32_e32 v66, 0x3fb8aa3b, v65
	v_fma_f32 v67, v65, s22, -v66
	v_rndne_f32_e32 v68, v66
	v_fmamk_f32 v67, v65, 0x32a5705f, v67
	v_sub_f32_e32 v66, v66, v68
	v_add_f32_e32 v66, v66, v67
	v_exp_f32_e32 v66, v66
	v_cvt_i32_f32_e32 v67, v68
	s_mov_b32 s22, 0xc2ce8ed0
	v_cmp_ngt_f32_e64 s[22:23], s22, v65
	s_mov_b32 s27, 0x7f800000
	v_ldexp_f32 v66, v66, v67
	v_cndmask_b32_e64 v66, 0, v66, s[22:23]
	s_mov_b32 s22, 0x42b17218
	v_mov_b32_e32 v67, 0x7f800000
	v_cmp_nlt_f32_e64 s[22:23], s22, v65
	s_nop 1
	v_cndmask_b32_e64 v101, v67, v66, s[22:23]
	v_add_f32_e32 v65, 1.0, v101
	v_add_f32_e32 v66, -1.0, v65
	v_sub_f32_e32 v67, v66, v65
	v_add_f32_e32 v67, 1.0, v67
	v_sub_f32_e32 v66, v101, v66
	v_add_f32_e32 v68, v66, v67
	v_frexp_mant_f32_e32 v69, v65
	s_mov_b32 s22, 0x3f2aaaab
	v_cvt_f64_f32_e32 v[66:67], v65
	v_frexp_exp_i32_f64_e32 v66, v[66:67]
	v_cmp_gt_f32_e64 s[22:23], s22, v69
	s_nop 1
	v_subbrev_co_u32_e64 v82, s[22:23], 0, v66, s[22:23]
	v_sub_u32_e32 v66, 0, v82
	v_ldexp_f32 v65, v65, v66
	v_ldexp_f32 v66, v68, v66
	v_add_f32_e32 v68, -1.0, v65
	v_add_f32_e32 v67, 1.0, v68
	v_sub_f32_e32 v67, v65, v67
	v_add_f32_e32 v69, v66, v67
	v_add_f32_e32 v67, 1.0, v65
	v_add_f32_e32 v70, -1.0, v67
	v_sub_f32_e32 v65, v65, v70
	v_add_f32_e32 v65, v66, v65
	v_add_f32_e32 v83, v67, v65
	v_rcp_f32_e32 v84, v83
	v_sub_f32_e32 v66, v67, v83
	v_add_f32_e32 v67, v68, v69
	v_add_f32_e32 v65, v65, v66
	v_mul_f32_e32 v86, v67, v84
	v_sub_f32_e32 v66, v68, v67
	v_mul_f32_e32 v68, v83, v86
	v_fma_f32 v70, v86, v83, -v68
	v_fmac_f32_e32 v70, v86, v65
	v_add_f32_e32 v85, v69, v66
	v_add_f32_e32 v66, v68, v70
	v_sub_f32_e32 v69, v67, v66
	v_pk_add_f32 v[80:81], v[66:67], v[68:69] neg_lo:[0,1] neg_hi:[0,1]
	v_mov_b32_e32 v71, v66
	v_pk_add_f32 v[66:67], v[80:81], v[70:71] neg_lo:[0,1] neg_hi:[0,1]
	s_mov_b32 s22, 0x3f317218
	v_add_f32_e32 v67, v85, v67
	v_add_f32_e32 v66, v66, v67
	;; [unrolled: 1-line block ×3, first 2 shown]
	v_mul_f32_e32 v85, v84, v67
	v_mul_f32_e32 v68, v83, v85
	v_fma_f32 v70, v85, v83, -v68
	v_fmac_f32_e32 v70, v85, v65
	v_sub_f32_e32 v65, v69, v67
	v_add_f32_e32 v65, v66, v65
	v_add_f32_e32 v66, v68, v70
	v_sub_f32_e32 v69, v67, v66
	v_pk_add_f32 v[80:81], v[66:67], v[68:69] neg_lo:[0,1] neg_hi:[0,1]
	v_mov_b32_e32 v71, v66
	v_pk_add_f32 v[66:67], v[80:81], v[70:71] neg_lo:[0,1] neg_hi:[0,1]
	v_cvt_f32_i32_e32 v68, v82
	v_add_f32_e32 v65, v65, v67
	v_add_f32_e32 v65, v66, v65
	;; [unrolled: 1-line block ×4, first 2 shown]
	v_sub_f32_e32 v67, v66, v86
	v_mul_f32_e32 v65, v84, v65
	v_sub_f32_e32 v67, v85, v67
	v_add_f32_e32 v65, v67, v65
	v_add_f32_e32 v69, v66, v65
	v_mul_f32_e32 v70, v69, v69
	v_mov_b32_e32 v67, 0x3ecc95a3
	v_fmac_f32_e32 v67, 0x3e9b6dac, v70
	v_sub_f32_e32 v66, v69, v66
	v_fmaak_f32 v67, v70, v67, 0x3f2aaada
	v_sub_f32_e32 v65, v65, v66
	v_ldexp_f32 v71, v69, 1
	v_mul_f32_e32 v69, v69, v70
	v_mov_b32_e32 v66, 0x3f317218
	v_pk_mul_f32 v[66:67], v[68:69], v[66:67]
	v_ldexp_f32 v65, v65, 1
	v_fma_f32 v69, v68, s22, -v66
	v_fmamk_f32 v70, v68, 0xb102e308, v69
	v_pk_add_f32 v[68:69], v[66:67], v[70:71]
	v_mov_b32_e32 v80, v66
	v_sub_f32_e32 v71, v69, v71
	v_sub_f32_e32 v71, v67, v71
	v_add_f32_e32 v81, v65, v71
	v_pk_add_f32 v[66:67], v[68:69], v[66:67] neg_lo:[0,1] neg_hi:[0,1]
	v_pk_add_f32 v[82:83], v[68:69], v[80:81]
	v_mov_b32_e32 v71, v68
	v_mov_b32_e32 v67, v83
	v_pk_add_f32 v[84:85], v[70:71], v[66:67] neg_lo:[0,1] neg_hi:[0,1]
	v_pk_add_f32 v[66:67], v[70:71], v[66:67]
	v_mov_b32_e32 v80, v81
	v_mov_b32_e32 v70, v67
	v_pk_add_f32 v[86:87], v[70:71], v[68:69] neg_lo:[0,1] neg_hi:[0,1]
	v_mov_b32_e32 v66, v83
	v_mov_b32_e32 v65, v86
	v_pk_add_f32 v[96:97], v[82:83], v[64:65] neg_lo:[0,1] neg_hi:[0,1]
	v_mov_b32_e32 v82, v69
	v_mov_b32_e32 v83, v86
	;; [unrolled: 1-line block ×3, first 2 shown]
	v_pk_add_f32 v[66:67], v[66:67], v[82:83] neg_lo:[0,1] neg_hi:[0,1]
	v_mov_b32_e32 v81, v68
	v_pk_add_f32 v[66:67], v[80:81], v[66:67] neg_lo:[0,1] neg_hi:[0,1]
	v_mov_b32_e32 v96, v84
	v_pk_add_f32 v[68:69], v[96:97], v[66:67]
	v_cmp_eq_f32_e64 s[22:23], s27, v101
	v_mov_b32_e32 v80, v69
	v_pk_add_f32 v[80:81], v[68:69], v[80:81]
	s_mov_b32 s27, 0x33800000
	v_pk_add_f32 v[70:71], v[70:71], v[80:81]
	v_mov_b32_e32 v67, v80
	v_mov_b32_e32 v69, v70
	v_pk_add_f32 v[82:83], v[68:69], v[84:85] neg_lo:[0,1] neg_hi:[0,1]
	v_cmp_lt_f32_e64 s[28:29], |v101|, s27
	v_sub_f32_e32 v65, v68, v82
	v_pk_add_f32 v[66:67], v[66:67], v[82:83] neg_lo:[0,1] neg_hi:[0,1]
	v_sub_f32_e32 v65, v84, v65
	v_add_f32_e32 v65, v66, v65
	v_add_f32_e32 v65, v65, v67
	;; [unrolled: 1-line block ×3, first 2 shown]
	s_or_b64 s[22:23], s[22:23], s[28:29]
	v_cndmask_b32_e64 v65, v65, v101, s[22:23]
	v_add_f32_e32 v65, v64, v65
.LBB519_290:
	s_or_b64 exec, exec, s[24:25]
	v_bfe_u32 v64, v65, 16, 1
	v_add3_u32 v64, v65, v64, s26
	v_and_b32_e32 v64, 0xffff0000, v64
	v_cmp_o_f32_e64 s[22:23], v65, v65
	s_movk_i32 s28, 0x1f8
	s_nop 0
	v_cndmask_b32_e64 v66, v54, v64, s[22:23]
	v_mov_b32_e32 v54, 16
	v_lshlrev_b32_sdwa v21, v54, v21 dst_sel:DWORD dst_unused:UNUSED_PAD src0_sel:DWORD src1_sel:WORD_1
	v_max_f32_e32 v65, v66, v66
	v_max_f32_e32 v64, v21, v21
	v_min_f32_e32 v67, v65, v64
	v_cmp_u_f32_e64 s[24:25], v66, v66
	v_max_f32_e32 v65, v65, v64
	v_cmp_u_f32_e64 s[22:23], v21, v21
	v_cndmask_b32_e64 v67, v67, v66, s[24:25]
	v_cndmask_b32_e64 v65, v65, v66, s[24:25]
	v_cndmask_b32_e64 v67, v67, v21, s[22:23]
	v_cndmask_b32_e64 v65, v65, v21, s[22:23]
	v_cmp_neq_f32_e64 s[24:25], v67, v65
	v_cmp_class_f32_e64 s[26:27], v67, s28
	s_or_b64 s[24:25], s[24:25], s[26:27]
	s_and_saveexec_b64 s[26:27], s[24:25]
	s_cbranch_execz .LBB519_292
; %bb.291:
	v_sub_f32_e32 v66, v67, v65
	s_mov_b32 s24, 0x3fb8aa3b
	v_mul_f32_e32 v67, 0x3fb8aa3b, v66
	v_fma_f32 v68, v66, s24, -v67
	v_rndne_f32_e32 v69, v67
	v_fmamk_f32 v68, v66, 0x32a5705f, v68
	v_sub_f32_e32 v67, v67, v69
	v_add_f32_e32 v67, v67, v68
	v_exp_f32_e32 v67, v67
	v_cvt_i32_f32_e32 v68, v69
	s_mov_b32 s24, 0xc2ce8ed0
	v_cmp_ngt_f32_e64 s[24:25], s24, v66
	s_mov_b32 s29, 0x7f800000
	v_ldexp_f32 v67, v67, v68
	v_cndmask_b32_e64 v67, 0, v67, s[24:25]
	s_mov_b32 s24, 0x42b17218
	v_mov_b32_e32 v68, 0x7f800000
	v_cmp_nlt_f32_e64 s[24:25], s24, v66
	s_nop 1
	v_cndmask_b32_e64 v101, v68, v67, s[24:25]
	v_add_f32_e32 v68, 1.0, v101
	v_add_f32_e32 v66, -1.0, v68
	v_sub_f32_e32 v67, v66, v68
	v_add_f32_e32 v67, 1.0, v67
	v_sub_f32_e32 v66, v101, v66
	v_add_f32_e32 v69, v66, v67
	v_frexp_mant_f32_e32 v70, v68
	s_mov_b32 s24, 0x3f2aaaab
	v_cvt_f64_f32_e32 v[66:67], v68
	v_frexp_exp_i32_f64_e32 v66, v[66:67]
	v_cmp_gt_f32_e64 s[24:25], s24, v70
	s_nop 1
	v_subbrev_co_u32_e64 v82, s[24:25], 0, v66, s[24:25]
	v_sub_u32_e32 v66, 0, v82
	v_ldexp_f32 v67, v68, v66
	v_add_f32_e32 v68, -1.0, v67
	v_add_f32_e32 v70, 1.0, v67
	v_ldexp_f32 v66, v69, v66
	v_add_f32_e32 v69, 1.0, v68
	v_add_f32_e32 v71, -1.0, v70
	v_sub_f32_e32 v69, v67, v69
	v_sub_f32_e32 v67, v67, v71
	v_add_f32_e32 v69, v66, v69
	v_add_f32_e32 v66, v66, v67
	;; [unrolled: 1-line block ×3, first 2 shown]
	v_rcp_f32_e32 v85, v83
	v_sub_f32_e32 v67, v70, v83
	v_add_f32_e32 v84, v66, v67
	v_add_f32_e32 v67, v68, v69
	v_mul_f32_e32 v87, v67, v85
	v_sub_f32_e32 v66, v68, v67
	v_mul_f32_e32 v68, v83, v87
	v_fma_f32 v70, v87, v83, -v68
	v_fmac_f32_e32 v70, v87, v84
	v_add_f32_e32 v86, v69, v66
	v_add_f32_e32 v66, v68, v70
	v_sub_f32_e32 v69, v67, v66
	v_pk_add_f32 v[80:81], v[66:67], v[68:69] neg_lo:[0,1] neg_hi:[0,1]
	v_mov_b32_e32 v71, v66
	v_pk_add_f32 v[66:67], v[80:81], v[70:71] neg_lo:[0,1] neg_hi:[0,1]
	s_mov_b32 s24, 0x3f317218
	v_add_f32_e32 v67, v86, v67
	v_add_f32_e32 v66, v66, v67
	;; [unrolled: 1-line block ×3, first 2 shown]
	v_mul_f32_e32 v86, v85, v67
	v_mul_f32_e32 v68, v83, v86
	v_fma_f32 v70, v86, v83, -v68
	v_fmac_f32_e32 v70, v86, v84
	v_sub_f32_e32 v69, v69, v67
	v_add_f32_e32 v83, v66, v69
	v_add_f32_e32 v66, v68, v70
	v_sub_f32_e32 v69, v67, v66
	v_pk_add_f32 v[80:81], v[66:67], v[68:69] neg_lo:[0,1] neg_hi:[0,1]
	v_mov_b32_e32 v71, v66
	v_pk_add_f32 v[66:67], v[80:81], v[70:71] neg_lo:[0,1] neg_hi:[0,1]
	v_cvt_f32_i32_e32 v68, v82
	v_add_f32_e32 v67, v83, v67
	v_add_f32_e32 v66, v66, v67
	v_add_f32_e32 v66, v69, v66
	v_add_f32_e32 v69, v87, v86
	v_sub_f32_e32 v67, v69, v87
	v_mul_f32_e32 v66, v85, v66
	v_sub_f32_e32 v67, v86, v67
	v_add_f32_e32 v66, v67, v66
	v_add_f32_e32 v70, v69, v66
	v_mul_f32_e32 v80, v70, v70
	v_mov_b32_e32 v67, 0x3ecc95a3
	v_sub_f32_e32 v69, v70, v69
	v_fmac_f32_e32 v67, 0x3e9b6dac, v80
	v_sub_f32_e32 v66, v66, v69
	v_fmaak_f32 v67, v80, v67, 0x3f2aaada
	v_ldexp_f32 v81, v66, 1
	v_mul_f32_e32 v69, v70, v80
	v_mov_b32_e32 v66, 0x3f317218
	v_pk_mul_f32 v[66:67], v[68:69], v[66:67]
	v_ldexp_f32 v71, v70, 1
	v_fma_f32 v69, v68, s24, -v66
	v_fmamk_f32 v70, v68, 0xb102e308, v69
	v_pk_add_f32 v[68:69], v[66:67], v[70:71]
	v_mov_b32_e32 v80, v66
	v_sub_f32_e32 v71, v69, v71
	v_sub_f32_e32 v71, v67, v71
	v_add_f32_e32 v81, v81, v71
	v_pk_add_f32 v[66:67], v[68:69], v[66:67] neg_lo:[0,1] neg_hi:[0,1]
	v_pk_add_f32 v[82:83], v[68:69], v[80:81]
	v_mov_b32_e32 v71, v68
	v_mov_b32_e32 v67, v83
	v_pk_add_f32 v[84:85], v[70:71], v[66:67] neg_lo:[0,1] neg_hi:[0,1]
	v_pk_add_f32 v[66:67], v[70:71], v[66:67]
	v_mov_b32_e32 v80, v81
	v_mov_b32_e32 v70, v67
	v_pk_add_f32 v[86:87], v[70:71], v[68:69] neg_lo:[0,1] neg_hi:[0,1]
	v_mov_b32_e32 v66, v83
	v_mov_b32_e32 v71, v86
	v_pk_add_f32 v[96:97], v[82:83], v[70:71] neg_lo:[0,1] neg_hi:[0,1]
	v_mov_b32_e32 v82, v69
	v_mov_b32_e32 v83, v86
	;; [unrolled: 1-line block ×3, first 2 shown]
	v_pk_add_f32 v[66:67], v[66:67], v[82:83] neg_lo:[0,1] neg_hi:[0,1]
	v_mov_b32_e32 v81, v68
	v_pk_add_f32 v[66:67], v[80:81], v[66:67] neg_lo:[0,1] neg_hi:[0,1]
	v_mov_b32_e32 v96, v84
	v_pk_add_f32 v[68:69], v[96:97], v[66:67]
	v_cmp_eq_f32_e64 s[24:25], s29, v101
	v_mov_b32_e32 v80, v69
	v_pk_add_f32 v[80:81], v[68:69], v[80:81]
	s_mov_b32 s29, 0x33800000
	v_pk_add_f32 v[70:71], v[70:71], v[80:81]
	v_mov_b32_e32 v67, v80
	v_mov_b32_e32 v69, v70
	v_pk_add_f32 v[82:83], v[68:69], v[84:85] neg_lo:[0,1] neg_hi:[0,1]
	v_cmp_lt_f32_e64 s[30:31], |v101|, s29
	v_sub_f32_e32 v68, v68, v82
	v_pk_add_f32 v[66:67], v[66:67], v[82:83] neg_lo:[0,1] neg_hi:[0,1]
	v_sub_f32_e32 v68, v84, v68
	v_add_f32_e32 v66, v66, v68
	v_add_f32_e32 v66, v66, v67
	;; [unrolled: 1-line block ×3, first 2 shown]
	s_or_b64 s[24:25], s[24:25], s[30:31]
	v_cndmask_b32_e64 v66, v66, v101, s[24:25]
	v_add_f32_e32 v66, v65, v66
.LBB519_292:
	s_or_b64 exec, exec, s[26:27]
	v_bfe_u32 v65, v66, 16, 1
	s_movk_i32 s30, 0x7fff
	v_add3_u32 v65, v66, v65, s30
	v_and_b32_e32 v67, 0xffff0000, v65
	v_mov_b32_e32 v65, 0x7fc00000
	v_cmp_o_f32_e64 s[24:25], v66, v66
	v_lshlrev_b32_sdwa v54, v54, v22 dst_sel:DWORD dst_unused:UNUSED_PAD src0_sel:DWORD src1_sel:WORD_0
	v_max_f32_e32 v66, v54, v54
	v_cndmask_b32_e64 v68, v65, v67, s[24:25]
	v_max_f32_e32 v67, v68, v68
	v_min_f32_e32 v69, v67, v66
	v_cmp_u_f32_e64 s[26:27], v68, v68
	v_max_f32_e32 v67, v67, v66
	v_cmp_u_f32_e64 s[24:25], v54, v54
	v_cndmask_b32_e64 v69, v69, v68, s[26:27]
	v_cndmask_b32_e64 v67, v67, v68, s[26:27]
	;; [unrolled: 1-line block ×4, first 2 shown]
	v_cmp_neq_f32_e64 s[26:27], v69, v67
	v_cmp_class_f32_e64 s[28:29], v69, s28
	s_or_b64 s[26:27], s[26:27], s[28:29]
	s_and_saveexec_b64 s[28:29], s[26:27]
	s_cbranch_execz .LBB519_294
; %bb.293:
	v_sub_f32_e32 v68, v69, v67
	s_mov_b32 s26, 0x3fb8aa3b
	v_mul_f32_e32 v69, 0x3fb8aa3b, v68
	v_fma_f32 v70, v68, s26, -v69
	v_rndne_f32_e32 v71, v69
	v_fmamk_f32 v70, v68, 0x32a5705f, v70
	v_sub_f32_e32 v69, v69, v71
	v_add_f32_e32 v69, v69, v70
	v_exp_f32_e32 v69, v69
	v_cvt_i32_f32_e32 v70, v71
	s_mov_b32 s26, 0xc2ce8ed0
	v_cmp_ngt_f32_e64 s[26:27], s26, v68
	s_mov_b32 s31, 0x7f800000
	v_ldexp_f32 v69, v69, v70
	v_cndmask_b32_e64 v69, 0, v69, s[26:27]
	s_mov_b32 s26, 0x42b17218
	v_mov_b32_e32 v70, 0x7f800000
	v_cmp_nlt_f32_e64 s[26:27], s26, v68
	s_nop 1
	v_cndmask_b32_e64 v101, v70, v69, s[26:27]
	v_add_f32_e32 v70, 1.0, v101
	v_add_f32_e32 v68, -1.0, v70
	v_sub_f32_e32 v69, v68, v70
	v_add_f32_e32 v69, 1.0, v69
	v_sub_f32_e32 v68, v101, v68
	v_add_f32_e32 v71, v68, v69
	v_frexp_mant_f32_e32 v80, v70
	s_mov_b32 s26, 0x3f2aaaab
	v_cvt_f64_f32_e32 v[68:69], v70
	v_frexp_exp_i32_f64_e32 v68, v[68:69]
	v_cmp_gt_f32_e64 s[26:27], s26, v80
	s_nop 1
	v_subbrev_co_u32_e64 v84, s[26:27], 0, v68, s[26:27]
	v_sub_u32_e32 v68, 0, v84
	v_ldexp_f32 v69, v70, v68
	v_add_f32_e32 v70, -1.0, v69
	v_add_f32_e32 v80, 1.0, v69
	v_ldexp_f32 v68, v71, v68
	v_add_f32_e32 v71, 1.0, v70
	v_add_f32_e32 v81, -1.0, v80
	v_sub_f32_e32 v71, v69, v71
	v_sub_f32_e32 v69, v69, v81
	v_add_f32_e32 v71, v68, v71
	v_add_f32_e32 v68, v68, v69
	;; [unrolled: 1-line block ×3, first 2 shown]
	v_rcp_f32_e32 v87, v85
	v_sub_f32_e32 v69, v80, v85
	v_add_f32_e32 v86, v68, v69
	v_add_f32_e32 v69, v70, v71
	v_mul_f32_e32 v97, v69, v87
	v_sub_f32_e32 v68, v70, v69
	v_mul_f32_e32 v70, v85, v97
	v_fma_f32 v80, v97, v85, -v70
	v_fmac_f32_e32 v80, v97, v86
	v_add_f32_e32 v96, v71, v68
	v_add_f32_e32 v68, v70, v80
	v_sub_f32_e32 v71, v69, v68
	v_pk_add_f32 v[82:83], v[68:69], v[70:71] neg_lo:[0,1] neg_hi:[0,1]
	v_mov_b32_e32 v81, v68
	v_pk_add_f32 v[68:69], v[82:83], v[80:81] neg_lo:[0,1] neg_hi:[0,1]
	s_mov_b32 s26, 0x3f317218
	v_add_f32_e32 v69, v96, v69
	v_add_f32_e32 v68, v68, v69
	;; [unrolled: 1-line block ×3, first 2 shown]
	v_mul_f32_e32 v96, v87, v69
	v_mul_f32_e32 v70, v85, v96
	v_fma_f32 v80, v96, v85, -v70
	v_fmac_f32_e32 v80, v96, v86
	v_sub_f32_e32 v71, v71, v69
	v_add_f32_e32 v85, v68, v71
	v_add_f32_e32 v68, v70, v80
	v_sub_f32_e32 v71, v69, v68
	v_pk_add_f32 v[82:83], v[68:69], v[70:71] neg_lo:[0,1] neg_hi:[0,1]
	v_mov_b32_e32 v81, v68
	v_pk_add_f32 v[68:69], v[82:83], v[80:81] neg_lo:[0,1] neg_hi:[0,1]
	v_cvt_f32_i32_e32 v70, v84
	v_add_f32_e32 v69, v85, v69
	v_add_f32_e32 v68, v68, v69
	;; [unrolled: 1-line block ×4, first 2 shown]
	v_sub_f32_e32 v69, v71, v97
	v_mul_f32_e32 v68, v87, v68
	v_sub_f32_e32 v69, v96, v69
	v_add_f32_e32 v68, v69, v68
	v_add_f32_e32 v80, v71, v68
	v_mul_f32_e32 v82, v80, v80
	v_mov_b32_e32 v69, 0x3ecc95a3
	v_sub_f32_e32 v71, v80, v71
	v_fmac_f32_e32 v69, 0x3e9b6dac, v82
	v_sub_f32_e32 v68, v68, v71
	v_fmaak_f32 v69, v82, v69, 0x3f2aaada
	v_ldexp_f32 v83, v68, 1
	v_mul_f32_e32 v71, v80, v82
	v_mov_b32_e32 v68, 0x3f317218
	v_pk_mul_f32 v[68:69], v[70:71], v[68:69]
	v_ldexp_f32 v81, v80, 1
	v_fma_f32 v71, v70, s26, -v68
	v_fmamk_f32 v80, v70, 0xb102e308, v71
	v_pk_add_f32 v[70:71], v[68:69], v[80:81]
	v_mov_b32_e32 v82, v68
	v_sub_f32_e32 v81, v71, v81
	v_sub_f32_e32 v81, v69, v81
	v_add_f32_e32 v83, v83, v81
	v_pk_add_f32 v[68:69], v[70:71], v[68:69] neg_lo:[0,1] neg_hi:[0,1]
	v_pk_add_f32 v[84:85], v[70:71], v[82:83]
	v_mov_b32_e32 v81, v70
	v_mov_b32_e32 v69, v85
	v_pk_add_f32 v[86:87], v[80:81], v[68:69] neg_lo:[0,1] neg_hi:[0,1]
	v_pk_add_f32 v[68:69], v[80:81], v[68:69]
	v_mov_b32_e32 v82, v83
	v_mov_b32_e32 v80, v69
	v_pk_add_f32 v[96:97], v[80:81], v[70:71] neg_lo:[0,1] neg_hi:[0,1]
	v_mov_b32_e32 v68, v85
	v_mov_b32_e32 v81, v96
	v_pk_add_f32 v[102:103], v[84:85], v[80:81] neg_lo:[0,1] neg_hi:[0,1]
	v_mov_b32_e32 v84, v71
	v_mov_b32_e32 v85, v96
	;; [unrolled: 1-line block ×3, first 2 shown]
	v_pk_add_f32 v[68:69], v[68:69], v[84:85] neg_lo:[0,1] neg_hi:[0,1]
	v_mov_b32_e32 v83, v70
	v_pk_add_f32 v[68:69], v[82:83], v[68:69] neg_lo:[0,1] neg_hi:[0,1]
	v_mov_b32_e32 v102, v86
	v_pk_add_f32 v[70:71], v[102:103], v[68:69]
	v_cmp_eq_f32_e64 s[26:27], s31, v101
	v_mov_b32_e32 v82, v71
	v_pk_add_f32 v[82:83], v[70:71], v[82:83]
	s_mov_b32 s31, 0x33800000
	v_pk_add_f32 v[80:81], v[80:81], v[82:83]
	v_mov_b32_e32 v69, v82
	v_mov_b32_e32 v71, v80
	v_pk_add_f32 v[84:85], v[70:71], v[86:87] neg_lo:[0,1] neg_hi:[0,1]
	v_cmp_lt_f32_e64 s[34:35], |v101|, s31
	v_sub_f32_e32 v70, v70, v84
	v_pk_add_f32 v[68:69], v[68:69], v[84:85] neg_lo:[0,1] neg_hi:[0,1]
	v_sub_f32_e32 v70, v86, v70
	v_add_f32_e32 v68, v68, v70
	v_add_f32_e32 v68, v68, v69
	;; [unrolled: 1-line block ×3, first 2 shown]
	s_or_b64 s[26:27], s[26:27], s[34:35]
	v_cndmask_b32_e64 v68, v68, v101, s[26:27]
	v_add_f32_e32 v68, v67, v68
.LBB519_294:
	s_or_b64 exec, exec, s[28:29]
	v_bfe_u32 v67, v68, 16, 1
	v_add3_u32 v67, v68, v67, s30
	v_and_b32_e32 v67, 0xffff0000, v67
	v_cmp_o_f32_e64 s[26:27], v68, v68
	s_movk_i32 s34, 0x1f8
	s_nop 0
	v_cndmask_b32_e64 v69, v65, v67, s[26:27]
	v_mov_b32_e32 v65, 16
	v_lshlrev_b32_sdwa v22, v65, v22 dst_sel:DWORD dst_unused:UNUSED_PAD src0_sel:DWORD src1_sel:WORD_1
	v_max_f32_e32 v68, v69, v69
	v_max_f32_e32 v67, v22, v22
	v_min_f32_e32 v70, v68, v67
	v_cmp_u_f32_e64 s[28:29], v69, v69
	v_max_f32_e32 v68, v68, v67
	v_cmp_u_f32_e64 s[26:27], v22, v22
	v_cndmask_b32_e64 v70, v70, v69, s[28:29]
	v_cndmask_b32_e64 v68, v68, v69, s[28:29]
	;; [unrolled: 1-line block ×4, first 2 shown]
	v_cmp_neq_f32_e64 s[28:29], v70, v68
	v_cmp_class_f32_e64 s[30:31], v70, s34
	s_or_b64 s[28:29], s[28:29], s[30:31]
	s_and_saveexec_b64 s[30:31], s[28:29]
	s_cbranch_execz .LBB519_296
; %bb.295:
	v_sub_f32_e32 v69, v70, v68
	s_mov_b32 s28, 0x3fb8aa3b
	v_mul_f32_e32 v70, 0x3fb8aa3b, v69
	v_fma_f32 v71, v69, s28, -v70
	v_rndne_f32_e32 v80, v70
	v_fmamk_f32 v71, v69, 0x32a5705f, v71
	v_sub_f32_e32 v70, v70, v80
	v_add_f32_e32 v70, v70, v71
	v_exp_f32_e32 v70, v70
	v_cvt_i32_f32_e32 v71, v80
	s_mov_b32 s28, 0xc2ce8ed0
	v_cmp_ngt_f32_e64 s[28:29], s28, v69
	s_mov_b32 s35, 0x7f800000
	v_ldexp_f32 v70, v70, v71
	v_cndmask_b32_e64 v70, 0, v70, s[28:29]
	s_mov_b32 s28, 0x42b17218
	v_mov_b32_e32 v71, 0x7f800000
	v_cmp_nlt_f32_e64 s[28:29], s28, v69
	s_nop 1
	v_cndmask_b32_e64 v101, v71, v70, s[28:29]
	v_add_f32_e32 v69, 1.0, v101
	v_add_f32_e32 v70, -1.0, v69
	v_sub_f32_e32 v71, v70, v69
	v_add_f32_e32 v71, 1.0, v71
	v_sub_f32_e32 v70, v101, v70
	v_add_f32_e32 v80, v70, v71
	v_frexp_mant_f32_e32 v81, v69
	s_mov_b32 s28, 0x3f2aaaab
	v_cvt_f64_f32_e32 v[70:71], v69
	v_frexp_exp_i32_f64_e32 v70, v[70:71]
	v_cmp_gt_f32_e64 s[28:29], s28, v81
	s_nop 1
	v_subbrev_co_u32_e64 v86, s[28:29], 0, v70, s[28:29]
	v_sub_u32_e32 v70, 0, v86
	v_ldexp_f32 v69, v69, v70
	v_ldexp_f32 v70, v80, v70
	v_add_f32_e32 v80, -1.0, v69
	v_add_f32_e32 v71, 1.0, v80
	v_sub_f32_e32 v71, v69, v71
	v_add_f32_e32 v81, v70, v71
	v_add_f32_e32 v71, 1.0, v69
	v_add_f32_e32 v82, -1.0, v71
	v_sub_f32_e32 v69, v69, v82
	v_add_f32_e32 v69, v70, v69
	v_add_f32_e32 v87, v71, v69
	v_rcp_f32_e32 v96, v87
	v_sub_f32_e32 v70, v71, v87
	v_add_f32_e32 v71, v80, v81
	v_add_f32_e32 v69, v69, v70
	v_mul_f32_e32 v102, v71, v96
	v_sub_f32_e32 v70, v80, v71
	v_mul_f32_e32 v80, v87, v102
	v_fma_f32 v82, v102, v87, -v80
	v_fmac_f32_e32 v82, v102, v69
	v_add_f32_e32 v97, v81, v70
	v_add_f32_e32 v70, v80, v82
	v_sub_f32_e32 v81, v71, v70
	v_pk_add_f32 v[84:85], v[70:71], v[80:81] neg_lo:[0,1] neg_hi:[0,1]
	v_mov_b32_e32 v83, v70
	v_pk_add_f32 v[70:71], v[84:85], v[82:83] neg_lo:[0,1] neg_hi:[0,1]
	s_mov_b32 s28, 0x3f317218
	v_add_f32_e32 v71, v97, v71
	v_add_f32_e32 v70, v70, v71
	;; [unrolled: 1-line block ×3, first 2 shown]
	v_mul_f32_e32 v97, v96, v71
	v_mul_f32_e32 v80, v87, v97
	v_fma_f32 v82, v97, v87, -v80
	v_fmac_f32_e32 v82, v97, v69
	v_sub_f32_e32 v69, v81, v71
	v_add_f32_e32 v69, v70, v69
	v_add_f32_e32 v70, v80, v82
	v_sub_f32_e32 v81, v71, v70
	v_pk_add_f32 v[84:85], v[70:71], v[80:81] neg_lo:[0,1] neg_hi:[0,1]
	v_mov_b32_e32 v83, v70
	v_pk_add_f32 v[70:71], v[84:85], v[82:83] neg_lo:[0,1] neg_hi:[0,1]
	v_cvt_f32_i32_e32 v80, v86
	v_add_f32_e32 v69, v69, v71
	v_add_f32_e32 v69, v70, v69
	;; [unrolled: 1-line block ×4, first 2 shown]
	v_sub_f32_e32 v71, v70, v102
	v_mul_f32_e32 v69, v96, v69
	v_sub_f32_e32 v71, v97, v71
	v_add_f32_e32 v69, v71, v69
	v_add_f32_e32 v81, v70, v69
	v_mul_f32_e32 v82, v81, v81
	v_mov_b32_e32 v71, 0x3ecc95a3
	v_fmac_f32_e32 v71, 0x3e9b6dac, v82
	v_sub_f32_e32 v70, v81, v70
	v_fmaak_f32 v71, v82, v71, 0x3f2aaada
	v_sub_f32_e32 v69, v69, v70
	v_ldexp_f32 v83, v81, 1
	v_mul_f32_e32 v81, v81, v82
	v_mov_b32_e32 v70, 0x3f317218
	v_pk_mul_f32 v[70:71], v[80:81], v[70:71]
	v_ldexp_f32 v69, v69, 1
	v_fma_f32 v81, v80, s28, -v70
	v_fmamk_f32 v82, v80, 0xb102e308, v81
	v_pk_add_f32 v[80:81], v[70:71], v[82:83]
	v_mov_b32_e32 v84, v70
	v_sub_f32_e32 v83, v81, v83
	v_sub_f32_e32 v83, v71, v83
	v_add_f32_e32 v85, v69, v83
	v_pk_add_f32 v[70:71], v[80:81], v[70:71] neg_lo:[0,1] neg_hi:[0,1]
	v_pk_add_f32 v[86:87], v[80:81], v[84:85]
	v_mov_b32_e32 v83, v80
	v_mov_b32_e32 v71, v87
	v_pk_add_f32 v[96:97], v[82:83], v[70:71] neg_lo:[0,1] neg_hi:[0,1]
	v_pk_add_f32 v[70:71], v[82:83], v[70:71]
	v_mov_b32_e32 v84, v85
	v_mov_b32_e32 v82, v71
	v_pk_add_f32 v[102:103], v[82:83], v[80:81] neg_lo:[0,1] neg_hi:[0,1]
	v_mov_b32_e32 v70, v87
	v_mov_b32_e32 v69, v102
	v_pk_add_f32 v[112:113], v[86:87], v[68:69] neg_lo:[0,1] neg_hi:[0,1]
	v_mov_b32_e32 v86, v81
	v_mov_b32_e32 v87, v102
	v_mov_b32_e32 v97, v71
	v_pk_add_f32 v[70:71], v[70:71], v[86:87] neg_lo:[0,1] neg_hi:[0,1]
	v_mov_b32_e32 v85, v80
	v_pk_add_f32 v[70:71], v[84:85], v[70:71] neg_lo:[0,1] neg_hi:[0,1]
	v_mov_b32_e32 v112, v96
	v_pk_add_f32 v[80:81], v[112:113], v[70:71]
	v_cmp_eq_f32_e64 s[28:29], s35, v101
	v_mov_b32_e32 v84, v81
	v_pk_add_f32 v[84:85], v[80:81], v[84:85]
	s_mov_b32 s35, 0x33800000
	v_pk_add_f32 v[82:83], v[82:83], v[84:85]
	v_mov_b32_e32 v71, v84
	v_mov_b32_e32 v81, v82
	v_pk_add_f32 v[86:87], v[80:81], v[96:97] neg_lo:[0,1] neg_hi:[0,1]
	v_cmp_lt_f32_e64 s[36:37], |v101|, s35
	v_sub_f32_e32 v69, v80, v86
	v_pk_add_f32 v[70:71], v[70:71], v[86:87] neg_lo:[0,1] neg_hi:[0,1]
	v_sub_f32_e32 v69, v96, v69
	v_add_f32_e32 v69, v70, v69
	v_add_f32_e32 v69, v69, v71
	v_add_f32_e32 v69, v82, v69
	s_or_b64 s[28:29], s[28:29], s[36:37]
	v_cndmask_b32_e64 v69, v69, v101, s[28:29]
	v_add_f32_e32 v69, v68, v69
.LBB519_296:
	s_or_b64 exec, exec, s[30:31]
	v_bfe_u32 v68, v69, 16, 1
	s_movk_i32 s36, 0x7fff
	v_add3_u32 v68, v69, v68, s36
	v_and_b32_e32 v70, 0xffff0000, v68
	v_mov_b32_e32 v68, 0x7fc00000
	v_cmp_o_f32_e64 s[28:29], v69, v69
	v_lshlrev_b32_sdwa v65, v65, v23 dst_sel:DWORD dst_unused:UNUSED_PAD src0_sel:DWORD src1_sel:WORD_0
	v_max_f32_e32 v69, v65, v65
	v_cndmask_b32_e64 v71, v68, v70, s[28:29]
	v_max_f32_e32 v70, v71, v71
	v_min_f32_e32 v80, v70, v69
	v_cmp_u_f32_e64 s[30:31], v71, v71
	v_max_f32_e32 v70, v70, v69
	v_cmp_u_f32_e64 s[28:29], v65, v65
	v_cndmask_b32_e64 v80, v80, v71, s[30:31]
	v_cndmask_b32_e64 v70, v70, v71, s[30:31]
	;; [unrolled: 1-line block ×4, first 2 shown]
	v_cmp_neq_f32_e64 s[30:31], v80, v70
	v_cmp_class_f32_e64 s[34:35], v80, s34
	s_or_b64 s[30:31], s[30:31], s[34:35]
	s_and_saveexec_b64 s[34:35], s[30:31]
	s_cbranch_execz .LBB519_298
; %bb.297:
	v_sub_f32_e32 v71, v80, v70
	s_mov_b32 s30, 0x3fb8aa3b
	v_mul_f32_e32 v80, 0x3fb8aa3b, v71
	v_fma_f32 v81, v71, s30, -v80
	v_rndne_f32_e32 v82, v80
	v_fmamk_f32 v81, v71, 0x32a5705f, v81
	v_sub_f32_e32 v80, v80, v82
	v_add_f32_e32 v80, v80, v81
	v_exp_f32_e32 v80, v80
	v_cvt_i32_f32_e32 v81, v82
	s_mov_b32 s30, 0xc2ce8ed0
	v_cmp_ngt_f32_e64 s[30:31], s30, v71
	s_mov_b32 s37, 0x7f800000
	v_ldexp_f32 v80, v80, v81
	v_cndmask_b32_e64 v80, 0, v80, s[30:31]
	s_mov_b32 s30, 0x42b17218
	v_mov_b32_e32 v81, 0x7f800000
	v_cmp_nlt_f32_e64 s[30:31], s30, v71
	s_nop 1
	v_cndmask_b32_e64 v101, v81, v80, s[30:31]
	v_add_f32_e32 v71, 1.0, v101
	v_add_f32_e32 v80, -1.0, v71
	v_sub_f32_e32 v81, v80, v71
	v_add_f32_e32 v81, 1.0, v81
	v_sub_f32_e32 v80, v101, v80
	v_add_f32_e32 v82, v80, v81
	v_frexp_mant_f32_e32 v83, v71
	s_mov_b32 s30, 0x3f2aaaab
	v_cvt_f64_f32_e32 v[80:81], v71
	v_frexp_exp_i32_f64_e32 v80, v[80:81]
	v_cmp_gt_f32_e64 s[30:31], s30, v83
	s_nop 1
	v_subbrev_co_u32_e64 v96, s[30:31], 0, v80, s[30:31]
	v_sub_u32_e32 v80, 0, v96
	v_ldexp_f32 v71, v71, v80
	v_ldexp_f32 v80, v82, v80
	v_add_f32_e32 v82, -1.0, v71
	v_add_f32_e32 v81, 1.0, v82
	v_sub_f32_e32 v81, v71, v81
	v_add_f32_e32 v83, v80, v81
	v_add_f32_e32 v81, 1.0, v71
	v_add_f32_e32 v84, -1.0, v81
	v_sub_f32_e32 v71, v71, v84
	v_add_f32_e32 v71, v80, v71
	v_add_f32_e32 v97, v81, v71
	v_rcp_f32_e32 v102, v97
	v_sub_f32_e32 v80, v81, v97
	v_add_f32_e32 v81, v82, v83
	v_add_f32_e32 v71, v71, v80
	v_mul_f32_e32 v112, v81, v102
	v_sub_f32_e32 v80, v82, v81
	v_mul_f32_e32 v82, v97, v112
	v_fma_f32 v84, v112, v97, -v82
	v_fmac_f32_e32 v84, v112, v71
	v_add_f32_e32 v103, v83, v80
	v_add_f32_e32 v80, v82, v84
	v_sub_f32_e32 v83, v81, v80
	v_pk_add_f32 v[86:87], v[80:81], v[82:83] neg_lo:[0,1] neg_hi:[0,1]
	v_mov_b32_e32 v85, v80
	v_pk_add_f32 v[80:81], v[86:87], v[84:85] neg_lo:[0,1] neg_hi:[0,1]
	s_mov_b32 s30, 0x3f317218
	v_add_f32_e32 v81, v103, v81
	v_add_f32_e32 v80, v80, v81
	;; [unrolled: 1-line block ×3, first 2 shown]
	v_mul_f32_e32 v103, v102, v81
	v_mul_f32_e32 v82, v97, v103
	v_fma_f32 v84, v103, v97, -v82
	v_fmac_f32_e32 v84, v103, v71
	v_sub_f32_e32 v71, v83, v81
	v_add_f32_e32 v71, v80, v71
	v_add_f32_e32 v80, v82, v84
	v_sub_f32_e32 v83, v81, v80
	v_pk_add_f32 v[86:87], v[80:81], v[82:83] neg_lo:[0,1] neg_hi:[0,1]
	v_mov_b32_e32 v85, v80
	v_pk_add_f32 v[80:81], v[86:87], v[84:85] neg_lo:[0,1] neg_hi:[0,1]
	v_cvt_f32_i32_e32 v82, v96
	v_add_f32_e32 v71, v71, v81
	v_add_f32_e32 v71, v80, v71
	;; [unrolled: 1-line block ×4, first 2 shown]
	v_sub_f32_e32 v81, v80, v112
	v_mul_f32_e32 v71, v102, v71
	v_sub_f32_e32 v81, v103, v81
	v_add_f32_e32 v71, v81, v71
	v_add_f32_e32 v83, v80, v71
	v_mul_f32_e32 v84, v83, v83
	v_mov_b32_e32 v81, 0x3ecc95a3
	v_fmac_f32_e32 v81, 0x3e9b6dac, v84
	v_sub_f32_e32 v80, v83, v80
	v_fmaak_f32 v81, v84, v81, 0x3f2aaada
	v_sub_f32_e32 v71, v71, v80
	v_ldexp_f32 v85, v83, 1
	v_mul_f32_e32 v83, v83, v84
	v_mov_b32_e32 v80, 0x3f317218
	v_pk_mul_f32 v[80:81], v[82:83], v[80:81]
	v_ldexp_f32 v71, v71, 1
	v_fma_f32 v83, v82, s30, -v80
	v_fmamk_f32 v84, v82, 0xb102e308, v83
	v_pk_add_f32 v[82:83], v[80:81], v[84:85]
	v_mov_b32_e32 v86, v80
	v_sub_f32_e32 v85, v83, v85
	v_sub_f32_e32 v85, v81, v85
	v_add_f32_e32 v87, v71, v85
	v_pk_add_f32 v[80:81], v[82:83], v[80:81] neg_lo:[0,1] neg_hi:[0,1]
	v_pk_add_f32 v[96:97], v[82:83], v[86:87]
	v_mov_b32_e32 v85, v82
	v_mov_b32_e32 v81, v97
	v_pk_add_f32 v[102:103], v[84:85], v[80:81] neg_lo:[0,1] neg_hi:[0,1]
	v_pk_add_f32 v[80:81], v[84:85], v[80:81]
	v_mov_b32_e32 v86, v87
	v_mov_b32_e32 v84, v81
	v_pk_add_f32 v[112:113], v[84:85], v[82:83] neg_lo:[0,1] neg_hi:[0,1]
	v_mov_b32_e32 v80, v97
	v_mov_b32_e32 v71, v112
	v_pk_add_f32 v[114:115], v[96:97], v[70:71] neg_lo:[0,1] neg_hi:[0,1]
	v_mov_b32_e32 v96, v83
	v_mov_b32_e32 v97, v112
	v_mov_b32_e32 v103, v81
	v_pk_add_f32 v[80:81], v[80:81], v[96:97] neg_lo:[0,1] neg_hi:[0,1]
	v_mov_b32_e32 v87, v82
	v_pk_add_f32 v[80:81], v[86:87], v[80:81] neg_lo:[0,1] neg_hi:[0,1]
	v_mov_b32_e32 v114, v102
	v_pk_add_f32 v[82:83], v[114:115], v[80:81]
	v_cmp_eq_f32_e64 s[30:31], s37, v101
	v_mov_b32_e32 v86, v83
	v_pk_add_f32 v[86:87], v[82:83], v[86:87]
	s_mov_b32 s37, 0x33800000
	v_pk_add_f32 v[84:85], v[84:85], v[86:87]
	v_mov_b32_e32 v81, v86
	v_mov_b32_e32 v83, v84
	v_pk_add_f32 v[96:97], v[82:83], v[102:103] neg_lo:[0,1] neg_hi:[0,1]
	v_cmp_lt_f32_e64 s[38:39], |v101|, s37
	v_sub_f32_e32 v71, v82, v96
	v_pk_add_f32 v[80:81], v[80:81], v[96:97] neg_lo:[0,1] neg_hi:[0,1]
	v_sub_f32_e32 v71, v102, v71
	v_add_f32_e32 v71, v80, v71
	v_add_f32_e32 v71, v71, v81
	;; [unrolled: 1-line block ×3, first 2 shown]
	s_or_b64 s[30:31], s[30:31], s[38:39]
	v_cndmask_b32_e64 v71, v71, v101, s[30:31]
	v_add_f32_e32 v71, v70, v71
.LBB519_298:
	s_or_b64 exec, exec, s[34:35]
	v_bfe_u32 v70, v71, 16, 1
	v_add3_u32 v70, v71, v70, s36
	v_and_b32_e32 v70, 0xffff0000, v70
	v_cmp_o_f32_e64 s[30:31], v71, v71
	s_movk_i32 s38, 0x1f8
	s_nop 0
	v_cndmask_b32_e64 v80, v68, v70, s[30:31]
	v_mov_b32_e32 v68, 16
	v_lshlrev_b32_sdwa v23, v68, v23 dst_sel:DWORD dst_unused:UNUSED_PAD src0_sel:DWORD src1_sel:WORD_1
	v_max_f32_e32 v71, v80, v80
	v_max_f32_e32 v70, v23, v23
	v_min_f32_e32 v81, v71, v70
	v_cmp_u_f32_e64 s[34:35], v80, v80
	v_max_f32_e32 v71, v71, v70
	v_cmp_u_f32_e64 s[30:31], v23, v23
	v_cndmask_b32_e64 v81, v81, v80, s[34:35]
	v_cndmask_b32_e64 v71, v71, v80, s[34:35]
	;; [unrolled: 1-line block ×4, first 2 shown]
	v_cmp_neq_f32_e64 s[34:35], v81, v71
	v_cmp_class_f32_e64 s[36:37], v81, s38
	s_or_b64 s[34:35], s[34:35], s[36:37]
	s_and_saveexec_b64 s[36:37], s[34:35]
	s_cbranch_execz .LBB519_300
; %bb.299:
	v_sub_f32_e32 v80, v81, v71
	s_mov_b32 s34, 0x3fb8aa3b
	v_mul_f32_e32 v81, 0x3fb8aa3b, v80
	v_fma_f32 v82, v80, s34, -v81
	v_rndne_f32_e32 v83, v81
	v_fmamk_f32 v82, v80, 0x32a5705f, v82
	v_sub_f32_e32 v81, v81, v83
	v_add_f32_e32 v81, v81, v82
	v_exp_f32_e32 v81, v81
	v_cvt_i32_f32_e32 v82, v83
	s_mov_b32 s34, 0xc2ce8ed0
	v_cmp_ngt_f32_e64 s[34:35], s34, v80
	s_mov_b32 s39, 0x7f800000
	v_ldexp_f32 v81, v81, v82
	v_cndmask_b32_e64 v81, 0, v81, s[34:35]
	s_mov_b32 s34, 0x42b17218
	v_mov_b32_e32 v82, 0x7f800000
	v_cmp_nlt_f32_e64 s[34:35], s34, v80
	s_nop 1
	v_cndmask_b32_e64 v101, v82, v81, s[34:35]
	v_add_f32_e32 v82, 1.0, v101
	v_add_f32_e32 v80, -1.0, v82
	v_sub_f32_e32 v81, v80, v82
	v_add_f32_e32 v81, 1.0, v81
	v_sub_f32_e32 v80, v101, v80
	v_add_f32_e32 v83, v80, v81
	v_frexp_mant_f32_e32 v84, v82
	s_mov_b32 s34, 0x3f2aaaab
	v_cvt_f64_f32_e32 v[80:81], v82
	v_frexp_exp_i32_f64_e32 v80, v[80:81]
	v_cmp_gt_f32_e64 s[34:35], s34, v84
	s_nop 1
	v_subbrev_co_u32_e64 v96, s[34:35], 0, v80, s[34:35]
	v_sub_u32_e32 v80, 0, v96
	v_ldexp_f32 v81, v82, v80
	v_add_f32_e32 v82, -1.0, v81
	v_add_f32_e32 v84, 1.0, v81
	v_ldexp_f32 v80, v83, v80
	v_add_f32_e32 v83, 1.0, v82
	v_add_f32_e32 v85, -1.0, v84
	v_sub_f32_e32 v83, v81, v83
	v_sub_f32_e32 v81, v81, v85
	v_add_f32_e32 v83, v80, v83
	v_add_f32_e32 v80, v80, v81
	;; [unrolled: 1-line block ×3, first 2 shown]
	v_rcp_f32_e32 v103, v97
	v_sub_f32_e32 v81, v84, v97
	v_add_f32_e32 v102, v80, v81
	v_add_f32_e32 v81, v82, v83
	v_mul_f32_e32 v113, v81, v103
	v_sub_f32_e32 v80, v82, v81
	v_mul_f32_e32 v82, v97, v113
	v_fma_f32 v84, v113, v97, -v82
	v_fmac_f32_e32 v84, v113, v102
	v_add_f32_e32 v112, v83, v80
	v_add_f32_e32 v80, v82, v84
	v_sub_f32_e32 v83, v81, v80
	v_pk_add_f32 v[86:87], v[80:81], v[82:83] neg_lo:[0,1] neg_hi:[0,1]
	v_mov_b32_e32 v85, v80
	v_pk_add_f32 v[80:81], v[86:87], v[84:85] neg_lo:[0,1] neg_hi:[0,1]
	s_mov_b32 s34, 0x3f317218
	v_add_f32_e32 v81, v112, v81
	v_add_f32_e32 v80, v80, v81
	;; [unrolled: 1-line block ×3, first 2 shown]
	v_mul_f32_e32 v112, v103, v81
	v_mul_f32_e32 v82, v97, v112
	v_fma_f32 v84, v112, v97, -v82
	v_fmac_f32_e32 v84, v112, v102
	v_sub_f32_e32 v83, v83, v81
	v_add_f32_e32 v97, v80, v83
	v_add_f32_e32 v80, v82, v84
	v_sub_f32_e32 v83, v81, v80
	v_pk_add_f32 v[86:87], v[80:81], v[82:83] neg_lo:[0,1] neg_hi:[0,1]
	v_mov_b32_e32 v85, v80
	v_pk_add_f32 v[80:81], v[86:87], v[84:85] neg_lo:[0,1] neg_hi:[0,1]
	v_cvt_f32_i32_e32 v82, v96
	v_add_f32_e32 v81, v97, v81
	v_add_f32_e32 v80, v80, v81
	;; [unrolled: 1-line block ×4, first 2 shown]
	v_sub_f32_e32 v81, v83, v113
	v_mul_f32_e32 v80, v103, v80
	v_sub_f32_e32 v81, v112, v81
	v_add_f32_e32 v80, v81, v80
	v_add_f32_e32 v84, v83, v80
	v_mul_f32_e32 v86, v84, v84
	v_mov_b32_e32 v81, 0x3ecc95a3
	v_sub_f32_e32 v83, v84, v83
	v_fmac_f32_e32 v81, 0x3e9b6dac, v86
	v_sub_f32_e32 v80, v80, v83
	v_fmaak_f32 v81, v86, v81, 0x3f2aaada
	v_ldexp_f32 v87, v80, 1
	v_mul_f32_e32 v83, v84, v86
	v_mov_b32_e32 v80, 0x3f317218
	v_pk_mul_f32 v[80:81], v[82:83], v[80:81]
	v_ldexp_f32 v85, v84, 1
	v_fma_f32 v83, v82, s34, -v80
	v_fmamk_f32 v84, v82, 0xb102e308, v83
	v_pk_add_f32 v[82:83], v[80:81], v[84:85]
	v_mov_b32_e32 v86, v80
	v_sub_f32_e32 v85, v83, v85
	v_sub_f32_e32 v85, v81, v85
	v_add_f32_e32 v87, v87, v85
	v_pk_add_f32 v[80:81], v[82:83], v[80:81] neg_lo:[0,1] neg_hi:[0,1]
	v_pk_add_f32 v[96:97], v[82:83], v[86:87]
	v_mov_b32_e32 v85, v82
	v_mov_b32_e32 v81, v97
	v_pk_add_f32 v[102:103], v[84:85], v[80:81] neg_lo:[0,1] neg_hi:[0,1]
	v_pk_add_f32 v[80:81], v[84:85], v[80:81]
	v_mov_b32_e32 v86, v87
	v_mov_b32_e32 v84, v81
	v_pk_add_f32 v[112:113], v[84:85], v[82:83] neg_lo:[0,1] neg_hi:[0,1]
	v_mov_b32_e32 v80, v97
	v_mov_b32_e32 v85, v112
	v_pk_add_f32 v[114:115], v[96:97], v[84:85] neg_lo:[0,1] neg_hi:[0,1]
	v_mov_b32_e32 v96, v83
	v_mov_b32_e32 v97, v112
	;; [unrolled: 1-line block ×3, first 2 shown]
	v_pk_add_f32 v[80:81], v[80:81], v[96:97] neg_lo:[0,1] neg_hi:[0,1]
	v_mov_b32_e32 v87, v82
	v_pk_add_f32 v[80:81], v[86:87], v[80:81] neg_lo:[0,1] neg_hi:[0,1]
	v_mov_b32_e32 v114, v102
	v_pk_add_f32 v[82:83], v[114:115], v[80:81]
	v_cmp_eq_f32_e64 s[34:35], s39, v101
	v_mov_b32_e32 v86, v83
	v_pk_add_f32 v[86:87], v[82:83], v[86:87]
	s_mov_b32 s39, 0x33800000
	v_pk_add_f32 v[84:85], v[84:85], v[86:87]
	v_mov_b32_e32 v81, v86
	v_mov_b32_e32 v83, v84
	v_pk_add_f32 v[96:97], v[82:83], v[102:103] neg_lo:[0,1] neg_hi:[0,1]
	v_cmp_lt_f32_e64 s[40:41], |v101|, s39
	v_sub_f32_e32 v82, v82, v96
	v_pk_add_f32 v[80:81], v[80:81], v[96:97] neg_lo:[0,1] neg_hi:[0,1]
	v_sub_f32_e32 v82, v102, v82
	v_add_f32_e32 v80, v80, v82
	v_add_f32_e32 v80, v80, v81
	v_add_f32_e32 v80, v84, v80
	s_or_b64 s[34:35], s[34:35], s[40:41]
	v_cndmask_b32_e64 v80, v80, v101, s[34:35]
	v_add_f32_e32 v80, v71, v80
.LBB519_300:
	s_or_b64 exec, exec, s[36:37]
	v_bfe_u32 v71, v80, 16, 1
	s_movk_i32 s40, 0x7fff
	v_add3_u32 v71, v80, v71, s40
	v_and_b32_e32 v81, 0xffff0000, v71
	v_mov_b32_e32 v71, 0x7fc00000
	v_cmp_o_f32_e64 s[34:35], v80, v80
	v_lshlrev_b32_sdwa v68, v68, v16 dst_sel:DWORD dst_unused:UNUSED_PAD src0_sel:DWORD src1_sel:WORD_0
	v_max_f32_e32 v80, v68, v68
	v_cndmask_b32_e64 v82, v71, v81, s[34:35]
	v_max_f32_e32 v81, v82, v82
	v_min_f32_e32 v83, v81, v80
	v_cmp_u_f32_e64 s[36:37], v82, v82
	v_max_f32_e32 v81, v81, v80
	v_cmp_u_f32_e64 s[34:35], v68, v68
	v_cndmask_b32_e64 v83, v83, v82, s[36:37]
	v_cndmask_b32_e64 v81, v81, v82, s[36:37]
	;; [unrolled: 1-line block ×4, first 2 shown]
	v_cmp_neq_f32_e64 s[36:37], v83, v81
	v_cmp_class_f32_e64 s[38:39], v83, s38
	s_or_b64 s[36:37], s[36:37], s[38:39]
	s_and_saveexec_b64 s[38:39], s[36:37]
	s_cbranch_execz .LBB519_302
; %bb.301:
	v_sub_f32_e32 v82, v83, v81
	s_mov_b32 s36, 0x3fb8aa3b
	v_mul_f32_e32 v83, 0x3fb8aa3b, v82
	v_fma_f32 v84, v82, s36, -v83
	v_rndne_f32_e32 v85, v83
	v_fmamk_f32 v84, v82, 0x32a5705f, v84
	v_sub_f32_e32 v83, v83, v85
	v_add_f32_e32 v83, v83, v84
	v_exp_f32_e32 v83, v83
	v_cvt_i32_f32_e32 v84, v85
	s_mov_b32 s36, 0xc2ce8ed0
	v_cmp_ngt_f32_e64 s[36:37], s36, v82
	s_mov_b32 s41, 0x7f800000
	v_ldexp_f32 v83, v83, v84
	v_cndmask_b32_e64 v83, 0, v83, s[36:37]
	s_mov_b32 s36, 0x42b17218
	v_mov_b32_e32 v84, 0x7f800000
	v_cmp_nlt_f32_e64 s[36:37], s36, v82
	s_nop 1
	v_cndmask_b32_e64 v101, v84, v83, s[36:37]
	v_add_f32_e32 v84, 1.0, v101
	v_add_f32_e32 v82, -1.0, v84
	v_sub_f32_e32 v83, v82, v84
	v_add_f32_e32 v83, 1.0, v83
	v_sub_f32_e32 v82, v101, v82
	v_add_f32_e32 v85, v82, v83
	v_frexp_mant_f32_e32 v86, v84
	s_mov_b32 s36, 0x3f2aaaab
	v_cvt_f64_f32_e32 v[82:83], v84
	v_frexp_exp_i32_f64_e32 v82, v[82:83]
	v_cmp_gt_f32_e64 s[36:37], s36, v86
	s_nop 1
	v_subbrev_co_u32_e64 v102, s[36:37], 0, v82, s[36:37]
	v_sub_u32_e32 v82, 0, v102
	v_ldexp_f32 v83, v84, v82
	v_add_f32_e32 v84, -1.0, v83
	v_add_f32_e32 v86, 1.0, v83
	v_ldexp_f32 v82, v85, v82
	v_add_f32_e32 v85, 1.0, v84
	v_add_f32_e32 v87, -1.0, v86
	v_sub_f32_e32 v85, v83, v85
	v_sub_f32_e32 v83, v83, v87
	v_add_f32_e32 v85, v82, v85
	v_add_f32_e32 v82, v82, v83
	;; [unrolled: 1-line block ×3, first 2 shown]
	v_rcp_f32_e32 v113, v103
	v_sub_f32_e32 v83, v86, v103
	v_add_f32_e32 v112, v82, v83
	v_add_f32_e32 v83, v84, v85
	v_mul_f32_e32 v115, v83, v113
	v_sub_f32_e32 v82, v84, v83
	v_mul_f32_e32 v84, v103, v115
	v_fma_f32 v86, v115, v103, -v84
	v_fmac_f32_e32 v86, v115, v112
	v_add_f32_e32 v114, v85, v82
	v_add_f32_e32 v82, v84, v86
	v_sub_f32_e32 v85, v83, v82
	v_pk_add_f32 v[96:97], v[82:83], v[84:85] neg_lo:[0,1] neg_hi:[0,1]
	v_mov_b32_e32 v87, v82
	v_pk_add_f32 v[82:83], v[96:97], v[86:87] neg_lo:[0,1] neg_hi:[0,1]
	s_mov_b32 s36, 0x3f317218
	v_add_f32_e32 v83, v114, v83
	v_add_f32_e32 v82, v82, v83
	;; [unrolled: 1-line block ×3, first 2 shown]
	v_mul_f32_e32 v114, v113, v83
	v_mul_f32_e32 v84, v103, v114
	v_fma_f32 v86, v114, v103, -v84
	v_fmac_f32_e32 v86, v114, v112
	v_sub_f32_e32 v85, v85, v83
	v_add_f32_e32 v103, v82, v85
	v_add_f32_e32 v82, v84, v86
	v_sub_f32_e32 v85, v83, v82
	v_pk_add_f32 v[96:97], v[82:83], v[84:85] neg_lo:[0,1] neg_hi:[0,1]
	v_mov_b32_e32 v87, v82
	v_pk_add_f32 v[82:83], v[96:97], v[86:87] neg_lo:[0,1] neg_hi:[0,1]
	v_cvt_f32_i32_e32 v84, v102
	v_add_f32_e32 v83, v103, v83
	v_add_f32_e32 v82, v82, v83
	;; [unrolled: 1-line block ×4, first 2 shown]
	v_sub_f32_e32 v83, v85, v115
	v_mul_f32_e32 v82, v113, v82
	v_sub_f32_e32 v83, v114, v83
	v_add_f32_e32 v82, v83, v82
	v_add_f32_e32 v86, v85, v82
	v_mul_f32_e32 v96, v86, v86
	v_mov_b32_e32 v83, 0x3ecc95a3
	v_sub_f32_e32 v85, v86, v85
	v_fmac_f32_e32 v83, 0x3e9b6dac, v96
	v_sub_f32_e32 v82, v82, v85
	v_fmaak_f32 v83, v96, v83, 0x3f2aaada
	v_ldexp_f32 v97, v82, 1
	v_mul_f32_e32 v85, v86, v96
	v_mov_b32_e32 v82, 0x3f317218
	v_pk_mul_f32 v[82:83], v[84:85], v[82:83]
	v_ldexp_f32 v87, v86, 1
	v_fma_f32 v85, v84, s36, -v82
	v_fmamk_f32 v86, v84, 0xb102e308, v85
	v_pk_add_f32 v[84:85], v[82:83], v[86:87]
	v_mov_b32_e32 v96, v82
	v_sub_f32_e32 v87, v85, v87
	v_sub_f32_e32 v87, v83, v87
	v_add_f32_e32 v97, v97, v87
	v_pk_add_f32 v[82:83], v[84:85], v[82:83] neg_lo:[0,1] neg_hi:[0,1]
	v_pk_add_f32 v[102:103], v[84:85], v[96:97]
	v_mov_b32_e32 v87, v84
	v_mov_b32_e32 v83, v103
	v_pk_add_f32 v[112:113], v[86:87], v[82:83] neg_lo:[0,1] neg_hi:[0,1]
	v_pk_add_f32 v[82:83], v[86:87], v[82:83]
	v_mov_b32_e32 v96, v97
	v_mov_b32_e32 v86, v83
	v_pk_add_f32 v[114:115], v[86:87], v[84:85] neg_lo:[0,1] neg_hi:[0,1]
	v_mov_b32_e32 v82, v103
	v_mov_b32_e32 v87, v114
	v_pk_add_f32 v[116:117], v[102:103], v[86:87] neg_lo:[0,1] neg_hi:[0,1]
	v_mov_b32_e32 v102, v85
	v_mov_b32_e32 v103, v114
	;; [unrolled: 1-line block ×3, first 2 shown]
	v_pk_add_f32 v[82:83], v[82:83], v[102:103] neg_lo:[0,1] neg_hi:[0,1]
	v_mov_b32_e32 v97, v84
	v_pk_add_f32 v[82:83], v[96:97], v[82:83] neg_lo:[0,1] neg_hi:[0,1]
	v_mov_b32_e32 v116, v112
	v_pk_add_f32 v[84:85], v[116:117], v[82:83]
	v_cmp_eq_f32_e64 s[36:37], s41, v101
	v_mov_b32_e32 v96, v85
	v_pk_add_f32 v[96:97], v[84:85], v[96:97]
	s_mov_b32 s41, 0x33800000
	v_pk_add_f32 v[86:87], v[86:87], v[96:97]
	v_mov_b32_e32 v83, v96
	v_mov_b32_e32 v85, v86
	v_pk_add_f32 v[102:103], v[84:85], v[112:113] neg_lo:[0,1] neg_hi:[0,1]
	v_cmp_lt_f32_e64 s[42:43], |v101|, s41
	v_sub_f32_e32 v84, v84, v102
	v_pk_add_f32 v[82:83], v[82:83], v[102:103] neg_lo:[0,1] neg_hi:[0,1]
	v_sub_f32_e32 v84, v112, v84
	v_add_f32_e32 v82, v82, v84
	v_add_f32_e32 v82, v82, v83
	;; [unrolled: 1-line block ×3, first 2 shown]
	s_or_b64 s[36:37], s[36:37], s[42:43]
	v_cndmask_b32_e64 v82, v82, v101, s[36:37]
	v_add_f32_e32 v82, v81, v82
.LBB519_302:
	s_or_b64 exec, exec, s[38:39]
	v_bfe_u32 v81, v82, 16, 1
	v_add3_u32 v81, v82, v81, s40
	v_and_b32_e32 v81, 0xffff0000, v81
	v_cmp_o_f32_e64 s[36:37], v82, v82
	s_movk_i32 s42, 0x1f8
	s_nop 0
	v_cndmask_b32_e64 v83, v71, v81, s[36:37]
	v_mov_b32_e32 v71, 16
	v_lshlrev_b32_sdwa v16, v71, v16 dst_sel:DWORD dst_unused:UNUSED_PAD src0_sel:DWORD src1_sel:WORD_1
	v_max_f32_e32 v82, v83, v83
	v_max_f32_e32 v81, v16, v16
	v_min_f32_e32 v84, v82, v81
	v_cmp_u_f32_e64 s[38:39], v83, v83
	v_max_f32_e32 v82, v82, v81
	v_cmp_u_f32_e64 s[36:37], v16, v16
	v_cndmask_b32_e64 v84, v84, v83, s[38:39]
	v_cndmask_b32_e64 v82, v82, v83, s[38:39]
	;; [unrolled: 1-line block ×4, first 2 shown]
	v_cmp_neq_f32_e64 s[38:39], v84, v82
	v_cmp_class_f32_e64 s[40:41], v84, s42
	s_or_b64 s[38:39], s[38:39], s[40:41]
	s_and_saveexec_b64 s[40:41], s[38:39]
	s_cbranch_execz .LBB519_304
; %bb.303:
	v_sub_f32_e32 v83, v84, v82
	s_mov_b32 s38, 0x3fb8aa3b
	v_mul_f32_e32 v84, 0x3fb8aa3b, v83
	v_fma_f32 v85, v83, s38, -v84
	v_rndne_f32_e32 v86, v84
	v_fmamk_f32 v85, v83, 0x32a5705f, v85
	v_sub_f32_e32 v84, v84, v86
	v_add_f32_e32 v84, v84, v85
	v_exp_f32_e32 v84, v84
	v_cvt_i32_f32_e32 v85, v86
	s_mov_b32 s38, 0xc2ce8ed0
	v_cmp_ngt_f32_e64 s[38:39], s38, v83
	s_mov_b32 s43, 0x7f800000
	v_ldexp_f32 v84, v84, v85
	v_cndmask_b32_e64 v84, 0, v84, s[38:39]
	s_mov_b32 s38, 0x42b17218
	v_mov_b32_e32 v85, 0x7f800000
	v_cmp_nlt_f32_e64 s[38:39], s38, v83
	s_nop 1
	v_cndmask_b32_e64 v101, v85, v84, s[38:39]
	v_add_f32_e32 v83, 1.0, v101
	v_add_f32_e32 v84, -1.0, v83
	v_sub_f32_e32 v85, v84, v83
	v_add_f32_e32 v85, 1.0, v85
	v_sub_f32_e32 v84, v101, v84
	v_add_f32_e32 v86, v84, v85
	v_frexp_mant_f32_e32 v87, v83
	s_mov_b32 s38, 0x3f2aaaab
	v_cvt_f64_f32_e32 v[84:85], v83
	v_frexp_exp_i32_f64_e32 v84, v[84:85]
	v_cmp_gt_f32_e64 s[38:39], s38, v87
	s_nop 1
	v_subbrev_co_u32_e64 v112, s[38:39], 0, v84, s[38:39]
	v_sub_u32_e32 v84, 0, v112
	v_ldexp_f32 v83, v83, v84
	v_ldexp_f32 v84, v86, v84
	v_add_f32_e32 v86, -1.0, v83
	v_add_f32_e32 v85, 1.0, v86
	v_sub_f32_e32 v85, v83, v85
	v_add_f32_e32 v87, v84, v85
	v_add_f32_e32 v85, 1.0, v83
	v_add_f32_e32 v96, -1.0, v85
	v_sub_f32_e32 v83, v83, v96
	v_add_f32_e32 v83, v84, v83
	v_add_f32_e32 v113, v85, v83
	v_rcp_f32_e32 v114, v113
	v_sub_f32_e32 v84, v85, v113
	v_add_f32_e32 v85, v86, v87
	v_add_f32_e32 v83, v83, v84
	v_mul_f32_e32 v116, v85, v114
	v_sub_f32_e32 v84, v86, v85
	v_mul_f32_e32 v86, v113, v116
	v_fma_f32 v96, v116, v113, -v86
	v_fmac_f32_e32 v96, v116, v83
	v_add_f32_e32 v115, v87, v84
	v_add_f32_e32 v84, v86, v96
	v_sub_f32_e32 v87, v85, v84
	v_pk_add_f32 v[102:103], v[84:85], v[86:87] neg_lo:[0,1] neg_hi:[0,1]
	v_mov_b32_e32 v97, v84
	v_pk_add_f32 v[84:85], v[102:103], v[96:97] neg_lo:[0,1] neg_hi:[0,1]
	s_mov_b32 s38, 0x3f317218
	v_add_f32_e32 v85, v115, v85
	v_add_f32_e32 v84, v84, v85
	;; [unrolled: 1-line block ×3, first 2 shown]
	v_mul_f32_e32 v115, v114, v85
	v_mul_f32_e32 v86, v113, v115
	v_fma_f32 v96, v115, v113, -v86
	v_fmac_f32_e32 v96, v115, v83
	v_sub_f32_e32 v83, v87, v85
	v_add_f32_e32 v83, v84, v83
	v_add_f32_e32 v84, v86, v96
	v_sub_f32_e32 v87, v85, v84
	v_pk_add_f32 v[102:103], v[84:85], v[86:87] neg_lo:[0,1] neg_hi:[0,1]
	v_mov_b32_e32 v97, v84
	v_pk_add_f32 v[84:85], v[102:103], v[96:97] neg_lo:[0,1] neg_hi:[0,1]
	v_cvt_f32_i32_e32 v86, v112
	v_add_f32_e32 v83, v83, v85
	v_add_f32_e32 v83, v84, v83
	;; [unrolled: 1-line block ×4, first 2 shown]
	v_sub_f32_e32 v85, v84, v116
	v_mul_f32_e32 v83, v114, v83
	v_sub_f32_e32 v85, v115, v85
	v_add_f32_e32 v83, v85, v83
	v_add_f32_e32 v87, v84, v83
	v_mul_f32_e32 v96, v87, v87
	v_mov_b32_e32 v85, 0x3ecc95a3
	v_fmac_f32_e32 v85, 0x3e9b6dac, v96
	v_sub_f32_e32 v84, v87, v84
	v_fmaak_f32 v85, v96, v85, 0x3f2aaada
	v_sub_f32_e32 v83, v83, v84
	v_ldexp_f32 v97, v87, 1
	v_mul_f32_e32 v87, v87, v96
	v_mov_b32_e32 v84, 0x3f317218
	v_pk_mul_f32 v[84:85], v[86:87], v[84:85]
	v_ldexp_f32 v83, v83, 1
	v_fma_f32 v87, v86, s38, -v84
	v_fmamk_f32 v96, v86, 0xb102e308, v87
	v_pk_add_f32 v[86:87], v[84:85], v[96:97]
	v_mov_b32_e32 v102, v84
	v_sub_f32_e32 v97, v87, v97
	v_sub_f32_e32 v97, v85, v97
	v_add_f32_e32 v103, v83, v97
	v_pk_add_f32 v[84:85], v[86:87], v[84:85] neg_lo:[0,1] neg_hi:[0,1]
	v_pk_add_f32 v[112:113], v[86:87], v[102:103]
	v_mov_b32_e32 v97, v86
	v_mov_b32_e32 v85, v113
	v_pk_add_f32 v[114:115], v[96:97], v[84:85] neg_lo:[0,1] neg_hi:[0,1]
	v_pk_add_f32 v[84:85], v[96:97], v[84:85]
	v_mov_b32_e32 v102, v103
	v_mov_b32_e32 v96, v85
	v_pk_add_f32 v[116:117], v[96:97], v[86:87] neg_lo:[0,1] neg_hi:[0,1]
	v_mov_b32_e32 v84, v113
	v_mov_b32_e32 v83, v116
	v_pk_add_f32 v[118:119], v[112:113], v[82:83] neg_lo:[0,1] neg_hi:[0,1]
	v_mov_b32_e32 v112, v87
	v_mov_b32_e32 v113, v116
	;; [unrolled: 1-line block ×3, first 2 shown]
	v_pk_add_f32 v[84:85], v[84:85], v[112:113] neg_lo:[0,1] neg_hi:[0,1]
	v_mov_b32_e32 v103, v86
	v_pk_add_f32 v[84:85], v[102:103], v[84:85] neg_lo:[0,1] neg_hi:[0,1]
	v_mov_b32_e32 v118, v114
	v_pk_add_f32 v[86:87], v[118:119], v[84:85]
	v_cmp_eq_f32_e64 s[38:39], s43, v101
	v_mov_b32_e32 v102, v87
	v_pk_add_f32 v[102:103], v[86:87], v[102:103]
	s_mov_b32 s43, 0x33800000
	v_pk_add_f32 v[96:97], v[96:97], v[102:103]
	v_mov_b32_e32 v85, v102
	v_mov_b32_e32 v87, v96
	v_pk_add_f32 v[112:113], v[86:87], v[114:115] neg_lo:[0,1] neg_hi:[0,1]
	v_cmp_lt_f32_e64 s[44:45], |v101|, s43
	v_sub_f32_e32 v83, v86, v112
	v_pk_add_f32 v[84:85], v[84:85], v[112:113] neg_lo:[0,1] neg_hi:[0,1]
	v_sub_f32_e32 v83, v114, v83
	v_add_f32_e32 v83, v84, v83
	v_add_f32_e32 v83, v83, v85
	;; [unrolled: 1-line block ×3, first 2 shown]
	s_or_b64 s[38:39], s[38:39], s[44:45]
	v_cndmask_b32_e64 v83, v83, v101, s[38:39]
	v_add_f32_e32 v83, v82, v83
.LBB519_304:
	s_or_b64 exec, exec, s[40:41]
	v_bfe_u32 v82, v83, 16, 1
	s_movk_i32 s44, 0x7fff
	v_add3_u32 v82, v83, v82, s44
	v_and_b32_e32 v84, 0xffff0000, v82
	v_mov_b32_e32 v82, 0x7fc00000
	v_cmp_o_f32_e64 s[38:39], v83, v83
	v_lshlrev_b32_sdwa v71, v71, v17 dst_sel:DWORD dst_unused:UNUSED_PAD src0_sel:DWORD src1_sel:WORD_0
	v_max_f32_e32 v83, v71, v71
	v_cndmask_b32_e64 v85, v82, v84, s[38:39]
	v_max_f32_e32 v84, v85, v85
	v_min_f32_e32 v86, v84, v83
	v_cmp_u_f32_e64 s[40:41], v85, v85
	v_max_f32_e32 v84, v84, v83
	v_cmp_u_f32_e64 s[38:39], v71, v71
	v_cndmask_b32_e64 v86, v86, v85, s[40:41]
	v_cndmask_b32_e64 v84, v84, v85, s[40:41]
	;; [unrolled: 1-line block ×4, first 2 shown]
	v_cmp_neq_f32_e64 s[40:41], v86, v84
	v_cmp_class_f32_e64 s[42:43], v86, s42
	s_or_b64 s[40:41], s[40:41], s[42:43]
	s_and_saveexec_b64 s[42:43], s[40:41]
	s_cbranch_execz .LBB519_306
; %bb.305:
	v_sub_f32_e32 v85, v86, v84
	s_mov_b32 s40, 0x3fb8aa3b
	v_mul_f32_e32 v86, 0x3fb8aa3b, v85
	v_fma_f32 v87, v85, s40, -v86
	v_rndne_f32_e32 v96, v86
	v_fmamk_f32 v87, v85, 0x32a5705f, v87
	v_sub_f32_e32 v86, v86, v96
	v_add_f32_e32 v86, v86, v87
	v_exp_f32_e32 v86, v86
	v_cvt_i32_f32_e32 v87, v96
	s_mov_b32 s40, 0xc2ce8ed0
	v_cmp_ngt_f32_e64 s[40:41], s40, v85
	s_mov_b32 s45, 0x7f800000
	v_ldexp_f32 v86, v86, v87
	v_cndmask_b32_e64 v86, 0, v86, s[40:41]
	s_mov_b32 s40, 0x42b17218
	v_mov_b32_e32 v87, 0x7f800000
	v_cmp_nlt_f32_e64 s[40:41], s40, v85
	s_nop 1
	v_cndmask_b32_e64 v101, v87, v86, s[40:41]
	v_add_f32_e32 v85, 1.0, v101
	v_add_f32_e32 v86, -1.0, v85
	v_sub_f32_e32 v87, v86, v85
	v_add_f32_e32 v87, 1.0, v87
	v_sub_f32_e32 v86, v101, v86
	v_add_f32_e32 v96, v86, v87
	v_frexp_mant_f32_e32 v97, v85
	s_mov_b32 s40, 0x3f2aaaab
	v_cvt_f64_f32_e32 v[86:87], v85
	v_frexp_exp_i32_f64_e32 v86, v[86:87]
	v_cmp_gt_f32_e64 s[40:41], s40, v97
	s_nop 1
	v_subbrev_co_u32_e64 v114, s[40:41], 0, v86, s[40:41]
	v_sub_u32_e32 v86, 0, v114
	v_ldexp_f32 v85, v85, v86
	v_ldexp_f32 v86, v96, v86
	v_add_f32_e32 v96, -1.0, v85
	v_add_f32_e32 v87, 1.0, v96
	v_sub_f32_e32 v87, v85, v87
	v_add_f32_e32 v97, v86, v87
	v_add_f32_e32 v87, 1.0, v85
	v_add_f32_e32 v102, -1.0, v87
	v_sub_f32_e32 v85, v85, v102
	v_add_f32_e32 v85, v86, v85
	v_add_f32_e32 v115, v87, v85
	v_rcp_f32_e32 v116, v115
	v_sub_f32_e32 v86, v87, v115
	v_add_f32_e32 v87, v96, v97
	v_add_f32_e32 v85, v85, v86
	v_mul_f32_e32 v118, v87, v116
	v_sub_f32_e32 v86, v96, v87
	v_mul_f32_e32 v96, v115, v118
	v_fma_f32 v102, v118, v115, -v96
	v_fmac_f32_e32 v102, v118, v85
	v_add_f32_e32 v117, v97, v86
	v_add_f32_e32 v86, v96, v102
	v_sub_f32_e32 v97, v87, v86
	v_pk_add_f32 v[112:113], v[86:87], v[96:97] neg_lo:[0,1] neg_hi:[0,1]
	v_mov_b32_e32 v103, v86
	v_pk_add_f32 v[86:87], v[112:113], v[102:103] neg_lo:[0,1] neg_hi:[0,1]
	s_mov_b32 s40, 0x3f317218
	v_add_f32_e32 v87, v117, v87
	v_add_f32_e32 v86, v86, v87
	;; [unrolled: 1-line block ×3, first 2 shown]
	v_mul_f32_e32 v117, v116, v87
	v_mul_f32_e32 v96, v115, v117
	v_fma_f32 v102, v117, v115, -v96
	v_fmac_f32_e32 v102, v117, v85
	v_sub_f32_e32 v85, v97, v87
	v_add_f32_e32 v85, v86, v85
	v_add_f32_e32 v86, v96, v102
	v_sub_f32_e32 v97, v87, v86
	v_pk_add_f32 v[112:113], v[86:87], v[96:97] neg_lo:[0,1] neg_hi:[0,1]
	v_mov_b32_e32 v103, v86
	v_pk_add_f32 v[86:87], v[112:113], v[102:103] neg_lo:[0,1] neg_hi:[0,1]
	v_cvt_f32_i32_e32 v96, v114
	v_add_f32_e32 v85, v85, v87
	v_add_f32_e32 v85, v86, v85
	;; [unrolled: 1-line block ×4, first 2 shown]
	v_sub_f32_e32 v87, v86, v118
	v_mul_f32_e32 v85, v116, v85
	v_sub_f32_e32 v87, v117, v87
	v_add_f32_e32 v85, v87, v85
	v_add_f32_e32 v97, v86, v85
	v_mul_f32_e32 v102, v97, v97
	v_mov_b32_e32 v87, 0x3ecc95a3
	v_fmac_f32_e32 v87, 0x3e9b6dac, v102
	v_sub_f32_e32 v86, v97, v86
	v_fmaak_f32 v87, v102, v87, 0x3f2aaada
	v_sub_f32_e32 v85, v85, v86
	v_ldexp_f32 v103, v97, 1
	v_mul_f32_e32 v97, v97, v102
	v_mov_b32_e32 v86, 0x3f317218
	v_pk_mul_f32 v[86:87], v[96:97], v[86:87]
	v_ldexp_f32 v85, v85, 1
	v_fma_f32 v97, v96, s40, -v86
	v_fmamk_f32 v102, v96, 0xb102e308, v97
	v_pk_add_f32 v[96:97], v[86:87], v[102:103]
	v_mov_b32_e32 v112, v86
	v_sub_f32_e32 v103, v97, v103
	v_sub_f32_e32 v103, v87, v103
	v_add_f32_e32 v113, v85, v103
	v_pk_add_f32 v[86:87], v[96:97], v[86:87] neg_lo:[0,1] neg_hi:[0,1]
	v_pk_add_f32 v[114:115], v[96:97], v[112:113]
	v_mov_b32_e32 v103, v96
	v_mov_b32_e32 v87, v115
	v_pk_add_f32 v[116:117], v[102:103], v[86:87] neg_lo:[0,1] neg_hi:[0,1]
	v_pk_add_f32 v[86:87], v[102:103], v[86:87]
	v_mov_b32_e32 v112, v113
	v_mov_b32_e32 v102, v87
	v_pk_add_f32 v[118:119], v[102:103], v[96:97] neg_lo:[0,1] neg_hi:[0,1]
	v_mov_b32_e32 v86, v115
	v_mov_b32_e32 v85, v118
	v_pk_add_f32 v[128:129], v[114:115], v[84:85] neg_lo:[0,1] neg_hi:[0,1]
	v_mov_b32_e32 v114, v97
	v_mov_b32_e32 v115, v118
	;; [unrolled: 1-line block ×3, first 2 shown]
	v_pk_add_f32 v[86:87], v[86:87], v[114:115] neg_lo:[0,1] neg_hi:[0,1]
	v_mov_b32_e32 v113, v96
	v_pk_add_f32 v[86:87], v[112:113], v[86:87] neg_lo:[0,1] neg_hi:[0,1]
	v_mov_b32_e32 v128, v116
	v_pk_add_f32 v[96:97], v[128:129], v[86:87]
	v_cmp_eq_f32_e64 s[40:41], s45, v101
	v_mov_b32_e32 v112, v97
	v_pk_add_f32 v[112:113], v[96:97], v[112:113]
	s_mov_b32 s45, 0x33800000
	v_pk_add_f32 v[102:103], v[102:103], v[112:113]
	v_mov_b32_e32 v87, v112
	v_mov_b32_e32 v97, v102
	v_pk_add_f32 v[114:115], v[96:97], v[116:117] neg_lo:[0,1] neg_hi:[0,1]
	v_cmp_lt_f32_e64 s[46:47], |v101|, s45
	v_sub_f32_e32 v85, v96, v114
	v_pk_add_f32 v[86:87], v[86:87], v[114:115] neg_lo:[0,1] neg_hi:[0,1]
	v_sub_f32_e32 v85, v116, v85
	v_add_f32_e32 v85, v86, v85
	v_add_f32_e32 v85, v85, v87
	;; [unrolled: 1-line block ×3, first 2 shown]
	s_or_b64 s[40:41], s[40:41], s[46:47]
	v_cndmask_b32_e64 v85, v85, v101, s[40:41]
	v_add_f32_e32 v85, v84, v85
.LBB519_306:
	s_or_b64 exec, exec, s[42:43]
	v_bfe_u32 v84, v85, 16, 1
	v_add3_u32 v84, v85, v84, s44
	v_and_b32_e32 v84, 0xffff0000, v84
	v_cmp_o_f32_e64 s[40:41], v85, v85
	s_movk_i32 s46, 0x1f8
	s_nop 0
	v_cndmask_b32_e64 v86, v82, v84, s[40:41]
	v_mov_b32_e32 v82, 16
	v_lshlrev_b32_sdwa v17, v82, v17 dst_sel:DWORD dst_unused:UNUSED_PAD src0_sel:DWORD src1_sel:WORD_1
	v_max_f32_e32 v85, v86, v86
	v_max_f32_e32 v84, v17, v17
	v_min_f32_e32 v87, v85, v84
	v_cmp_u_f32_e64 s[42:43], v86, v86
	v_max_f32_e32 v85, v85, v84
	v_cmp_u_f32_e64 s[40:41], v17, v17
	v_cndmask_b32_e64 v87, v87, v86, s[42:43]
	v_cndmask_b32_e64 v85, v85, v86, s[42:43]
	v_cndmask_b32_e64 v87, v87, v17, s[40:41]
	v_cndmask_b32_e64 v85, v85, v17, s[40:41]
	v_cmp_neq_f32_e64 s[42:43], v87, v85
	v_cmp_class_f32_e64 s[44:45], v87, s46
	s_or_b64 s[42:43], s[42:43], s[44:45]
	s_and_saveexec_b64 s[44:45], s[42:43]
	s_cbranch_execz .LBB519_308
; %bb.307:
	v_sub_f32_e32 v86, v87, v85
	s_mov_b32 s42, 0x3fb8aa3b
	v_mul_f32_e32 v87, 0x3fb8aa3b, v86
	v_fma_f32 v96, v86, s42, -v87
	v_rndne_f32_e32 v97, v87
	v_fmamk_f32 v96, v86, 0x32a5705f, v96
	v_sub_f32_e32 v87, v87, v97
	v_add_f32_e32 v87, v87, v96
	v_exp_f32_e32 v87, v87
	v_cvt_i32_f32_e32 v96, v97
	s_mov_b32 s42, 0xc2ce8ed0
	v_cmp_ngt_f32_e64 s[42:43], s42, v86
	s_mov_b32 s47, 0x7f800000
	v_ldexp_f32 v87, v87, v96
	v_cndmask_b32_e64 v87, 0, v87, s[42:43]
	s_mov_b32 s42, 0x42b17218
	v_mov_b32_e32 v96, 0x7f800000
	v_cmp_nlt_f32_e64 s[42:43], s42, v86
	s_nop 1
	v_cndmask_b32_e64 v130, v96, v87, s[42:43]
	v_add_f32_e32 v96, 1.0, v130
	v_add_f32_e32 v86, -1.0, v96
	v_sub_f32_e32 v87, v86, v96
	v_add_f32_e32 v87, 1.0, v87
	v_sub_f32_e32 v86, v130, v86
	v_add_f32_e32 v97, v86, v87
	v_frexp_mant_f32_e32 v101, v96
	s_mov_b32 s42, 0x3f2aaaab
	v_cvt_f64_f32_e32 v[86:87], v96
	v_frexp_exp_i32_f64_e32 v86, v[86:87]
	v_cmp_gt_f32_e64 s[42:43], s42, v101
	s_nop 1
	v_subbrev_co_u32_e64 v101, s[42:43], 0, v86, s[42:43]
	v_sub_u32_e32 v86, 0, v101
	v_ldexp_f32 v87, v96, v86
	v_add_f32_e32 v96, -1.0, v87
	v_add_f32_e32 v102, 1.0, v87
	v_ldexp_f32 v86, v97, v86
	v_add_f32_e32 v97, 1.0, v96
	v_add_f32_e32 v103, -1.0, v102
	v_sub_f32_e32 v97, v87, v97
	v_sub_f32_e32 v87, v87, v103
	v_add_f32_e32 v97, v86, v97
	v_add_f32_e32 v86, v86, v87
	;; [unrolled: 1-line block ×3, first 2 shown]
	v_rcp_f32_e32 v116, v114
	v_sub_f32_e32 v87, v102, v114
	v_add_f32_e32 v115, v86, v87
	v_add_f32_e32 v87, v96, v97
	v_mul_f32_e32 v118, v87, v116
	v_sub_f32_e32 v86, v96, v87
	v_mul_f32_e32 v96, v114, v118
	v_fma_f32 v102, v118, v114, -v96
	v_fmac_f32_e32 v102, v118, v115
	v_add_f32_e32 v117, v97, v86
	v_add_f32_e32 v86, v96, v102
	v_sub_f32_e32 v97, v87, v86
	v_pk_add_f32 v[112:113], v[86:87], v[96:97] neg_lo:[0,1] neg_hi:[0,1]
	v_mov_b32_e32 v103, v86
	v_pk_add_f32 v[86:87], v[112:113], v[102:103] neg_lo:[0,1] neg_hi:[0,1]
	s_mov_b32 s42, 0x3f317218
	v_add_f32_e32 v87, v117, v87
	v_add_f32_e32 v86, v86, v87
	;; [unrolled: 1-line block ×3, first 2 shown]
	v_mul_f32_e32 v117, v116, v87
	v_mul_f32_e32 v96, v114, v117
	v_fma_f32 v102, v117, v114, -v96
	v_fmac_f32_e32 v102, v117, v115
	v_sub_f32_e32 v97, v97, v87
	v_add_f32_e32 v114, v86, v97
	v_add_f32_e32 v86, v96, v102
	v_sub_f32_e32 v97, v87, v86
	v_pk_add_f32 v[112:113], v[86:87], v[96:97] neg_lo:[0,1] neg_hi:[0,1]
	v_mov_b32_e32 v103, v86
	v_pk_add_f32 v[86:87], v[112:113], v[102:103] neg_lo:[0,1] neg_hi:[0,1]
	v_cvt_f32_i32_e32 v96, v101
	v_add_f32_e32 v87, v114, v87
	v_add_f32_e32 v86, v86, v87
	;; [unrolled: 1-line block ×4, first 2 shown]
	v_sub_f32_e32 v87, v97, v118
	v_mul_f32_e32 v86, v116, v86
	v_sub_f32_e32 v87, v117, v87
	v_add_f32_e32 v86, v87, v86
	v_add_f32_e32 v102, v97, v86
	v_mul_f32_e32 v112, v102, v102
	v_mov_b32_e32 v87, 0x3ecc95a3
	v_sub_f32_e32 v97, v102, v97
	v_fmac_f32_e32 v87, 0x3e9b6dac, v112
	v_sub_f32_e32 v86, v86, v97
	v_fmaak_f32 v87, v112, v87, 0x3f2aaada
	v_ldexp_f32 v101, v86, 1
	v_mul_f32_e32 v97, v102, v112
	v_mov_b32_e32 v86, 0x3f317218
	v_pk_mul_f32 v[86:87], v[96:97], v[86:87]
	v_ldexp_f32 v103, v102, 1
	v_fma_f32 v97, v96, s42, -v86
	v_fmamk_f32 v102, v96, 0xb102e308, v97
	v_pk_add_f32 v[96:97], v[86:87], v[102:103]
	v_mov_b32_e32 v112, v86
	v_sub_f32_e32 v103, v97, v103
	v_sub_f32_e32 v103, v87, v103
	v_add_f32_e32 v113, v101, v103
	v_pk_add_f32 v[86:87], v[96:97], v[86:87] neg_lo:[0,1] neg_hi:[0,1]
	v_pk_add_f32 v[114:115], v[96:97], v[112:113]
	v_mov_b32_e32 v103, v96
	v_mov_b32_e32 v87, v115
	v_pk_add_f32 v[116:117], v[102:103], v[86:87] neg_lo:[0,1] neg_hi:[0,1]
	v_pk_add_f32 v[86:87], v[102:103], v[86:87]
	v_mov_b32_e32 v112, v113
	v_mov_b32_e32 v102, v87
	v_pk_add_f32 v[118:119], v[102:103], v[96:97] neg_lo:[0,1] neg_hi:[0,1]
	v_mov_b32_e32 v86, v115
	v_mov_b32_e32 v101, v118
	v_pk_add_f32 v[128:129], v[114:115], v[100:101] neg_lo:[0,1] neg_hi:[0,1]
	v_mov_b32_e32 v114, v97
	v_mov_b32_e32 v115, v118
	;; [unrolled: 1-line block ×3, first 2 shown]
	v_pk_add_f32 v[86:87], v[86:87], v[114:115] neg_lo:[0,1] neg_hi:[0,1]
	v_mov_b32_e32 v113, v96
	v_pk_add_f32 v[86:87], v[112:113], v[86:87] neg_lo:[0,1] neg_hi:[0,1]
	v_mov_b32_e32 v128, v116
	v_pk_add_f32 v[96:97], v[128:129], v[86:87]
	v_cmp_eq_f32_e64 s[42:43], s47, v130
	v_mov_b32_e32 v112, v97
	v_pk_add_f32 v[112:113], v[96:97], v[112:113]
	s_mov_b32 s47, 0x33800000
	v_pk_add_f32 v[102:103], v[102:103], v[112:113]
	v_mov_b32_e32 v87, v112
	v_mov_b32_e32 v97, v102
	v_pk_add_f32 v[114:115], v[96:97], v[116:117] neg_lo:[0,1] neg_hi:[0,1]
	v_cmp_lt_f32_e64 s[48:49], |v130|, s47
	v_sub_f32_e32 v96, v96, v114
	v_pk_add_f32 v[86:87], v[86:87], v[114:115] neg_lo:[0,1] neg_hi:[0,1]
	v_sub_f32_e32 v96, v116, v96
	v_add_f32_e32 v86, v86, v96
	v_add_f32_e32 v86, v86, v87
	;; [unrolled: 1-line block ×3, first 2 shown]
	s_or_b64 s[42:43], s[42:43], s[48:49]
	v_cndmask_b32_e64 v86, v86, v130, s[42:43]
	v_add_f32_e32 v86, v85, v86
.LBB519_308:
	s_or_b64 exec, exec, s[44:45]
	v_bfe_u32 v85, v86, 16, 1
	s_movk_i32 s48, 0x7fff
	v_add3_u32 v85, v86, v85, s48
	v_and_b32_e32 v87, 0xffff0000, v85
	v_mov_b32_e32 v85, 0x7fc00000
	v_cmp_o_f32_e64 s[42:43], v86, v86
	v_lshlrev_b32_sdwa v82, v82, v18 dst_sel:DWORD dst_unused:UNUSED_PAD src0_sel:DWORD src1_sel:WORD_0
	v_max_f32_e32 v86, v82, v82
	v_cndmask_b32_e64 v96, v85, v87, s[42:43]
	v_max_f32_e32 v87, v96, v96
	v_min_f32_e32 v97, v87, v86
	v_cmp_u_f32_e64 s[44:45], v96, v96
	v_max_f32_e32 v87, v87, v86
	v_cmp_u_f32_e64 s[42:43], v82, v82
	v_cndmask_b32_e64 v97, v97, v96, s[44:45]
	v_cndmask_b32_e64 v87, v87, v96, s[44:45]
	;; [unrolled: 1-line block ×4, first 2 shown]
	v_cmp_neq_f32_e64 s[44:45], v97, v87
	v_cmp_class_f32_e64 s[46:47], v97, s46
	s_or_b64 s[44:45], s[44:45], s[46:47]
	s_and_saveexec_b64 s[46:47], s[44:45]
	s_cbranch_execz .LBB519_310
; %bb.309:
	v_sub_f32_e32 v96, v97, v87
	s_mov_b32 s44, 0x3fb8aa3b
	v_mul_f32_e32 v97, 0x3fb8aa3b, v96
	v_fma_f32 v101, v96, s44, -v97
	v_rndne_f32_e32 v102, v97
	v_fmamk_f32 v101, v96, 0x32a5705f, v101
	v_sub_f32_e32 v97, v97, v102
	v_add_f32_e32 v97, v97, v101
	v_exp_f32_e32 v97, v97
	v_cvt_i32_f32_e32 v101, v102
	s_mov_b32 s44, 0xc2ce8ed0
	v_cmp_ngt_f32_e64 s[44:45], s44, v96
	s_mov_b32 s49, 0x7f800000
	v_ldexp_f32 v97, v97, v101
	v_cndmask_b32_e64 v97, 0, v97, s[44:45]
	s_mov_b32 s44, 0x42b17218
	v_mov_b32_e32 v101, 0x7f800000
	v_cmp_nlt_f32_e64 s[44:45], s44, v96
	s_nop 1
	v_cndmask_b32_e64 v132, v101, v97, s[44:45]
	v_add_f32_e32 v101, 1.0, v132
	v_add_f32_e32 v96, -1.0, v101
	v_sub_f32_e32 v97, v96, v101
	v_add_f32_e32 v97, 1.0, v97
	v_sub_f32_e32 v96, v132, v96
	v_add_f32_e32 v102, v96, v97
	v_frexp_mant_f32_e32 v103, v101
	s_mov_b32 s44, 0x3f2aaaab
	v_cvt_f64_f32_e32 v[96:97], v101
	v_frexp_exp_i32_f64_e32 v96, v[96:97]
	v_cmp_gt_f32_e64 s[44:45], s44, v103
	s_nop 1
	v_subbrev_co_u32_e64 v116, s[44:45], 0, v96, s[44:45]
	v_sub_u32_e32 v96, 0, v116
	v_ldexp_f32 v97, v101, v96
	v_add_f32_e32 v101, -1.0, v97
	v_add_f32_e32 v103, 1.0, v97
	v_ldexp_f32 v96, v102, v96
	v_add_f32_e32 v102, 1.0, v101
	v_add_f32_e32 v112, -1.0, v103
	v_sub_f32_e32 v102, v97, v102
	v_sub_f32_e32 v97, v97, v112
	v_add_f32_e32 v102, v96, v102
	v_add_f32_e32 v96, v96, v97
	;; [unrolled: 1-line block ×3, first 2 shown]
	v_rcp_f32_e32 v119, v117
	v_sub_f32_e32 v97, v103, v117
	v_add_f32_e32 v118, v96, v97
	v_add_f32_e32 v97, v101, v102
	v_sub_f32_e32 v96, v101, v97
	v_mul_f32_e32 v128, v97, v119
	v_add_f32_e32 v101, v102, v96
	v_mul_f32_e32 v102, v117, v128
	v_fma_f32 v112, v128, v117, -v102
	v_fmac_f32_e32 v112, v128, v118
	v_add_f32_e32 v96, v102, v112
	v_sub_f32_e32 v103, v97, v96
	v_pk_add_f32 v[114:115], v[96:97], v[102:103] neg_lo:[0,1] neg_hi:[0,1]
	v_mov_b32_e32 v113, v96
	v_pk_add_f32 v[96:97], v[114:115], v[112:113] neg_lo:[0,1] neg_hi:[0,1]
	s_mov_b32 s44, 0x3f317218
	v_add_f32_e32 v97, v101, v97
	v_add_f32_e32 v96, v96, v97
	;; [unrolled: 1-line block ×3, first 2 shown]
	v_mul_f32_e32 v101, v119, v97
	v_mul_f32_e32 v102, v117, v101
	v_fma_f32 v112, v101, v117, -v102
	v_fmac_f32_e32 v112, v101, v118
	v_sub_f32_e32 v103, v103, v97
	v_add_f32_e32 v117, v96, v103
	v_add_f32_e32 v96, v102, v112
	v_sub_f32_e32 v103, v97, v96
	v_pk_add_f32 v[114:115], v[96:97], v[102:103] neg_lo:[0,1] neg_hi:[0,1]
	v_mov_b32_e32 v113, v96
	v_pk_add_f32 v[96:97], v[114:115], v[112:113] neg_lo:[0,1] neg_hi:[0,1]
	v_cvt_f32_i32_e32 v102, v116
	v_add_f32_e32 v97, v117, v97
	v_add_f32_e32 v96, v96, v97
	;; [unrolled: 1-line block ×4, first 2 shown]
	v_sub_f32_e32 v97, v103, v128
	v_mul_f32_e32 v96, v119, v96
	v_sub_f32_e32 v97, v101, v97
	v_add_f32_e32 v96, v97, v96
	v_add_f32_e32 v101, v103, v96
	v_mul_f32_e32 v112, v101, v101
	v_mov_b32_e32 v97, 0x3ecc95a3
	v_sub_f32_e32 v103, v101, v103
	v_fmac_f32_e32 v97, 0x3e9b6dac, v112
	v_sub_f32_e32 v96, v96, v103
	v_fmaak_f32 v97, v112, v97, 0x3f2aaada
	v_ldexp_f32 v114, v96, 1
	v_mul_f32_e32 v103, v101, v112
	v_mov_b32_e32 v96, 0x3f317218
	v_pk_mul_f32 v[96:97], v[102:103], v[96:97]
	v_ldexp_f32 v113, v101, 1
	v_fma_f32 v101, v102, s44, -v96
	v_fmamk_f32 v112, v102, 0xb102e308, v101
	v_pk_add_f32 v[102:103], v[96:97], v[112:113]
	v_cmp_eq_f32_e64 s[44:45], s49, v132
	v_sub_f32_e32 v101, v103, v113
	v_sub_f32_e32 v101, v97, v101
	v_add_f32_e32 v115, v114, v101
	v_mov_b32_e32 v114, v96
	v_pk_add_f32 v[96:97], v[102:103], v[96:97] neg_lo:[0,1] neg_hi:[0,1]
	v_pk_add_f32 v[116:117], v[102:103], v[114:115]
	v_mov_b32_e32 v113, v102
	v_mov_b32_e32 v97, v117
	v_pk_add_f32 v[118:119], v[112:113], v[96:97] neg_lo:[0,1] neg_hi:[0,1]
	v_pk_add_f32 v[96:97], v[112:113], v[96:97]
	v_mov_b32_e32 v114, v115
	v_mov_b32_e32 v112, v97
	v_pk_add_f32 v[128:129], v[112:113], v[102:103] neg_lo:[0,1] neg_hi:[0,1]
	v_mov_b32_e32 v96, v117
	v_mov_b32_e32 v101, v128
	v_pk_add_f32 v[130:131], v[116:117], v[100:101] neg_lo:[0,1] neg_hi:[0,1]
	v_mov_b32_e32 v116, v103
	v_mov_b32_e32 v117, v128
	;; [unrolled: 1-line block ×3, first 2 shown]
	v_pk_add_f32 v[96:97], v[96:97], v[116:117] neg_lo:[0,1] neg_hi:[0,1]
	v_mov_b32_e32 v115, v102
	v_pk_add_f32 v[96:97], v[114:115], v[96:97] neg_lo:[0,1] neg_hi:[0,1]
	v_mov_b32_e32 v130, v118
	v_pk_add_f32 v[102:103], v[130:131], v[96:97]
	s_mov_b32 s49, 0x33800000
	v_mov_b32_e32 v114, v103
	v_pk_add_f32 v[114:115], v[102:103], v[114:115]
	v_cmp_lt_f32_e64 s[52:53], |v132|, s49
	v_pk_add_f32 v[112:113], v[112:113], v[114:115]
	v_mov_b32_e32 v97, v114
	v_mov_b32_e32 v103, v112
	v_pk_add_f32 v[116:117], v[102:103], v[118:119] neg_lo:[0,1] neg_hi:[0,1]
	s_or_b64 s[44:45], s[44:45], s[52:53]
	v_sub_f32_e32 v101, v102, v116
	v_pk_add_f32 v[96:97], v[96:97], v[116:117] neg_lo:[0,1] neg_hi:[0,1]
	v_sub_f32_e32 v101, v118, v101
	v_add_f32_e32 v96, v96, v101
	v_add_f32_e32 v96, v96, v97
	;; [unrolled: 1-line block ×3, first 2 shown]
	v_cndmask_b32_e64 v96, v96, v132, s[44:45]
	v_add_f32_e32 v96, v87, v96
.LBB519_310:
	s_or_b64 exec, exec, s[46:47]
	v_bfe_u32 v87, v96, 16, 1
	v_add3_u32 v87, v96, v87, s48
	v_and_b32_e32 v87, 0xffff0000, v87
	v_cmp_o_f32_e64 s[44:45], v96, v96
	s_movk_i32 s52, 0x1f8
	s_nop 0
	v_cndmask_b32_e64 v101, v85, v87, s[44:45]
	v_mov_b32_e32 v85, 16
	v_lshlrev_b32_sdwa v18, v85, v18 dst_sel:DWORD dst_unused:UNUSED_PAD src0_sel:DWORD src1_sel:WORD_1
	v_max_f32_e32 v96, v101, v101
	v_max_f32_e32 v87, v18, v18
	v_min_f32_e32 v97, v96, v87
	v_cmp_u_f32_e64 s[46:47], v101, v101
	v_max_f32_e32 v96, v96, v87
	v_cmp_u_f32_e64 s[44:45], v18, v18
	v_cndmask_b32_e64 v97, v97, v101, s[46:47]
	v_cndmask_b32_e64 v96, v96, v101, s[46:47]
	;; [unrolled: 1-line block ×4, first 2 shown]
	v_cmp_neq_f32_e64 s[46:47], v97, v96
	v_cmp_class_f32_e64 s[48:49], v97, s52
	s_or_b64 s[46:47], s[46:47], s[48:49]
	s_and_saveexec_b64 s[48:49], s[46:47]
	s_cbranch_execz .LBB519_312
; %bb.311:
	v_sub_f32_e32 v97, v97, v96
	s_mov_b32 s46, 0x3fb8aa3b
	v_mul_f32_e32 v101, 0x3fb8aa3b, v97
	v_fma_f32 v102, v97, s46, -v101
	v_rndne_f32_e32 v103, v101
	v_fmamk_f32 v102, v97, 0x32a5705f, v102
	v_sub_f32_e32 v101, v101, v103
	v_add_f32_e32 v101, v101, v102
	v_exp_f32_e32 v101, v101
	v_cvt_i32_f32_e32 v102, v103
	s_mov_b32 s46, 0xc2ce8ed0
	v_cmp_ngt_f32_e64 s[46:47], s46, v97
	s_mov_b32 s53, 0x7f800000
	v_ldexp_f32 v101, v101, v102
	v_cndmask_b32_e64 v101, 0, v101, s[46:47]
	s_mov_b32 s46, 0x42b17218
	v_mov_b32_e32 v102, 0x7f800000
	v_cmp_nlt_f32_e64 s[46:47], s46, v97
	s_nop 1
	v_cndmask_b32_e64 v101, v102, v101, s[46:47]
	v_add_f32_e32 v97, 1.0, v101
	v_add_f32_e32 v102, -1.0, v97
	v_sub_f32_e32 v103, v102, v97
	v_add_f32_e32 v103, 1.0, v103
	v_sub_f32_e32 v102, v101, v102
	v_add_f32_e32 v112, v102, v103
	v_frexp_mant_f32_e32 v113, v97
	s_mov_b32 s46, 0x3f2aaaab
	v_cvt_f64_f32_e32 v[102:103], v97
	v_frexp_exp_i32_f64_e32 v102, v[102:103]
	v_cmp_gt_f32_e64 s[46:47], s46, v113
	s_nop 1
	v_subbrev_co_u32_e64 v118, s[46:47], 0, v102, s[46:47]
	v_sub_u32_e32 v102, 0, v118
	v_ldexp_f32 v97, v97, v102
	v_ldexp_f32 v102, v112, v102
	v_add_f32_e32 v112, -1.0, v97
	v_add_f32_e32 v103, 1.0, v112
	v_sub_f32_e32 v103, v97, v103
	v_add_f32_e32 v113, v102, v103
	v_add_f32_e32 v103, 1.0, v97
	v_add_f32_e32 v114, -1.0, v103
	v_sub_f32_e32 v97, v97, v114
	v_add_f32_e32 v97, v102, v97
	v_add_f32_e32 v119, v103, v97
	v_rcp_f32_e32 v128, v119
	v_sub_f32_e32 v102, v103, v119
	v_add_f32_e32 v103, v112, v113
	v_add_f32_e32 v97, v97, v102
	v_mul_f32_e32 v130, v103, v128
	v_sub_f32_e32 v102, v112, v103
	v_mul_f32_e32 v112, v119, v130
	v_fma_f32 v114, v130, v119, -v112
	v_fmac_f32_e32 v114, v130, v97
	v_add_f32_e32 v129, v113, v102
	v_add_f32_e32 v102, v112, v114
	v_sub_f32_e32 v113, v103, v102
	v_pk_add_f32 v[116:117], v[102:103], v[112:113] neg_lo:[0,1] neg_hi:[0,1]
	v_mov_b32_e32 v115, v102
	v_pk_add_f32 v[102:103], v[116:117], v[114:115] neg_lo:[0,1] neg_hi:[0,1]
	s_mov_b32 s46, 0x3f317218
	v_add_f32_e32 v103, v129, v103
	v_add_f32_e32 v102, v102, v103
	;; [unrolled: 1-line block ×3, first 2 shown]
	v_mul_f32_e32 v129, v128, v103
	v_mul_f32_e32 v112, v119, v129
	v_fma_f32 v114, v129, v119, -v112
	v_fmac_f32_e32 v114, v129, v97
	v_sub_f32_e32 v97, v113, v103
	v_add_f32_e32 v97, v102, v97
	v_add_f32_e32 v102, v112, v114
	v_sub_f32_e32 v113, v103, v102
	v_pk_add_f32 v[116:117], v[102:103], v[112:113] neg_lo:[0,1] neg_hi:[0,1]
	v_mov_b32_e32 v115, v102
	v_pk_add_f32 v[102:103], v[116:117], v[114:115] neg_lo:[0,1] neg_hi:[0,1]
	v_cvt_f32_i32_e32 v112, v118
	v_add_f32_e32 v97, v97, v103
	v_add_f32_e32 v97, v102, v97
	;; [unrolled: 1-line block ×4, first 2 shown]
	v_sub_f32_e32 v103, v102, v130
	v_mul_f32_e32 v97, v128, v97
	v_sub_f32_e32 v103, v129, v103
	v_add_f32_e32 v97, v103, v97
	v_add_f32_e32 v113, v102, v97
	v_mul_f32_e32 v114, v113, v113
	v_mov_b32_e32 v103, 0x3ecc95a3
	v_fmac_f32_e32 v103, 0x3e9b6dac, v114
	v_sub_f32_e32 v102, v113, v102
	v_fmaak_f32 v103, v114, v103, 0x3f2aaada
	v_sub_f32_e32 v97, v97, v102
	v_ldexp_f32 v115, v113, 1
	v_mul_f32_e32 v113, v113, v114
	v_mov_b32_e32 v102, 0x3f317218
	v_pk_mul_f32 v[102:103], v[112:113], v[102:103]
	v_ldexp_f32 v97, v97, 1
	v_fma_f32 v113, v112, s46, -v102
	v_fmamk_f32 v114, v112, 0xb102e308, v113
	v_pk_add_f32 v[112:113], v[102:103], v[114:115]
	v_mov_b32_e32 v116, v102
	v_sub_f32_e32 v115, v113, v115
	v_sub_f32_e32 v115, v103, v115
	v_add_f32_e32 v117, v97, v115
	v_pk_add_f32 v[102:103], v[112:113], v[102:103] neg_lo:[0,1] neg_hi:[0,1]
	v_pk_add_f32 v[118:119], v[112:113], v[116:117]
	v_mov_b32_e32 v115, v112
	v_mov_b32_e32 v103, v119
	v_pk_add_f32 v[128:129], v[114:115], v[102:103] neg_lo:[0,1] neg_hi:[0,1]
	v_pk_add_f32 v[102:103], v[114:115], v[102:103]
	v_mov_b32_e32 v116, v117
	v_mov_b32_e32 v114, v103
	v_pk_add_f32 v[130:131], v[114:115], v[112:113] neg_lo:[0,1] neg_hi:[0,1]
	v_mov_b32_e32 v102, v119
	v_mov_b32_e32 v97, v130
	v_pk_add_f32 v[132:133], v[118:119], v[96:97] neg_lo:[0,1] neg_hi:[0,1]
	v_mov_b32_e32 v118, v113
	v_mov_b32_e32 v119, v130
	;; [unrolled: 1-line block ×3, first 2 shown]
	v_pk_add_f32 v[102:103], v[102:103], v[118:119] neg_lo:[0,1] neg_hi:[0,1]
	v_mov_b32_e32 v117, v112
	v_pk_add_f32 v[102:103], v[116:117], v[102:103] neg_lo:[0,1] neg_hi:[0,1]
	v_mov_b32_e32 v132, v128
	v_pk_add_f32 v[112:113], v[132:133], v[102:103]
	v_cmp_eq_f32_e64 s[46:47], s53, v101
	v_mov_b32_e32 v116, v113
	v_pk_add_f32 v[116:117], v[112:113], v[116:117]
	s_mov_b32 s53, 0x33800000
	v_pk_add_f32 v[114:115], v[114:115], v[116:117]
	v_mov_b32_e32 v103, v116
	v_mov_b32_e32 v113, v114
	v_pk_add_f32 v[118:119], v[112:113], v[128:129] neg_lo:[0,1] neg_hi:[0,1]
	v_cmp_lt_f32_e64 s[54:55], |v101|, s53
	v_sub_f32_e32 v97, v112, v118
	v_pk_add_f32 v[102:103], v[102:103], v[118:119] neg_lo:[0,1] neg_hi:[0,1]
	v_sub_f32_e32 v97, v128, v97
	v_add_f32_e32 v97, v102, v97
	v_add_f32_e32 v97, v97, v103
	;; [unrolled: 1-line block ×3, first 2 shown]
	s_or_b64 s[46:47], s[46:47], s[54:55]
	v_cndmask_b32_e64 v97, v97, v101, s[46:47]
	v_add_f32_e32 v101, v96, v97
.LBB519_312:
	s_or_b64 exec, exec, s[48:49]
	v_bfe_u32 v96, v101, 16, 1
	s_movk_i32 s54, 0x7fff
	v_add3_u32 v96, v101, v96, s54
	v_and_b32_e32 v96, 0xffff0000, v96
	v_mov_b32_e32 v97, 0x7fc00000
	v_cmp_o_f32_e64 s[46:47], v101, v101
	v_lshlrev_b32_sdwa v85, v85, v19 dst_sel:DWORD dst_unused:UNUSED_PAD src0_sel:DWORD src1_sel:WORD_0
	s_nop 0
	v_cndmask_b32_e64 v102, v97, v96, s[46:47]
	v_max_f32_e32 v101, v102, v102
	v_max_f32_e32 v96, v85, v85
	v_min_f32_e32 v103, v101, v96
	v_cmp_u_f32_e64 s[48:49], v102, v102
	v_max_f32_e32 v101, v101, v96
	v_cmp_u_f32_e64 s[46:47], v85, v85
	v_cndmask_b32_e64 v103, v103, v102, s[48:49]
	v_cndmask_b32_e64 v101, v101, v102, s[48:49]
	;; [unrolled: 1-line block ×4, first 2 shown]
	v_cmp_neq_f32_e64 s[48:49], v103, v101
	v_cmp_class_f32_e64 s[52:53], v103, s52
	s_or_b64 s[48:49], s[48:49], s[52:53]
	s_and_saveexec_b64 s[52:53], s[48:49]
	s_cbranch_execz .LBB519_314
; %bb.313:
	v_sub_f32_e32 v102, v103, v101
	s_mov_b32 s48, 0x3fb8aa3b
	v_mul_f32_e32 v103, 0x3fb8aa3b, v102
	v_fma_f32 v112, v102, s48, -v103
	v_rndne_f32_e32 v113, v103
	v_fmamk_f32 v112, v102, 0x32a5705f, v112
	v_sub_f32_e32 v103, v103, v113
	v_add_f32_e32 v103, v103, v112
	v_exp_f32_e32 v103, v103
	v_cvt_i32_f32_e32 v112, v113
	s_mov_b32 s48, 0xc2ce8ed0
	v_cmp_ngt_f32_e64 s[48:49], s48, v102
	s_mov_b32 s55, 0x7f800000
	v_ldexp_f32 v103, v103, v112
	v_cndmask_b32_e64 v103, 0, v103, s[48:49]
	s_mov_b32 s48, 0x42b17218
	v_mov_b32_e32 v112, 0x7f800000
	v_cmp_nlt_f32_e64 s[48:49], s48, v102
	s_nop 1
	v_cndmask_b32_e64 v134, v112, v103, s[48:49]
	v_add_f32_e32 v112, 1.0, v134
	v_add_f32_e32 v102, -1.0, v112
	v_sub_f32_e32 v103, v102, v112
	v_add_f32_e32 v103, 1.0, v103
	v_sub_f32_e32 v102, v134, v102
	v_add_f32_e32 v113, v102, v103
	v_frexp_mant_f32_e32 v114, v112
	s_mov_b32 s48, 0x3f2aaaab
	v_cvt_f64_f32_e32 v[102:103], v112
	v_frexp_exp_i32_f64_e32 v102, v[102:103]
	v_cmp_gt_f32_e64 s[48:49], s48, v114
	s_nop 1
	v_subbrev_co_u32_e64 v118, s[48:49], 0, v102, s[48:49]
	v_sub_u32_e32 v102, 0, v118
	v_ldexp_f32 v103, v112, v102
	v_add_f32_e32 v112, -1.0, v103
	v_add_f32_e32 v114, 1.0, v103
	v_ldexp_f32 v102, v113, v102
	v_add_f32_e32 v113, 1.0, v112
	v_add_f32_e32 v115, -1.0, v114
	v_sub_f32_e32 v113, v103, v113
	v_sub_f32_e32 v103, v103, v115
	v_add_f32_e32 v113, v102, v113
	v_add_f32_e32 v102, v102, v103
	;; [unrolled: 1-line block ×3, first 2 shown]
	v_rcp_f32_e32 v129, v119
	v_sub_f32_e32 v103, v114, v119
	v_add_f32_e32 v128, v102, v103
	v_add_f32_e32 v103, v112, v113
	v_mul_f32_e32 v131, v103, v129
	v_sub_f32_e32 v102, v112, v103
	v_mul_f32_e32 v112, v119, v131
	v_fma_f32 v114, v131, v119, -v112
	v_fmac_f32_e32 v114, v131, v128
	v_add_f32_e32 v130, v113, v102
	v_add_f32_e32 v102, v112, v114
	v_sub_f32_e32 v113, v103, v102
	v_pk_add_f32 v[116:117], v[102:103], v[112:113] neg_lo:[0,1] neg_hi:[0,1]
	v_mov_b32_e32 v115, v102
	v_pk_add_f32 v[102:103], v[116:117], v[114:115] neg_lo:[0,1] neg_hi:[0,1]
	s_mov_b32 s48, 0x3f317218
	v_add_f32_e32 v103, v130, v103
	v_add_f32_e32 v102, v102, v103
	;; [unrolled: 1-line block ×3, first 2 shown]
	v_mul_f32_e32 v130, v129, v103
	v_mul_f32_e32 v112, v119, v130
	v_fma_f32 v114, v130, v119, -v112
	v_fmac_f32_e32 v114, v130, v128
	v_sub_f32_e32 v113, v113, v103
	v_add_f32_e32 v119, v102, v113
	v_add_f32_e32 v102, v112, v114
	v_sub_f32_e32 v113, v103, v102
	v_pk_add_f32 v[116:117], v[102:103], v[112:113] neg_lo:[0,1] neg_hi:[0,1]
	v_mov_b32_e32 v115, v102
	v_pk_add_f32 v[102:103], v[116:117], v[114:115] neg_lo:[0,1] neg_hi:[0,1]
	v_cvt_f32_i32_e32 v112, v118
	v_add_f32_e32 v103, v119, v103
	v_add_f32_e32 v102, v102, v103
	v_add_f32_e32 v102, v113, v102
	v_add_f32_e32 v113, v131, v130
	v_sub_f32_e32 v103, v113, v131
	v_mul_f32_e32 v102, v129, v102
	v_sub_f32_e32 v103, v130, v103
	v_add_f32_e32 v102, v103, v102
	v_add_f32_e32 v114, v113, v102
	v_mul_f32_e32 v116, v114, v114
	v_mov_b32_e32 v103, 0x3ecc95a3
	v_sub_f32_e32 v113, v114, v113
	v_fmac_f32_e32 v103, 0x3e9b6dac, v116
	v_sub_f32_e32 v102, v102, v113
	v_fmaak_f32 v103, v116, v103, 0x3f2aaada
	v_ldexp_f32 v117, v102, 1
	v_mul_f32_e32 v113, v114, v116
	v_mov_b32_e32 v102, 0x3f317218
	v_pk_mul_f32 v[102:103], v[112:113], v[102:103]
	v_ldexp_f32 v115, v114, 1
	v_fma_f32 v113, v112, s48, -v102
	v_fmamk_f32 v114, v112, 0xb102e308, v113
	v_pk_add_f32 v[112:113], v[102:103], v[114:115]
	v_mov_b32_e32 v116, v102
	v_sub_f32_e32 v115, v113, v115
	v_sub_f32_e32 v115, v103, v115
	v_add_f32_e32 v117, v117, v115
	v_pk_add_f32 v[102:103], v[112:113], v[102:103] neg_lo:[0,1] neg_hi:[0,1]
	v_pk_add_f32 v[118:119], v[112:113], v[116:117]
	v_mov_b32_e32 v115, v112
	v_mov_b32_e32 v103, v119
	v_pk_add_f32 v[128:129], v[114:115], v[102:103] neg_lo:[0,1] neg_hi:[0,1]
	v_pk_add_f32 v[102:103], v[114:115], v[102:103]
	v_mov_b32_e32 v116, v117
	v_mov_b32_e32 v114, v103
	v_pk_add_f32 v[130:131], v[114:115], v[112:113] neg_lo:[0,1] neg_hi:[0,1]
	v_mov_b32_e32 v102, v119
	v_mov_b32_e32 v115, v130
	v_pk_add_f32 v[132:133], v[118:119], v[114:115] neg_lo:[0,1] neg_hi:[0,1]
	v_mov_b32_e32 v118, v113
	v_mov_b32_e32 v119, v130
	;; [unrolled: 1-line block ×3, first 2 shown]
	v_pk_add_f32 v[102:103], v[102:103], v[118:119] neg_lo:[0,1] neg_hi:[0,1]
	v_mov_b32_e32 v117, v112
	v_pk_add_f32 v[102:103], v[116:117], v[102:103] neg_lo:[0,1] neg_hi:[0,1]
	v_mov_b32_e32 v132, v128
	v_pk_add_f32 v[112:113], v[132:133], v[102:103]
	v_cmp_eq_f32_e64 s[48:49], s55, v134
	v_mov_b32_e32 v116, v113
	v_pk_add_f32 v[116:117], v[112:113], v[116:117]
	s_mov_b32 s55, 0x33800000
	v_pk_add_f32 v[114:115], v[114:115], v[116:117]
	v_mov_b32_e32 v103, v116
	v_mov_b32_e32 v113, v114
	v_pk_add_f32 v[118:119], v[112:113], v[128:129] neg_lo:[0,1] neg_hi:[0,1]
	v_cmp_lt_f32_e64 s[56:57], |v134|, s55
	v_sub_f32_e32 v112, v112, v118
	v_pk_add_f32 v[102:103], v[102:103], v[118:119] neg_lo:[0,1] neg_hi:[0,1]
	v_sub_f32_e32 v112, v128, v112
	v_add_f32_e32 v102, v102, v112
	v_add_f32_e32 v102, v102, v103
	;; [unrolled: 1-line block ×3, first 2 shown]
	s_or_b64 s[48:49], s[48:49], s[56:57]
	v_cndmask_b32_e64 v102, v102, v134, s[48:49]
	v_add_f32_e32 v102, v101, v102
.LBB519_314:
	s_or_b64 exec, exec, s[52:53]
	v_bfe_u32 v101, v102, 16, 1
	v_add3_u32 v101, v102, v101, s54
	v_and_b32_e32 v101, 0xffff0000, v101
	v_cmp_o_f32_e64 s[48:49], v102, v102
	s_movk_i32 s54, 0x1f8
	s_nop 0
	v_cndmask_b32_e64 v102, v97, v101, s[48:49]
	v_mov_b32_e32 v97, 16
	v_lshlrev_b32_sdwa v19, v97, v19 dst_sel:DWORD dst_unused:UNUSED_PAD src0_sel:DWORD src1_sel:WORD_1
	v_max_f32_e32 v101, v102, v102
	v_max_f32_e32 v97, v19, v19
	v_min_f32_e32 v103, v101, v97
	v_cmp_u_f32_e64 s[52:53], v102, v102
	v_max_f32_e32 v101, v101, v97
	v_cmp_u_f32_e64 s[48:49], v19, v19
	v_cndmask_b32_e64 v103, v103, v102, s[52:53]
	v_cndmask_b32_e64 v101, v101, v102, s[52:53]
	;; [unrolled: 1-line block ×4, first 2 shown]
	v_cmp_neq_f32_e64 s[52:53], v103, v101
	v_cmp_class_f32_e64 s[54:55], v103, s54
	s_or_b64 s[52:53], s[52:53], s[54:55]
	s_and_saveexec_b64 s[54:55], s[52:53]
	s_cbranch_execz .LBB519_316
; %bb.315:
	v_sub_f32_e32 v102, v103, v101
	s_mov_b32 s52, 0x3fb8aa3b
	v_mul_f32_e32 v103, 0x3fb8aa3b, v102
	v_fma_f32 v112, v102, s52, -v103
	v_rndne_f32_e32 v113, v103
	v_fmamk_f32 v112, v102, 0x32a5705f, v112
	v_sub_f32_e32 v103, v103, v113
	v_add_f32_e32 v103, v103, v112
	v_exp_f32_e32 v103, v103
	v_cvt_i32_f32_e32 v112, v113
	s_mov_b32 s52, 0xc2ce8ed0
	v_cmp_ngt_f32_e64 s[52:53], s52, v102
	s_mov_b32 s56, 0x7f800000
	v_ldexp_f32 v103, v103, v112
	v_cndmask_b32_e64 v103, 0, v103, s[52:53]
	s_mov_b32 s52, 0x42b17218
	v_mov_b32_e32 v112, 0x7f800000
	v_cmp_nlt_f32_e64 s[52:53], s52, v102
	s_nop 1
	v_cndmask_b32_e64 v134, v112, v103, s[52:53]
	v_add_f32_e32 v112, 1.0, v134
	v_add_f32_e32 v102, -1.0, v112
	v_sub_f32_e32 v103, v102, v112
	v_add_f32_e32 v103, 1.0, v103
	v_sub_f32_e32 v102, v134, v102
	v_add_f32_e32 v113, v102, v103
	v_frexp_mant_f32_e32 v114, v112
	s_mov_b32 s52, 0x3f2aaaab
	v_cvt_f64_f32_e32 v[102:103], v112
	v_frexp_exp_i32_f64_e32 v102, v[102:103]
	v_cmp_gt_f32_e64 s[52:53], s52, v114
	s_nop 1
	v_subbrev_co_u32_e64 v118, s[52:53], 0, v102, s[52:53]
	v_sub_u32_e32 v102, 0, v118
	v_ldexp_f32 v103, v112, v102
	v_add_f32_e32 v112, -1.0, v103
	v_add_f32_e32 v114, 1.0, v103
	v_ldexp_f32 v102, v113, v102
	v_add_f32_e32 v113, 1.0, v112
	v_add_f32_e32 v115, -1.0, v114
	v_sub_f32_e32 v113, v103, v113
	v_sub_f32_e32 v103, v103, v115
	v_add_f32_e32 v113, v102, v113
	v_add_f32_e32 v102, v102, v103
	;; [unrolled: 1-line block ×3, first 2 shown]
	v_rcp_f32_e32 v129, v119
	v_sub_f32_e32 v103, v114, v119
	v_add_f32_e32 v128, v102, v103
	v_add_f32_e32 v103, v112, v113
	v_mul_f32_e32 v131, v103, v129
	v_sub_f32_e32 v102, v112, v103
	v_mul_f32_e32 v112, v119, v131
	v_fma_f32 v114, v131, v119, -v112
	v_fmac_f32_e32 v114, v131, v128
	v_add_f32_e32 v130, v113, v102
	v_add_f32_e32 v102, v112, v114
	v_sub_f32_e32 v113, v103, v102
	v_pk_add_f32 v[116:117], v[102:103], v[112:113] neg_lo:[0,1] neg_hi:[0,1]
	v_mov_b32_e32 v115, v102
	v_pk_add_f32 v[102:103], v[116:117], v[114:115] neg_lo:[0,1] neg_hi:[0,1]
	s_mov_b32 s52, 0x3f317218
	v_add_f32_e32 v103, v130, v103
	v_add_f32_e32 v102, v102, v103
	;; [unrolled: 1-line block ×3, first 2 shown]
	v_mul_f32_e32 v130, v129, v103
	v_mul_f32_e32 v112, v119, v130
	v_fma_f32 v114, v130, v119, -v112
	v_fmac_f32_e32 v114, v130, v128
	v_sub_f32_e32 v113, v113, v103
	v_add_f32_e32 v119, v102, v113
	v_add_f32_e32 v102, v112, v114
	v_sub_f32_e32 v113, v103, v102
	v_pk_add_f32 v[116:117], v[102:103], v[112:113] neg_lo:[0,1] neg_hi:[0,1]
	v_mov_b32_e32 v115, v102
	v_pk_add_f32 v[102:103], v[116:117], v[114:115] neg_lo:[0,1] neg_hi:[0,1]
	v_cvt_f32_i32_e32 v112, v118
	v_add_f32_e32 v103, v119, v103
	v_add_f32_e32 v102, v102, v103
	;; [unrolled: 1-line block ×4, first 2 shown]
	v_sub_f32_e32 v103, v113, v131
	v_mul_f32_e32 v102, v129, v102
	v_sub_f32_e32 v103, v130, v103
	v_add_f32_e32 v102, v103, v102
	v_add_f32_e32 v114, v113, v102
	v_mul_f32_e32 v116, v114, v114
	v_mov_b32_e32 v103, 0x3ecc95a3
	v_sub_f32_e32 v113, v114, v113
	v_fmac_f32_e32 v103, 0x3e9b6dac, v116
	v_sub_f32_e32 v102, v102, v113
	v_fmaak_f32 v103, v116, v103, 0x3f2aaada
	v_ldexp_f32 v117, v102, 1
	v_mul_f32_e32 v113, v114, v116
	v_mov_b32_e32 v102, 0x3f317218
	v_pk_mul_f32 v[102:103], v[112:113], v[102:103]
	v_ldexp_f32 v115, v114, 1
	v_fma_f32 v113, v112, s52, -v102
	v_fmamk_f32 v114, v112, 0xb102e308, v113
	v_pk_add_f32 v[112:113], v[102:103], v[114:115]
	v_mov_b32_e32 v116, v102
	v_sub_f32_e32 v115, v113, v115
	v_sub_f32_e32 v115, v103, v115
	v_add_f32_e32 v117, v117, v115
	v_pk_add_f32 v[102:103], v[112:113], v[102:103] neg_lo:[0,1] neg_hi:[0,1]
	v_pk_add_f32 v[118:119], v[112:113], v[116:117]
	v_mov_b32_e32 v115, v112
	v_mov_b32_e32 v103, v119
	v_pk_add_f32 v[128:129], v[114:115], v[102:103] neg_lo:[0,1] neg_hi:[0,1]
	v_pk_add_f32 v[102:103], v[114:115], v[102:103]
	v_mov_b32_e32 v116, v117
	v_mov_b32_e32 v114, v103
	v_pk_add_f32 v[130:131], v[114:115], v[112:113] neg_lo:[0,1] neg_hi:[0,1]
	v_mov_b32_e32 v102, v119
	v_mov_b32_e32 v115, v130
	v_pk_add_f32 v[132:133], v[118:119], v[114:115] neg_lo:[0,1] neg_hi:[0,1]
	v_mov_b32_e32 v118, v113
	v_mov_b32_e32 v119, v130
	;; [unrolled: 1-line block ×3, first 2 shown]
	v_pk_add_f32 v[102:103], v[102:103], v[118:119] neg_lo:[0,1] neg_hi:[0,1]
	v_mov_b32_e32 v117, v112
	v_pk_add_f32 v[102:103], v[116:117], v[102:103] neg_lo:[0,1] neg_hi:[0,1]
	v_mov_b32_e32 v132, v128
	v_pk_add_f32 v[112:113], v[132:133], v[102:103]
	v_cmp_eq_f32_e64 s[52:53], s56, v134
	v_mov_b32_e32 v116, v113
	v_pk_add_f32 v[116:117], v[112:113], v[116:117]
	s_mov_b32 s56, 0x33800000
	v_pk_add_f32 v[114:115], v[114:115], v[116:117]
	v_mov_b32_e32 v103, v116
	v_mov_b32_e32 v113, v114
	v_pk_add_f32 v[118:119], v[112:113], v[128:129] neg_lo:[0,1] neg_hi:[0,1]
	v_cmp_lt_f32_e64 s[56:57], |v134|, s56
	v_sub_f32_e32 v112, v112, v118
	v_pk_add_f32 v[102:103], v[102:103], v[118:119] neg_lo:[0,1] neg_hi:[0,1]
	v_sub_f32_e32 v112, v128, v112
	v_add_f32_e32 v102, v102, v112
	v_add_f32_e32 v102, v102, v103
	;; [unrolled: 1-line block ×3, first 2 shown]
	s_or_b64 s[52:53], s[52:53], s[56:57]
	v_cndmask_b32_e64 v102, v102, v134, s[52:53]
	v_add_f32_e32 v102, v101, v102
.LBB519_316:
	s_or_b64 exec, exec, s[54:55]
	v_bfe_u32 v101, v102, 16, 1
	s_movk_i32 s52, 0x7fff
	v_add3_u32 v101, v102, v101, s52
	v_lshrrev_b32_e32 v101, 16, v101
	v_mov_b32_e32 v103, 0x7fc0
	v_cmp_o_f32_e64 s[52:53], v102, v102
	s_nop 1
	v_cndmask_b32_e64 v103, v103, v101, s[52:53]
	v_mbcnt_lo_u32_b32 v101, -1, 0
	v_mbcnt_hi_u32_b32 v101, -1, v101
	v_and_b32_e32 v102, 15, v101
	v_and_b32_e32 v112, 0xffff, v103
	v_cmp_ne_u32_e64 s[52:53], 0, v102
	s_nop 0
	v_mov_b32_dpp v113, v112 row_shr:1 row_mask:0xf bank_mask:0xf
	s_and_saveexec_b64 s[56:57], s[52:53]
	s_cbranch_execz .LBB519_320
; %bb.317:
	v_lshlrev_b32_e32 v113, 16, v113
	v_lshlrev_b32_e32 v103, 16, v112
	v_max_f32_e32 v114, v103, v103
	v_max_f32_e32 v115, v113, v113
	v_min_f32_e32 v112, v115, v114
	v_cmp_u_f32_e64 s[52:53], v113, v113
	v_max_f32_e32 v114, v115, v114
	v_cmp_u_f32_e64 s[54:55], v103, v103
	v_cndmask_b32_e64 v112, v112, v113, s[52:53]
	v_cndmask_b32_e64 v114, v114, v113, s[52:53]
	;; [unrolled: 1-line block ×4, first 2 shown]
	s_movk_i32 s54, 0x1f8
	v_cmp_neq_f32_e64 s[52:53], v112, v103
	v_cmp_class_f32_e64 s[54:55], v112, s54
	s_or_b64 s[52:53], s[52:53], s[54:55]
	s_and_saveexec_b64 s[54:55], s[52:53]
	s_cbranch_execz .LBB519_319
; %bb.318:
	v_sub_f32_e32 v112, v112, v103
	s_mov_b32 s52, 0x3fb8aa3b
	v_mul_f32_e32 v113, 0x3fb8aa3b, v112
	v_fma_f32 v114, v112, s52, -v113
	v_rndne_f32_e32 v115, v113
	v_fmamk_f32 v114, v112, 0x32a5705f, v114
	v_sub_f32_e32 v113, v113, v115
	v_add_f32_e32 v113, v113, v114
	v_exp_f32_e32 v113, v113
	v_cvt_i32_f32_e32 v114, v115
	s_mov_b32 s52, 0xc2ce8ed0
	v_cmp_ngt_f32_e64 s[52:53], s52, v112
	s_mov_b32 s58, 0x7f800000
	v_ldexp_f32 v113, v113, v114
	v_cndmask_b32_e64 v113, 0, v113, s[52:53]
	s_mov_b32 s52, 0x42b17218
	v_mov_b32_e32 v114, 0x7f800000
	v_cmp_nlt_f32_e64 s[52:53], s52, v112
	s_nop 1
	v_cndmask_b32_e64 v144, v114, v113, s[52:53]
	v_add_f32_e32 v114, 1.0, v144
	v_add_f32_e32 v112, -1.0, v114
	v_sub_f32_e32 v113, v112, v114
	v_add_f32_e32 v113, 1.0, v113
	v_sub_f32_e32 v112, v144, v112
	v_add_f32_e32 v115, v112, v113
	v_frexp_mant_f32_e32 v116, v114
	s_mov_b32 s52, 0x3f2aaaab
	v_cvt_f64_f32_e32 v[112:113], v114
	v_frexp_exp_i32_f64_e32 v112, v[112:113]
	v_cmp_gt_f32_e64 s[52:53], s52, v116
	s_nop 1
	v_subbrev_co_u32_e64 v128, s[52:53], 0, v112, s[52:53]
	v_sub_u32_e32 v112, 0, v128
	v_ldexp_f32 v113, v114, v112
	v_add_f32_e32 v114, -1.0, v113
	v_add_f32_e32 v116, 1.0, v113
	v_ldexp_f32 v112, v115, v112
	v_add_f32_e32 v115, 1.0, v114
	v_add_f32_e32 v117, -1.0, v116
	v_sub_f32_e32 v115, v113, v115
	v_sub_f32_e32 v113, v113, v117
	v_add_f32_e32 v115, v112, v115
	v_add_f32_e32 v112, v112, v113
	;; [unrolled: 1-line block ×3, first 2 shown]
	v_rcp_f32_e32 v131, v129
	v_sub_f32_e32 v113, v116, v129
	v_add_f32_e32 v130, v112, v113
	v_add_f32_e32 v113, v114, v115
	v_mul_f32_e32 v133, v113, v131
	v_sub_f32_e32 v112, v114, v113
	v_mul_f32_e32 v114, v129, v133
	v_fma_f32 v116, v133, v129, -v114
	v_fmac_f32_e32 v116, v133, v130
	v_add_f32_e32 v132, v115, v112
	v_add_f32_e32 v112, v114, v116
	v_sub_f32_e32 v115, v113, v112
	v_pk_add_f32 v[118:119], v[112:113], v[114:115] neg_lo:[0,1] neg_hi:[0,1]
	v_mov_b32_e32 v117, v112
	v_pk_add_f32 v[112:113], v[118:119], v[116:117] neg_lo:[0,1] neg_hi:[0,1]
	s_mov_b32 s52, 0x3f317218
	v_add_f32_e32 v113, v132, v113
	v_add_f32_e32 v112, v112, v113
	;; [unrolled: 1-line block ×3, first 2 shown]
	v_mul_f32_e32 v132, v131, v113
	v_mul_f32_e32 v114, v129, v132
	v_fma_f32 v116, v132, v129, -v114
	v_fmac_f32_e32 v116, v132, v130
	v_sub_f32_e32 v115, v115, v113
	v_add_f32_e32 v129, v112, v115
	v_add_f32_e32 v112, v114, v116
	v_sub_f32_e32 v115, v113, v112
	v_pk_add_f32 v[118:119], v[112:113], v[114:115] neg_lo:[0,1] neg_hi:[0,1]
	v_mov_b32_e32 v117, v112
	v_pk_add_f32 v[112:113], v[118:119], v[116:117] neg_lo:[0,1] neg_hi:[0,1]
	v_cvt_f32_i32_e32 v114, v128
	v_add_f32_e32 v113, v129, v113
	v_add_f32_e32 v112, v112, v113
	;; [unrolled: 1-line block ×4, first 2 shown]
	v_sub_f32_e32 v113, v115, v133
	v_mul_f32_e32 v112, v131, v112
	v_sub_f32_e32 v113, v132, v113
	v_add_f32_e32 v112, v113, v112
	v_add_f32_e32 v116, v115, v112
	v_mul_f32_e32 v118, v116, v116
	v_mov_b32_e32 v113, 0x3ecc95a3
	v_sub_f32_e32 v115, v116, v115
	v_fmac_f32_e32 v113, 0x3e9b6dac, v118
	v_sub_f32_e32 v112, v112, v115
	v_fmaak_f32 v113, v118, v113, 0x3f2aaada
	v_ldexp_f32 v119, v112, 1
	v_mul_f32_e32 v115, v116, v118
	v_mov_b32_e32 v112, 0x3f317218
	v_pk_mul_f32 v[112:113], v[114:115], v[112:113]
	v_ldexp_f32 v117, v116, 1
	v_fma_f32 v115, v114, s52, -v112
	v_fmamk_f32 v116, v114, 0xb102e308, v115
	v_pk_add_f32 v[114:115], v[112:113], v[116:117]
	v_mov_b32_e32 v118, v112
	v_sub_f32_e32 v117, v115, v117
	v_sub_f32_e32 v117, v113, v117
	v_add_f32_e32 v119, v119, v117
	v_pk_add_f32 v[112:113], v[114:115], v[112:113] neg_lo:[0,1] neg_hi:[0,1]
	v_pk_add_f32 v[128:129], v[114:115], v[118:119]
	v_mov_b32_e32 v117, v114
	v_mov_b32_e32 v113, v129
	v_pk_add_f32 v[130:131], v[116:117], v[112:113] neg_lo:[0,1] neg_hi:[0,1]
	v_pk_add_f32 v[112:113], v[116:117], v[112:113]
	v_mov_b32_e32 v118, v119
	v_mov_b32_e32 v116, v113
	v_pk_add_f32 v[132:133], v[116:117], v[114:115] neg_lo:[0,1] neg_hi:[0,1]
	v_mov_b32_e32 v112, v129
	v_mov_b32_e32 v117, v132
	v_pk_add_f32 v[134:135], v[128:129], v[116:117] neg_lo:[0,1] neg_hi:[0,1]
	v_mov_b32_e32 v128, v115
	v_mov_b32_e32 v129, v132
	;; [unrolled: 1-line block ×3, first 2 shown]
	v_pk_add_f32 v[112:113], v[112:113], v[128:129] neg_lo:[0,1] neg_hi:[0,1]
	v_mov_b32_e32 v119, v114
	v_pk_add_f32 v[112:113], v[118:119], v[112:113] neg_lo:[0,1] neg_hi:[0,1]
	v_mov_b32_e32 v134, v130
	v_pk_add_f32 v[114:115], v[134:135], v[112:113]
	v_cmp_eq_f32_e64 s[52:53], s58, v144
	v_mov_b32_e32 v118, v115
	v_pk_add_f32 v[118:119], v[114:115], v[118:119]
	s_mov_b32 s58, 0x33800000
	v_pk_add_f32 v[116:117], v[116:117], v[118:119]
	v_mov_b32_e32 v113, v118
	v_mov_b32_e32 v115, v116
	v_pk_add_f32 v[128:129], v[114:115], v[130:131] neg_lo:[0,1] neg_hi:[0,1]
	v_cmp_lt_f32_e64 s[58:59], |v144|, s58
	v_sub_f32_e32 v114, v114, v128
	v_pk_add_f32 v[112:113], v[112:113], v[128:129] neg_lo:[0,1] neg_hi:[0,1]
	v_sub_f32_e32 v114, v130, v114
	v_add_f32_e32 v112, v112, v114
	v_add_f32_e32 v112, v112, v113
	;; [unrolled: 1-line block ×3, first 2 shown]
	s_or_b64 s[52:53], s[52:53], s[58:59]
	v_cndmask_b32_e64 v112, v112, v144, s[52:53]
	v_add_f32_e32 v113, v103, v112
.LBB519_319:
	s_or_b64 exec, exec, s[54:55]
	v_bfe_u32 v103, v113, 16, 1
	s_movk_i32 s52, 0x7fff
	v_add3_u32 v103, v113, v103, s52
	v_lshrrev_b32_e32 v103, 16, v103
	v_mov_b32_e32 v112, 0x7fc0
	v_cmp_o_f32_e64 s[52:53], v113, v113
	s_nop 1
	v_cndmask_b32_e64 v103, v112, v103, s[52:53]
	v_and_b32_e32 v112, 0xffff, v103
.LBB519_320:
	s_or_b64 exec, exec, s[56:57]
	s_nop 0
	v_mov_b32_dpp v113, v112 row_shr:2 row_mask:0xf bank_mask:0xf
	v_cmp_lt_u32_e64 s[52:53], 1, v102
	s_and_saveexec_b64 s[56:57], s[52:53]
	s_cbranch_execz .LBB519_324
; %bb.321:
	v_lshlrev_b32_e32 v113, 16, v113
	v_lshlrev_b32_e32 v103, 16, v112
	v_max_f32_e32 v114, v103, v103
	v_max_f32_e32 v115, v113, v113
	v_min_f32_e32 v112, v115, v114
	v_cmp_u_f32_e64 s[52:53], v113, v113
	v_max_f32_e32 v114, v115, v114
	v_cmp_u_f32_e64 s[54:55], v103, v103
	v_cndmask_b32_e64 v112, v112, v113, s[52:53]
	v_cndmask_b32_e64 v114, v114, v113, s[52:53]
	;; [unrolled: 1-line block ×4, first 2 shown]
	s_movk_i32 s54, 0x1f8
	v_cmp_neq_f32_e64 s[52:53], v112, v103
	v_cmp_class_f32_e64 s[54:55], v112, s54
	s_or_b64 s[52:53], s[52:53], s[54:55]
	s_and_saveexec_b64 s[54:55], s[52:53]
	s_cbranch_execz .LBB519_323
; %bb.322:
	v_sub_f32_e32 v112, v112, v103
	s_mov_b32 s52, 0x3fb8aa3b
	v_mul_f32_e32 v113, 0x3fb8aa3b, v112
	v_fma_f32 v114, v112, s52, -v113
	v_rndne_f32_e32 v115, v113
	v_fmamk_f32 v114, v112, 0x32a5705f, v114
	v_sub_f32_e32 v113, v113, v115
	v_add_f32_e32 v113, v113, v114
	v_exp_f32_e32 v113, v113
	v_cvt_i32_f32_e32 v114, v115
	s_mov_b32 s52, 0xc2ce8ed0
	v_cmp_ngt_f32_e64 s[52:53], s52, v112
	s_mov_b32 s58, 0x7f800000
	v_ldexp_f32 v113, v113, v114
	v_cndmask_b32_e64 v113, 0, v113, s[52:53]
	s_mov_b32 s52, 0x42b17218
	v_mov_b32_e32 v114, 0x7f800000
	v_cmp_nlt_f32_e64 s[52:53], s52, v112
	s_nop 1
	v_cndmask_b32_e64 v144, v114, v113, s[52:53]
	v_add_f32_e32 v114, 1.0, v144
	v_add_f32_e32 v112, -1.0, v114
	v_sub_f32_e32 v113, v112, v114
	v_add_f32_e32 v113, 1.0, v113
	v_sub_f32_e32 v112, v144, v112
	v_add_f32_e32 v115, v112, v113
	v_frexp_mant_f32_e32 v116, v114
	s_mov_b32 s52, 0x3f2aaaab
	v_cvt_f64_f32_e32 v[112:113], v114
	v_frexp_exp_i32_f64_e32 v112, v[112:113]
	v_cmp_gt_f32_e64 s[52:53], s52, v116
	s_nop 1
	v_subbrev_co_u32_e64 v128, s[52:53], 0, v112, s[52:53]
	v_sub_u32_e32 v112, 0, v128
	v_ldexp_f32 v113, v114, v112
	v_add_f32_e32 v114, -1.0, v113
	v_add_f32_e32 v116, 1.0, v113
	v_ldexp_f32 v112, v115, v112
	v_add_f32_e32 v115, 1.0, v114
	v_add_f32_e32 v117, -1.0, v116
	v_sub_f32_e32 v115, v113, v115
	v_sub_f32_e32 v113, v113, v117
	v_add_f32_e32 v115, v112, v115
	v_add_f32_e32 v112, v112, v113
	;; [unrolled: 1-line block ×3, first 2 shown]
	v_rcp_f32_e32 v131, v129
	v_sub_f32_e32 v113, v116, v129
	v_add_f32_e32 v130, v112, v113
	v_add_f32_e32 v113, v114, v115
	v_mul_f32_e32 v133, v113, v131
	v_sub_f32_e32 v112, v114, v113
	v_mul_f32_e32 v114, v129, v133
	v_fma_f32 v116, v133, v129, -v114
	v_fmac_f32_e32 v116, v133, v130
	v_add_f32_e32 v132, v115, v112
	v_add_f32_e32 v112, v114, v116
	v_sub_f32_e32 v115, v113, v112
	v_pk_add_f32 v[118:119], v[112:113], v[114:115] neg_lo:[0,1] neg_hi:[0,1]
	v_mov_b32_e32 v117, v112
	v_pk_add_f32 v[112:113], v[118:119], v[116:117] neg_lo:[0,1] neg_hi:[0,1]
	s_mov_b32 s52, 0x3f317218
	v_add_f32_e32 v113, v132, v113
	v_add_f32_e32 v112, v112, v113
	v_add_f32_e32 v113, v115, v112
	v_mul_f32_e32 v132, v131, v113
	v_mul_f32_e32 v114, v129, v132
	v_fma_f32 v116, v132, v129, -v114
	v_fmac_f32_e32 v116, v132, v130
	v_sub_f32_e32 v115, v115, v113
	v_add_f32_e32 v129, v112, v115
	v_add_f32_e32 v112, v114, v116
	v_sub_f32_e32 v115, v113, v112
	v_pk_add_f32 v[118:119], v[112:113], v[114:115] neg_lo:[0,1] neg_hi:[0,1]
	v_mov_b32_e32 v117, v112
	v_pk_add_f32 v[112:113], v[118:119], v[116:117] neg_lo:[0,1] neg_hi:[0,1]
	v_cvt_f32_i32_e32 v114, v128
	v_add_f32_e32 v113, v129, v113
	v_add_f32_e32 v112, v112, v113
	v_add_f32_e32 v112, v115, v112
	v_add_f32_e32 v115, v133, v132
	v_sub_f32_e32 v113, v115, v133
	v_mul_f32_e32 v112, v131, v112
	v_sub_f32_e32 v113, v132, v113
	v_add_f32_e32 v112, v113, v112
	v_add_f32_e32 v116, v115, v112
	v_mul_f32_e32 v118, v116, v116
	v_mov_b32_e32 v113, 0x3ecc95a3
	v_sub_f32_e32 v115, v116, v115
	v_fmac_f32_e32 v113, 0x3e9b6dac, v118
	v_sub_f32_e32 v112, v112, v115
	v_fmaak_f32 v113, v118, v113, 0x3f2aaada
	v_ldexp_f32 v119, v112, 1
	v_mul_f32_e32 v115, v116, v118
	v_mov_b32_e32 v112, 0x3f317218
	v_pk_mul_f32 v[112:113], v[114:115], v[112:113]
	v_ldexp_f32 v117, v116, 1
	v_fma_f32 v115, v114, s52, -v112
	v_fmamk_f32 v116, v114, 0xb102e308, v115
	v_pk_add_f32 v[114:115], v[112:113], v[116:117]
	v_mov_b32_e32 v118, v112
	v_sub_f32_e32 v117, v115, v117
	v_sub_f32_e32 v117, v113, v117
	v_add_f32_e32 v119, v119, v117
	v_pk_add_f32 v[112:113], v[114:115], v[112:113] neg_lo:[0,1] neg_hi:[0,1]
	v_pk_add_f32 v[128:129], v[114:115], v[118:119]
	v_mov_b32_e32 v117, v114
	v_mov_b32_e32 v113, v129
	v_pk_add_f32 v[130:131], v[116:117], v[112:113] neg_lo:[0,1] neg_hi:[0,1]
	v_pk_add_f32 v[112:113], v[116:117], v[112:113]
	v_mov_b32_e32 v118, v119
	v_mov_b32_e32 v116, v113
	v_pk_add_f32 v[132:133], v[116:117], v[114:115] neg_lo:[0,1] neg_hi:[0,1]
	v_mov_b32_e32 v112, v129
	v_mov_b32_e32 v117, v132
	v_pk_add_f32 v[134:135], v[128:129], v[116:117] neg_lo:[0,1] neg_hi:[0,1]
	v_mov_b32_e32 v128, v115
	v_mov_b32_e32 v129, v132
	;; [unrolled: 1-line block ×3, first 2 shown]
	v_pk_add_f32 v[112:113], v[112:113], v[128:129] neg_lo:[0,1] neg_hi:[0,1]
	v_mov_b32_e32 v119, v114
	v_pk_add_f32 v[112:113], v[118:119], v[112:113] neg_lo:[0,1] neg_hi:[0,1]
	v_mov_b32_e32 v134, v130
	v_pk_add_f32 v[114:115], v[134:135], v[112:113]
	v_cmp_eq_f32_e64 s[52:53], s58, v144
	v_mov_b32_e32 v118, v115
	v_pk_add_f32 v[118:119], v[114:115], v[118:119]
	s_mov_b32 s58, 0x33800000
	v_pk_add_f32 v[116:117], v[116:117], v[118:119]
	v_mov_b32_e32 v113, v118
	v_mov_b32_e32 v115, v116
	v_pk_add_f32 v[128:129], v[114:115], v[130:131] neg_lo:[0,1] neg_hi:[0,1]
	v_cmp_lt_f32_e64 s[58:59], |v144|, s58
	v_sub_f32_e32 v114, v114, v128
	v_pk_add_f32 v[112:113], v[112:113], v[128:129] neg_lo:[0,1] neg_hi:[0,1]
	v_sub_f32_e32 v114, v130, v114
	v_add_f32_e32 v112, v112, v114
	v_add_f32_e32 v112, v112, v113
	;; [unrolled: 1-line block ×3, first 2 shown]
	s_or_b64 s[52:53], s[52:53], s[58:59]
	v_cndmask_b32_e64 v112, v112, v144, s[52:53]
	v_add_f32_e32 v113, v103, v112
.LBB519_323:
	s_or_b64 exec, exec, s[54:55]
	v_bfe_u32 v103, v113, 16, 1
	s_movk_i32 s52, 0x7fff
	v_add3_u32 v103, v113, v103, s52
	v_lshrrev_b32_e32 v103, 16, v103
	v_mov_b32_e32 v112, 0x7fc0
	v_cmp_o_f32_e64 s[52:53], v113, v113
	s_nop 1
	v_cndmask_b32_e64 v103, v112, v103, s[52:53]
	v_and_b32_e32 v112, 0xffff, v103
.LBB519_324:
	s_or_b64 exec, exec, s[56:57]
	s_nop 0
	v_mov_b32_dpp v113, v112 row_shr:4 row_mask:0xf bank_mask:0xf
	v_cmp_lt_u32_e64 s[52:53], 3, v102
	s_and_saveexec_b64 s[56:57], s[52:53]
	s_cbranch_execz .LBB519_328
; %bb.325:
	v_lshlrev_b32_e32 v113, 16, v113
	v_lshlrev_b32_e32 v103, 16, v112
	v_max_f32_e32 v114, v103, v103
	v_max_f32_e32 v115, v113, v113
	v_min_f32_e32 v112, v115, v114
	v_cmp_u_f32_e64 s[52:53], v113, v113
	v_max_f32_e32 v114, v115, v114
	v_cmp_u_f32_e64 s[54:55], v103, v103
	v_cndmask_b32_e64 v112, v112, v113, s[52:53]
	v_cndmask_b32_e64 v114, v114, v113, s[52:53]
	;; [unrolled: 1-line block ×4, first 2 shown]
	s_movk_i32 s54, 0x1f8
	v_cmp_neq_f32_e64 s[52:53], v112, v103
	v_cmp_class_f32_e64 s[54:55], v112, s54
	s_or_b64 s[52:53], s[52:53], s[54:55]
	s_and_saveexec_b64 s[54:55], s[52:53]
	s_cbranch_execz .LBB519_327
; %bb.326:
	v_sub_f32_e32 v112, v112, v103
	s_mov_b32 s52, 0x3fb8aa3b
	v_mul_f32_e32 v113, 0x3fb8aa3b, v112
	v_fma_f32 v114, v112, s52, -v113
	v_rndne_f32_e32 v115, v113
	v_fmamk_f32 v114, v112, 0x32a5705f, v114
	v_sub_f32_e32 v113, v113, v115
	v_add_f32_e32 v113, v113, v114
	v_exp_f32_e32 v113, v113
	v_cvt_i32_f32_e32 v114, v115
	s_mov_b32 s52, 0xc2ce8ed0
	v_cmp_ngt_f32_e64 s[52:53], s52, v112
	s_mov_b32 s58, 0x7f800000
	v_ldexp_f32 v113, v113, v114
	v_cndmask_b32_e64 v113, 0, v113, s[52:53]
	s_mov_b32 s52, 0x42b17218
	v_mov_b32_e32 v114, 0x7f800000
	v_cmp_nlt_f32_e64 s[52:53], s52, v112
	s_nop 1
	v_cndmask_b32_e64 v144, v114, v113, s[52:53]
	v_add_f32_e32 v114, 1.0, v144
	v_add_f32_e32 v112, -1.0, v114
	v_sub_f32_e32 v113, v112, v114
	v_add_f32_e32 v113, 1.0, v113
	v_sub_f32_e32 v112, v144, v112
	v_add_f32_e32 v115, v112, v113
	v_frexp_mant_f32_e32 v116, v114
	s_mov_b32 s52, 0x3f2aaaab
	v_cvt_f64_f32_e32 v[112:113], v114
	v_frexp_exp_i32_f64_e32 v112, v[112:113]
	v_cmp_gt_f32_e64 s[52:53], s52, v116
	s_nop 1
	v_subbrev_co_u32_e64 v128, s[52:53], 0, v112, s[52:53]
	v_sub_u32_e32 v112, 0, v128
	v_ldexp_f32 v113, v114, v112
	v_add_f32_e32 v114, -1.0, v113
	v_add_f32_e32 v116, 1.0, v113
	v_ldexp_f32 v112, v115, v112
	v_add_f32_e32 v115, 1.0, v114
	v_add_f32_e32 v117, -1.0, v116
	v_sub_f32_e32 v115, v113, v115
	v_sub_f32_e32 v113, v113, v117
	v_add_f32_e32 v115, v112, v115
	v_add_f32_e32 v112, v112, v113
	;; [unrolled: 1-line block ×3, first 2 shown]
	v_rcp_f32_e32 v131, v129
	v_sub_f32_e32 v113, v116, v129
	v_add_f32_e32 v130, v112, v113
	v_add_f32_e32 v113, v114, v115
	v_mul_f32_e32 v133, v113, v131
	v_sub_f32_e32 v112, v114, v113
	v_mul_f32_e32 v114, v129, v133
	v_fma_f32 v116, v133, v129, -v114
	v_fmac_f32_e32 v116, v133, v130
	v_add_f32_e32 v132, v115, v112
	v_add_f32_e32 v112, v114, v116
	v_sub_f32_e32 v115, v113, v112
	v_pk_add_f32 v[118:119], v[112:113], v[114:115] neg_lo:[0,1] neg_hi:[0,1]
	v_mov_b32_e32 v117, v112
	v_pk_add_f32 v[112:113], v[118:119], v[116:117] neg_lo:[0,1] neg_hi:[0,1]
	s_mov_b32 s52, 0x3f317218
	v_add_f32_e32 v113, v132, v113
	v_add_f32_e32 v112, v112, v113
	;; [unrolled: 1-line block ×3, first 2 shown]
	v_mul_f32_e32 v132, v131, v113
	v_mul_f32_e32 v114, v129, v132
	v_fma_f32 v116, v132, v129, -v114
	v_fmac_f32_e32 v116, v132, v130
	v_sub_f32_e32 v115, v115, v113
	v_add_f32_e32 v129, v112, v115
	v_add_f32_e32 v112, v114, v116
	v_sub_f32_e32 v115, v113, v112
	v_pk_add_f32 v[118:119], v[112:113], v[114:115] neg_lo:[0,1] neg_hi:[0,1]
	v_mov_b32_e32 v117, v112
	v_pk_add_f32 v[112:113], v[118:119], v[116:117] neg_lo:[0,1] neg_hi:[0,1]
	v_cvt_f32_i32_e32 v114, v128
	v_add_f32_e32 v113, v129, v113
	v_add_f32_e32 v112, v112, v113
	;; [unrolled: 1-line block ×4, first 2 shown]
	v_sub_f32_e32 v113, v115, v133
	v_mul_f32_e32 v112, v131, v112
	v_sub_f32_e32 v113, v132, v113
	v_add_f32_e32 v112, v113, v112
	v_add_f32_e32 v116, v115, v112
	v_mul_f32_e32 v118, v116, v116
	v_mov_b32_e32 v113, 0x3ecc95a3
	v_sub_f32_e32 v115, v116, v115
	v_fmac_f32_e32 v113, 0x3e9b6dac, v118
	v_sub_f32_e32 v112, v112, v115
	v_fmaak_f32 v113, v118, v113, 0x3f2aaada
	v_ldexp_f32 v119, v112, 1
	v_mul_f32_e32 v115, v116, v118
	v_mov_b32_e32 v112, 0x3f317218
	v_pk_mul_f32 v[112:113], v[114:115], v[112:113]
	v_ldexp_f32 v117, v116, 1
	v_fma_f32 v115, v114, s52, -v112
	v_fmamk_f32 v116, v114, 0xb102e308, v115
	v_pk_add_f32 v[114:115], v[112:113], v[116:117]
	v_mov_b32_e32 v118, v112
	v_sub_f32_e32 v117, v115, v117
	v_sub_f32_e32 v117, v113, v117
	v_add_f32_e32 v119, v119, v117
	v_pk_add_f32 v[112:113], v[114:115], v[112:113] neg_lo:[0,1] neg_hi:[0,1]
	v_pk_add_f32 v[128:129], v[114:115], v[118:119]
	v_mov_b32_e32 v117, v114
	v_mov_b32_e32 v113, v129
	v_pk_add_f32 v[130:131], v[116:117], v[112:113] neg_lo:[0,1] neg_hi:[0,1]
	v_pk_add_f32 v[112:113], v[116:117], v[112:113]
	v_mov_b32_e32 v118, v119
	v_mov_b32_e32 v116, v113
	v_pk_add_f32 v[132:133], v[116:117], v[114:115] neg_lo:[0,1] neg_hi:[0,1]
	v_mov_b32_e32 v112, v129
	v_mov_b32_e32 v117, v132
	v_pk_add_f32 v[134:135], v[128:129], v[116:117] neg_lo:[0,1] neg_hi:[0,1]
	v_mov_b32_e32 v128, v115
	v_mov_b32_e32 v129, v132
	;; [unrolled: 1-line block ×3, first 2 shown]
	v_pk_add_f32 v[112:113], v[112:113], v[128:129] neg_lo:[0,1] neg_hi:[0,1]
	v_mov_b32_e32 v119, v114
	v_pk_add_f32 v[112:113], v[118:119], v[112:113] neg_lo:[0,1] neg_hi:[0,1]
	v_mov_b32_e32 v134, v130
	v_pk_add_f32 v[114:115], v[134:135], v[112:113]
	v_cmp_eq_f32_e64 s[52:53], s58, v144
	v_mov_b32_e32 v118, v115
	v_pk_add_f32 v[118:119], v[114:115], v[118:119]
	s_mov_b32 s58, 0x33800000
	v_pk_add_f32 v[116:117], v[116:117], v[118:119]
	v_mov_b32_e32 v113, v118
	v_mov_b32_e32 v115, v116
	v_pk_add_f32 v[128:129], v[114:115], v[130:131] neg_lo:[0,1] neg_hi:[0,1]
	v_cmp_lt_f32_e64 s[58:59], |v144|, s58
	v_sub_f32_e32 v114, v114, v128
	v_pk_add_f32 v[112:113], v[112:113], v[128:129] neg_lo:[0,1] neg_hi:[0,1]
	v_sub_f32_e32 v114, v130, v114
	v_add_f32_e32 v112, v112, v114
	v_add_f32_e32 v112, v112, v113
	;; [unrolled: 1-line block ×3, first 2 shown]
	s_or_b64 s[52:53], s[52:53], s[58:59]
	v_cndmask_b32_e64 v112, v112, v144, s[52:53]
	v_add_f32_e32 v113, v103, v112
.LBB519_327:
	s_or_b64 exec, exec, s[54:55]
	v_bfe_u32 v103, v113, 16, 1
	s_movk_i32 s52, 0x7fff
	v_add3_u32 v103, v113, v103, s52
	v_lshrrev_b32_e32 v103, 16, v103
	v_mov_b32_e32 v112, 0x7fc0
	v_cmp_o_f32_e64 s[52:53], v113, v113
	s_nop 1
	v_cndmask_b32_e64 v103, v112, v103, s[52:53]
	v_and_b32_e32 v112, 0xffff, v103
.LBB519_328:
	s_or_b64 exec, exec, s[56:57]
	s_nop 0
	v_mov_b32_dpp v113, v112 row_shr:8 row_mask:0xf bank_mask:0xf
	v_cmp_lt_u32_e64 s[52:53], 7, v102
	s_and_saveexec_b64 s[56:57], s[52:53]
	s_cbranch_execz .LBB519_332
; %bb.329:
	v_lshlrev_b32_e32 v103, 16, v113
	v_lshlrev_b32_e32 v102, 16, v112
	v_max_f32_e32 v113, v102, v102
	v_max_f32_e32 v114, v103, v103
	v_min_f32_e32 v112, v114, v113
	v_cmp_u_f32_e64 s[52:53], v103, v103
	v_max_f32_e32 v113, v114, v113
	v_cmp_u_f32_e64 s[54:55], v102, v102
	v_cndmask_b32_e64 v112, v112, v103, s[52:53]
	v_cndmask_b32_e64 v113, v113, v103, s[52:53]
	;; [unrolled: 1-line block ×4, first 2 shown]
	s_movk_i32 s54, 0x1f8
	v_cmp_neq_f32_e64 s[52:53], v112, v102
	v_cmp_class_f32_e64 s[54:55], v112, s54
	s_or_b64 s[52:53], s[52:53], s[54:55]
	s_and_saveexec_b64 s[54:55], s[52:53]
	s_cbranch_execz .LBB519_331
; %bb.330:
	v_sub_f32_e32 v103, v112, v102
	s_mov_b32 s52, 0x3fb8aa3b
	v_mul_f32_e32 v112, 0x3fb8aa3b, v103
	v_fma_f32 v113, v103, s52, -v112
	v_rndne_f32_e32 v114, v112
	v_fmamk_f32 v113, v103, 0x32a5705f, v113
	v_sub_f32_e32 v112, v112, v114
	v_add_f32_e32 v112, v112, v113
	v_exp_f32_e32 v112, v112
	v_cvt_i32_f32_e32 v113, v114
	s_mov_b32 s52, 0xc2ce8ed0
	v_cmp_ngt_f32_e64 s[52:53], s52, v103
	s_mov_b32 s58, 0x7f800000
	v_ldexp_f32 v112, v112, v113
	v_cndmask_b32_e64 v112, 0, v112, s[52:53]
	s_mov_b32 s52, 0x42b17218
	v_mov_b32_e32 v113, 0x7f800000
	v_cmp_nlt_f32_e64 s[52:53], s52, v103
	s_nop 1
	v_cndmask_b32_e64 v144, v113, v112, s[52:53]
	v_add_f32_e32 v103, 1.0, v144
	v_add_f32_e32 v112, -1.0, v103
	v_sub_f32_e32 v113, v112, v103
	v_add_f32_e32 v113, 1.0, v113
	v_sub_f32_e32 v112, v144, v112
	v_add_f32_e32 v114, v112, v113
	v_frexp_mant_f32_e32 v115, v103
	s_mov_b32 s52, 0x3f2aaaab
	v_cvt_f64_f32_e32 v[112:113], v103
	v_frexp_exp_i32_f64_e32 v112, v[112:113]
	v_cmp_gt_f32_e64 s[52:53], s52, v115
	s_nop 1
	v_subbrev_co_u32_e64 v128, s[52:53], 0, v112, s[52:53]
	v_sub_u32_e32 v112, 0, v128
	v_ldexp_f32 v103, v103, v112
	v_ldexp_f32 v112, v114, v112
	v_add_f32_e32 v114, -1.0, v103
	v_add_f32_e32 v113, 1.0, v114
	v_sub_f32_e32 v113, v103, v113
	v_add_f32_e32 v115, v112, v113
	v_add_f32_e32 v113, 1.0, v103
	v_add_f32_e32 v116, -1.0, v113
	v_sub_f32_e32 v103, v103, v116
	v_add_f32_e32 v103, v112, v103
	v_add_f32_e32 v129, v113, v103
	v_rcp_f32_e32 v130, v129
	v_sub_f32_e32 v112, v113, v129
	v_add_f32_e32 v113, v114, v115
	v_add_f32_e32 v103, v103, v112
	v_mul_f32_e32 v132, v113, v130
	v_sub_f32_e32 v112, v114, v113
	v_mul_f32_e32 v114, v129, v132
	v_fma_f32 v116, v132, v129, -v114
	v_fmac_f32_e32 v116, v132, v103
	v_add_f32_e32 v131, v115, v112
	v_add_f32_e32 v112, v114, v116
	v_sub_f32_e32 v115, v113, v112
	v_pk_add_f32 v[118:119], v[112:113], v[114:115] neg_lo:[0,1] neg_hi:[0,1]
	v_mov_b32_e32 v117, v112
	v_pk_add_f32 v[112:113], v[118:119], v[116:117] neg_lo:[0,1] neg_hi:[0,1]
	s_mov_b32 s52, 0x3f317218
	v_add_f32_e32 v113, v131, v113
	v_add_f32_e32 v112, v112, v113
	;; [unrolled: 1-line block ×3, first 2 shown]
	v_mul_f32_e32 v131, v130, v113
	v_mul_f32_e32 v114, v129, v131
	v_fma_f32 v116, v131, v129, -v114
	v_fmac_f32_e32 v116, v131, v103
	v_sub_f32_e32 v103, v115, v113
	v_add_f32_e32 v103, v112, v103
	v_add_f32_e32 v112, v114, v116
	v_sub_f32_e32 v115, v113, v112
	v_pk_add_f32 v[118:119], v[112:113], v[114:115] neg_lo:[0,1] neg_hi:[0,1]
	v_mov_b32_e32 v117, v112
	v_pk_add_f32 v[112:113], v[118:119], v[116:117] neg_lo:[0,1] neg_hi:[0,1]
	v_cvt_f32_i32_e32 v114, v128
	v_add_f32_e32 v103, v103, v113
	v_add_f32_e32 v103, v112, v103
	;; [unrolled: 1-line block ×4, first 2 shown]
	v_sub_f32_e32 v113, v112, v132
	v_mul_f32_e32 v103, v130, v103
	v_sub_f32_e32 v113, v131, v113
	v_add_f32_e32 v103, v113, v103
	v_add_f32_e32 v115, v112, v103
	v_mul_f32_e32 v116, v115, v115
	v_mov_b32_e32 v113, 0x3ecc95a3
	v_fmac_f32_e32 v113, 0x3e9b6dac, v116
	v_sub_f32_e32 v112, v115, v112
	v_fmaak_f32 v113, v116, v113, 0x3f2aaada
	v_sub_f32_e32 v103, v103, v112
	v_ldexp_f32 v117, v115, 1
	v_mul_f32_e32 v115, v115, v116
	v_mov_b32_e32 v112, 0x3f317218
	v_pk_mul_f32 v[112:113], v[114:115], v[112:113]
	v_ldexp_f32 v103, v103, 1
	v_fma_f32 v115, v114, s52, -v112
	v_fmamk_f32 v116, v114, 0xb102e308, v115
	v_pk_add_f32 v[114:115], v[112:113], v[116:117]
	v_mov_b32_e32 v118, v112
	v_sub_f32_e32 v117, v115, v117
	v_sub_f32_e32 v117, v113, v117
	v_add_f32_e32 v119, v103, v117
	v_pk_add_f32 v[112:113], v[114:115], v[112:113] neg_lo:[0,1] neg_hi:[0,1]
	v_pk_add_f32 v[128:129], v[114:115], v[118:119]
	v_mov_b32_e32 v117, v114
	v_mov_b32_e32 v113, v129
	v_pk_add_f32 v[130:131], v[116:117], v[112:113] neg_lo:[0,1] neg_hi:[0,1]
	v_pk_add_f32 v[112:113], v[116:117], v[112:113]
	v_mov_b32_e32 v118, v119
	v_mov_b32_e32 v116, v113
	v_pk_add_f32 v[132:133], v[116:117], v[114:115] neg_lo:[0,1] neg_hi:[0,1]
	v_mov_b32_e32 v112, v129
	v_mov_b32_e32 v103, v132
	v_pk_add_f32 v[134:135], v[128:129], v[102:103] neg_lo:[0,1] neg_hi:[0,1]
	v_mov_b32_e32 v128, v115
	v_mov_b32_e32 v129, v132
	;; [unrolled: 1-line block ×3, first 2 shown]
	v_pk_add_f32 v[112:113], v[112:113], v[128:129] neg_lo:[0,1] neg_hi:[0,1]
	v_mov_b32_e32 v119, v114
	v_pk_add_f32 v[112:113], v[118:119], v[112:113] neg_lo:[0,1] neg_hi:[0,1]
	v_mov_b32_e32 v134, v130
	v_pk_add_f32 v[114:115], v[134:135], v[112:113]
	v_cmp_eq_f32_e64 s[52:53], s58, v144
	v_mov_b32_e32 v118, v115
	v_pk_add_f32 v[118:119], v[114:115], v[118:119]
	s_mov_b32 s58, 0x33800000
	v_pk_add_f32 v[116:117], v[116:117], v[118:119]
	v_mov_b32_e32 v113, v118
	v_mov_b32_e32 v115, v116
	v_pk_add_f32 v[128:129], v[114:115], v[130:131] neg_lo:[0,1] neg_hi:[0,1]
	v_cmp_lt_f32_e64 s[58:59], |v144|, s58
	v_sub_f32_e32 v103, v114, v128
	v_pk_add_f32 v[112:113], v[112:113], v[128:129] neg_lo:[0,1] neg_hi:[0,1]
	v_sub_f32_e32 v103, v130, v103
	v_add_f32_e32 v103, v112, v103
	v_add_f32_e32 v103, v103, v113
	;; [unrolled: 1-line block ×3, first 2 shown]
	s_or_b64 s[52:53], s[52:53], s[58:59]
	v_cndmask_b32_e64 v103, v103, v144, s[52:53]
	v_add_f32_e32 v103, v102, v103
.LBB519_331:
	s_or_b64 exec, exec, s[54:55]
	v_bfe_u32 v102, v103, 16, 1
	s_movk_i32 s52, 0x7fff
	v_add3_u32 v102, v103, v102, s52
	v_lshrrev_b32_e32 v102, 16, v102
	v_mov_b32_e32 v112, 0x7fc0
	v_cmp_o_f32_e64 s[52:53], v103, v103
	s_nop 1
	v_cndmask_b32_e64 v103, v112, v102, s[52:53]
	v_and_b32_e32 v112, 0xffff, v103
.LBB519_332:
	s_or_b64 exec, exec, s[56:57]
	v_and_b32_e32 v113, 16, v101
	v_mov_b32_dpp v102, v112 row_bcast:15 row_mask:0xf bank_mask:0xf
	v_cmp_ne_u32_e64 s[52:53], 0, v113
	s_and_saveexec_b64 s[56:57], s[52:53]
	s_cbranch_execz .LBB519_336
; %bb.333:
	v_lshlrev_b32_e32 v103, 16, v102
	v_lshlrev_b32_e32 v102, 16, v112
	v_max_f32_e32 v113, v102, v102
	v_max_f32_e32 v114, v103, v103
	v_min_f32_e32 v112, v114, v113
	v_cmp_u_f32_e64 s[52:53], v103, v103
	v_max_f32_e32 v113, v114, v113
	v_cmp_u_f32_e64 s[54:55], v102, v102
	v_cndmask_b32_e64 v112, v112, v103, s[52:53]
	v_cndmask_b32_e64 v113, v113, v103, s[52:53]
	;; [unrolled: 1-line block ×4, first 2 shown]
	s_movk_i32 s54, 0x1f8
	v_cmp_neq_f32_e64 s[52:53], v112, v102
	v_cmp_class_f32_e64 s[54:55], v112, s54
	s_or_b64 s[52:53], s[52:53], s[54:55]
	s_and_saveexec_b64 s[54:55], s[52:53]
	s_cbranch_execz .LBB519_335
; %bb.334:
	v_sub_f32_e32 v103, v112, v102
	s_mov_b32 s52, 0x3fb8aa3b
	v_mul_f32_e32 v112, 0x3fb8aa3b, v103
	v_fma_f32 v113, v103, s52, -v112
	v_rndne_f32_e32 v114, v112
	v_fmamk_f32 v113, v103, 0x32a5705f, v113
	v_sub_f32_e32 v112, v112, v114
	v_add_f32_e32 v112, v112, v113
	v_exp_f32_e32 v112, v112
	v_cvt_i32_f32_e32 v113, v114
	s_mov_b32 s52, 0xc2ce8ed0
	v_cmp_ngt_f32_e64 s[52:53], s52, v103
	s_mov_b32 s58, 0x7f800000
	v_ldexp_f32 v112, v112, v113
	v_cndmask_b32_e64 v112, 0, v112, s[52:53]
	s_mov_b32 s52, 0x42b17218
	v_mov_b32_e32 v113, 0x7f800000
	v_cmp_nlt_f32_e64 s[52:53], s52, v103
	s_nop 1
	v_cndmask_b32_e64 v144, v113, v112, s[52:53]
	v_add_f32_e32 v103, 1.0, v144
	v_add_f32_e32 v112, -1.0, v103
	v_sub_f32_e32 v113, v112, v103
	v_add_f32_e32 v113, 1.0, v113
	v_sub_f32_e32 v112, v144, v112
	v_add_f32_e32 v114, v112, v113
	v_frexp_mant_f32_e32 v115, v103
	s_mov_b32 s52, 0x3f2aaaab
	v_cvt_f64_f32_e32 v[112:113], v103
	v_frexp_exp_i32_f64_e32 v112, v[112:113]
	v_cmp_gt_f32_e64 s[52:53], s52, v115
	s_nop 1
	v_subbrev_co_u32_e64 v128, s[52:53], 0, v112, s[52:53]
	v_sub_u32_e32 v112, 0, v128
	v_ldexp_f32 v103, v103, v112
	v_ldexp_f32 v112, v114, v112
	v_add_f32_e32 v114, -1.0, v103
	v_add_f32_e32 v113, 1.0, v114
	v_sub_f32_e32 v113, v103, v113
	v_add_f32_e32 v115, v112, v113
	v_add_f32_e32 v113, 1.0, v103
	v_add_f32_e32 v116, -1.0, v113
	v_sub_f32_e32 v103, v103, v116
	v_add_f32_e32 v103, v112, v103
	v_add_f32_e32 v129, v113, v103
	v_rcp_f32_e32 v130, v129
	v_sub_f32_e32 v112, v113, v129
	v_add_f32_e32 v113, v114, v115
	v_add_f32_e32 v103, v103, v112
	v_mul_f32_e32 v132, v113, v130
	v_sub_f32_e32 v112, v114, v113
	v_mul_f32_e32 v114, v129, v132
	v_fma_f32 v116, v132, v129, -v114
	v_fmac_f32_e32 v116, v132, v103
	v_add_f32_e32 v131, v115, v112
	v_add_f32_e32 v112, v114, v116
	v_sub_f32_e32 v115, v113, v112
	v_pk_add_f32 v[118:119], v[112:113], v[114:115] neg_lo:[0,1] neg_hi:[0,1]
	v_mov_b32_e32 v117, v112
	v_pk_add_f32 v[112:113], v[118:119], v[116:117] neg_lo:[0,1] neg_hi:[0,1]
	s_mov_b32 s52, 0x3f317218
	v_add_f32_e32 v113, v131, v113
	v_add_f32_e32 v112, v112, v113
	;; [unrolled: 1-line block ×3, first 2 shown]
	v_mul_f32_e32 v131, v130, v113
	v_mul_f32_e32 v114, v129, v131
	v_fma_f32 v116, v131, v129, -v114
	v_fmac_f32_e32 v116, v131, v103
	v_sub_f32_e32 v103, v115, v113
	v_add_f32_e32 v103, v112, v103
	v_add_f32_e32 v112, v114, v116
	v_sub_f32_e32 v115, v113, v112
	v_pk_add_f32 v[118:119], v[112:113], v[114:115] neg_lo:[0,1] neg_hi:[0,1]
	v_mov_b32_e32 v117, v112
	v_pk_add_f32 v[112:113], v[118:119], v[116:117] neg_lo:[0,1] neg_hi:[0,1]
	v_cvt_f32_i32_e32 v114, v128
	v_add_f32_e32 v103, v103, v113
	v_add_f32_e32 v103, v112, v103
	;; [unrolled: 1-line block ×4, first 2 shown]
	v_sub_f32_e32 v113, v112, v132
	v_mul_f32_e32 v103, v130, v103
	v_sub_f32_e32 v113, v131, v113
	v_add_f32_e32 v103, v113, v103
	v_add_f32_e32 v115, v112, v103
	v_mul_f32_e32 v116, v115, v115
	v_mov_b32_e32 v113, 0x3ecc95a3
	v_fmac_f32_e32 v113, 0x3e9b6dac, v116
	v_sub_f32_e32 v112, v115, v112
	v_fmaak_f32 v113, v116, v113, 0x3f2aaada
	v_sub_f32_e32 v103, v103, v112
	v_ldexp_f32 v117, v115, 1
	v_mul_f32_e32 v115, v115, v116
	v_mov_b32_e32 v112, 0x3f317218
	v_pk_mul_f32 v[112:113], v[114:115], v[112:113]
	v_ldexp_f32 v103, v103, 1
	v_fma_f32 v115, v114, s52, -v112
	v_fmamk_f32 v116, v114, 0xb102e308, v115
	v_pk_add_f32 v[114:115], v[112:113], v[116:117]
	v_mov_b32_e32 v118, v112
	v_sub_f32_e32 v117, v115, v117
	v_sub_f32_e32 v117, v113, v117
	v_add_f32_e32 v119, v103, v117
	v_pk_add_f32 v[112:113], v[114:115], v[112:113] neg_lo:[0,1] neg_hi:[0,1]
	v_pk_add_f32 v[128:129], v[114:115], v[118:119]
	v_mov_b32_e32 v117, v114
	v_mov_b32_e32 v113, v129
	v_pk_add_f32 v[130:131], v[116:117], v[112:113] neg_lo:[0,1] neg_hi:[0,1]
	v_pk_add_f32 v[112:113], v[116:117], v[112:113]
	v_mov_b32_e32 v118, v119
	v_mov_b32_e32 v116, v113
	v_pk_add_f32 v[132:133], v[116:117], v[114:115] neg_lo:[0,1] neg_hi:[0,1]
	v_mov_b32_e32 v112, v129
	v_mov_b32_e32 v103, v132
	v_pk_add_f32 v[134:135], v[128:129], v[102:103] neg_lo:[0,1] neg_hi:[0,1]
	v_mov_b32_e32 v128, v115
	v_mov_b32_e32 v129, v132
	;; [unrolled: 1-line block ×3, first 2 shown]
	v_pk_add_f32 v[112:113], v[112:113], v[128:129] neg_lo:[0,1] neg_hi:[0,1]
	v_mov_b32_e32 v119, v114
	v_pk_add_f32 v[112:113], v[118:119], v[112:113] neg_lo:[0,1] neg_hi:[0,1]
	v_mov_b32_e32 v134, v130
	v_pk_add_f32 v[114:115], v[134:135], v[112:113]
	v_cmp_eq_f32_e64 s[52:53], s58, v144
	v_mov_b32_e32 v118, v115
	v_pk_add_f32 v[118:119], v[114:115], v[118:119]
	s_mov_b32 s58, 0x33800000
	v_pk_add_f32 v[116:117], v[116:117], v[118:119]
	v_mov_b32_e32 v113, v118
	v_mov_b32_e32 v115, v116
	v_pk_add_f32 v[128:129], v[114:115], v[130:131] neg_lo:[0,1] neg_hi:[0,1]
	v_cmp_lt_f32_e64 s[58:59], |v144|, s58
	v_sub_f32_e32 v103, v114, v128
	v_pk_add_f32 v[112:113], v[112:113], v[128:129] neg_lo:[0,1] neg_hi:[0,1]
	v_sub_f32_e32 v103, v130, v103
	v_add_f32_e32 v103, v112, v103
	v_add_f32_e32 v103, v103, v113
	;; [unrolled: 1-line block ×3, first 2 shown]
	s_or_b64 s[52:53], s[52:53], s[58:59]
	v_cndmask_b32_e64 v103, v103, v144, s[52:53]
	v_add_f32_e32 v103, v102, v103
.LBB519_335:
	s_or_b64 exec, exec, s[54:55]
	v_bfe_u32 v102, v103, 16, 1
	s_movk_i32 s52, 0x7fff
	v_add3_u32 v102, v103, v102, s52
	v_lshrrev_b32_e32 v102, 16, v102
	v_mov_b32_e32 v112, 0x7fc0
	v_cmp_o_f32_e64 s[52:53], v103, v103
	s_nop 1
	v_cndmask_b32_e64 v103, v112, v102, s[52:53]
	v_and_b32_e32 v112, 0xffff, v103
.LBB519_336:
	s_or_b64 exec, exec, s[56:57]
	s_nop 0
	v_mov_b32_dpp v102, v112 row_bcast:31 row_mask:0xf bank_mask:0xf
	v_cmp_lt_u32_e64 s[52:53], 31, v101
	s_and_saveexec_b64 s[56:57], s[52:53]
	s_cbranch_execz .LBB519_340
; %bb.337:
	v_lshlrev_b32_e32 v103, 16, v102
	v_lshlrev_b32_e32 v102, 16, v112
	v_max_f32_e32 v113, v102, v102
	v_max_f32_e32 v114, v103, v103
	v_min_f32_e32 v112, v114, v113
	v_cmp_u_f32_e64 s[52:53], v103, v103
	v_max_f32_e32 v113, v114, v113
	v_cmp_u_f32_e64 s[54:55], v102, v102
	v_cndmask_b32_e64 v112, v112, v103, s[52:53]
	v_cndmask_b32_e64 v113, v113, v103, s[52:53]
	;; [unrolled: 1-line block ×4, first 2 shown]
	s_movk_i32 s54, 0x1f8
	v_cmp_neq_f32_e64 s[52:53], v112, v102
	v_cmp_class_f32_e64 s[54:55], v112, s54
	s_or_b64 s[52:53], s[52:53], s[54:55]
	s_and_saveexec_b64 s[54:55], s[52:53]
	s_cbranch_execz .LBB519_339
; %bb.338:
	v_sub_f32_e32 v103, v112, v102
	s_mov_b32 s52, 0x3fb8aa3b
	v_mul_f32_e32 v112, 0x3fb8aa3b, v103
	v_fma_f32 v113, v103, s52, -v112
	v_rndne_f32_e32 v114, v112
	v_fmamk_f32 v113, v103, 0x32a5705f, v113
	v_sub_f32_e32 v112, v112, v114
	v_add_f32_e32 v112, v112, v113
	v_exp_f32_e32 v112, v112
	v_cvt_i32_f32_e32 v113, v114
	s_mov_b32 s52, 0xc2ce8ed0
	v_cmp_ngt_f32_e64 s[52:53], s52, v103
	s_mov_b32 s58, 0x7f800000
	v_ldexp_f32 v112, v112, v113
	v_cndmask_b32_e64 v112, 0, v112, s[52:53]
	s_mov_b32 s52, 0x42b17218
	v_mov_b32_e32 v113, 0x7f800000
	v_cmp_nlt_f32_e64 s[52:53], s52, v103
	s_nop 1
	v_cndmask_b32_e64 v144, v113, v112, s[52:53]
	v_add_f32_e32 v103, 1.0, v144
	v_add_f32_e32 v112, -1.0, v103
	v_sub_f32_e32 v113, v112, v103
	v_add_f32_e32 v113, 1.0, v113
	v_sub_f32_e32 v112, v144, v112
	v_add_f32_e32 v114, v112, v113
	v_frexp_mant_f32_e32 v115, v103
	s_mov_b32 s52, 0x3f2aaaab
	v_cvt_f64_f32_e32 v[112:113], v103
	v_frexp_exp_i32_f64_e32 v112, v[112:113]
	v_cmp_gt_f32_e64 s[52:53], s52, v115
	s_nop 1
	v_subbrev_co_u32_e64 v128, s[52:53], 0, v112, s[52:53]
	v_sub_u32_e32 v112, 0, v128
	v_ldexp_f32 v103, v103, v112
	v_ldexp_f32 v112, v114, v112
	v_add_f32_e32 v114, -1.0, v103
	v_add_f32_e32 v113, 1.0, v114
	v_sub_f32_e32 v113, v103, v113
	v_add_f32_e32 v115, v112, v113
	v_add_f32_e32 v113, 1.0, v103
	v_add_f32_e32 v116, -1.0, v113
	v_sub_f32_e32 v103, v103, v116
	v_add_f32_e32 v103, v112, v103
	v_add_f32_e32 v129, v113, v103
	v_rcp_f32_e32 v130, v129
	v_sub_f32_e32 v112, v113, v129
	v_add_f32_e32 v113, v114, v115
	v_add_f32_e32 v103, v103, v112
	v_mul_f32_e32 v132, v113, v130
	v_sub_f32_e32 v112, v114, v113
	v_mul_f32_e32 v114, v129, v132
	v_fma_f32 v116, v132, v129, -v114
	v_fmac_f32_e32 v116, v132, v103
	v_add_f32_e32 v131, v115, v112
	v_add_f32_e32 v112, v114, v116
	v_sub_f32_e32 v115, v113, v112
	v_pk_add_f32 v[118:119], v[112:113], v[114:115] neg_lo:[0,1] neg_hi:[0,1]
	v_mov_b32_e32 v117, v112
	v_pk_add_f32 v[112:113], v[118:119], v[116:117] neg_lo:[0,1] neg_hi:[0,1]
	s_mov_b32 s52, 0x3f317218
	v_add_f32_e32 v113, v131, v113
	v_add_f32_e32 v112, v112, v113
	;; [unrolled: 1-line block ×3, first 2 shown]
	v_mul_f32_e32 v131, v130, v113
	v_mul_f32_e32 v114, v129, v131
	v_fma_f32 v116, v131, v129, -v114
	v_fmac_f32_e32 v116, v131, v103
	v_sub_f32_e32 v103, v115, v113
	v_add_f32_e32 v103, v112, v103
	v_add_f32_e32 v112, v114, v116
	v_sub_f32_e32 v115, v113, v112
	v_pk_add_f32 v[118:119], v[112:113], v[114:115] neg_lo:[0,1] neg_hi:[0,1]
	v_mov_b32_e32 v117, v112
	v_pk_add_f32 v[112:113], v[118:119], v[116:117] neg_lo:[0,1] neg_hi:[0,1]
	v_cvt_f32_i32_e32 v114, v128
	v_add_f32_e32 v103, v103, v113
	v_add_f32_e32 v103, v112, v103
	;; [unrolled: 1-line block ×4, first 2 shown]
	v_sub_f32_e32 v113, v112, v132
	v_mul_f32_e32 v103, v130, v103
	v_sub_f32_e32 v113, v131, v113
	v_add_f32_e32 v103, v113, v103
	v_add_f32_e32 v115, v112, v103
	v_mul_f32_e32 v116, v115, v115
	v_mov_b32_e32 v113, 0x3ecc95a3
	v_fmac_f32_e32 v113, 0x3e9b6dac, v116
	v_sub_f32_e32 v112, v115, v112
	v_fmaak_f32 v113, v116, v113, 0x3f2aaada
	v_sub_f32_e32 v103, v103, v112
	v_ldexp_f32 v117, v115, 1
	v_mul_f32_e32 v115, v115, v116
	v_mov_b32_e32 v112, 0x3f317218
	v_pk_mul_f32 v[112:113], v[114:115], v[112:113]
	v_ldexp_f32 v103, v103, 1
	v_fma_f32 v115, v114, s52, -v112
	v_fmamk_f32 v116, v114, 0xb102e308, v115
	v_pk_add_f32 v[114:115], v[112:113], v[116:117]
	v_mov_b32_e32 v118, v112
	v_sub_f32_e32 v117, v115, v117
	v_sub_f32_e32 v117, v113, v117
	v_add_f32_e32 v119, v103, v117
	v_pk_add_f32 v[112:113], v[114:115], v[112:113] neg_lo:[0,1] neg_hi:[0,1]
	v_pk_add_f32 v[128:129], v[114:115], v[118:119]
	v_mov_b32_e32 v117, v114
	v_mov_b32_e32 v113, v129
	v_pk_add_f32 v[130:131], v[116:117], v[112:113] neg_lo:[0,1] neg_hi:[0,1]
	v_pk_add_f32 v[112:113], v[116:117], v[112:113]
	v_mov_b32_e32 v118, v119
	v_mov_b32_e32 v116, v113
	v_pk_add_f32 v[132:133], v[116:117], v[114:115] neg_lo:[0,1] neg_hi:[0,1]
	v_mov_b32_e32 v112, v129
	v_mov_b32_e32 v103, v132
	v_pk_add_f32 v[134:135], v[128:129], v[102:103] neg_lo:[0,1] neg_hi:[0,1]
	v_mov_b32_e32 v128, v115
	v_mov_b32_e32 v129, v132
	;; [unrolled: 1-line block ×3, first 2 shown]
	v_pk_add_f32 v[112:113], v[112:113], v[128:129] neg_lo:[0,1] neg_hi:[0,1]
	v_mov_b32_e32 v119, v114
	v_pk_add_f32 v[112:113], v[118:119], v[112:113] neg_lo:[0,1] neg_hi:[0,1]
	v_mov_b32_e32 v134, v130
	v_pk_add_f32 v[114:115], v[134:135], v[112:113]
	v_cmp_eq_f32_e64 s[52:53], s58, v144
	v_mov_b32_e32 v118, v115
	v_pk_add_f32 v[118:119], v[114:115], v[118:119]
	s_mov_b32 s58, 0x33800000
	v_pk_add_f32 v[116:117], v[116:117], v[118:119]
	v_mov_b32_e32 v113, v118
	v_mov_b32_e32 v115, v116
	v_pk_add_f32 v[128:129], v[114:115], v[130:131] neg_lo:[0,1] neg_hi:[0,1]
	v_cmp_lt_f32_e64 s[58:59], |v144|, s58
	v_sub_f32_e32 v103, v114, v128
	v_pk_add_f32 v[112:113], v[112:113], v[128:129] neg_lo:[0,1] neg_hi:[0,1]
	v_sub_f32_e32 v103, v130, v103
	v_add_f32_e32 v103, v112, v103
	v_add_f32_e32 v103, v103, v113
	v_add_f32_e32 v103, v116, v103
	s_or_b64 s[52:53], s[52:53], s[58:59]
	v_cndmask_b32_e64 v103, v103, v144, s[52:53]
	v_add_f32_e32 v103, v102, v103
.LBB519_339:
	s_or_b64 exec, exec, s[54:55]
	v_bfe_u32 v102, v103, 16, 1
	s_movk_i32 s52, 0x7fff
	v_add3_u32 v102, v103, v102, s52
	v_lshrrev_b32_e32 v102, 16, v102
	v_mov_b32_e32 v112, 0x7fc0
	v_cmp_o_f32_e64 s[52:53], v103, v103
	s_nop 1
	v_cndmask_b32_e64 v103, v112, v102, s[52:53]
.LBB519_340:
	s_or_b64 exec, exec, s[56:57]
	v_and_b32_e32 v112, 0x3c0, v32
	v_min_u32_e32 v112, 0xc0, v112
	v_or_b32_e32 v112, 63, v112
	v_lshrrev_b32_e32 v102, 6, v32
	v_cmp_eq_u32_e64 s[52:53], v112, v32
	s_and_saveexec_b64 s[54:55], s[52:53]
	s_cbranch_execz .LBB519_342
; %bb.341:
	v_lshlrev_b32_e32 v112, 1, v102
	ds_write_b16 v112, v103
.LBB519_342:
	s_or_b64 exec, exec, s[54:55]
	v_cmp_gt_u32_e64 s[52:53], 4, v32
	s_waitcnt lgkmcnt(0)
	s_barrier
	s_and_saveexec_b64 s[56:57], s[52:53]
	s_cbranch_execz .LBB519_352
; %bb.343:
	ds_read_u16 v113, v0
	v_and_b32_e32 v112, 3, v101
	v_cmp_ne_u32_e64 s[52:53], 0, v112
	s_waitcnt lgkmcnt(0)
	v_and_b32_e32 v115, 0xffff, v113
	s_nop 1
	v_mov_b32_dpp v114, v115 row_shr:1 row_mask:0xf bank_mask:0xf
	s_and_saveexec_b64 s[58:59], s[52:53]
	s_cbranch_execz .LBB519_347
; %bb.344:
	v_lshlrev_b32_e32 v114, 16, v114
	v_lshlrev_b32_e32 v113, 16, v115
	v_max_f32_e32 v116, v113, v113
	v_max_f32_e32 v117, v114, v114
	v_min_f32_e32 v115, v117, v116
	v_cmp_u_f32_e64 s[52:53], v114, v114
	v_max_f32_e32 v116, v117, v116
	v_cmp_u_f32_e64 s[54:55], v113, v113
	v_cndmask_b32_e64 v115, v115, v114, s[52:53]
	v_cndmask_b32_e64 v116, v116, v114, s[52:53]
	v_cndmask_b32_e64 v115, v115, v113, s[54:55]
	v_cndmask_b32_e64 v113, v116, v113, s[54:55]
	s_movk_i32 s54, 0x1f8
	v_cmp_neq_f32_e64 s[52:53], v115, v113
	v_cmp_class_f32_e64 s[54:55], v115, s54
	s_or_b64 s[52:53], s[52:53], s[54:55]
	s_and_saveexec_b64 s[54:55], s[52:53]
	s_cbranch_execz .LBB519_346
; %bb.345:
	v_sub_f32_e32 v114, v115, v113
	s_mov_b32 s52, 0x3fb8aa3b
	v_mul_f32_e32 v115, 0x3fb8aa3b, v114
	v_fma_f32 v116, v114, s52, -v115
	v_rndne_f32_e32 v117, v115
	v_fmamk_f32 v116, v114, 0x32a5705f, v116
	v_sub_f32_e32 v115, v115, v117
	v_add_f32_e32 v115, v115, v116
	v_exp_f32_e32 v115, v115
	v_cvt_i32_f32_e32 v116, v117
	s_mov_b32 s52, 0xc2ce8ed0
	v_cmp_ngt_f32_e64 s[52:53], s52, v114
	s_mov_b32 s60, 0x7f800000
	v_ldexp_f32 v115, v115, v116
	v_cndmask_b32_e64 v115, 0, v115, s[52:53]
	s_mov_b32 s52, 0x42b17218
	v_mov_b32_e32 v116, 0x7f800000
	v_cmp_nlt_f32_e64 s[52:53], s52, v114
	s_nop 1
	v_cndmask_b32_e64 v146, v116, v115, s[52:53]
	v_add_f32_e32 v116, 1.0, v146
	v_add_f32_e32 v114, -1.0, v116
	v_sub_f32_e32 v115, v114, v116
	v_add_f32_e32 v115, 1.0, v115
	v_sub_f32_e32 v114, v146, v114
	v_add_f32_e32 v117, v114, v115
	v_frexp_mant_f32_e32 v118, v116
	s_mov_b32 s52, 0x3f2aaaab
	v_cvt_f64_f32_e32 v[114:115], v116
	v_frexp_exp_i32_f64_e32 v114, v[114:115]
	v_cmp_gt_f32_e64 s[52:53], s52, v118
	s_nop 1
	v_subbrev_co_u32_e64 v130, s[52:53], 0, v114, s[52:53]
	v_sub_u32_e32 v114, 0, v130
	v_ldexp_f32 v115, v116, v114
	v_add_f32_e32 v116, -1.0, v115
	v_add_f32_e32 v118, 1.0, v115
	v_ldexp_f32 v114, v117, v114
	v_add_f32_e32 v117, 1.0, v116
	v_add_f32_e32 v119, -1.0, v118
	v_sub_f32_e32 v117, v115, v117
	v_sub_f32_e32 v115, v115, v119
	v_add_f32_e32 v117, v114, v117
	v_add_f32_e32 v114, v114, v115
	;; [unrolled: 1-line block ×3, first 2 shown]
	v_rcp_f32_e32 v133, v131
	v_sub_f32_e32 v115, v118, v131
	v_add_f32_e32 v132, v114, v115
	v_add_f32_e32 v115, v116, v117
	v_mul_f32_e32 v135, v115, v133
	v_sub_f32_e32 v114, v116, v115
	v_mul_f32_e32 v116, v131, v135
	v_fma_f32 v118, v135, v131, -v116
	v_fmac_f32_e32 v118, v135, v132
	v_add_f32_e32 v134, v117, v114
	v_add_f32_e32 v114, v116, v118
	v_sub_f32_e32 v117, v115, v114
	v_pk_add_f32 v[128:129], v[114:115], v[116:117] neg_lo:[0,1] neg_hi:[0,1]
	v_mov_b32_e32 v119, v114
	v_pk_add_f32 v[114:115], v[128:129], v[118:119] neg_lo:[0,1] neg_hi:[0,1]
	s_mov_b32 s52, 0x3f317218
	v_add_f32_e32 v115, v134, v115
	v_add_f32_e32 v114, v114, v115
	;; [unrolled: 1-line block ×3, first 2 shown]
	v_mul_f32_e32 v134, v133, v115
	v_mul_f32_e32 v116, v131, v134
	v_fma_f32 v118, v134, v131, -v116
	v_fmac_f32_e32 v118, v134, v132
	v_sub_f32_e32 v117, v117, v115
	v_add_f32_e32 v131, v114, v117
	v_add_f32_e32 v114, v116, v118
	v_sub_f32_e32 v117, v115, v114
	v_pk_add_f32 v[128:129], v[114:115], v[116:117] neg_lo:[0,1] neg_hi:[0,1]
	v_mov_b32_e32 v119, v114
	v_pk_add_f32 v[114:115], v[128:129], v[118:119] neg_lo:[0,1] neg_hi:[0,1]
	v_cvt_f32_i32_e32 v116, v130
	v_add_f32_e32 v115, v131, v115
	v_add_f32_e32 v114, v114, v115
	;; [unrolled: 1-line block ×4, first 2 shown]
	v_sub_f32_e32 v115, v117, v135
	v_mul_f32_e32 v114, v133, v114
	v_sub_f32_e32 v115, v134, v115
	v_add_f32_e32 v114, v115, v114
	v_add_f32_e32 v118, v117, v114
	v_mul_f32_e32 v128, v118, v118
	v_mov_b32_e32 v115, 0x3ecc95a3
	v_sub_f32_e32 v117, v118, v117
	v_fmac_f32_e32 v115, 0x3e9b6dac, v128
	v_sub_f32_e32 v114, v114, v117
	v_fmaak_f32 v115, v128, v115, 0x3f2aaada
	v_ldexp_f32 v129, v114, 1
	v_mul_f32_e32 v117, v118, v128
	v_mov_b32_e32 v114, 0x3f317218
	v_pk_mul_f32 v[114:115], v[116:117], v[114:115]
	v_ldexp_f32 v119, v118, 1
	v_fma_f32 v117, v116, s52, -v114
	v_fmamk_f32 v118, v116, 0xb102e308, v117
	v_pk_add_f32 v[116:117], v[114:115], v[118:119]
	v_mov_b32_e32 v128, v114
	v_sub_f32_e32 v119, v117, v119
	v_sub_f32_e32 v119, v115, v119
	v_add_f32_e32 v129, v129, v119
	v_pk_add_f32 v[114:115], v[116:117], v[114:115] neg_lo:[0,1] neg_hi:[0,1]
	v_pk_add_f32 v[130:131], v[116:117], v[128:129]
	v_mov_b32_e32 v119, v116
	v_mov_b32_e32 v115, v131
	v_pk_add_f32 v[132:133], v[118:119], v[114:115] neg_lo:[0,1] neg_hi:[0,1]
	v_pk_add_f32 v[114:115], v[118:119], v[114:115]
	v_mov_b32_e32 v128, v129
	v_mov_b32_e32 v118, v115
	v_pk_add_f32 v[134:135], v[118:119], v[116:117] neg_lo:[0,1] neg_hi:[0,1]
	v_mov_b32_e32 v114, v131
	v_mov_b32_e32 v119, v134
	v_pk_add_f32 v[144:145], v[130:131], v[118:119] neg_lo:[0,1] neg_hi:[0,1]
	v_mov_b32_e32 v130, v117
	v_mov_b32_e32 v131, v134
	;; [unrolled: 1-line block ×3, first 2 shown]
	v_pk_add_f32 v[114:115], v[114:115], v[130:131] neg_lo:[0,1] neg_hi:[0,1]
	v_mov_b32_e32 v129, v116
	v_pk_add_f32 v[114:115], v[128:129], v[114:115] neg_lo:[0,1] neg_hi:[0,1]
	v_mov_b32_e32 v144, v132
	v_pk_add_f32 v[116:117], v[144:145], v[114:115]
	v_cmp_eq_f32_e64 s[52:53], s60, v146
	v_mov_b32_e32 v128, v117
	v_pk_add_f32 v[128:129], v[116:117], v[128:129]
	s_mov_b32 s60, 0x33800000
	v_pk_add_f32 v[118:119], v[118:119], v[128:129]
	v_mov_b32_e32 v115, v128
	v_mov_b32_e32 v117, v118
	v_pk_add_f32 v[130:131], v[116:117], v[132:133] neg_lo:[0,1] neg_hi:[0,1]
	v_cmp_lt_f32_e64 s[60:61], |v146|, s60
	v_sub_f32_e32 v116, v116, v130
	v_pk_add_f32 v[114:115], v[114:115], v[130:131] neg_lo:[0,1] neg_hi:[0,1]
	v_sub_f32_e32 v116, v132, v116
	v_add_f32_e32 v114, v114, v116
	v_add_f32_e32 v114, v114, v115
	;; [unrolled: 1-line block ×3, first 2 shown]
	s_or_b64 s[52:53], s[52:53], s[60:61]
	v_cndmask_b32_e64 v114, v114, v146, s[52:53]
	v_add_f32_e32 v114, v113, v114
.LBB519_346:
	s_or_b64 exec, exec, s[54:55]
	v_bfe_u32 v113, v114, 16, 1
	s_movk_i32 s52, 0x7fff
	v_add3_u32 v113, v114, v113, s52
	v_lshrrev_b32_e32 v113, 16, v113
	v_mov_b32_e32 v115, 0x7fc0
	v_cmp_o_f32_e64 s[52:53], v114, v114
	s_nop 1
	v_cndmask_b32_e64 v113, v115, v113, s[52:53]
	v_and_b32_e32 v115, 0xffff, v113
.LBB519_347:
	s_or_b64 exec, exec, s[58:59]
	s_nop 0
	v_mov_b32_dpp v114, v115 row_shr:2 row_mask:0xf bank_mask:0xf
	v_cmp_lt_u32_e64 s[52:53], 1, v112
	s_and_saveexec_b64 s[58:59], s[52:53]
	s_cbranch_execz .LBB519_351
; %bb.348:
	v_lshlrev_b32_e32 v113, 16, v114
	v_lshlrev_b32_e32 v112, 16, v115
	v_max_f32_e32 v115, v112, v112
	v_max_f32_e32 v116, v113, v113
	v_min_f32_e32 v114, v116, v115
	v_cmp_u_f32_e64 s[52:53], v113, v113
	v_max_f32_e32 v115, v116, v115
	v_cmp_u_f32_e64 s[54:55], v112, v112
	v_cndmask_b32_e64 v114, v114, v113, s[52:53]
	v_cndmask_b32_e64 v115, v115, v113, s[52:53]
	;; [unrolled: 1-line block ×4, first 2 shown]
	s_movk_i32 s54, 0x1f8
	v_cmp_neq_f32_e64 s[52:53], v114, v112
	v_cmp_class_f32_e64 s[54:55], v114, s54
	s_or_b64 s[52:53], s[52:53], s[54:55]
	s_and_saveexec_b64 s[54:55], s[52:53]
	s_cbranch_execz .LBB519_350
; %bb.349:
	v_sub_f32_e32 v113, v114, v112
	s_mov_b32 s52, 0x3fb8aa3b
	v_mul_f32_e32 v114, 0x3fb8aa3b, v113
	v_fma_f32 v115, v113, s52, -v114
	v_rndne_f32_e32 v116, v114
	v_fmamk_f32 v115, v113, 0x32a5705f, v115
	v_sub_f32_e32 v114, v114, v116
	v_add_f32_e32 v114, v114, v115
	v_exp_f32_e32 v114, v114
	v_cvt_i32_f32_e32 v115, v116
	s_mov_b32 s52, 0xc2ce8ed0
	v_cmp_ngt_f32_e64 s[52:53], s52, v113
	s_mov_b32 s60, 0x7f800000
	v_ldexp_f32 v114, v114, v115
	v_cndmask_b32_e64 v114, 0, v114, s[52:53]
	s_mov_b32 s52, 0x42b17218
	v_mov_b32_e32 v115, 0x7f800000
	v_cmp_nlt_f32_e64 s[52:53], s52, v113
	s_nop 1
	v_cndmask_b32_e64 v146, v115, v114, s[52:53]
	v_add_f32_e32 v113, 1.0, v146
	v_add_f32_e32 v114, -1.0, v113
	v_sub_f32_e32 v115, v114, v113
	v_add_f32_e32 v115, 1.0, v115
	v_sub_f32_e32 v114, v146, v114
	v_add_f32_e32 v116, v114, v115
	v_frexp_mant_f32_e32 v117, v113
	s_mov_b32 s52, 0x3f2aaaab
	v_cvt_f64_f32_e32 v[114:115], v113
	v_frexp_exp_i32_f64_e32 v114, v[114:115]
	v_cmp_gt_f32_e64 s[52:53], s52, v117
	s_nop 1
	v_subbrev_co_u32_e64 v130, s[52:53], 0, v114, s[52:53]
	v_sub_u32_e32 v114, 0, v130
	v_ldexp_f32 v113, v113, v114
	v_ldexp_f32 v114, v116, v114
	v_add_f32_e32 v116, -1.0, v113
	v_add_f32_e32 v115, 1.0, v116
	v_sub_f32_e32 v115, v113, v115
	v_add_f32_e32 v117, v114, v115
	v_add_f32_e32 v115, 1.0, v113
	v_add_f32_e32 v118, -1.0, v115
	v_sub_f32_e32 v113, v113, v118
	v_add_f32_e32 v113, v114, v113
	v_add_f32_e32 v131, v115, v113
	v_rcp_f32_e32 v132, v131
	v_sub_f32_e32 v114, v115, v131
	v_add_f32_e32 v115, v116, v117
	v_add_f32_e32 v113, v113, v114
	v_mul_f32_e32 v134, v115, v132
	v_sub_f32_e32 v114, v116, v115
	v_mul_f32_e32 v116, v131, v134
	v_fma_f32 v118, v134, v131, -v116
	v_fmac_f32_e32 v118, v134, v113
	v_add_f32_e32 v133, v117, v114
	v_add_f32_e32 v114, v116, v118
	v_sub_f32_e32 v117, v115, v114
	v_pk_add_f32 v[128:129], v[114:115], v[116:117] neg_lo:[0,1] neg_hi:[0,1]
	v_mov_b32_e32 v119, v114
	v_pk_add_f32 v[114:115], v[128:129], v[118:119] neg_lo:[0,1] neg_hi:[0,1]
	s_mov_b32 s52, 0x3f317218
	v_add_f32_e32 v115, v133, v115
	v_add_f32_e32 v114, v114, v115
	;; [unrolled: 1-line block ×3, first 2 shown]
	v_mul_f32_e32 v133, v132, v115
	v_mul_f32_e32 v116, v131, v133
	v_fma_f32 v118, v133, v131, -v116
	v_fmac_f32_e32 v118, v133, v113
	v_sub_f32_e32 v113, v117, v115
	v_add_f32_e32 v113, v114, v113
	v_add_f32_e32 v114, v116, v118
	v_sub_f32_e32 v117, v115, v114
	v_pk_add_f32 v[128:129], v[114:115], v[116:117] neg_lo:[0,1] neg_hi:[0,1]
	v_mov_b32_e32 v119, v114
	v_pk_add_f32 v[114:115], v[128:129], v[118:119] neg_lo:[0,1] neg_hi:[0,1]
	v_cvt_f32_i32_e32 v116, v130
	v_add_f32_e32 v113, v113, v115
	v_add_f32_e32 v113, v114, v113
	;; [unrolled: 1-line block ×4, first 2 shown]
	v_sub_f32_e32 v115, v114, v134
	v_mul_f32_e32 v113, v132, v113
	v_sub_f32_e32 v115, v133, v115
	v_add_f32_e32 v113, v115, v113
	v_add_f32_e32 v117, v114, v113
	v_mul_f32_e32 v118, v117, v117
	v_mov_b32_e32 v115, 0x3ecc95a3
	v_fmac_f32_e32 v115, 0x3e9b6dac, v118
	v_sub_f32_e32 v114, v117, v114
	v_fmaak_f32 v115, v118, v115, 0x3f2aaada
	v_sub_f32_e32 v113, v113, v114
	v_ldexp_f32 v119, v117, 1
	v_mul_f32_e32 v117, v117, v118
	v_mov_b32_e32 v114, 0x3f317218
	v_pk_mul_f32 v[114:115], v[116:117], v[114:115]
	v_ldexp_f32 v113, v113, 1
	v_fma_f32 v117, v116, s52, -v114
	v_fmamk_f32 v118, v116, 0xb102e308, v117
	v_pk_add_f32 v[116:117], v[114:115], v[118:119]
	v_mov_b32_e32 v128, v114
	v_sub_f32_e32 v119, v117, v119
	v_sub_f32_e32 v119, v115, v119
	v_add_f32_e32 v129, v113, v119
	v_pk_add_f32 v[114:115], v[116:117], v[114:115] neg_lo:[0,1] neg_hi:[0,1]
	v_pk_add_f32 v[130:131], v[116:117], v[128:129]
	v_mov_b32_e32 v119, v116
	v_mov_b32_e32 v115, v131
	v_pk_add_f32 v[132:133], v[118:119], v[114:115] neg_lo:[0,1] neg_hi:[0,1]
	v_pk_add_f32 v[114:115], v[118:119], v[114:115]
	v_mov_b32_e32 v128, v129
	v_mov_b32_e32 v118, v115
	v_pk_add_f32 v[134:135], v[118:119], v[116:117] neg_lo:[0,1] neg_hi:[0,1]
	v_mov_b32_e32 v114, v131
	v_mov_b32_e32 v113, v134
	v_pk_add_f32 v[144:145], v[130:131], v[112:113] neg_lo:[0,1] neg_hi:[0,1]
	v_mov_b32_e32 v130, v117
	v_mov_b32_e32 v131, v134
	;; [unrolled: 1-line block ×3, first 2 shown]
	v_pk_add_f32 v[114:115], v[114:115], v[130:131] neg_lo:[0,1] neg_hi:[0,1]
	v_mov_b32_e32 v129, v116
	v_pk_add_f32 v[114:115], v[128:129], v[114:115] neg_lo:[0,1] neg_hi:[0,1]
	v_mov_b32_e32 v144, v132
	v_pk_add_f32 v[116:117], v[144:145], v[114:115]
	v_cmp_eq_f32_e64 s[52:53], s60, v146
	v_mov_b32_e32 v128, v117
	v_pk_add_f32 v[128:129], v[116:117], v[128:129]
	s_mov_b32 s60, 0x33800000
	v_pk_add_f32 v[118:119], v[118:119], v[128:129]
	v_mov_b32_e32 v115, v128
	v_mov_b32_e32 v117, v118
	v_pk_add_f32 v[130:131], v[116:117], v[132:133] neg_lo:[0,1] neg_hi:[0,1]
	v_cmp_lt_f32_e64 s[60:61], |v146|, s60
	v_sub_f32_e32 v113, v116, v130
	v_pk_add_f32 v[114:115], v[114:115], v[130:131] neg_lo:[0,1] neg_hi:[0,1]
	v_sub_f32_e32 v113, v132, v113
	v_add_f32_e32 v113, v114, v113
	v_add_f32_e32 v113, v113, v115
	;; [unrolled: 1-line block ×3, first 2 shown]
	s_or_b64 s[52:53], s[52:53], s[60:61]
	v_cndmask_b32_e64 v113, v113, v146, s[52:53]
	v_add_f32_e32 v113, v112, v113
.LBB519_350:
	s_or_b64 exec, exec, s[54:55]
	v_bfe_u32 v112, v113, 16, 1
	s_movk_i32 s52, 0x7fff
	v_add3_u32 v112, v113, v112, s52
	v_lshrrev_b32_e32 v112, 16, v112
	v_mov_b32_e32 v114, 0x7fc0
	v_cmp_o_f32_e64 s[52:53], v113, v113
	s_nop 1
	v_cndmask_b32_e64 v113, v114, v112, s[52:53]
.LBB519_351:
	s_or_b64 exec, exec, s[58:59]
	ds_write_b16 v0, v113
.LBB519_352:
	s_or_b64 exec, exec, s[56:57]
	v_cmp_lt_u32_e64 s[52:53], 63, v32
	s_waitcnt lgkmcnt(0)
	s_barrier
	s_waitcnt lgkmcnt(0)
                                        ; implicit-def: $vgpr112
	s_and_saveexec_b64 s[56:57], s[52:53]
	s_cbranch_execz .LBB519_356
; %bb.353:
	v_lshl_add_u32 v102, v102, 1, -2
	ds_read_u16 v112, v102
	v_lshlrev_b32_e32 v102, 16, v103
	v_max_f32_e32 v114, v102, v102
	v_cmp_u_f32_e64 s[54:55], v102, v102
	s_waitcnt lgkmcnt(0)
	v_lshlrev_b32_e32 v103, 16, v112
	v_max_f32_e32 v115, v103, v103
	v_min_f32_e32 v113, v115, v114
	v_cmp_u_f32_e64 s[52:53], v103, v103
	v_max_f32_e32 v114, v115, v114
	s_nop 0
	v_cndmask_b32_e64 v113, v113, v103, s[52:53]
	v_cndmask_b32_e64 v114, v114, v103, s[52:53]
	;; [unrolled: 1-line block ×4, first 2 shown]
	s_movk_i32 s54, 0x1f8
	v_cmp_neq_f32_e64 s[52:53], v113, v102
	v_cmp_class_f32_e64 s[54:55], v113, s54
	s_or_b64 s[52:53], s[52:53], s[54:55]
	s_and_saveexec_b64 s[54:55], s[52:53]
	s_cbranch_execz .LBB519_355
; %bb.354:
	v_sub_f32_e32 v103, v113, v102
	s_mov_b32 s52, 0x3fb8aa3b
	v_mul_f32_e32 v113, 0x3fb8aa3b, v103
	v_fma_f32 v114, v103, s52, -v113
	v_rndne_f32_e32 v115, v113
	v_fmamk_f32 v114, v103, 0x32a5705f, v114
	v_sub_f32_e32 v113, v113, v115
	v_add_f32_e32 v113, v113, v114
	v_exp_f32_e32 v113, v113
	v_cvt_i32_f32_e32 v114, v115
	s_mov_b32 s52, 0xc2ce8ed0
	v_cmp_ngt_f32_e64 s[52:53], s52, v103
	s_mov_b32 s58, 0x7f800000
	v_ldexp_f32 v113, v113, v114
	v_cndmask_b32_e64 v113, 0, v113, s[52:53]
	s_mov_b32 s52, 0x42b17218
	v_mov_b32_e32 v114, 0x7f800000
	v_cmp_nlt_f32_e64 s[52:53], s52, v103
	s_nop 1
	v_cndmask_b32_e64 v113, v114, v113, s[52:53]
	v_add_f32_e32 v103, 1.0, v113
	v_add_f32_e32 v114, -1.0, v103
	v_sub_f32_e32 v115, v114, v103
	v_add_f32_e32 v115, 1.0, v115
	v_sub_f32_e32 v114, v113, v114
	v_add_f32_e32 v116, v114, v115
	v_frexp_mant_f32_e32 v117, v103
	s_mov_b32 s52, 0x3f2aaaab
	v_cvt_f64_f32_e32 v[114:115], v103
	v_frexp_exp_i32_f64_e32 v114, v[114:115]
	v_cmp_gt_f32_e64 s[52:53], s52, v117
	s_nop 1
	v_subbrev_co_u32_e64 v130, s[52:53], 0, v114, s[52:53]
	v_sub_u32_e32 v114, 0, v130
	v_ldexp_f32 v103, v103, v114
	v_ldexp_f32 v114, v116, v114
	v_add_f32_e32 v116, -1.0, v103
	v_add_f32_e32 v115, 1.0, v116
	v_sub_f32_e32 v115, v103, v115
	v_add_f32_e32 v117, v114, v115
	v_add_f32_e32 v115, 1.0, v103
	v_add_f32_e32 v118, -1.0, v115
	v_sub_f32_e32 v103, v103, v118
	v_add_f32_e32 v103, v114, v103
	v_add_f32_e32 v131, v115, v103
	v_rcp_f32_e32 v132, v131
	v_sub_f32_e32 v114, v115, v131
	v_add_f32_e32 v115, v116, v117
	v_add_f32_e32 v103, v103, v114
	v_mul_f32_e32 v134, v115, v132
	v_sub_f32_e32 v114, v116, v115
	v_mul_f32_e32 v116, v131, v134
	v_fma_f32 v118, v134, v131, -v116
	v_fmac_f32_e32 v118, v134, v103
	v_add_f32_e32 v133, v117, v114
	v_add_f32_e32 v114, v116, v118
	v_sub_f32_e32 v117, v115, v114
	v_pk_add_f32 v[128:129], v[114:115], v[116:117] neg_lo:[0,1] neg_hi:[0,1]
	v_mov_b32_e32 v119, v114
	v_pk_add_f32 v[114:115], v[128:129], v[118:119] neg_lo:[0,1] neg_hi:[0,1]
	s_mov_b32 s52, 0x3f317218
	v_add_f32_e32 v115, v133, v115
	v_add_f32_e32 v114, v114, v115
	;; [unrolled: 1-line block ×3, first 2 shown]
	v_mul_f32_e32 v133, v132, v115
	v_mul_f32_e32 v116, v131, v133
	v_fma_f32 v118, v133, v131, -v116
	v_fmac_f32_e32 v118, v133, v103
	v_sub_f32_e32 v103, v117, v115
	v_add_f32_e32 v103, v114, v103
	v_add_f32_e32 v114, v116, v118
	v_sub_f32_e32 v117, v115, v114
	v_pk_add_f32 v[128:129], v[114:115], v[116:117] neg_lo:[0,1] neg_hi:[0,1]
	v_mov_b32_e32 v119, v114
	v_pk_add_f32 v[114:115], v[128:129], v[118:119] neg_lo:[0,1] neg_hi:[0,1]
	v_cvt_f32_i32_e32 v116, v130
	v_add_f32_e32 v103, v103, v115
	v_add_f32_e32 v103, v114, v103
	;; [unrolled: 1-line block ×4, first 2 shown]
	v_sub_f32_e32 v115, v114, v134
	v_mul_f32_e32 v103, v132, v103
	v_sub_f32_e32 v115, v133, v115
	v_add_f32_e32 v103, v115, v103
	v_add_f32_e32 v117, v114, v103
	v_mul_f32_e32 v118, v117, v117
	v_mov_b32_e32 v115, 0x3ecc95a3
	v_fmac_f32_e32 v115, 0x3e9b6dac, v118
	v_sub_f32_e32 v114, v117, v114
	v_fmaak_f32 v115, v118, v115, 0x3f2aaada
	v_sub_f32_e32 v103, v103, v114
	v_ldexp_f32 v119, v117, 1
	v_mul_f32_e32 v117, v117, v118
	v_mov_b32_e32 v114, 0x3f317218
	v_pk_mul_f32 v[114:115], v[116:117], v[114:115]
	v_ldexp_f32 v103, v103, 1
	v_fma_f32 v117, v116, s52, -v114
	v_fmamk_f32 v118, v116, 0xb102e308, v117
	v_pk_add_f32 v[116:117], v[114:115], v[118:119]
	v_mov_b32_e32 v128, v114
	v_sub_f32_e32 v119, v117, v119
	v_sub_f32_e32 v119, v115, v119
	v_add_f32_e32 v129, v103, v119
	v_pk_add_f32 v[114:115], v[116:117], v[114:115] neg_lo:[0,1] neg_hi:[0,1]
	v_pk_add_f32 v[130:131], v[116:117], v[128:129]
	v_mov_b32_e32 v119, v116
	v_mov_b32_e32 v115, v131
	v_pk_add_f32 v[132:133], v[118:119], v[114:115] neg_lo:[0,1] neg_hi:[0,1]
	v_pk_add_f32 v[114:115], v[118:119], v[114:115]
	v_mov_b32_e32 v128, v129
	v_mov_b32_e32 v118, v115
	v_pk_add_f32 v[134:135], v[118:119], v[116:117] neg_lo:[0,1] neg_hi:[0,1]
	v_mov_b32_e32 v114, v131
	v_mov_b32_e32 v103, v134
	v_pk_add_f32 v[144:145], v[130:131], v[102:103] neg_lo:[0,1] neg_hi:[0,1]
	v_mov_b32_e32 v130, v117
	v_mov_b32_e32 v131, v134
	;; [unrolled: 1-line block ×3, first 2 shown]
	v_pk_add_f32 v[114:115], v[114:115], v[130:131] neg_lo:[0,1] neg_hi:[0,1]
	v_mov_b32_e32 v129, v116
	v_pk_add_f32 v[114:115], v[128:129], v[114:115] neg_lo:[0,1] neg_hi:[0,1]
	v_mov_b32_e32 v144, v132
	v_pk_add_f32 v[116:117], v[144:145], v[114:115]
	v_cmp_eq_f32_e64 s[52:53], s58, v113
	v_mov_b32_e32 v128, v117
	v_pk_add_f32 v[128:129], v[116:117], v[128:129]
	s_mov_b32 s58, 0x33800000
	v_pk_add_f32 v[118:119], v[118:119], v[128:129]
	v_mov_b32_e32 v115, v128
	v_mov_b32_e32 v117, v118
	v_pk_add_f32 v[130:131], v[116:117], v[132:133] neg_lo:[0,1] neg_hi:[0,1]
	v_cmp_lt_f32_e64 s[58:59], |v113|, s58
	v_sub_f32_e32 v103, v116, v130
	v_pk_add_f32 v[114:115], v[114:115], v[130:131] neg_lo:[0,1] neg_hi:[0,1]
	v_sub_f32_e32 v103, v132, v103
	v_add_f32_e32 v103, v114, v103
	v_add_f32_e32 v103, v103, v115
	;; [unrolled: 1-line block ×3, first 2 shown]
	s_or_b64 s[52:53], s[52:53], s[58:59]
	v_cndmask_b32_e64 v103, v103, v113, s[52:53]
	v_add_f32_e32 v103, v102, v103
.LBB519_355:
	s_or_b64 exec, exec, s[54:55]
	v_bfe_u32 v102, v103, 16, 1
	s_movk_i32 s52, 0x7fff
	v_add3_u32 v102, v103, v102, s52
	v_lshrrev_b32_e32 v102, 16, v102
	v_mov_b32_e32 v113, 0x7fc0
	v_cmp_o_f32_e64 s[52:53], v103, v103
	s_nop 1
	v_cndmask_b32_e64 v103, v113, v102, s[52:53]
.LBB519_356:
	s_or_b64 exec, exec, s[56:57]
	v_and_b32_e32 v102, 0xffff, v103
	v_add_u32_e32 v103, -1, v101
	v_and_b32_e32 v113, 64, v101
	v_cmp_lt_i32_e64 s[52:53], v103, v113
	s_nop 1
	v_cndmask_b32_e64 v103, v103, v101, s[52:53]
	v_lshlrev_b32_e32 v103, 2, v103
	ds_bpermute_b32 v102, v103, v102
	s_and_saveexec_b64 s[52:53], s[2:3]
	s_cbranch_execz .LBB519_360
; %bb.357:
	v_cmp_eq_u32_e64 s[2:3], 0, v101
	s_waitcnt lgkmcnt(0)
	s_nop 0
	v_cndmask_b32_e64 v30, v102, v112, s[2:3]
	v_lshlrev_b32_e32 v98, 16, v30
	v_max_f32_e32 v30, v98, v98
	v_min_f32_e32 v100, v30, v99
	v_cmp_u_f32_e64 s[2:3], v98, v98
	v_max_f32_e32 v30, v30, v99
	s_nop 0
	v_cndmask_b32_e64 v100, v100, v98, s[2:3]
	v_cndmask_b32_e64 v30, v30, v98, s[2:3]
	;; [unrolled: 1-line block ×4, first 2 shown]
	s_movk_i32 s50, 0x1f8
	v_cmp_neq_f32_e64 s[2:3], v100, v30
	v_cmp_class_f32_e64 s[50:51], v100, s50
	s_or_b64 s[2:3], s[2:3], s[50:51]
	s_and_saveexec_b64 s[50:51], s[2:3]
	s_cbranch_execz .LBB519_359
; %bb.358:
	v_sub_f32_e32 v33, v100, v30
	s_mov_b32 s2, 0x3fb8aa3b
	v_mul_f32_e32 v98, 0x3fb8aa3b, v33
	v_fma_f32 v99, v33, s2, -v98
	v_rndne_f32_e32 v100, v98
	v_fmamk_f32 v99, v33, 0x32a5705f, v99
	v_sub_f32_e32 v98, v98, v100
	v_add_f32_e32 v98, v98, v99
	v_exp_f32_e32 v98, v98
	v_cvt_i32_f32_e32 v99, v100
	s_mov_b32 s2, 0xc2ce8ed0
	v_cmp_ngt_f32_e64 s[2:3], s2, v33
	s_mov_b32 s54, 0x7f800000
	v_ldexp_f32 v98, v98, v99
	v_cndmask_b32_e64 v98, 0, v98, s[2:3]
	s_mov_b32 s2, 0x42b17218
	v_mov_b32_e32 v99, 0x7f800000
	v_cmp_nlt_f32_e64 s[2:3], s2, v33
	s_nop 1
	v_cndmask_b32_e64 v130, v99, v98, s[2:3]
	v_add_f32_e32 v33, 1.0, v130
	v_add_f32_e32 v98, -1.0, v33
	v_sub_f32_e32 v99, v98, v33
	v_add_f32_e32 v99, 1.0, v99
	v_sub_f32_e32 v98, v130, v98
	v_add_f32_e32 v100, v98, v99
	v_frexp_mant_f32_e32 v101, v33
	s_mov_b32 s2, 0x3f2aaaab
	v_cvt_f64_f32_e32 v[98:99], v33
	v_frexp_exp_i32_f64_e32 v98, v[98:99]
	v_cmp_gt_f32_e64 s[2:3], s2, v101
	s_nop 1
	v_subbrev_co_u32_e64 v114, s[2:3], 0, v98, s[2:3]
	v_sub_u32_e32 v98, 0, v114
	v_ldexp_f32 v33, v33, v98
	v_ldexp_f32 v98, v100, v98
	v_add_f32_e32 v100, -1.0, v33
	v_add_f32_e32 v99, 1.0, v100
	v_sub_f32_e32 v99, v33, v99
	v_add_f32_e32 v101, v98, v99
	v_add_f32_e32 v99, 1.0, v33
	v_add_f32_e32 v102, -1.0, v99
	v_sub_f32_e32 v33, v33, v102
	v_add_f32_e32 v33, v98, v33
	v_add_f32_e32 v115, v99, v33
	v_rcp_f32_e32 v116, v115
	v_sub_f32_e32 v98, v99, v115
	v_add_f32_e32 v99, v100, v101
	v_add_f32_e32 v33, v33, v98
	v_mul_f32_e32 v118, v99, v116
	v_sub_f32_e32 v98, v100, v99
	v_mul_f32_e32 v100, v115, v118
	v_fma_f32 v102, v118, v115, -v100
	v_fmac_f32_e32 v102, v118, v33
	v_add_f32_e32 v117, v101, v98
	v_add_f32_e32 v98, v100, v102
	v_sub_f32_e32 v101, v99, v98
	v_pk_add_f32 v[112:113], v[98:99], v[100:101] neg_lo:[0,1] neg_hi:[0,1]
	v_mov_b32_e32 v103, v98
	v_pk_add_f32 v[98:99], v[112:113], v[102:103] neg_lo:[0,1] neg_hi:[0,1]
	s_mov_b32 s2, 0x3f317218
	v_add_f32_e32 v99, v117, v99
	v_add_f32_e32 v98, v98, v99
	;; [unrolled: 1-line block ×3, first 2 shown]
	v_mul_f32_e32 v117, v116, v99
	v_mul_f32_e32 v100, v115, v117
	v_fma_f32 v102, v117, v115, -v100
	v_fmac_f32_e32 v102, v117, v33
	v_sub_f32_e32 v33, v101, v99
	v_add_f32_e32 v33, v98, v33
	v_add_f32_e32 v98, v100, v102
	v_sub_f32_e32 v101, v99, v98
	v_pk_add_f32 v[112:113], v[98:99], v[100:101] neg_lo:[0,1] neg_hi:[0,1]
	v_mov_b32_e32 v103, v98
	v_pk_add_f32 v[98:99], v[112:113], v[102:103] neg_lo:[0,1] neg_hi:[0,1]
	v_cvt_f32_i32_e32 v100, v114
	v_add_f32_e32 v33, v33, v99
	v_add_f32_e32 v33, v98, v33
	;; [unrolled: 1-line block ×4, first 2 shown]
	v_sub_f32_e32 v99, v98, v118
	v_mul_f32_e32 v33, v116, v33
	v_sub_f32_e32 v99, v117, v99
	v_add_f32_e32 v33, v99, v33
	v_add_f32_e32 v101, v98, v33
	v_mul_f32_e32 v102, v101, v101
	v_mov_b32_e32 v99, 0x3ecc95a3
	v_fmac_f32_e32 v99, 0x3e9b6dac, v102
	v_sub_f32_e32 v98, v101, v98
	v_fmaak_f32 v99, v102, v99, 0x3f2aaada
	v_sub_f32_e32 v33, v33, v98
	v_ldexp_f32 v103, v101, 1
	v_mul_f32_e32 v101, v101, v102
	v_mov_b32_e32 v98, 0x3f317218
	v_pk_mul_f32 v[98:99], v[100:101], v[98:99]
	v_ldexp_f32 v33, v33, 1
	v_fma_f32 v101, v100, s2, -v98
	v_fmamk_f32 v102, v100, 0xb102e308, v101
	v_pk_add_f32 v[100:101], v[98:99], v[102:103]
	v_mov_b32_e32 v112, v98
	v_sub_f32_e32 v103, v101, v103
	v_sub_f32_e32 v103, v99, v103
	v_add_f32_e32 v113, v33, v103
	v_pk_add_f32 v[98:99], v[100:101], v[98:99] neg_lo:[0,1] neg_hi:[0,1]
	v_pk_add_f32 v[114:115], v[100:101], v[112:113]
	v_mov_b32_e32 v103, v100
	v_mov_b32_e32 v99, v115
	v_pk_add_f32 v[116:117], v[102:103], v[98:99] neg_lo:[0,1] neg_hi:[0,1]
	v_pk_add_f32 v[98:99], v[102:103], v[98:99]
	v_mov_b32_e32 v112, v113
	v_mov_b32_e32 v102, v99
	v_pk_add_f32 v[118:119], v[102:103], v[100:101] neg_lo:[0,1] neg_hi:[0,1]
	v_mov_b32_e32 v98, v115
	v_mov_b32_e32 v33, v118
	v_pk_add_f32 v[128:129], v[114:115], v[32:33] neg_lo:[0,1] neg_hi:[0,1]
	v_mov_b32_e32 v114, v101
	v_mov_b32_e32 v115, v118
	v_mov_b32_e32 v117, v99
	v_pk_add_f32 v[98:99], v[98:99], v[114:115] neg_lo:[0,1] neg_hi:[0,1]
	v_mov_b32_e32 v113, v100
	v_pk_add_f32 v[98:99], v[112:113], v[98:99] neg_lo:[0,1] neg_hi:[0,1]
	v_mov_b32_e32 v128, v116
	v_pk_add_f32 v[100:101], v[128:129], v[98:99]
	v_cmp_eq_f32_e64 s[2:3], s54, v130
	v_mov_b32_e32 v112, v101
	v_pk_add_f32 v[112:113], v[100:101], v[112:113]
	s_mov_b32 s54, 0x33800000
	v_pk_add_f32 v[102:103], v[102:103], v[112:113]
	v_mov_b32_e32 v99, v112
	v_mov_b32_e32 v101, v102
	v_pk_add_f32 v[114:115], v[100:101], v[116:117] neg_lo:[0,1] neg_hi:[0,1]
	v_cmp_lt_f32_e64 s[54:55], |v130|, s54
	v_sub_f32_e32 v33, v100, v114
	v_pk_add_f32 v[98:99], v[98:99], v[114:115] neg_lo:[0,1] neg_hi:[0,1]
	v_sub_f32_e32 v33, v116, v33
	v_add_f32_e32 v33, v98, v33
	v_add_f32_e32 v33, v33, v99
	;; [unrolled: 1-line block ×3, first 2 shown]
	s_or_b64 s[2:3], s[2:3], s[54:55]
	v_cndmask_b32_e64 v33, v33, v130, s[2:3]
	v_add_f32_e32 v98, v30, v33
.LBB519_359:
	s_or_b64 exec, exec, s[50:51]
	v_bfe_u32 v30, v98, 16, 1
	s_movk_i32 s2, 0x7fff
	v_add3_u32 v30, v98, v30, s2
	v_lshrrev_b32_e32 v30, 16, v30
	v_mov_b32_e32 v33, 0x7fc0
	v_cmp_o_f32_e64 s[2:3], v98, v98
	;;#ASMSTART
	;;#ASMEND
	s_nop 1
	v_cndmask_b32_e64 v30, v33, v30, s[2:3]
	v_lshlrev_b32_e32 v33, 16, v30
	v_max_f32_e32 v99, v33, v33
	v_min_f32_e32 v98, v99, v31
	v_max_f32_e32 v100, v99, v31
.LBB519_360:
	s_or_b64 exec, exec, s[52:53]
	v_cmp_u_f32_e64 s[2:3], v33, v33
	s_movk_i32 s50, 0x1f8
	s_nop 0
	v_cndmask_b32_e64 v31, v98, v33, s[2:3]
	v_cndmask_b32_e64 v98, v100, v33, s[2:3]
	v_cndmask_b32_e32 v31, v31, v2, vcc
	v_cndmask_b32_e32 v2, v98, v2, vcc
	v_cmp_neq_f32_e32 vcc, v31, v2
	v_cmp_class_f32_e64 s[2:3], v31, s50
	s_or_b64 vcc, vcc, s[2:3]
	s_and_saveexec_b64 s[2:3], vcc
	s_cbranch_execz .LBB519_362
; %bb.361:
	v_sub_f32_e32 v31, v31, v2
	s_mov_b32 s51, 0x3fb8aa3b
	v_mul_f32_e32 v33, 0x3fb8aa3b, v31
	v_fma_f32 v98, v31, s51, -v33
	v_rndne_f32_e32 v99, v33
	v_fmamk_f32 v98, v31, 0x32a5705f, v98
	v_sub_f32_e32 v33, v33, v99
	v_add_f32_e32 v33, v33, v98
	v_exp_f32_e32 v33, v33
	v_cvt_i32_f32_e32 v98, v99
	s_mov_b32 s51, 0xc2ce8ed0
	v_cmp_ngt_f32_e32 vcc, s51, v31
	s_mov_b32 s51, 0x42b17218
	v_ldexp_f32 v33, v33, v98
	v_cndmask_b32_e32 v33, 0, v33, vcc
	v_mov_b32_e32 v98, 0x7f800000
	v_cmp_nlt_f32_e32 vcc, s51, v31
	s_mov_b32 s51, 0x3f2aaaab
	s_mov_b32 s52, 0x7f800000
	v_cndmask_b32_e32 v33, v98, v33, vcc
	v_add_f32_e32 v31, 1.0, v33
	v_add_f32_e32 v98, -1.0, v31
	v_sub_f32_e32 v99, v98, v31
	v_add_f32_e32 v99, 1.0, v99
	v_sub_f32_e32 v98, v33, v98
	v_add_f32_e32 v100, v98, v99
	v_frexp_mant_f32_e32 v101, v31
	v_cvt_f64_f32_e32 v[98:99], v31
	v_frexp_exp_i32_f64_e32 v98, v[98:99]
	v_cmp_gt_f32_e32 vcc, s51, v101
	s_mov_b32 s51, 0x3f317218
	s_nop 0
	v_subbrev_co_u32_e32 v114, vcc, 0, v98, vcc
	v_sub_u32_e32 v98, 0, v114
	v_ldexp_f32 v31, v31, v98
	v_ldexp_f32 v98, v100, v98
	v_add_f32_e32 v100, -1.0, v31
	v_add_f32_e32 v99, 1.0, v100
	v_sub_f32_e32 v99, v31, v99
	v_add_f32_e32 v101, v98, v99
	v_add_f32_e32 v99, 1.0, v31
	s_waitcnt lgkmcnt(0)
	v_add_f32_e32 v102, -1.0, v99
	v_sub_f32_e32 v31, v31, v102
	v_add_f32_e32 v31, v98, v31
	v_add_f32_e32 v115, v99, v31
	v_rcp_f32_e32 v116, v115
	v_sub_f32_e32 v98, v99, v115
	v_add_f32_e32 v99, v100, v101
	v_add_f32_e32 v31, v31, v98
	v_mul_f32_e32 v118, v99, v116
	v_sub_f32_e32 v98, v100, v99
	v_mul_f32_e32 v100, v115, v118
	v_fma_f32 v102, v118, v115, -v100
	v_fmac_f32_e32 v102, v118, v31
	v_add_f32_e32 v117, v101, v98
	v_add_f32_e32 v98, v100, v102
	v_sub_f32_e32 v101, v99, v98
	v_pk_add_f32 v[112:113], v[98:99], v[100:101] neg_lo:[0,1] neg_hi:[0,1]
	v_mov_b32_e32 v103, v98
	v_pk_add_f32 v[98:99], v[112:113], v[102:103] neg_lo:[0,1] neg_hi:[0,1]
	v_cmp_eq_f32_e32 vcc, s52, v33
	v_add_f32_e32 v99, v117, v99
	v_add_f32_e32 v98, v98, v99
	;; [unrolled: 1-line block ×3, first 2 shown]
	v_mul_f32_e32 v117, v116, v99
	v_mul_f32_e32 v100, v115, v117
	v_fma_f32 v102, v117, v115, -v100
	v_fmac_f32_e32 v102, v117, v31
	v_sub_f32_e32 v31, v101, v99
	v_add_f32_e32 v31, v98, v31
	v_add_f32_e32 v98, v100, v102
	v_sub_f32_e32 v101, v99, v98
	v_pk_add_f32 v[112:113], v[98:99], v[100:101] neg_lo:[0,1] neg_hi:[0,1]
	v_mov_b32_e32 v103, v98
	v_pk_add_f32 v[98:99], v[112:113], v[102:103] neg_lo:[0,1] neg_hi:[0,1]
	v_cvt_f32_i32_e32 v100, v114
	v_add_f32_e32 v31, v31, v99
	v_add_f32_e32 v31, v98, v31
	;; [unrolled: 1-line block ×4, first 2 shown]
	v_sub_f32_e32 v99, v98, v118
	v_mul_f32_e32 v31, v116, v31
	v_sub_f32_e32 v99, v117, v99
	v_add_f32_e32 v31, v99, v31
	v_add_f32_e32 v101, v98, v31
	v_mul_f32_e32 v102, v101, v101
	v_mov_b32_e32 v99, 0x3ecc95a3
	v_fmac_f32_e32 v99, 0x3e9b6dac, v102
	v_sub_f32_e32 v98, v101, v98
	v_fmaak_f32 v99, v102, v99, 0x3f2aaada
	v_sub_f32_e32 v31, v31, v98
	v_ldexp_f32 v103, v101, 1
	v_mul_f32_e32 v101, v101, v102
	v_mov_b32_e32 v98, 0x3f317218
	v_pk_mul_f32 v[98:99], v[100:101], v[98:99]
	v_ldexp_f32 v31, v31, 1
	v_fma_f32 v101, v100, s51, -v98
	v_fmamk_f32 v102, v100, 0xb102e308, v101
	v_pk_add_f32 v[100:101], v[98:99], v[102:103]
	v_mov_b32_e32 v112, v98
	v_sub_f32_e32 v103, v101, v103
	v_sub_f32_e32 v103, v99, v103
	v_add_f32_e32 v113, v31, v103
	v_pk_add_f32 v[98:99], v[100:101], v[98:99] neg_lo:[0,1] neg_hi:[0,1]
	v_pk_add_f32 v[114:115], v[100:101], v[112:113]
	v_mov_b32_e32 v103, v100
	v_mov_b32_e32 v99, v115
	v_pk_add_f32 v[116:117], v[102:103], v[98:99] neg_lo:[0,1] neg_hi:[0,1]
	v_pk_add_f32 v[98:99], v[102:103], v[98:99]
	v_mov_b32_e32 v112, v113
	v_mov_b32_e32 v102, v99
	v_pk_add_f32 v[118:119], v[102:103], v[100:101] neg_lo:[0,1] neg_hi:[0,1]
	v_mov_b32_e32 v98, v115
	v_mov_b32_e32 v31, v118
	v_pk_add_f32 v[128:129], v[114:115], v[30:31] neg_lo:[0,1] neg_hi:[0,1]
	v_mov_b32_e32 v114, v101
	v_mov_b32_e32 v115, v118
	;; [unrolled: 1-line block ×3, first 2 shown]
	v_pk_add_f32 v[98:99], v[98:99], v[114:115] neg_lo:[0,1] neg_hi:[0,1]
	v_mov_b32_e32 v113, v100
	v_pk_add_f32 v[98:99], v[112:113], v[98:99] neg_lo:[0,1] neg_hi:[0,1]
	v_mov_b32_e32 v128, v116
	v_pk_add_f32 v[100:101], v[128:129], v[98:99]
	s_mov_b32 s51, 0x33800000
	v_mov_b32_e32 v112, v101
	v_pk_add_f32 v[112:113], v[100:101], v[112:113]
	v_cmp_lt_f32_e64 s[52:53], |v33|, s51
	v_pk_add_f32 v[102:103], v[102:103], v[112:113]
	v_mov_b32_e32 v99, v112
	v_mov_b32_e32 v101, v102
	v_pk_add_f32 v[114:115], v[100:101], v[116:117] neg_lo:[0,1] neg_hi:[0,1]
	s_or_b64 vcc, vcc, s[52:53]
	v_sub_f32_e32 v31, v100, v114
	v_pk_add_f32 v[98:99], v[98:99], v[114:115] neg_lo:[0,1] neg_hi:[0,1]
	v_sub_f32_e32 v31, v116, v31
	v_add_f32_e32 v31, v98, v31
	v_add_f32_e32 v31, v31, v99
	;; [unrolled: 1-line block ×3, first 2 shown]
	v_cndmask_b32_e32 v31, v31, v33, vcc
	v_add_f32_e32 v33, v2, v31
.LBB519_362:
	s_or_b64 exec, exec, s[2:3]
	v_bfe_u32 v2, v33, 16, 1
	s_movk_i32 s51, 0x7fff
	v_add3_u32 v2, v33, v2, s51
	v_lshrrev_b32_e32 v31, 16, v2
	v_mov_b32_e32 v2, 0x7fc0
	v_cmp_o_f32_e32 vcc, v33, v33
	s_nop 1
	v_cndmask_b32_e32 v31, v2, v31, vcc
	v_lshlrev_b32_e32 v33, 16, v31
	v_max_f32_e32 v99, v33, v33
	v_min_f32_e32 v98, v99, v24
	v_cmp_u_f32_e32 vcc, v33, v33
	v_max_f32_e32 v24, v99, v24
	s_nop 0
	v_cndmask_b32_e32 v98, v98, v33, vcc
	v_cndmask_b32_e32 v24, v24, v33, vcc
	v_cndmask_b32_e64 v98, v98, v3, s[4:5]
	v_cndmask_b32_e64 v3, v24, v3, s[4:5]
	v_cmp_neq_f32_e32 vcc, v98, v3
	v_cmp_class_f32_e64 s[2:3], v98, s50
	s_or_b64 s[4:5], vcc, s[2:3]
	s_and_saveexec_b64 s[2:3], s[4:5]
	s_cbranch_execz .LBB519_364
; %bb.363:
	v_sub_f32_e32 v24, v98, v3
	s_mov_b32 s4, 0x3fb8aa3b
	v_mul_f32_e32 v33, 0x3fb8aa3b, v24
	v_fma_f32 v98, v24, s4, -v33
	v_rndne_f32_e32 v99, v33
	v_fmamk_f32 v98, v24, 0x32a5705f, v98
	v_sub_f32_e32 v33, v33, v99
	v_add_f32_e32 v33, v33, v98
	v_exp_f32_e32 v33, v33
	v_cvt_i32_f32_e32 v98, v99
	s_mov_b32 s4, 0xc2ce8ed0
	v_cmp_ngt_f32_e32 vcc, s4, v24
	s_mov_b32 s4, 0x42b17218
	v_ldexp_f32 v33, v33, v98
	v_cndmask_b32_e32 v33, 0, v33, vcc
	v_mov_b32_e32 v98, 0x7f800000
	v_cmp_nlt_f32_e32 vcc, s4, v24
	s_mov_b32 s4, 0x3f2aaaab
	s_mov_b32 s5, 0x7f800000
	v_cndmask_b32_e32 v128, v98, v33, vcc
	v_add_f32_e32 v24, 1.0, v128
	v_add_f32_e32 v33, -1.0, v24
	v_sub_f32_e32 v98, v33, v24
	v_add_f32_e32 v98, 1.0, v98
	v_sub_f32_e32 v33, v128, v33
	v_add_f32_e32 v33, v33, v98
	v_frexp_mant_f32_e32 v100, v24
	v_cvt_f64_f32_e32 v[98:99], v24
	v_frexp_exp_i32_f64_e32 v98, v[98:99]
	v_cmp_gt_f32_e32 vcc, s4, v100
	s_mov_b32 s4, 0x3f317218
	s_nop 0
	v_subbrev_co_u32_e32 v114, vcc, 0, v98, vcc
	v_sub_u32_e32 v98, 0, v114
	v_ldexp_f32 v24, v24, v98
	v_ldexp_f32 v33, v33, v98
	v_add_f32_e32 v98, -1.0, v24
	v_add_f32_e32 v99, 1.0, v98
	v_sub_f32_e32 v99, v24, v99
	v_add_f32_e32 v100, v33, v99
	v_add_f32_e32 v99, 1.0, v24
	v_add_f32_e32 v101, -1.0, v99
	v_sub_f32_e32 v24, v24, v101
	v_add_f32_e32 v24, v33, v24
	v_add_f32_e32 v33, v99, v24
	v_rcp_f32_e32 v115, v33
	v_sub_f32_e32 v99, v99, v33
	v_add_f32_e32 v24, v24, v99
	v_add_f32_e32 v99, v98, v100
	v_sub_f32_e32 v98, v98, v99
	v_mul_f32_e32 v117, v99, v115
	v_add_f32_e32 v116, v100, v98
	v_mul_f32_e32 v100, v33, v117
	s_waitcnt lgkmcnt(0)
	v_fma_f32 v102, v117, v33, -v100
	v_fmac_f32_e32 v102, v117, v24
	v_add_f32_e32 v98, v100, v102
	v_sub_f32_e32 v101, v99, v98
	v_pk_add_f32 v[112:113], v[98:99], v[100:101] neg_lo:[0,1] neg_hi:[0,1]
	v_mov_b32_e32 v103, v98
	v_pk_add_f32 v[98:99], v[112:113], v[102:103] neg_lo:[0,1] neg_hi:[0,1]
	v_cmp_eq_f32_e32 vcc, s5, v128
	v_add_f32_e32 v99, v116, v99
	v_add_f32_e32 v98, v98, v99
	;; [unrolled: 1-line block ×3, first 2 shown]
	v_mul_f32_e32 v116, v115, v99
	v_mul_f32_e32 v100, v33, v116
	v_fma_f32 v102, v116, v33, -v100
	v_fmac_f32_e32 v102, v116, v24
	v_sub_f32_e32 v24, v101, v99
	v_add_f32_e32 v24, v98, v24
	v_add_f32_e32 v98, v100, v102
	v_sub_f32_e32 v101, v99, v98
	v_pk_add_f32 v[112:113], v[98:99], v[100:101] neg_lo:[0,1] neg_hi:[0,1]
	v_mov_b32_e32 v103, v98
	v_pk_add_f32 v[98:99], v[112:113], v[102:103] neg_lo:[0,1] neg_hi:[0,1]
	v_add_f32_e32 v33, v117, v116
	v_add_f32_e32 v24, v24, v99
	;; [unrolled: 1-line block ×4, first 2 shown]
	v_sub_f32_e32 v98, v33, v117
	v_mul_f32_e32 v24, v115, v24
	v_sub_f32_e32 v98, v116, v98
	v_add_f32_e32 v24, v98, v24
	v_add_f32_e32 v98, v33, v24
	v_cvt_f32_i32_e32 v100, v114
	v_mul_f32_e32 v101, v98, v98
	v_mov_b32_e32 v99, 0x3ecc95a3
	v_fmac_f32_e32 v99, 0x3e9b6dac, v101
	v_fmaak_f32 v99, v101, v99, 0x3f2aaada
	v_sub_f32_e32 v33, v98, v33
	v_ldexp_f32 v103, v98, 1
	v_mul_f32_e32 v101, v98, v101
	v_mov_b32_e32 v98, 0x3f317218
	v_pk_mul_f32 v[98:99], v[100:101], v[98:99]
	v_sub_f32_e32 v24, v24, v33
	v_fma_f32 v33, v100, s4, -v98
	v_fmamk_f32 v102, v100, 0xb102e308, v33
	v_pk_add_f32 v[100:101], v[98:99], v[102:103]
	v_ldexp_f32 v24, v24, 1
	v_sub_f32_e32 v33, v101, v103
	v_sub_f32_e32 v33, v99, v33
	v_add_f32_e32 v113, v24, v33
	v_mov_b32_e32 v112, v98
	v_pk_add_f32 v[98:99], v[100:101], v[98:99] neg_lo:[0,1] neg_hi:[0,1]
	v_pk_add_f32 v[114:115], v[100:101], v[112:113]
	v_mov_b32_e32 v103, v100
	v_mov_b32_e32 v99, v115
	v_pk_add_f32 v[116:117], v[102:103], v[98:99] neg_lo:[0,1] neg_hi:[0,1]
	v_pk_add_f32 v[98:99], v[102:103], v[98:99]
	s_mov_b32 s4, 0x33800000
	v_mov_b32_e32 v24, v99
	v_pk_add_f32 v[102:103], v[24:25], v[100:101] neg_lo:[0,1] neg_hi:[0,1]
	v_mov_b32_e32 v98, v115
	v_mov_b32_e32 v33, v102
	v_pk_add_f32 v[118:119], v[114:115], v[32:33] neg_lo:[0,1] neg_hi:[0,1]
	v_mov_b32_e32 v114, v101
	v_mov_b32_e32 v115, v102
	;; [unrolled: 1-line block ×3, first 2 shown]
	v_pk_add_f32 v[98:99], v[98:99], v[114:115] neg_lo:[0,1] neg_hi:[0,1]
	v_mov_b32_e32 v102, v113
	v_mov_b32_e32 v103, v100
	v_pk_add_f32 v[98:99], v[102:103], v[98:99] neg_lo:[0,1] neg_hi:[0,1]
	v_mov_b32_e32 v118, v116
	v_pk_add_f32 v[100:101], v[118:119], v[98:99]
	v_cmp_lt_f32_e64 s[4:5], |v128|, s4
	v_mov_b32_e32 v102, v101
	v_pk_add_f32 v[102:103], v[100:101], v[102:103]
	s_or_b64 vcc, vcc, s[4:5]
	v_pk_add_f32 v[112:113], v[24:25], v[102:103]
	v_mov_b32_e32 v99, v102
	v_mov_b32_e32 v101, v112
	v_pk_add_f32 v[114:115], v[100:101], v[116:117] neg_lo:[0,1] neg_hi:[0,1]
	s_nop 0
	v_sub_f32_e32 v24, v100, v114
	v_pk_add_f32 v[98:99], v[98:99], v[114:115] neg_lo:[0,1] neg_hi:[0,1]
	v_sub_f32_e32 v24, v116, v24
	v_add_f32_e32 v24, v98, v24
	v_add_f32_e32 v24, v24, v99
	;; [unrolled: 1-line block ×3, first 2 shown]
	v_cndmask_b32_e32 v24, v24, v128, vcc
	v_add_f32_e32 v33, v3, v24
.LBB519_364:
	s_or_b64 exec, exec, s[2:3]
	v_bfe_u32 v3, v33, 16, 1
	v_add3_u32 v3, v33, v3, s51
	v_lshrrev_b32_e32 v3, 16, v3
	v_cmp_o_f32_e32 vcc, v33, v33
	s_movk_i32 s4, 0x1f8
	s_nop 0
	v_cndmask_b32_e32 v33, v2, v3, vcc
	v_lshlrev_b32_e32 v3, 16, v33
	v_max_f32_e32 v2, v3, v3
	v_min_f32_e32 v24, v2, v36
	v_cmp_u_f32_e32 vcc, v3, v3
	v_max_f32_e32 v2, v2, v36
	s_nop 0
	v_cndmask_b32_e32 v24, v24, v3, vcc
	v_cndmask_b32_e32 v2, v2, v3, vcc
	v_cndmask_b32_e64 v24, v24, v6, s[6:7]
	v_cndmask_b32_e64 v2, v2, v6, s[6:7]
	v_cmp_neq_f32_e32 vcc, v24, v2
	v_cmp_class_f32_e64 s[2:3], v24, s4
	s_or_b64 s[6:7], vcc, s[2:3]
	s_and_saveexec_b64 s[2:3], s[6:7]
	s_cbranch_execz .LBB519_366
; %bb.365:
	v_sub_f32_e32 v3, v24, v2
	s_mov_b32 s5, 0x3fb8aa3b
	v_mul_f32_e32 v6, 0x3fb8aa3b, v3
	v_fma_f32 v24, v3, s5, -v6
	v_rndne_f32_e32 v36, v6
	v_fmamk_f32 v24, v3, 0x32a5705f, v24
	v_sub_f32_e32 v6, v6, v36
	v_add_f32_e32 v6, v6, v24
	v_exp_f32_e32 v6, v6
	v_cvt_i32_f32_e32 v24, v36
	s_mov_b32 s5, 0xc2ce8ed0
	v_cmp_ngt_f32_e32 vcc, s5, v3
	s_mov_b32 s5, 0x42b17218
	v_ldexp_f32 v6, v6, v24
	v_cndmask_b32_e32 v6, 0, v6, vcc
	v_mov_b32_e32 v24, 0x7f800000
	v_cmp_nlt_f32_e32 vcc, s5, v3
	s_mov_b32 s5, 0x3f2aaaab
	s_mov_b32 s6, 0x7f800000
	v_cndmask_b32_e32 v36, v24, v6, vcc
	v_add_f32_e32 v3, 1.0, v36
	v_add_f32_e32 v6, -1.0, v3
	v_sub_f32_e32 v24, v6, v3
	v_add_f32_e32 v24, 1.0, v24
	v_sub_f32_e32 v6, v36, v6
	v_add_f32_e32 v6, v6, v24
	v_frexp_mant_f32_e32 v24, v3
	v_cvt_f64_f32_e32 v[98:99], v3
	v_frexp_exp_i32_f64_e32 v98, v[98:99]
	v_cmp_gt_f32_e32 vcc, s5, v24
	s_mov_b32 s5, 0x3f317218
	s_nop 0
	v_subbrev_co_u32_e32 v24, vcc, 0, v98, vcc
	v_sub_u32_e32 v98, 0, v24
	v_ldexp_f32 v3, v3, v98
	v_ldexp_f32 v6, v6, v98
	v_add_f32_e32 v98, -1.0, v3
	v_add_f32_e32 v99, 1.0, v98
	v_sub_f32_e32 v99, v3, v99
	v_add_f32_e32 v100, v6, v99
	v_add_f32_e32 v99, 1.0, v3
	v_add_f32_e32 v101, -1.0, v99
	v_sub_f32_e32 v3, v3, v101
	v_add_f32_e32 v3, v6, v3
	v_add_f32_e32 v6, v99, v3
	v_rcp_f32_e32 v114, v6
	v_sub_f32_e32 v99, v99, v6
	v_add_f32_e32 v3, v3, v99
	v_add_f32_e32 v99, v98, v100
	v_sub_f32_e32 v98, v98, v99
	v_mul_f32_e32 v116, v99, v114
	v_add_f32_e32 v115, v100, v98
	v_mul_f32_e32 v100, v6, v116
	s_waitcnt lgkmcnt(0)
	v_fma_f32 v102, v116, v6, -v100
	v_fmac_f32_e32 v102, v116, v3
	v_add_f32_e32 v98, v100, v102
	v_sub_f32_e32 v101, v99, v98
	v_pk_add_f32 v[112:113], v[98:99], v[100:101] neg_lo:[0,1] neg_hi:[0,1]
	v_mov_b32_e32 v103, v98
	v_pk_add_f32 v[98:99], v[112:113], v[102:103] neg_lo:[0,1] neg_hi:[0,1]
	v_cmp_eq_f32_e32 vcc, s6, v36
	v_add_f32_e32 v99, v115, v99
	v_add_f32_e32 v98, v98, v99
	;; [unrolled: 1-line block ×3, first 2 shown]
	v_mul_f32_e32 v115, v114, v99
	v_mul_f32_e32 v100, v6, v115
	v_fma_f32 v102, v115, v6, -v100
	v_fmac_f32_e32 v102, v115, v3
	v_sub_f32_e32 v3, v101, v99
	v_add_f32_e32 v3, v98, v3
	v_add_f32_e32 v98, v100, v102
	v_sub_f32_e32 v101, v99, v98
	v_pk_add_f32 v[112:113], v[98:99], v[100:101] neg_lo:[0,1] neg_hi:[0,1]
	v_mov_b32_e32 v103, v98
	v_pk_add_f32 v[98:99], v[112:113], v[102:103] neg_lo:[0,1] neg_hi:[0,1]
	v_add_f32_e32 v6, v116, v115
	v_add_f32_e32 v3, v3, v99
	;; [unrolled: 1-line block ×4, first 2 shown]
	v_sub_f32_e32 v98, v6, v116
	v_mul_f32_e32 v3, v114, v3
	v_sub_f32_e32 v98, v115, v98
	v_add_f32_e32 v3, v98, v3
	v_add_f32_e32 v98, v6, v3
	v_cvt_f32_i32_e32 v100, v24
	v_mul_f32_e32 v101, v98, v98
	v_mov_b32_e32 v99, 0x3ecc95a3
	v_fmac_f32_e32 v99, 0x3e9b6dac, v101
	v_fmaak_f32 v99, v101, v99, 0x3f2aaada
	v_sub_f32_e32 v6, v98, v6
	v_ldexp_f32 v103, v98, 1
	v_mul_f32_e32 v101, v98, v101
	v_mov_b32_e32 v98, 0x3f317218
	v_pk_mul_f32 v[98:99], v[100:101], v[98:99]
	v_sub_f32_e32 v3, v3, v6
	v_fma_f32 v6, v100, s5, -v98
	v_fmamk_f32 v102, v100, 0xb102e308, v6
	v_pk_add_f32 v[100:101], v[98:99], v[102:103]
	v_ldexp_f32 v3, v3, 1
	v_sub_f32_e32 v6, v101, v103
	v_sub_f32_e32 v6, v99, v6
	v_add_f32_e32 v113, v3, v6
	v_mov_b32_e32 v112, v98
	v_pk_add_f32 v[98:99], v[100:101], v[98:99] neg_lo:[0,1] neg_hi:[0,1]
	v_pk_add_f32 v[114:115], v[100:101], v[112:113]
	v_mov_b32_e32 v103, v100
	v_mov_b32_e32 v99, v115
	v_pk_add_f32 v[116:117], v[102:103], v[98:99] neg_lo:[0,1] neg_hi:[0,1]
	v_pk_add_f32 v[98:99], v[102:103], v[98:99]
	s_mov_b32 s5, 0x33800000
	v_mov_b32_e32 v6, v99
	v_pk_add_f32 v[102:103], v[6:7], v[100:101] neg_lo:[0,1] neg_hi:[0,1]
	v_mov_b32_e32 v98, v115
	v_mov_b32_e32 v3, v102
	v_pk_add_f32 v[118:119], v[114:115], v[2:3] neg_lo:[0,1] neg_hi:[0,1]
	v_mov_b32_e32 v114, v101
	v_mov_b32_e32 v115, v102
	v_mov_b32_e32 v117, v99
	v_pk_add_f32 v[98:99], v[98:99], v[114:115] neg_lo:[0,1] neg_hi:[0,1]
	v_mov_b32_e32 v102, v113
	v_mov_b32_e32 v103, v100
	v_pk_add_f32 v[98:99], v[102:103], v[98:99] neg_lo:[0,1] neg_hi:[0,1]
	v_mov_b32_e32 v118, v116
	v_pk_add_f32 v[100:101], v[118:119], v[98:99]
	v_cmp_lt_f32_e64 s[6:7], |v36|, s5
	v_mov_b32_e32 v24, v101
	v_pk_add_f32 v[102:103], v[100:101], v[24:25]
	s_or_b64 vcc, vcc, s[6:7]
	v_pk_add_f32 v[112:113], v[6:7], v[102:103]
	v_mov_b32_e32 v99, v102
	v_mov_b32_e32 v101, v112
	v_pk_add_f32 v[114:115], v[100:101], v[116:117] neg_lo:[0,1] neg_hi:[0,1]
	s_nop 0
	v_sub_f32_e32 v3, v100, v114
	v_pk_add_f32 v[98:99], v[98:99], v[114:115] neg_lo:[0,1] neg_hi:[0,1]
	v_sub_f32_e32 v3, v116, v3
	v_add_f32_e32 v3, v98, v3
	v_add_f32_e32 v3, v3, v99
	v_add_f32_e32 v3, v112, v3
	v_cndmask_b32_e32 v3, v3, v36, vcc
	v_add_f32_e32 v3, v2, v3
.LBB519_366:
	s_or_b64 exec, exec, s[2:3]
	v_bfe_u32 v2, v3, 16, 1
	s_movk_i32 s5, 0x7fff
	v_add3_u32 v2, v3, v2, s5
	v_lshrrev_b32_e32 v6, 16, v2
	v_mov_b32_e32 v2, 0x7fc0
	v_cmp_o_f32_e32 vcc, v3, v3
	s_nop 1
	v_cndmask_b32_e32 v36, v2, v6, vcc
	v_lshlrev_b32_e32 v6, 16, v36
	v_max_f32_e32 v3, v6, v6
	v_min_f32_e32 v24, v3, v37
	v_cmp_u_f32_e32 vcc, v6, v6
	v_max_f32_e32 v3, v3, v37
	s_nop 0
	v_cndmask_b32_e32 v24, v24, v6, vcc
	v_cndmask_b32_e32 v3, v3, v6, vcc
	v_cndmask_b32_e64 v24, v24, v7, s[8:9]
	v_cndmask_b32_e64 v3, v3, v7, s[8:9]
	v_cmp_neq_f32_e32 vcc, v24, v3
	v_cmp_class_f32_e64 s[2:3], v24, s4
	s_or_b64 s[6:7], vcc, s[2:3]
	s_and_saveexec_b64 s[2:3], s[6:7]
	s_cbranch_execz .LBB519_368
; %bb.367:
	v_sub_f32_e32 v6, v24, v3
	s_mov_b32 s4, 0x3fb8aa3b
	v_mul_f32_e32 v7, 0x3fb8aa3b, v6
	v_fma_f32 v24, v6, s4, -v7
	v_rndne_f32_e32 v37, v7
	v_fmamk_f32 v24, v6, 0x32a5705f, v24
	v_sub_f32_e32 v7, v7, v37
	v_add_f32_e32 v7, v7, v24
	v_exp_f32_e32 v7, v7
	v_cvt_i32_f32_e32 v24, v37
	s_mov_b32 s4, 0xc2ce8ed0
	v_cmp_ngt_f32_e32 vcc, s4, v6
	s_mov_b32 s4, 0x42b17218
	v_ldexp_f32 v7, v7, v24
	v_cndmask_b32_e32 v7, 0, v7, vcc
	v_mov_b32_e32 v24, 0x7f800000
	v_cmp_nlt_f32_e32 vcc, s4, v6
	s_mov_b32 s4, 0x3f2aaaab
	s_mov_b32 s6, 0x7f800000
	v_cndmask_b32_e32 v118, v24, v7, vcc
	v_add_f32_e32 v24, 1.0, v118
	v_add_f32_e32 v6, -1.0, v24
	v_sub_f32_e32 v7, v6, v24
	v_add_f32_e32 v7, 1.0, v7
	v_sub_f32_e32 v6, v118, v6
	v_add_f32_e32 v37, v6, v7
	v_frexp_mant_f32_e32 v98, v24
	v_cvt_f64_f32_e32 v[6:7], v24
	v_frexp_exp_i32_f64_e32 v6, v[6:7]
	v_cmp_gt_f32_e32 vcc, s4, v98
	s_mov_b32 s4, 0x3f317218
	s_nop 0
	v_subbrev_co_u32_e32 v112, vcc, 0, v6, vcc
	v_sub_u32_e32 v6, 0, v112
	v_ldexp_f32 v7, v24, v6
	v_add_f32_e32 v24, -1.0, v7
	v_add_f32_e32 v98, 1.0, v7
	v_ldexp_f32 v6, v37, v6
	v_add_f32_e32 v37, 1.0, v24
	v_add_f32_e32 v99, -1.0, v98
	v_sub_f32_e32 v37, v7, v37
	v_sub_f32_e32 v7, v7, v99
	v_add_f32_e32 v37, v6, v37
	v_add_f32_e32 v6, v6, v7
	;; [unrolled: 1-line block ×3, first 2 shown]
	v_rcp_f32_e32 v115, v113
	v_sub_f32_e32 v7, v98, v113
	v_add_f32_e32 v114, v6, v7
	v_add_f32_e32 v7, v24, v37
	v_sub_f32_e32 v6, v24, v7
	v_add_f32_e32 v24, v37, v6
	v_mul_f32_e32 v37, v7, v115
	v_mul_f32_e32 v98, v113, v37
	v_fma_f32 v100, v37, v113, -v98
	v_fmac_f32_e32 v100, v37, v114
	v_add_f32_e32 v6, v98, v100
	v_sub_f32_e32 v99, v7, v6
	s_waitcnt lgkmcnt(0)
	v_pk_add_f32 v[102:103], v[6:7], v[98:99] neg_lo:[0,1] neg_hi:[0,1]
	v_mov_b32_e32 v101, v6
	v_pk_add_f32 v[6:7], v[102:103], v[100:101] neg_lo:[0,1] neg_hi:[0,1]
	v_cmp_eq_f32_e32 vcc, s6, v118
	v_add_f32_e32 v7, v24, v7
	v_add_f32_e32 v6, v6, v7
	;; [unrolled: 1-line block ×3, first 2 shown]
	v_mul_f32_e32 v24, v115, v7
	v_mul_f32_e32 v98, v113, v24
	v_fma_f32 v100, v24, v113, -v98
	v_fmac_f32_e32 v100, v24, v114
	v_sub_f32_e32 v99, v99, v7
	v_add_f32_e32 v113, v6, v99
	v_add_f32_e32 v6, v98, v100
	v_sub_f32_e32 v99, v7, v6
	v_pk_add_f32 v[102:103], v[6:7], v[98:99] neg_lo:[0,1] neg_hi:[0,1]
	v_mov_b32_e32 v101, v6
	v_pk_add_f32 v[6:7], v[102:103], v[100:101] neg_lo:[0,1] neg_hi:[0,1]
	v_cvt_f32_i32_e32 v98, v112
	v_add_f32_e32 v7, v113, v7
	v_add_f32_e32 v6, v6, v7
	;; [unrolled: 1-line block ×4, first 2 shown]
	v_sub_f32_e32 v7, v99, v37
	v_mul_f32_e32 v6, v115, v6
	v_sub_f32_e32 v7, v24, v7
	v_add_f32_e32 v6, v7, v6
	v_add_f32_e32 v24, v99, v6
	v_mul_f32_e32 v37, v24, v24
	v_mov_b32_e32 v7, 0x3ecc95a3
	v_sub_f32_e32 v99, v24, v99
	v_fmac_f32_e32 v7, 0x3e9b6dac, v37
	v_sub_f32_e32 v6, v6, v99
	v_fmaak_f32 v7, v37, v7, 0x3f2aaada
	v_ldexp_f32 v102, v6, 1
	v_mul_f32_e32 v99, v24, v37
	v_mov_b32_e32 v6, 0x3f317218
	v_pk_mul_f32 v[6:7], v[98:99], v[6:7]
	v_ldexp_f32 v101, v24, 1
	v_fma_f32 v24, v98, s4, -v6
	v_fmamk_f32 v100, v98, 0xb102e308, v24
	v_pk_add_f32 v[98:99], v[6:7], v[100:101]
	s_mov_b32 s4, 0x33800000
	v_sub_f32_e32 v24, v99, v101
	v_sub_f32_e32 v24, v7, v24
	v_add_f32_e32 v103, v102, v24
	v_mov_b32_e32 v102, v6
	v_pk_add_f32 v[6:7], v[98:99], v[6:7] neg_lo:[0,1] neg_hi:[0,1]
	v_pk_add_f32 v[112:113], v[98:99], v[102:103]
	v_mov_b32_e32 v101, v98
	v_mov_b32_e32 v7, v113
	v_pk_add_f32 v[114:115], v[100:101], v[6:7] neg_lo:[0,1] neg_hi:[0,1]
	v_pk_add_f32 v[6:7], v[100:101], v[6:7]
	v_cmp_lt_f32_e64 s[6:7], |v118|, s4
	v_mov_b32_e32 v24, v7
	v_pk_add_f32 v[100:101], v[24:25], v[98:99] neg_lo:[0,1] neg_hi:[0,1]
	v_mov_b32_e32 v6, v113
	v_mov_b32_e32 v37, v100
	v_pk_add_f32 v[116:117], v[112:113], v[36:37] neg_lo:[0,1] neg_hi:[0,1]
	v_mov_b32_e32 v112, v99
	v_mov_b32_e32 v113, v100
	v_mov_b32_e32 v115, v7
	v_pk_add_f32 v[6:7], v[6:7], v[112:113] neg_lo:[0,1] neg_hi:[0,1]
	v_mov_b32_e32 v100, v103
	v_mov_b32_e32 v101, v98
	v_pk_add_f32 v[6:7], v[100:101], v[6:7] neg_lo:[0,1] neg_hi:[0,1]
	v_mov_b32_e32 v116, v114
	v_pk_add_f32 v[98:99], v[116:117], v[6:7]
	s_or_b64 vcc, vcc, s[6:7]
	v_mov_b32_e32 v100, v99
	v_pk_add_f32 v[100:101], v[98:99], v[100:101]
	s_nop 0
	v_pk_add_f32 v[102:103], v[24:25], v[100:101]
	v_mov_b32_e32 v7, v100
	v_mov_b32_e32 v99, v102
	v_pk_add_f32 v[112:113], v[98:99], v[114:115] neg_lo:[0,1] neg_hi:[0,1]
	s_nop 0
	v_sub_f32_e32 v24, v98, v112
	v_pk_add_f32 v[6:7], v[6:7], v[112:113] neg_lo:[0,1] neg_hi:[0,1]
	v_sub_f32_e32 v24, v114, v24
	v_add_f32_e32 v6, v6, v24
	v_add_f32_e32 v6, v6, v7
	;; [unrolled: 1-line block ×3, first 2 shown]
	v_cndmask_b32_e32 v6, v6, v118, vcc
	v_add_f32_e32 v6, v3, v6
.LBB519_368:
	s_or_b64 exec, exec, s[2:3]
	v_bfe_u32 v3, v6, 16, 1
	v_add3_u32 v3, v6, v3, s5
	v_lshrrev_b32_e32 v3, 16, v3
	v_cmp_o_f32_e32 vcc, v6, v6
	s_movk_i32 s4, 0x1f8
	s_nop 0
	v_cndmask_b32_e32 v37, v2, v3, vcc
	v_lshlrev_b32_e32 v3, 16, v37
	v_max_f32_e32 v2, v3, v3
	v_min_f32_e32 v6, v2, v38
	v_cmp_u_f32_e32 vcc, v3, v3
	v_max_f32_e32 v2, v2, v38
	s_nop 0
	v_cndmask_b32_e32 v6, v6, v3, vcc
	v_cndmask_b32_e32 v2, v2, v3, vcc
	v_cndmask_b32_e64 v6, v6, v25, s[10:11]
	v_cndmask_b32_e64 v2, v2, v25, s[10:11]
	v_cmp_neq_f32_e32 vcc, v6, v2
	v_cmp_class_f32_e64 s[2:3], v6, s4
	s_or_b64 s[6:7], vcc, s[2:3]
	s_and_saveexec_b64 s[2:3], s[6:7]
	s_cbranch_execz .LBB519_370
; %bb.369:
	v_sub_f32_e32 v3, v6, v2
	s_mov_b32 s5, 0x3fb8aa3b
	v_mul_f32_e32 v6, 0x3fb8aa3b, v3
	v_fma_f32 v7, v3, s5, -v6
	v_rndne_f32_e32 v24, v6
	v_fmamk_f32 v7, v3, 0x32a5705f, v7
	v_sub_f32_e32 v6, v6, v24
	v_add_f32_e32 v6, v6, v7
	v_exp_f32_e32 v6, v6
	v_cvt_i32_f32_e32 v7, v24
	s_mov_b32 s5, 0xc2ce8ed0
	v_cmp_ngt_f32_e32 vcc, s5, v3
	s_mov_b32 s5, 0x42b17218
	v_ldexp_f32 v6, v6, v7
	v_cndmask_b32_e32 v6, 0, v6, vcc
	v_mov_b32_e32 v7, 0x7f800000
	v_cmp_nlt_f32_e32 vcc, s5, v3
	s_mov_b32 s5, 0x3f2aaaab
	s_mov_b32 s6, 0x7f800000
	v_cndmask_b32_e32 v116, v7, v6, vcc
	v_add_f32_e32 v3, 1.0, v116
	v_add_f32_e32 v6, -1.0, v3
	v_sub_f32_e32 v7, v6, v3
	v_add_f32_e32 v7, 1.0, v7
	v_sub_f32_e32 v6, v116, v6
	v_add_f32_e32 v24, v6, v7
	v_frexp_mant_f32_e32 v25, v3
	v_cvt_f64_f32_e32 v[6:7], v3
	v_frexp_exp_i32_f64_e32 v6, v[6:7]
	v_cmp_gt_f32_e32 vcc, s5, v25
	s_mov_b32 s5, 0x3f317218
	s_nop 0
	v_subbrev_co_u32_e32 v38, vcc, 0, v6, vcc
	v_sub_u32_e32 v6, 0, v38
	v_ldexp_f32 v3, v3, v6
	v_ldexp_f32 v6, v24, v6
	v_add_f32_e32 v24, -1.0, v3
	v_add_f32_e32 v7, 1.0, v24
	v_sub_f32_e32 v7, v3, v7
	v_add_f32_e32 v25, v6, v7
	v_add_f32_e32 v7, 1.0, v3
	v_add_f32_e32 v98, -1.0, v7
	v_sub_f32_e32 v3, v3, v98
	v_add_f32_e32 v3, v6, v3
	s_waitcnt lgkmcnt(0)
	v_add_f32_e32 v102, v7, v3
	v_rcp_f32_e32 v103, v102
	v_sub_f32_e32 v6, v7, v102
	v_add_f32_e32 v7, v24, v25
	v_add_f32_e32 v3, v3, v6
	v_mul_f32_e32 v113, v7, v103
	v_sub_f32_e32 v6, v24, v7
	v_mul_f32_e32 v24, v102, v113
	v_fma_f32 v98, v113, v102, -v24
	v_fmac_f32_e32 v98, v113, v3
	v_add_f32_e32 v112, v25, v6
	v_add_f32_e32 v6, v24, v98
	v_sub_f32_e32 v25, v7, v6
	v_pk_add_f32 v[100:101], v[6:7], v[24:25] neg_lo:[0,1] neg_hi:[0,1]
	v_mov_b32_e32 v99, v6
	v_pk_add_f32 v[6:7], v[100:101], v[98:99] neg_lo:[0,1] neg_hi:[0,1]
	v_cmp_eq_f32_e32 vcc, s6, v116
	v_add_f32_e32 v7, v112, v7
	v_add_f32_e32 v6, v6, v7
	;; [unrolled: 1-line block ×3, first 2 shown]
	v_mul_f32_e32 v112, v103, v7
	v_mul_f32_e32 v24, v102, v112
	v_fma_f32 v98, v112, v102, -v24
	v_fmac_f32_e32 v98, v112, v3
	v_sub_f32_e32 v3, v25, v7
	v_add_f32_e32 v3, v6, v3
	v_add_f32_e32 v6, v24, v98
	v_sub_f32_e32 v25, v7, v6
	v_pk_add_f32 v[100:101], v[6:7], v[24:25] neg_lo:[0,1] neg_hi:[0,1]
	v_mov_b32_e32 v99, v6
	v_pk_add_f32 v[6:7], v[100:101], v[98:99] neg_lo:[0,1] neg_hi:[0,1]
	v_cvt_f32_i32_e32 v24, v38
	v_add_f32_e32 v3, v3, v7
	v_add_f32_e32 v3, v6, v3
	;; [unrolled: 1-line block ×4, first 2 shown]
	v_sub_f32_e32 v7, v6, v113
	v_mul_f32_e32 v3, v103, v3
	v_sub_f32_e32 v7, v112, v7
	v_add_f32_e32 v3, v7, v3
	v_add_f32_e32 v25, v6, v3
	v_mul_f32_e32 v98, v25, v25
	v_mov_b32_e32 v7, 0x3ecc95a3
	v_fmac_f32_e32 v7, 0x3e9b6dac, v98
	v_sub_f32_e32 v6, v25, v6
	v_fmaak_f32 v7, v98, v7, 0x3f2aaada
	v_sub_f32_e32 v3, v3, v6
	v_ldexp_f32 v99, v25, 1
	v_mul_f32_e32 v25, v25, v98
	v_mov_b32_e32 v6, 0x3f317218
	v_pk_mul_f32 v[6:7], v[24:25], v[6:7]
	v_ldexp_f32 v3, v3, 1
	v_fma_f32 v25, v24, s5, -v6
	v_fmamk_f32 v98, v24, 0xb102e308, v25
	v_pk_add_f32 v[24:25], v[6:7], v[98:99]
	v_mov_b32_e32 v100, v6
	v_sub_f32_e32 v38, v25, v99
	v_sub_f32_e32 v38, v7, v38
	v_add_f32_e32 v101, v3, v38
	v_pk_add_f32 v[6:7], v[24:25], v[6:7] neg_lo:[0,1] neg_hi:[0,1]
	v_pk_add_f32 v[102:103], v[24:25], v[100:101]
	v_mov_b32_e32 v99, v24
	v_mov_b32_e32 v7, v103
	v_pk_add_f32 v[112:113], v[98:99], v[6:7] neg_lo:[0,1] neg_hi:[0,1]
	v_pk_add_f32 v[6:7], v[98:99], v[6:7]
	s_mov_b32 s5, 0x33800000
	v_mov_b32_e32 v38, v7
	v_pk_add_f32 v[98:99], v[38:39], v[24:25] neg_lo:[0,1] neg_hi:[0,1]
	v_mov_b32_e32 v6, v103
	v_mov_b32_e32 v3, v98
	v_pk_add_f32 v[114:115], v[102:103], v[2:3] neg_lo:[0,1] neg_hi:[0,1]
	v_mov_b32_e32 v102, v25
	v_mov_b32_e32 v103, v98
	;; [unrolled: 1-line block ×3, first 2 shown]
	v_pk_add_f32 v[6:7], v[6:7], v[102:103] neg_lo:[0,1] neg_hi:[0,1]
	v_mov_b32_e32 v98, v101
	v_mov_b32_e32 v99, v24
	v_pk_add_f32 v[6:7], v[98:99], v[6:7] neg_lo:[0,1] neg_hi:[0,1]
	v_mov_b32_e32 v114, v112
	v_pk_add_f32 v[24:25], v[114:115], v[6:7]
	v_cmp_lt_f32_e64 s[6:7], |v116|, s5
	v_mov_b32_e32 v98, v25
	v_pk_add_f32 v[98:99], v[24:25], v[98:99]
	s_or_b64 vcc, vcc, s[6:7]
	v_pk_add_f32 v[100:101], v[38:39], v[98:99]
	v_mov_b32_e32 v7, v98
	v_mov_b32_e32 v25, v100
	v_pk_add_f32 v[102:103], v[24:25], v[112:113] neg_lo:[0,1] neg_hi:[0,1]
	s_nop 0
	v_sub_f32_e32 v3, v24, v102
	v_pk_add_f32 v[6:7], v[6:7], v[102:103] neg_lo:[0,1] neg_hi:[0,1]
	v_sub_f32_e32 v3, v112, v3
	v_add_f32_e32 v3, v6, v3
	v_add_f32_e32 v3, v3, v7
	;; [unrolled: 1-line block ×3, first 2 shown]
	v_cndmask_b32_e32 v3, v3, v116, vcc
	v_add_f32_e32 v3, v2, v3
.LBB519_370:
	s_or_b64 exec, exec, s[2:3]
	v_bfe_u32 v2, v3, 16, 1
	s_movk_i32 s5, 0x7fff
	v_add3_u32 v2, v3, v2, s5
	v_lshrrev_b32_e32 v6, 16, v2
	v_mov_b32_e32 v2, 0x7fc0
	v_cmp_o_f32_e32 vcc, v3, v3
	s_nop 1
	v_cndmask_b32_e32 v38, v2, v6, vcc
	v_lshlrev_b32_e32 v6, 16, v38
	v_max_f32_e32 v3, v6, v6
	v_min_f32_e32 v7, v3, v39
	v_cmp_u_f32_e32 vcc, v6, v6
	v_max_f32_e32 v3, v3, v39
	s_nop 0
	v_cndmask_b32_e32 v7, v7, v6, vcc
	v_cndmask_b32_e32 v3, v3, v6, vcc
	v_cndmask_b32_e64 v7, v7, v26, s[12:13]
	v_cndmask_b32_e64 v3, v3, v26, s[12:13]
	v_cmp_neq_f32_e32 vcc, v7, v3
	v_cmp_class_f32_e64 s[2:3], v7, s4
	s_or_b64 s[6:7], vcc, s[2:3]
	s_and_saveexec_b64 s[2:3], s[6:7]
	s_cbranch_execz .LBB519_372
; %bb.371:
	v_sub_f32_e32 v6, v7, v3
	s_mov_b32 s4, 0x3fb8aa3b
	v_mul_f32_e32 v7, 0x3fb8aa3b, v6
	v_fma_f32 v24, v6, s4, -v7
	v_rndne_f32_e32 v25, v7
	v_fmamk_f32 v24, v6, 0x32a5705f, v24
	v_sub_f32_e32 v7, v7, v25
	v_add_f32_e32 v7, v7, v24
	v_exp_f32_e32 v7, v7
	v_cvt_i32_f32_e32 v24, v25
	s_mov_b32 s4, 0xc2ce8ed0
	v_cmp_ngt_f32_e32 vcc, s4, v6
	s_mov_b32 s4, 0x42b17218
	v_ldexp_f32 v7, v7, v24
	v_cndmask_b32_e32 v7, 0, v7, vcc
	v_mov_b32_e32 v24, 0x7f800000
	v_cmp_nlt_f32_e32 vcc, s4, v6
	s_mov_b32 s4, 0x3f2aaaab
	s_mov_b32 s6, 0x7f800000
	v_cndmask_b32_e32 v116, v24, v7, vcc
	v_add_f32_e32 v24, 1.0, v116
	v_add_f32_e32 v6, -1.0, v24
	v_sub_f32_e32 v7, v6, v24
	v_add_f32_e32 v7, 1.0, v7
	v_sub_f32_e32 v6, v116, v6
	v_add_f32_e32 v25, v6, v7
	v_frexp_mant_f32_e32 v26, v24
	v_cvt_f64_f32_e32 v[6:7], v24
	v_frexp_exp_i32_f64_e32 v6, v[6:7]
	v_cmp_gt_f32_e32 vcc, s4, v26
	s_mov_b32 s4, 0x3f317218
	s_nop 0
	v_subbrev_co_u32_e32 v26, vcc, 0, v6, vcc
	v_sub_u32_e32 v6, 0, v26
	v_ldexp_f32 v7, v24, v6
	v_add_f32_e32 v24, -1.0, v7
	v_add_f32_e32 v39, 1.0, v7
	v_ldexp_f32 v6, v25, v6
	v_add_f32_e32 v25, 1.0, v24
	v_add_f32_e32 v98, -1.0, v39
	v_sub_f32_e32 v25, v7, v25
	v_sub_f32_e32 v7, v7, v98
	v_add_f32_e32 v25, v6, v25
	v_add_f32_e32 v6, v6, v7
	s_waitcnt lgkmcnt(0)
	v_add_f32_e32 v102, v39, v6
	v_rcp_f32_e32 v103, v102
	v_sub_f32_e32 v7, v39, v102
	v_add_f32_e32 v39, v6, v7
	v_add_f32_e32 v7, v24, v25
	v_mul_f32_e32 v113, v7, v103
	v_sub_f32_e32 v6, v24, v7
	v_mul_f32_e32 v24, v102, v113
	v_fma_f32 v98, v113, v102, -v24
	v_fmac_f32_e32 v98, v113, v39
	v_add_f32_e32 v112, v25, v6
	v_add_f32_e32 v6, v24, v98
	v_sub_f32_e32 v25, v7, v6
	v_pk_add_f32 v[100:101], v[6:7], v[24:25] neg_lo:[0,1] neg_hi:[0,1]
	v_mov_b32_e32 v99, v6
	v_pk_add_f32 v[6:7], v[100:101], v[98:99] neg_lo:[0,1] neg_hi:[0,1]
	v_cmp_eq_f32_e32 vcc, s6, v116
	v_add_f32_e32 v7, v112, v7
	v_add_f32_e32 v6, v6, v7
	;; [unrolled: 1-line block ×3, first 2 shown]
	v_mul_f32_e32 v112, v103, v7
	v_mul_f32_e32 v24, v102, v112
	v_fma_f32 v98, v112, v102, -v24
	v_fmac_f32_e32 v98, v112, v39
	v_sub_f32_e32 v25, v25, v7
	v_add_f32_e32 v39, v6, v25
	v_add_f32_e32 v6, v24, v98
	v_sub_f32_e32 v25, v7, v6
	v_pk_add_f32 v[100:101], v[6:7], v[24:25] neg_lo:[0,1] neg_hi:[0,1]
	v_mov_b32_e32 v99, v6
	v_pk_add_f32 v[6:7], v[100:101], v[98:99] neg_lo:[0,1] neg_hi:[0,1]
	v_cvt_f32_i32_e32 v24, v26
	v_add_f32_e32 v7, v39, v7
	v_add_f32_e32 v6, v6, v7
	;; [unrolled: 1-line block ×4, first 2 shown]
	v_sub_f32_e32 v7, v25, v113
	v_mul_f32_e32 v6, v103, v6
	v_sub_f32_e32 v7, v112, v7
	v_add_f32_e32 v6, v7, v6
	v_add_f32_e32 v39, v25, v6
	v_mul_f32_e32 v98, v39, v39
	v_mov_b32_e32 v7, 0x3ecc95a3
	v_sub_f32_e32 v25, v39, v25
	v_fmac_f32_e32 v7, 0x3e9b6dac, v98
	v_sub_f32_e32 v6, v6, v25
	v_fmaak_f32 v7, v98, v7, 0x3f2aaada
	v_ldexp_f32 v26, v6, 1
	v_mul_f32_e32 v25, v39, v98
	v_mov_b32_e32 v6, 0x3f317218
	v_pk_mul_f32 v[6:7], v[24:25], v[6:7]
	v_ldexp_f32 v99, v39, 1
	v_fma_f32 v25, v24, s4, -v6
	v_fmamk_f32 v98, v24, 0xb102e308, v25
	v_pk_add_f32 v[24:25], v[6:7], v[98:99]
	v_mov_b32_e32 v100, v6
	v_sub_f32_e32 v39, v25, v99
	v_sub_f32_e32 v39, v7, v39
	v_add_f32_e32 v101, v26, v39
	v_pk_add_f32 v[6:7], v[24:25], v[6:7] neg_lo:[0,1] neg_hi:[0,1]
	v_pk_add_f32 v[102:103], v[24:25], v[100:101]
	v_mov_b32_e32 v99, v24
	v_mov_b32_e32 v7, v103
	v_pk_add_f32 v[112:113], v[98:99], v[6:7] neg_lo:[0,1] neg_hi:[0,1]
	v_pk_add_f32 v[6:7], v[98:99], v[6:7]
	s_mov_b32 s4, 0x33800000
	v_mov_b32_e32 v26, v7
	v_pk_add_f32 v[98:99], v[26:27], v[24:25] neg_lo:[0,1] neg_hi:[0,1]
	v_mov_b32_e32 v6, v103
	v_mov_b32_e32 v39, v98
	v_pk_add_f32 v[114:115], v[102:103], v[38:39] neg_lo:[0,1] neg_hi:[0,1]
	v_mov_b32_e32 v102, v25
	v_mov_b32_e32 v103, v98
	;; [unrolled: 1-line block ×3, first 2 shown]
	v_pk_add_f32 v[6:7], v[6:7], v[102:103] neg_lo:[0,1] neg_hi:[0,1]
	v_mov_b32_e32 v98, v101
	v_mov_b32_e32 v99, v24
	v_pk_add_f32 v[6:7], v[98:99], v[6:7] neg_lo:[0,1] neg_hi:[0,1]
	v_mov_b32_e32 v114, v112
	v_pk_add_f32 v[24:25], v[114:115], v[6:7]
	v_cmp_lt_f32_e64 s[6:7], |v116|, s4
	v_mov_b32_e32 v98, v25
	v_pk_add_f32 v[98:99], v[24:25], v[98:99]
	s_or_b64 vcc, vcc, s[6:7]
	v_pk_add_f32 v[100:101], v[26:27], v[98:99]
	v_mov_b32_e32 v7, v98
	v_mov_b32_e32 v25, v100
	v_pk_add_f32 v[102:103], v[24:25], v[112:113] neg_lo:[0,1] neg_hi:[0,1]
	s_nop 0
	v_sub_f32_e32 v24, v24, v102
	v_pk_add_f32 v[6:7], v[6:7], v[102:103] neg_lo:[0,1] neg_hi:[0,1]
	v_sub_f32_e32 v24, v112, v24
	v_add_f32_e32 v6, v6, v24
	v_add_f32_e32 v6, v6, v7
	;; [unrolled: 1-line block ×3, first 2 shown]
	v_cndmask_b32_e32 v6, v6, v116, vcc
	v_add_f32_e32 v6, v3, v6
.LBB519_372:
	s_or_b64 exec, exec, s[2:3]
	v_bfe_u32 v3, v6, 16, 1
	v_add3_u32 v3, v6, v3, s5
	v_lshrrev_b32_e32 v3, 16, v3
	v_cmp_o_f32_e32 vcc, v6, v6
	s_movk_i32 s4, 0x1f8
	s_nop 0
	v_cndmask_b32_e32 v39, v2, v3, vcc
	v_lshlrev_b32_e32 v3, 16, v39
	v_max_f32_e32 v2, v3, v3
	v_min_f32_e32 v6, v2, v49
	v_cmp_u_f32_e32 vcc, v3, v3
	v_max_f32_e32 v2, v2, v49
	s_nop 0
	v_cndmask_b32_e32 v6, v6, v3, vcc
	v_cndmask_b32_e32 v2, v2, v3, vcc
	v_cndmask_b32_e64 v6, v6, v27, s[14:15]
	v_cndmask_b32_e64 v2, v2, v27, s[14:15]
	v_cmp_neq_f32_e32 vcc, v6, v2
	v_cmp_class_f32_e64 s[2:3], v6, s4
	s_or_b64 s[6:7], vcc, s[2:3]
	s_and_saveexec_b64 s[2:3], s[6:7]
	s_cbranch_execz .LBB519_374
; %bb.373:
	v_sub_f32_e32 v3, v6, v2
	s_mov_b32 s5, 0x3fb8aa3b
	v_mul_f32_e32 v6, 0x3fb8aa3b, v3
	v_fma_f32 v7, v3, s5, -v6
	v_rndne_f32_e32 v24, v6
	v_fmamk_f32 v7, v3, 0x32a5705f, v7
	v_sub_f32_e32 v6, v6, v24
	v_add_f32_e32 v6, v6, v7
	v_exp_f32_e32 v6, v6
	v_cvt_i32_f32_e32 v7, v24
	s_mov_b32 s5, 0xc2ce8ed0
	v_cmp_ngt_f32_e32 vcc, s5, v3
	s_mov_b32 s5, 0x42b17218
	v_ldexp_f32 v6, v6, v7
	v_cndmask_b32_e32 v6, 0, v6, vcc
	v_mov_b32_e32 v7, 0x7f800000
	v_cmp_nlt_f32_e32 vcc, s5, v3
	s_mov_b32 s5, 0x3f2aaaab
	s_mov_b32 s6, 0x7f800000
	v_cndmask_b32_e32 v49, v7, v6, vcc
	v_add_f32_e32 v3, 1.0, v49
	v_add_f32_e32 v6, -1.0, v3
	v_sub_f32_e32 v7, v6, v3
	v_add_f32_e32 v7, 1.0, v7
	v_sub_f32_e32 v6, v49, v6
	v_add_f32_e32 v24, v6, v7
	v_frexp_mant_f32_e32 v25, v3
	v_cvt_f64_f32_e32 v[6:7], v3
	v_frexp_exp_i32_f64_e32 v6, v[6:7]
	v_cmp_gt_f32_e32 vcc, s5, v25
	s_mov_b32 s5, 0x3f317218
	s_nop 0
	v_subbrev_co_u32_e32 v100, vcc, 0, v6, vcc
	v_sub_u32_e32 v6, 0, v100
	v_ldexp_f32 v3, v3, v6
	v_ldexp_f32 v6, v24, v6
	v_add_f32_e32 v24, -1.0, v3
	v_add_f32_e32 v7, 1.0, v24
	v_sub_f32_e32 v7, v3, v7
	v_add_f32_e32 v25, v6, v7
	v_add_f32_e32 v7, 1.0, v3
	v_add_f32_e32 v26, -1.0, v7
	v_sub_f32_e32 v3, v3, v26
	v_add_f32_e32 v3, v6, v3
	v_add_f32_e32 v101, v7, v3
	s_waitcnt lgkmcnt(0)
	v_rcp_f32_e32 v102, v101
	v_sub_f32_e32 v6, v7, v101
	v_add_f32_e32 v7, v24, v25
	v_add_f32_e32 v3, v3, v6
	v_mul_f32_e32 v112, v7, v102
	v_sub_f32_e32 v6, v24, v7
	v_mul_f32_e32 v24, v101, v112
	v_fma_f32 v26, v112, v101, -v24
	v_fmac_f32_e32 v26, v112, v3
	v_add_f32_e32 v103, v25, v6
	v_add_f32_e32 v6, v24, v26
	v_sub_f32_e32 v25, v7, v6
	v_pk_add_f32 v[98:99], v[6:7], v[24:25] neg_lo:[0,1] neg_hi:[0,1]
	v_mov_b32_e32 v27, v6
	v_pk_add_f32 v[6:7], v[98:99], v[26:27] neg_lo:[0,1] neg_hi:[0,1]
	v_cmp_eq_f32_e32 vcc, s6, v49
	v_add_f32_e32 v7, v103, v7
	v_add_f32_e32 v6, v6, v7
	;; [unrolled: 1-line block ×3, first 2 shown]
	v_mul_f32_e32 v103, v102, v7
	v_mul_f32_e32 v24, v101, v103
	v_fma_f32 v26, v103, v101, -v24
	v_fmac_f32_e32 v26, v103, v3
	v_sub_f32_e32 v3, v25, v7
	v_add_f32_e32 v3, v6, v3
	v_add_f32_e32 v6, v24, v26
	v_sub_f32_e32 v25, v7, v6
	v_pk_add_f32 v[98:99], v[6:7], v[24:25] neg_lo:[0,1] neg_hi:[0,1]
	v_mov_b32_e32 v27, v6
	v_pk_add_f32 v[6:7], v[98:99], v[26:27] neg_lo:[0,1] neg_hi:[0,1]
	v_cvt_f32_i32_e32 v24, v100
	v_add_f32_e32 v3, v3, v7
	v_add_f32_e32 v3, v6, v3
	;; [unrolled: 1-line block ×4, first 2 shown]
	v_sub_f32_e32 v7, v6, v112
	v_mul_f32_e32 v3, v102, v3
	v_sub_f32_e32 v7, v103, v7
	v_add_f32_e32 v3, v7, v3
	v_add_f32_e32 v25, v6, v3
	v_mul_f32_e32 v26, v25, v25
	v_mov_b32_e32 v7, 0x3ecc95a3
	v_fmac_f32_e32 v7, 0x3e9b6dac, v26
	v_sub_f32_e32 v6, v25, v6
	v_fmaak_f32 v7, v26, v7, 0x3f2aaada
	v_sub_f32_e32 v3, v3, v6
	v_ldexp_f32 v27, v25, 1
	v_mul_f32_e32 v25, v25, v26
	v_mov_b32_e32 v6, 0x3f317218
	v_pk_mul_f32 v[6:7], v[24:25], v[6:7]
	v_ldexp_f32 v3, v3, 1
	v_fma_f32 v25, v24, s5, -v6
	v_fmamk_f32 v26, v24, 0xb102e308, v25
	v_pk_add_f32 v[24:25], v[6:7], v[26:27]
	v_mov_b32_e32 v98, v6
	v_sub_f32_e32 v27, v25, v27
	v_sub_f32_e32 v27, v7, v27
	v_add_f32_e32 v99, v3, v27
	v_pk_add_f32 v[6:7], v[24:25], v[6:7] neg_lo:[0,1] neg_hi:[0,1]
	v_pk_add_f32 v[100:101], v[24:25], v[98:99]
	v_mov_b32_e32 v27, v24
	v_mov_b32_e32 v7, v101
	v_pk_add_f32 v[102:103], v[26:27], v[6:7] neg_lo:[0,1] neg_hi:[0,1]
	v_pk_add_f32 v[6:7], v[26:27], v[6:7]
	v_mov_b32_e32 v98, v99
	v_mov_b32_e32 v26, v7
	v_pk_add_f32 v[112:113], v[26:27], v[24:25] neg_lo:[0,1] neg_hi:[0,1]
	v_mov_b32_e32 v6, v101
	v_mov_b32_e32 v3, v112
	v_pk_add_f32 v[114:115], v[100:101], v[2:3] neg_lo:[0,1] neg_hi:[0,1]
	v_mov_b32_e32 v100, v25
	v_mov_b32_e32 v101, v112
	;; [unrolled: 1-line block ×3, first 2 shown]
	v_pk_add_f32 v[6:7], v[6:7], v[100:101] neg_lo:[0,1] neg_hi:[0,1]
	v_mov_b32_e32 v99, v24
	v_pk_add_f32 v[6:7], v[98:99], v[6:7] neg_lo:[0,1] neg_hi:[0,1]
	v_mov_b32_e32 v114, v102
	v_pk_add_f32 v[24:25], v[114:115], v[6:7]
	s_mov_b32 s5, 0x33800000
	v_mov_b32_e32 v98, v25
	v_pk_add_f32 v[98:99], v[24:25], v[98:99]
	v_cmp_lt_f32_e64 s[6:7], |v49|, s5
	v_pk_add_f32 v[26:27], v[26:27], v[98:99]
	v_mov_b32_e32 v7, v98
	v_mov_b32_e32 v25, v26
	v_pk_add_f32 v[100:101], v[24:25], v[102:103] neg_lo:[0,1] neg_hi:[0,1]
	s_or_b64 vcc, vcc, s[6:7]
	v_sub_f32_e32 v3, v24, v100
	v_pk_add_f32 v[6:7], v[6:7], v[100:101] neg_lo:[0,1] neg_hi:[0,1]
	v_sub_f32_e32 v3, v102, v3
	v_add_f32_e32 v3, v6, v3
	v_add_f32_e32 v3, v3, v7
	;; [unrolled: 1-line block ×3, first 2 shown]
	v_cndmask_b32_e32 v3, v3, v49, vcc
	v_add_f32_e32 v3, v2, v3
.LBB519_374:
	s_or_b64 exec, exec, s[2:3]
	v_bfe_u32 v2, v3, 16, 1
	s_movk_i32 s5, 0x7fff
	v_add3_u32 v2, v3, v2, s5
	v_lshrrev_b32_e32 v6, 16, v2
	v_mov_b32_e32 v2, 0x7fc0
	v_cmp_o_f32_e32 vcc, v3, v3
	s_nop 1
	v_cndmask_b32_e32 v49, v2, v6, vcc
	v_lshlrev_b32_e32 v6, 16, v49
	v_max_f32_e32 v3, v6, v6
	v_min_f32_e32 v7, v3, v51
	v_cmp_u_f32_e32 vcc, v6, v6
	v_max_f32_e32 v3, v3, v51
	s_nop 0
	v_cndmask_b32_e32 v7, v7, v6, vcc
	v_cndmask_b32_e32 v3, v3, v6, vcc
	v_cndmask_b32_e64 v7, v7, v48, s[16:17]
	v_cndmask_b32_e64 v3, v3, v48, s[16:17]
	v_cmp_neq_f32_e32 vcc, v7, v3
	v_cmp_class_f32_e64 s[2:3], v7, s4
	s_or_b64 s[6:7], vcc, s[2:3]
	s_and_saveexec_b64 s[2:3], s[6:7]
	s_cbranch_execz .LBB519_376
; %bb.375:
	v_sub_f32_e32 v6, v7, v3
	s_mov_b32 s4, 0x3fb8aa3b
	v_mul_f32_e32 v7, 0x3fb8aa3b, v6
	v_fma_f32 v24, v6, s4, -v7
	v_rndne_f32_e32 v25, v7
	v_fmamk_f32 v24, v6, 0x32a5705f, v24
	v_sub_f32_e32 v7, v7, v25
	v_add_f32_e32 v7, v7, v24
	v_exp_f32_e32 v7, v7
	v_cvt_i32_f32_e32 v24, v25
	s_mov_b32 s4, 0xc2ce8ed0
	v_cmp_ngt_f32_e32 vcc, s4, v6
	s_mov_b32 s4, 0x42b17218
	v_ldexp_f32 v7, v7, v24
	v_cndmask_b32_e32 v7, 0, v7, vcc
	v_mov_b32_e32 v24, 0x7f800000
	v_cmp_nlt_f32_e32 vcc, s4, v6
	s_mov_b32 s4, 0x3f2aaaab
	s_mov_b32 s6, 0x7f800000
	v_cndmask_b32_e32 v51, v24, v7, vcc
	v_add_f32_e32 v24, 1.0, v51
	v_add_f32_e32 v6, -1.0, v24
	v_sub_f32_e32 v7, v6, v24
	v_add_f32_e32 v7, 1.0, v7
	v_sub_f32_e32 v6, v51, v6
	v_add_f32_e32 v25, v6, v7
	v_frexp_mant_f32_e32 v26, v24
	v_cvt_f64_f32_e32 v[6:7], v24
	v_frexp_exp_i32_f64_e32 v6, v[6:7]
	v_cmp_gt_f32_e32 vcc, s4, v26
	s_mov_b32 s4, 0x3f317218
	s_nop 0
	v_subbrev_co_u32_e32 v48, vcc, 0, v6, vcc
	v_sub_u32_e32 v6, 0, v48
	v_ldexp_f32 v7, v24, v6
	v_add_f32_e32 v24, -1.0, v7
	v_add_f32_e32 v26, 1.0, v7
	v_ldexp_f32 v6, v25, v6
	v_add_f32_e32 v25, 1.0, v24
	v_add_f32_e32 v27, -1.0, v26
	v_sub_f32_e32 v25, v7, v25
	v_sub_f32_e32 v7, v7, v27
	v_add_f32_e32 v25, v6, v25
	v_add_f32_e32 v6, v6, v7
	;; [unrolled: 1-line block ×3, first 2 shown]
	s_waitcnt lgkmcnt(0)
	v_rcp_f32_e32 v102, v100
	v_sub_f32_e32 v7, v26, v100
	v_add_f32_e32 v101, v6, v7
	v_add_f32_e32 v7, v24, v25
	v_mul_f32_e32 v112, v7, v102
	v_sub_f32_e32 v6, v24, v7
	v_mul_f32_e32 v24, v100, v112
	v_fma_f32 v26, v112, v100, -v24
	v_fmac_f32_e32 v26, v112, v101
	v_add_f32_e32 v103, v25, v6
	v_add_f32_e32 v6, v24, v26
	v_sub_f32_e32 v25, v7, v6
	v_pk_add_f32 v[98:99], v[6:7], v[24:25] neg_lo:[0,1] neg_hi:[0,1]
	v_mov_b32_e32 v27, v6
	v_pk_add_f32 v[6:7], v[98:99], v[26:27] neg_lo:[0,1] neg_hi:[0,1]
	v_cmp_eq_f32_e32 vcc, s6, v51
	v_add_f32_e32 v7, v103, v7
	v_add_f32_e32 v6, v6, v7
	;; [unrolled: 1-line block ×3, first 2 shown]
	v_mul_f32_e32 v103, v102, v7
	v_mul_f32_e32 v24, v100, v103
	v_fma_f32 v26, v103, v100, -v24
	v_fmac_f32_e32 v26, v103, v101
	v_sub_f32_e32 v25, v25, v7
	v_add_f32_e32 v100, v6, v25
	v_add_f32_e32 v6, v24, v26
	v_sub_f32_e32 v25, v7, v6
	v_pk_add_f32 v[98:99], v[6:7], v[24:25] neg_lo:[0,1] neg_hi:[0,1]
	v_mov_b32_e32 v27, v6
	v_pk_add_f32 v[6:7], v[98:99], v[26:27] neg_lo:[0,1] neg_hi:[0,1]
	v_cvt_f32_i32_e32 v24, v48
	v_add_f32_e32 v7, v100, v7
	v_add_f32_e32 v6, v6, v7
	;; [unrolled: 1-line block ×4, first 2 shown]
	v_sub_f32_e32 v7, v25, v112
	v_mul_f32_e32 v6, v102, v6
	v_sub_f32_e32 v7, v103, v7
	v_add_f32_e32 v6, v7, v6
	v_add_f32_e32 v26, v25, v6
	v_mul_f32_e32 v98, v26, v26
	v_mov_b32_e32 v7, 0x3ecc95a3
	v_sub_f32_e32 v25, v26, v25
	v_fmac_f32_e32 v7, 0x3e9b6dac, v98
	v_sub_f32_e32 v6, v6, v25
	v_fmaak_f32 v7, v98, v7, 0x3f2aaada
	v_ldexp_f32 v48, v6, 1
	v_mul_f32_e32 v25, v26, v98
	v_mov_b32_e32 v6, 0x3f317218
	v_pk_mul_f32 v[6:7], v[24:25], v[6:7]
	v_ldexp_f32 v27, v26, 1
	v_fma_f32 v25, v24, s4, -v6
	v_fmamk_f32 v26, v24, 0xb102e308, v25
	v_pk_add_f32 v[24:25], v[6:7], v[26:27]
	v_mov_b32_e32 v98, v6
	v_sub_f32_e32 v27, v25, v27
	v_sub_f32_e32 v27, v7, v27
	v_add_f32_e32 v99, v48, v27
	v_pk_add_f32 v[6:7], v[24:25], v[6:7] neg_lo:[0,1] neg_hi:[0,1]
	v_pk_add_f32 v[100:101], v[24:25], v[98:99]
	v_mov_b32_e32 v27, v24
	v_mov_b32_e32 v7, v101
	v_pk_add_f32 v[102:103], v[26:27], v[6:7] neg_lo:[0,1] neg_hi:[0,1]
	v_pk_add_f32 v[6:7], v[26:27], v[6:7]
	v_mov_b32_e32 v98, v99
	v_mov_b32_e32 v26, v7
	v_pk_add_f32 v[112:113], v[26:27], v[24:25] neg_lo:[0,1] neg_hi:[0,1]
	v_mov_b32_e32 v6, v101
	v_mov_b32_e32 v27, v112
	v_pk_add_f32 v[114:115], v[100:101], v[26:27] neg_lo:[0,1] neg_hi:[0,1]
	v_mov_b32_e32 v100, v25
	v_mov_b32_e32 v101, v112
	;; [unrolled: 1-line block ×3, first 2 shown]
	v_pk_add_f32 v[6:7], v[6:7], v[100:101] neg_lo:[0,1] neg_hi:[0,1]
	v_mov_b32_e32 v99, v24
	v_pk_add_f32 v[6:7], v[98:99], v[6:7] neg_lo:[0,1] neg_hi:[0,1]
	v_mov_b32_e32 v114, v102
	v_pk_add_f32 v[24:25], v[114:115], v[6:7]
	s_mov_b32 s4, 0x33800000
	v_mov_b32_e32 v48, v25
	v_pk_add_f32 v[98:99], v[24:25], v[48:49]
	v_cmp_lt_f32_e64 s[6:7], |v51|, s4
	v_pk_add_f32 v[26:27], v[26:27], v[98:99]
	v_mov_b32_e32 v7, v98
	v_mov_b32_e32 v25, v26
	v_pk_add_f32 v[100:101], v[24:25], v[102:103] neg_lo:[0,1] neg_hi:[0,1]
	s_or_b64 vcc, vcc, s[6:7]
	v_sub_f32_e32 v24, v24, v100
	v_pk_add_f32 v[6:7], v[6:7], v[100:101] neg_lo:[0,1] neg_hi:[0,1]
	v_sub_f32_e32 v24, v102, v24
	v_add_f32_e32 v6, v6, v24
	v_add_f32_e32 v6, v6, v7
	;; [unrolled: 1-line block ×3, first 2 shown]
	v_cndmask_b32_e32 v6, v6, v51, vcc
	v_add_f32_e32 v6, v3, v6
.LBB519_376:
	s_or_b64 exec, exec, s[2:3]
	v_bfe_u32 v3, v6, 16, 1
	v_add3_u32 v3, v6, v3, s5
	v_lshrrev_b32_e32 v3, 16, v3
	v_cmp_o_f32_e32 vcc, v6, v6
	s_movk_i32 s4, 0x1f8
	s_nop 0
	v_cndmask_b32_e32 v48, v2, v3, vcc
	v_lshlrev_b32_e32 v3, 16, v48
	v_max_f32_e32 v2, v3, v3
	v_min_f32_e32 v6, v2, v53
	v_cmp_u_f32_e32 vcc, v3, v3
	v_max_f32_e32 v2, v2, v53
	s_nop 0
	v_cndmask_b32_e32 v6, v6, v3, vcc
	v_cndmask_b32_e32 v2, v2, v3, vcc
	v_cndmask_b32_e64 v6, v6, v20, s[18:19]
	v_cndmask_b32_e64 v2, v2, v20, s[18:19]
	v_cmp_neq_f32_e32 vcc, v6, v2
	v_cmp_class_f32_e64 s[2:3], v6, s4
	s_or_b64 s[6:7], vcc, s[2:3]
	s_and_saveexec_b64 s[2:3], s[6:7]
	s_cbranch_execz .LBB519_378
; %bb.377:
	v_sub_f32_e32 v3, v6, v2
	s_mov_b32 s5, 0x3fb8aa3b
	v_mul_f32_e32 v6, 0x3fb8aa3b, v3
	v_fma_f32 v7, v3, s5, -v6
	v_rndne_f32_e32 v20, v6
	v_fmamk_f32 v7, v3, 0x32a5705f, v7
	v_sub_f32_e32 v6, v6, v20
	v_add_f32_e32 v6, v6, v7
	v_exp_f32_e32 v6, v6
	v_cvt_i32_f32_e32 v7, v20
	s_mov_b32 s5, 0xc2ce8ed0
	v_cmp_ngt_f32_e32 vcc, s5, v3
	s_mov_b32 s5, 0x42b17218
	v_ldexp_f32 v6, v6, v7
	v_cndmask_b32_e32 v6, 0, v6, vcc
	v_mov_b32_e32 v7, 0x7f800000
	v_cmp_nlt_f32_e32 vcc, s5, v3
	s_mov_b32 s5, 0x3f2aaaab
	s_mov_b32 s6, 0x7f800000
	v_cndmask_b32_e32 v51, v7, v6, vcc
	v_add_f32_e32 v3, 1.0, v51
	v_add_f32_e32 v6, -1.0, v3
	v_sub_f32_e32 v7, v6, v3
	v_add_f32_e32 v7, 1.0, v7
	v_sub_f32_e32 v6, v51, v6
	v_add_f32_e32 v20, v6, v7
	v_frexp_mant_f32_e32 v24, v3
	v_cvt_f64_f32_e32 v[6:7], v3
	v_frexp_exp_i32_f64_e32 v6, v[6:7]
	v_cmp_gt_f32_e32 vcc, s5, v24
	s_mov_b32 s5, 0x3f317218
	s_nop 0
	v_subbrev_co_u32_e32 v53, vcc, 0, v6, vcc
	v_sub_u32_e32 v6, 0, v53
	v_ldexp_f32 v3, v3, v6
	v_ldexp_f32 v6, v20, v6
	v_add_f32_e32 v20, -1.0, v3
	v_add_f32_e32 v7, 1.0, v20
	v_sub_f32_e32 v7, v3, v7
	v_add_f32_e32 v24, v6, v7
	v_add_f32_e32 v7, 1.0, v3
	v_add_f32_e32 v25, -1.0, v7
	v_sub_f32_e32 v3, v3, v25
	v_add_f32_e32 v3, v6, v3
	v_add_f32_e32 v100, v7, v3
	v_rcp_f32_e32 v101, v100
	v_sub_f32_e32 v6, v7, v100
	v_add_f32_e32 v7, v20, v24
	v_add_f32_e32 v3, v3, v6
	v_sub_f32_e32 v6, v20, v7
	s_waitcnt lgkmcnt(0)
	v_mul_f32_e32 v102, v7, v101
	v_add_f32_e32 v20, v24, v6
	v_mul_f32_e32 v24, v100, v102
	v_fma_f32 v26, v102, v100, -v24
	v_fmac_f32_e32 v26, v102, v3
	v_add_f32_e32 v6, v24, v26
	v_sub_f32_e32 v25, v7, v6
	v_pk_add_f32 v[98:99], v[6:7], v[24:25] neg_lo:[0,1] neg_hi:[0,1]
	v_mov_b32_e32 v27, v6
	v_pk_add_f32 v[6:7], v[98:99], v[26:27] neg_lo:[0,1] neg_hi:[0,1]
	v_cmp_eq_f32_e32 vcc, s6, v51
	v_add_f32_e32 v7, v20, v7
	v_add_f32_e32 v6, v6, v7
	;; [unrolled: 1-line block ×3, first 2 shown]
	v_mul_f32_e32 v20, v101, v7
	v_mul_f32_e32 v24, v100, v20
	v_fma_f32 v26, v20, v100, -v24
	v_fmac_f32_e32 v26, v20, v3
	v_sub_f32_e32 v3, v25, v7
	v_add_f32_e32 v3, v6, v3
	v_add_f32_e32 v6, v24, v26
	v_sub_f32_e32 v25, v7, v6
	v_pk_add_f32 v[98:99], v[6:7], v[24:25] neg_lo:[0,1] neg_hi:[0,1]
	v_mov_b32_e32 v27, v6
	v_pk_add_f32 v[6:7], v[98:99], v[26:27] neg_lo:[0,1] neg_hi:[0,1]
	v_cvt_f32_i32_e32 v24, v53
	v_add_f32_e32 v3, v3, v7
	v_add_f32_e32 v3, v6, v3
	;; [unrolled: 1-line block ×4, first 2 shown]
	v_sub_f32_e32 v7, v6, v102
	v_mul_f32_e32 v3, v101, v3
	v_sub_f32_e32 v7, v20, v7
	v_add_f32_e32 v3, v7, v3
	v_add_f32_e32 v20, v6, v3
	v_mul_f32_e32 v25, v20, v20
	v_mov_b32_e32 v7, 0x3ecc95a3
	v_fmac_f32_e32 v7, 0x3e9b6dac, v25
	v_sub_f32_e32 v6, v20, v6
	v_fmaak_f32 v7, v25, v7, 0x3f2aaada
	v_sub_f32_e32 v3, v3, v6
	v_mul_f32_e32 v25, v20, v25
	v_mov_b32_e32 v6, 0x3f317218
	v_pk_mul_f32 v[6:7], v[24:25], v[6:7]
	v_ldexp_f32 v27, v20, 1
	v_fma_f32 v20, v24, s5, -v6
	v_fmamk_f32 v26, v24, 0xb102e308, v20
	v_pk_add_f32 v[24:25], v[6:7], v[26:27]
	v_ldexp_f32 v3, v3, 1
	v_sub_f32_e32 v20, v25, v27
	v_sub_f32_e32 v20, v7, v20
	v_add_f32_e32 v99, v3, v20
	v_mov_b32_e32 v98, v6
	v_pk_add_f32 v[6:7], v[24:25], v[6:7] neg_lo:[0,1] neg_hi:[0,1]
	v_pk_add_f32 v[100:101], v[24:25], v[98:99]
	v_mov_b32_e32 v27, v24
	v_mov_b32_e32 v7, v101
	v_pk_add_f32 v[102:103], v[26:27], v[6:7] neg_lo:[0,1] neg_hi:[0,1]
	v_pk_add_f32 v[6:7], v[26:27], v[6:7]
	s_mov_b32 s5, 0x33800000
	v_mov_b32_e32 v20, v7
	v_pk_add_f32 v[26:27], v[20:21], v[24:25] neg_lo:[0,1] neg_hi:[0,1]
	v_mov_b32_e32 v6, v101
	v_mov_b32_e32 v3, v26
	v_pk_add_f32 v[112:113], v[100:101], v[2:3] neg_lo:[0,1] neg_hi:[0,1]
	v_mov_b32_e32 v100, v25
	v_mov_b32_e32 v101, v26
	v_mov_b32_e32 v103, v7
	v_pk_add_f32 v[6:7], v[6:7], v[100:101] neg_lo:[0,1] neg_hi:[0,1]
	v_mov_b32_e32 v26, v99
	v_mov_b32_e32 v27, v24
	v_pk_add_f32 v[6:7], v[26:27], v[6:7] neg_lo:[0,1] neg_hi:[0,1]
	v_mov_b32_e32 v112, v102
	v_pk_add_f32 v[24:25], v[112:113], v[6:7]
	v_cmp_lt_f32_e64 s[6:7], |v51|, s5
	v_mov_b32_e32 v26, v25
	v_pk_add_f32 v[26:27], v[24:25], v[26:27]
	s_or_b64 vcc, vcc, s[6:7]
	v_pk_add_f32 v[98:99], v[20:21], v[26:27]
	v_mov_b32_e32 v7, v26
	v_mov_b32_e32 v25, v98
	v_pk_add_f32 v[100:101], v[24:25], v[102:103] neg_lo:[0,1] neg_hi:[0,1]
	s_nop 0
	v_sub_f32_e32 v3, v24, v100
	v_pk_add_f32 v[6:7], v[6:7], v[100:101] neg_lo:[0,1] neg_hi:[0,1]
	v_sub_f32_e32 v3, v102, v3
	v_add_f32_e32 v3, v6, v3
	v_add_f32_e32 v3, v3, v7
	v_add_f32_e32 v3, v98, v3
	v_cndmask_b32_e32 v3, v3, v51, vcc
	v_add_f32_e32 v3, v2, v3
.LBB519_378:
	s_or_b64 exec, exec, s[2:3]
	v_bfe_u32 v2, v3, 16, 1
	s_movk_i32 s5, 0x7fff
	v_add3_u32 v2, v3, v2, s5
	v_lshrrev_b32_e32 v6, 16, v2
	v_mov_b32_e32 v2, 0x7fc0
	v_cmp_o_f32_e32 vcc, v3, v3
	s_nop 1
	v_cndmask_b32_e32 v51, v2, v6, vcc
	v_lshlrev_b32_e32 v6, 16, v51
	v_max_f32_e32 v3, v6, v6
	v_min_f32_e32 v7, v3, v55
	v_cmp_u_f32_e32 vcc, v6, v6
	v_max_f32_e32 v3, v3, v55
	s_nop 0
	v_cndmask_b32_e32 v7, v7, v6, vcc
	v_cndmask_b32_e32 v3, v3, v6, vcc
	v_cndmask_b32_e64 v7, v7, v50, s[20:21]
	v_cndmask_b32_e64 v3, v3, v50, s[20:21]
	v_cmp_neq_f32_e32 vcc, v7, v3
	v_cmp_class_f32_e64 s[2:3], v7, s4
	s_or_b64 s[6:7], vcc, s[2:3]
	s_and_saveexec_b64 s[2:3], s[6:7]
	s_cbranch_execz .LBB519_380
; %bb.379:
	v_sub_f32_e32 v6, v7, v3
	s_mov_b32 s4, 0x3fb8aa3b
	v_mul_f32_e32 v7, 0x3fb8aa3b, v6
	v_fma_f32 v20, v6, s4, -v7
	v_rndne_f32_e32 v24, v7
	v_fmamk_f32 v20, v6, 0x32a5705f, v20
	v_sub_f32_e32 v7, v7, v24
	v_add_f32_e32 v7, v7, v20
	v_exp_f32_e32 v7, v7
	v_cvt_i32_f32_e32 v20, v24
	s_mov_b32 s4, 0xc2ce8ed0
	v_cmp_ngt_f32_e32 vcc, s4, v6
	s_mov_b32 s4, 0x42b17218
	v_ldexp_f32 v7, v7, v20
	v_cndmask_b32_e32 v7, 0, v7, vcc
	v_mov_b32_e32 v20, 0x7f800000
	v_cmp_nlt_f32_e32 vcc, s4, v6
	s_mov_b32 s4, 0x3f2aaaab
	s_mov_b32 s6, 0x7f800000
	v_cndmask_b32_e32 v50, v20, v7, vcc
	v_add_f32_e32 v20, 1.0, v50
	v_add_f32_e32 v6, -1.0, v20
	v_sub_f32_e32 v7, v6, v20
	v_add_f32_e32 v7, 1.0, v7
	v_sub_f32_e32 v6, v50, v6
	v_add_f32_e32 v24, v6, v7
	v_frexp_mant_f32_e32 v25, v20
	v_cvt_f64_f32_e32 v[6:7], v20
	v_frexp_exp_i32_f64_e32 v6, v[6:7]
	v_cmp_gt_f32_e32 vcc, s4, v25
	s_mov_b32 s4, 0x3f317218
	s_nop 0
	v_subbrev_co_u32_e32 v53, vcc, 0, v6, vcc
	v_sub_u32_e32 v6, 0, v53
	v_ldexp_f32 v7, v20, v6
	v_add_f32_e32 v20, -1.0, v7
	v_add_f32_e32 v25, 1.0, v7
	v_ldexp_f32 v6, v24, v6
	v_add_f32_e32 v24, 1.0, v20
	v_add_f32_e32 v26, -1.0, v25
	v_sub_f32_e32 v24, v7, v24
	v_sub_f32_e32 v7, v7, v26
	v_add_f32_e32 v24, v6, v24
	v_add_f32_e32 v6, v6, v7
	;; [unrolled: 1-line block ×3, first 2 shown]
	v_rcp_f32_e32 v101, v55
	v_sub_f32_e32 v7, v25, v55
	v_add_f32_e32 v100, v6, v7
	v_add_f32_e32 v7, v20, v24
	v_sub_f32_e32 v6, v20, v7
	s_waitcnt lgkmcnt(0)
	v_mul_f32_e32 v102, v7, v101
	v_add_f32_e32 v20, v24, v6
	v_mul_f32_e32 v24, v55, v102
	v_fma_f32 v26, v102, v55, -v24
	v_fmac_f32_e32 v26, v102, v100
	v_add_f32_e32 v6, v24, v26
	v_sub_f32_e32 v25, v7, v6
	v_pk_add_f32 v[98:99], v[6:7], v[24:25] neg_lo:[0,1] neg_hi:[0,1]
	v_mov_b32_e32 v27, v6
	v_pk_add_f32 v[6:7], v[98:99], v[26:27] neg_lo:[0,1] neg_hi:[0,1]
	v_cmp_eq_f32_e32 vcc, s6, v50
	v_add_f32_e32 v7, v20, v7
	v_add_f32_e32 v6, v6, v7
	;; [unrolled: 1-line block ×3, first 2 shown]
	v_mul_f32_e32 v20, v101, v7
	v_mul_f32_e32 v24, v55, v20
	v_fma_f32 v26, v20, v55, -v24
	v_fmac_f32_e32 v26, v20, v100
	v_sub_f32_e32 v25, v25, v7
	v_add_f32_e32 v55, v6, v25
	v_add_f32_e32 v6, v24, v26
	v_sub_f32_e32 v25, v7, v6
	v_pk_add_f32 v[98:99], v[6:7], v[24:25] neg_lo:[0,1] neg_hi:[0,1]
	v_mov_b32_e32 v27, v6
	v_pk_add_f32 v[6:7], v[98:99], v[26:27] neg_lo:[0,1] neg_hi:[0,1]
	v_cvt_f32_i32_e32 v24, v53
	v_add_f32_e32 v7, v55, v7
	v_add_f32_e32 v6, v6, v7
	;; [unrolled: 1-line block ×4, first 2 shown]
	v_sub_f32_e32 v7, v25, v102
	v_mul_f32_e32 v6, v101, v6
	v_sub_f32_e32 v7, v20, v7
	v_add_f32_e32 v6, v7, v6
	v_add_f32_e32 v20, v25, v6
	v_mul_f32_e32 v26, v20, v20
	v_mov_b32_e32 v7, 0x3ecc95a3
	v_sub_f32_e32 v25, v20, v25
	v_fmac_f32_e32 v7, 0x3e9b6dac, v26
	v_sub_f32_e32 v6, v6, v25
	v_fmaak_f32 v7, v26, v7, 0x3f2aaada
	v_ldexp_f32 v53, v6, 1
	v_mul_f32_e32 v25, v20, v26
	v_mov_b32_e32 v6, 0x3f317218
	v_pk_mul_f32 v[6:7], v[24:25], v[6:7]
	v_ldexp_f32 v27, v20, 1
	v_fma_f32 v20, v24, s4, -v6
	v_fmamk_f32 v26, v24, 0xb102e308, v20
	v_pk_add_f32 v[24:25], v[6:7], v[26:27]
	v_mov_b32_e32 v98, v6
	v_sub_f32_e32 v20, v25, v27
	v_sub_f32_e32 v20, v7, v20
	v_add_f32_e32 v99, v53, v20
	v_pk_add_f32 v[6:7], v[24:25], v[6:7] neg_lo:[0,1] neg_hi:[0,1]
	v_pk_add_f32 v[100:101], v[24:25], v[98:99]
	v_mov_b32_e32 v27, v24
	v_mov_b32_e32 v7, v101
	v_pk_add_f32 v[102:103], v[26:27], v[6:7] neg_lo:[0,1] neg_hi:[0,1]
	v_pk_add_f32 v[6:7], v[26:27], v[6:7]
	s_mov_b32 s4, 0x33800000
	v_mov_b32_e32 v20, v7
	v_pk_add_f32 v[26:27], v[20:21], v[24:25] neg_lo:[0,1] neg_hi:[0,1]
	v_mov_b32_e32 v6, v101
	v_mov_b32_e32 v27, v26
	v_pk_add_f32 v[112:113], v[100:101], v[26:27] neg_lo:[0,1] neg_hi:[0,1]
	v_mov_b32_e32 v100, v25
	v_mov_b32_e32 v101, v26
	;; [unrolled: 1-line block ×3, first 2 shown]
	v_pk_add_f32 v[6:7], v[6:7], v[100:101] neg_lo:[0,1] neg_hi:[0,1]
	v_mov_b32_e32 v26, v99
	v_mov_b32_e32 v27, v24
	v_pk_add_f32 v[6:7], v[26:27], v[6:7] neg_lo:[0,1] neg_hi:[0,1]
	v_mov_b32_e32 v112, v102
	v_pk_add_f32 v[24:25], v[112:113], v[6:7]
	v_cmp_lt_f32_e64 s[6:7], |v50|, s4
	v_mov_b32_e32 v26, v25
	v_pk_add_f32 v[26:27], v[24:25], v[26:27]
	s_or_b64 vcc, vcc, s[6:7]
	v_pk_add_f32 v[98:99], v[20:21], v[26:27]
	v_mov_b32_e32 v7, v26
	v_mov_b32_e32 v25, v98
	v_pk_add_f32 v[100:101], v[24:25], v[102:103] neg_lo:[0,1] neg_hi:[0,1]
	s_nop 0
	v_sub_f32_e32 v20, v24, v100
	v_pk_add_f32 v[6:7], v[6:7], v[100:101] neg_lo:[0,1] neg_hi:[0,1]
	v_sub_f32_e32 v20, v102, v20
	v_add_f32_e32 v6, v6, v20
	v_add_f32_e32 v6, v6, v7
	;; [unrolled: 1-line block ×3, first 2 shown]
	v_cndmask_b32_e32 v6, v6, v50, vcc
	v_add_f32_e32 v6, v3, v6
.LBB519_380:
	s_or_b64 exec, exec, s[2:3]
	v_bfe_u32 v3, v6, 16, 1
	v_add3_u32 v3, v6, v3, s5
	v_lshrrev_b32_e32 v3, 16, v3
	v_cmp_o_f32_e32 vcc, v6, v6
	s_movk_i32 s4, 0x1f8
	s_nop 0
	v_cndmask_b32_e32 v50, v2, v3, vcc
	v_lshlrev_b32_e32 v3, 16, v50
	v_max_f32_e32 v2, v3, v3
	v_min_f32_e32 v6, v2, v64
	v_cmp_u_f32_e32 vcc, v3, v3
	v_max_f32_e32 v2, v2, v64
	s_nop 0
	v_cndmask_b32_e32 v6, v6, v3, vcc
	v_cndmask_b32_e32 v2, v2, v3, vcc
	v_cndmask_b32_e64 v6, v6, v21, s[22:23]
	v_cndmask_b32_e64 v2, v2, v21, s[22:23]
	v_cmp_neq_f32_e32 vcc, v6, v2
	v_cmp_class_f32_e64 s[2:3], v6, s4
	s_or_b64 s[6:7], vcc, s[2:3]
	s_and_saveexec_b64 s[2:3], s[6:7]
	s_cbranch_execz .LBB519_382
; %bb.381:
	v_sub_f32_e32 v3, v6, v2
	s_mov_b32 s5, 0x3fb8aa3b
	v_mul_f32_e32 v6, 0x3fb8aa3b, v3
	v_fma_f32 v7, v3, s5, -v6
	v_rndne_f32_e32 v20, v6
	v_fmamk_f32 v7, v3, 0x32a5705f, v7
	v_sub_f32_e32 v6, v6, v20
	v_add_f32_e32 v6, v6, v7
	v_exp_f32_e32 v6, v6
	v_cvt_i32_f32_e32 v7, v20
	s_mov_b32 s5, 0xc2ce8ed0
	v_cmp_ngt_f32_e32 vcc, s5, v3
	s_mov_b32 s5, 0x42b17218
	v_ldexp_f32 v6, v6, v7
	v_cndmask_b32_e32 v6, 0, v6, vcc
	v_mov_b32_e32 v7, 0x7f800000
	v_cmp_nlt_f32_e32 vcc, s5, v3
	s_mov_b32 s5, 0x3f2aaaab
	s_mov_b32 s6, 0x7f800000
	v_cndmask_b32_e32 v53, v7, v6, vcc
	v_add_f32_e32 v3, 1.0, v53
	v_add_f32_e32 v6, -1.0, v3
	v_sub_f32_e32 v7, v6, v3
	v_add_f32_e32 v7, 1.0, v7
	v_sub_f32_e32 v6, v53, v6
	v_add_f32_e32 v20, v6, v7
	v_frexp_mant_f32_e32 v21, v3
	v_cvt_f64_f32_e32 v[6:7], v3
	v_frexp_exp_i32_f64_e32 v6, v[6:7]
	v_cmp_gt_f32_e32 vcc, s5, v21
	s_mov_b32 s5, 0x3f317218
	s_nop 0
	v_subbrev_co_u32_e32 v55, vcc, 0, v6, vcc
	v_sub_u32_e32 v6, 0, v55
	v_ldexp_f32 v3, v3, v6
	v_ldexp_f32 v6, v20, v6
	v_add_f32_e32 v20, -1.0, v3
	v_add_f32_e32 v7, 1.0, v20
	v_sub_f32_e32 v7, v3, v7
	v_add_f32_e32 v21, v6, v7
	v_add_f32_e32 v7, 1.0, v3
	v_add_f32_e32 v24, -1.0, v7
	v_sub_f32_e32 v3, v3, v24
	v_add_f32_e32 v3, v6, v3
	v_add_f32_e32 v64, v7, v3
	v_rcp_f32_e32 v98, v64
	v_sub_f32_e32 v6, v7, v64
	v_add_f32_e32 v7, v20, v21
	v_add_f32_e32 v3, v3, v6
	v_mul_f32_e32 v100, v7, v98
	v_sub_f32_e32 v6, v20, v7
	v_mul_f32_e32 v20, v64, v100
	v_fma_f32 v24, v100, v64, -v20
	v_fmac_f32_e32 v24, v100, v3
	v_add_f32_e32 v99, v21, v6
	v_add_f32_e32 v6, v20, v24
	v_sub_f32_e32 v21, v7, v6
	v_pk_add_f32 v[26:27], v[6:7], v[20:21] neg_lo:[0,1] neg_hi:[0,1]
	v_mov_b32_e32 v25, v6
	v_pk_add_f32 v[6:7], v[26:27], v[24:25] neg_lo:[0,1] neg_hi:[0,1]
	v_cmp_eq_f32_e32 vcc, s6, v53
	v_add_f32_e32 v7, v99, v7
	v_add_f32_e32 v6, v6, v7
	;; [unrolled: 1-line block ×3, first 2 shown]
	v_mul_f32_e32 v99, v98, v7
	v_mul_f32_e32 v20, v64, v99
	v_fma_f32 v24, v99, v64, -v20
	v_fmac_f32_e32 v24, v99, v3
	v_sub_f32_e32 v3, v21, v7
	v_add_f32_e32 v3, v6, v3
	v_add_f32_e32 v6, v20, v24
	v_sub_f32_e32 v21, v7, v6
	v_pk_add_f32 v[26:27], v[6:7], v[20:21] neg_lo:[0,1] neg_hi:[0,1]
	v_mov_b32_e32 v25, v6
	v_pk_add_f32 v[6:7], v[26:27], v[24:25] neg_lo:[0,1] neg_hi:[0,1]
	v_cvt_f32_i32_e32 v20, v55
	v_add_f32_e32 v3, v3, v7
	v_add_f32_e32 v3, v6, v3
	;; [unrolled: 1-line block ×4, first 2 shown]
	v_sub_f32_e32 v7, v6, v100
	v_mul_f32_e32 v3, v98, v3
	v_sub_f32_e32 v7, v99, v7
	v_add_f32_e32 v3, v7, v3
	v_add_f32_e32 v21, v6, v3
	v_mul_f32_e32 v24, v21, v21
	v_mov_b32_e32 v7, 0x3ecc95a3
	v_fmac_f32_e32 v7, 0x3e9b6dac, v24
	v_sub_f32_e32 v6, v21, v6
	v_fmaak_f32 v7, v24, v7, 0x3f2aaada
	v_sub_f32_e32 v3, v3, v6
	v_ldexp_f32 v25, v21, 1
	v_mul_f32_e32 v21, v21, v24
	v_mov_b32_e32 v6, 0x3f317218
	v_pk_mul_f32 v[6:7], v[20:21], v[6:7]
	v_ldexp_f32 v3, v3, 1
	v_fma_f32 v21, v20, s5, -v6
	v_fmamk_f32 v24, v20, 0xb102e308, v21
	v_pk_add_f32 v[20:21], v[6:7], v[24:25]
	v_mov_b32_e32 v26, v6
	v_sub_f32_e32 v25, v21, v25
	v_sub_f32_e32 v25, v7, v25
	v_add_f32_e32 v27, v3, v25
	v_pk_add_f32 v[6:7], v[20:21], v[6:7] neg_lo:[0,1] neg_hi:[0,1]
	v_pk_add_f32 v[98:99], v[20:21], v[26:27]
	v_mov_b32_e32 v25, v20
	v_mov_b32_e32 v7, v99
	v_pk_add_f32 v[100:101], v[24:25], v[6:7] neg_lo:[0,1] neg_hi:[0,1]
	v_pk_add_f32 v[6:7], v[24:25], v[6:7]
	v_mov_b32_e32 v26, v27
	v_mov_b32_e32 v24, v7
	s_waitcnt lgkmcnt(0)
	v_pk_add_f32 v[102:103], v[24:25], v[20:21] neg_lo:[0,1] neg_hi:[0,1]
	v_mov_b32_e32 v6, v99
	v_mov_b32_e32 v3, v102
	v_pk_add_f32 v[112:113], v[98:99], v[2:3] neg_lo:[0,1] neg_hi:[0,1]
	v_mov_b32_e32 v98, v21
	v_mov_b32_e32 v99, v102
	;; [unrolled: 1-line block ×3, first 2 shown]
	v_pk_add_f32 v[6:7], v[6:7], v[98:99] neg_lo:[0,1] neg_hi:[0,1]
	v_mov_b32_e32 v27, v20
	v_pk_add_f32 v[6:7], v[26:27], v[6:7] neg_lo:[0,1] neg_hi:[0,1]
	v_mov_b32_e32 v112, v100
	v_pk_add_f32 v[20:21], v[112:113], v[6:7]
	s_mov_b32 s5, 0x33800000
	v_mov_b32_e32 v26, v21
	v_pk_add_f32 v[26:27], v[20:21], v[26:27]
	v_cmp_lt_f32_e64 s[6:7], |v53|, s5
	v_pk_add_f32 v[24:25], v[24:25], v[26:27]
	v_mov_b32_e32 v7, v26
	v_mov_b32_e32 v21, v24
	v_pk_add_f32 v[98:99], v[20:21], v[100:101] neg_lo:[0,1] neg_hi:[0,1]
	s_or_b64 vcc, vcc, s[6:7]
	v_sub_f32_e32 v3, v20, v98
	v_pk_add_f32 v[6:7], v[6:7], v[98:99] neg_lo:[0,1] neg_hi:[0,1]
	v_sub_f32_e32 v3, v100, v3
	v_add_f32_e32 v3, v6, v3
	v_add_f32_e32 v3, v3, v7
	;; [unrolled: 1-line block ×3, first 2 shown]
	v_cndmask_b32_e32 v3, v3, v53, vcc
	v_add_f32_e32 v3, v2, v3
.LBB519_382:
	s_or_b64 exec, exec, s[2:3]
	v_bfe_u32 v2, v3, 16, 1
	s_movk_i32 s5, 0x7fff
	v_add3_u32 v2, v3, v2, s5
	v_lshrrev_b32_e32 v6, 16, v2
	v_mov_b32_e32 v2, 0x7fc0
	v_cmp_o_f32_e32 vcc, v3, v3
	s_nop 1
	v_cndmask_b32_e32 v53, v2, v6, vcc
	v_lshlrev_b32_e32 v6, 16, v53
	v_max_f32_e32 v3, v6, v6
	v_min_f32_e32 v7, v3, v66
	v_cmp_u_f32_e32 vcc, v6, v6
	v_max_f32_e32 v3, v3, v66
	s_nop 0
	v_cndmask_b32_e32 v7, v7, v6, vcc
	v_cndmask_b32_e32 v3, v3, v6, vcc
	v_cndmask_b32_e64 v7, v7, v54, s[24:25]
	v_cndmask_b32_e64 v3, v3, v54, s[24:25]
	v_cmp_neq_f32_e32 vcc, v7, v3
	v_cmp_class_f32_e64 s[2:3], v7, s4
	s_or_b64 s[6:7], vcc, s[2:3]
	s_and_saveexec_b64 s[2:3], s[6:7]
	s_cbranch_execz .LBB519_384
; %bb.383:
	v_sub_f32_e32 v6, v7, v3
	s_mov_b32 s4, 0x3fb8aa3b
	v_mul_f32_e32 v7, 0x3fb8aa3b, v6
	v_fma_f32 v20, v6, s4, -v7
	v_rndne_f32_e32 v21, v7
	v_fmamk_f32 v20, v6, 0x32a5705f, v20
	v_sub_f32_e32 v7, v7, v21
	v_add_f32_e32 v7, v7, v20
	v_exp_f32_e32 v7, v7
	v_cvt_i32_f32_e32 v20, v21
	s_mov_b32 s4, 0xc2ce8ed0
	v_cmp_ngt_f32_e32 vcc, s4, v6
	s_mov_b32 s4, 0x42b17218
	v_ldexp_f32 v7, v7, v20
	v_cndmask_b32_e32 v7, 0, v7, vcc
	v_mov_b32_e32 v20, 0x7f800000
	v_cmp_nlt_f32_e32 vcc, s4, v6
	s_mov_b32 s4, 0x3f2aaaab
	s_mov_b32 s6, 0x7f800000
	v_cndmask_b32_e32 v64, v20, v7, vcc
	v_add_f32_e32 v20, 1.0, v64
	v_add_f32_e32 v6, -1.0, v20
	v_sub_f32_e32 v7, v6, v20
	v_add_f32_e32 v7, 1.0, v7
	v_sub_f32_e32 v6, v64, v6
	v_add_f32_e32 v21, v6, v7
	v_frexp_mant_f32_e32 v24, v20
	v_cvt_f64_f32_e32 v[6:7], v20
	v_frexp_exp_i32_f64_e32 v6, v[6:7]
	v_cmp_gt_f32_e32 vcc, s4, v24
	s_mov_b32 s4, 0x3f317218
	s_nop 0
	v_subbrev_co_u32_e32 v54, vcc, 0, v6, vcc
	v_sub_u32_e32 v6, 0, v54
	v_ldexp_f32 v7, v20, v6
	v_add_f32_e32 v20, -1.0, v7
	v_add_f32_e32 v24, 1.0, v7
	v_ldexp_f32 v6, v21, v6
	v_add_f32_e32 v21, 1.0, v20
	v_add_f32_e32 v25, -1.0, v24
	v_sub_f32_e32 v21, v7, v21
	v_sub_f32_e32 v7, v7, v25
	v_add_f32_e32 v21, v6, v21
	v_add_f32_e32 v6, v6, v7
	;; [unrolled: 1-line block ×3, first 2 shown]
	v_rcp_f32_e32 v98, v55
	v_sub_f32_e32 v7, v24, v55
	v_add_f32_e32 v66, v6, v7
	v_add_f32_e32 v7, v20, v21
	v_mul_f32_e32 v100, v7, v98
	v_sub_f32_e32 v6, v20, v7
	v_mul_f32_e32 v20, v55, v100
	v_fma_f32 v24, v100, v55, -v20
	v_fmac_f32_e32 v24, v100, v66
	v_add_f32_e32 v99, v21, v6
	v_add_f32_e32 v6, v20, v24
	v_sub_f32_e32 v21, v7, v6
	v_pk_add_f32 v[26:27], v[6:7], v[20:21] neg_lo:[0,1] neg_hi:[0,1]
	v_mov_b32_e32 v25, v6
	v_pk_add_f32 v[6:7], v[26:27], v[24:25] neg_lo:[0,1] neg_hi:[0,1]
	v_cmp_eq_f32_e32 vcc, s6, v64
	v_add_f32_e32 v7, v99, v7
	v_add_f32_e32 v6, v6, v7
	;; [unrolled: 1-line block ×3, first 2 shown]
	v_mul_f32_e32 v99, v98, v7
	v_mul_f32_e32 v20, v55, v99
	v_fma_f32 v24, v99, v55, -v20
	v_fmac_f32_e32 v24, v99, v66
	v_sub_f32_e32 v21, v21, v7
	v_add_f32_e32 v55, v6, v21
	v_add_f32_e32 v6, v20, v24
	v_sub_f32_e32 v21, v7, v6
	v_pk_add_f32 v[26:27], v[6:7], v[20:21] neg_lo:[0,1] neg_hi:[0,1]
	v_mov_b32_e32 v25, v6
	v_pk_add_f32 v[6:7], v[26:27], v[24:25] neg_lo:[0,1] neg_hi:[0,1]
	v_cvt_f32_i32_e32 v20, v54
	v_add_f32_e32 v7, v55, v7
	v_add_f32_e32 v6, v6, v7
	;; [unrolled: 1-line block ×4, first 2 shown]
	v_sub_f32_e32 v7, v21, v100
	v_mul_f32_e32 v6, v98, v6
	v_sub_f32_e32 v7, v99, v7
	v_add_f32_e32 v6, v7, v6
	v_add_f32_e32 v24, v21, v6
	v_mul_f32_e32 v26, v24, v24
	v_mov_b32_e32 v7, 0x3ecc95a3
	v_sub_f32_e32 v21, v24, v21
	v_fmac_f32_e32 v7, 0x3e9b6dac, v26
	v_sub_f32_e32 v6, v6, v21
	v_fmaak_f32 v7, v26, v7, 0x3f2aaada
	v_ldexp_f32 v27, v6, 1
	v_mul_f32_e32 v21, v24, v26
	v_mov_b32_e32 v6, 0x3f317218
	v_pk_mul_f32 v[6:7], v[20:21], v[6:7]
	v_ldexp_f32 v25, v24, 1
	v_fma_f32 v21, v20, s4, -v6
	v_fmamk_f32 v24, v20, 0xb102e308, v21
	v_pk_add_f32 v[20:21], v[6:7], v[24:25]
	v_mov_b32_e32 v26, v6
	v_sub_f32_e32 v25, v21, v25
	v_sub_f32_e32 v25, v7, v25
	v_add_f32_e32 v27, v27, v25
	v_pk_add_f32 v[6:7], v[20:21], v[6:7] neg_lo:[0,1] neg_hi:[0,1]
	v_pk_add_f32 v[54:55], v[20:21], v[26:27]
	v_mov_b32_e32 v25, v20
	v_mov_b32_e32 v7, v55
	v_pk_add_f32 v[98:99], v[24:25], v[6:7] neg_lo:[0,1] neg_hi:[0,1]
	v_pk_add_f32 v[6:7], v[24:25], v[6:7]
	v_mov_b32_e32 v26, v27
	v_mov_b32_e32 v24, v7
	v_pk_add_f32 v[100:101], v[24:25], v[20:21] neg_lo:[0,1] neg_hi:[0,1]
	v_mov_b32_e32 v6, v55
	v_mov_b32_e32 v25, v100
	s_waitcnt lgkmcnt(0)
	v_pk_add_f32 v[102:103], v[54:55], v[24:25] neg_lo:[0,1] neg_hi:[0,1]
	v_mov_b32_e32 v54, v21
	v_mov_b32_e32 v55, v100
	;; [unrolled: 1-line block ×3, first 2 shown]
	v_pk_add_f32 v[6:7], v[6:7], v[54:55] neg_lo:[0,1] neg_hi:[0,1]
	v_mov_b32_e32 v27, v20
	v_pk_add_f32 v[6:7], v[26:27], v[6:7] neg_lo:[0,1] neg_hi:[0,1]
	v_mov_b32_e32 v102, v98
	v_pk_add_f32 v[20:21], v[102:103], v[6:7]
	s_mov_b32 s4, 0x33800000
	v_mov_b32_e32 v26, v21
	v_pk_add_f32 v[26:27], v[20:21], v[26:27]
	v_cmp_lt_f32_e64 s[6:7], |v64|, s4
	v_pk_add_f32 v[24:25], v[24:25], v[26:27]
	v_mov_b32_e32 v7, v26
	v_mov_b32_e32 v21, v24
	v_pk_add_f32 v[54:55], v[20:21], v[98:99] neg_lo:[0,1] neg_hi:[0,1]
	s_or_b64 vcc, vcc, s[6:7]
	v_sub_f32_e32 v20, v20, v54
	v_pk_add_f32 v[6:7], v[6:7], v[54:55] neg_lo:[0,1] neg_hi:[0,1]
	v_sub_f32_e32 v20, v98, v20
	v_add_f32_e32 v6, v6, v20
	v_add_f32_e32 v6, v6, v7
	;; [unrolled: 1-line block ×3, first 2 shown]
	v_cndmask_b32_e32 v6, v6, v64, vcc
	v_add_f32_e32 v6, v3, v6
.LBB519_384:
	s_or_b64 exec, exec, s[2:3]
	v_bfe_u32 v3, v6, 16, 1
	v_add3_u32 v3, v6, v3, s5
	v_lshrrev_b32_e32 v3, 16, v3
	v_cmp_o_f32_e32 vcc, v6, v6
	s_movk_i32 s4, 0x1f8
	s_nop 0
	v_cndmask_b32_e32 v54, v2, v3, vcc
	v_lshlrev_b32_e32 v3, 16, v54
	v_max_f32_e32 v2, v3, v3
	v_min_f32_e32 v6, v2, v67
	v_cmp_u_f32_e32 vcc, v3, v3
	v_max_f32_e32 v2, v2, v67
	s_nop 0
	v_cndmask_b32_e32 v6, v6, v3, vcc
	v_cndmask_b32_e32 v2, v2, v3, vcc
	v_cndmask_b32_e64 v6, v6, v22, s[26:27]
	v_cndmask_b32_e64 v2, v2, v22, s[26:27]
	v_cmp_neq_f32_e32 vcc, v6, v2
	v_cmp_class_f32_e64 s[2:3], v6, s4
	s_or_b64 s[6:7], vcc, s[2:3]
	s_and_saveexec_b64 s[2:3], s[6:7]
	s_cbranch_execz .LBB519_386
; %bb.385:
	v_sub_f32_e32 v3, v6, v2
	s_mov_b32 s5, 0x3fb8aa3b
	v_mul_f32_e32 v6, 0x3fb8aa3b, v3
	v_fma_f32 v7, v3, s5, -v6
	v_rndne_f32_e32 v20, v6
	v_fmamk_f32 v7, v3, 0x32a5705f, v7
	v_sub_f32_e32 v6, v6, v20
	v_add_f32_e32 v6, v6, v7
	v_exp_f32_e32 v6, v6
	v_cvt_i32_f32_e32 v7, v20
	s_mov_b32 s5, 0xc2ce8ed0
	v_cmp_ngt_f32_e32 vcc, s5, v3
	s_mov_b32 s5, 0x42b17218
	v_ldexp_f32 v6, v6, v7
	v_cndmask_b32_e32 v6, 0, v6, vcc
	v_mov_b32_e32 v7, 0x7f800000
	v_cmp_nlt_f32_e32 vcc, s5, v3
	s_mov_b32 s5, 0x3f2aaaab
	s_mov_b32 s6, 0x7f800000
	v_cndmask_b32_e32 v55, v7, v6, vcc
	v_add_f32_e32 v3, 1.0, v55
	v_add_f32_e32 v6, -1.0, v3
	v_sub_f32_e32 v7, v6, v3
	v_add_f32_e32 v7, 1.0, v7
	v_sub_f32_e32 v6, v55, v6
	v_add_f32_e32 v20, v6, v7
	v_frexp_mant_f32_e32 v21, v3
	v_cvt_f64_f32_e32 v[6:7], v3
	v_frexp_exp_i32_f64_e32 v6, v[6:7]
	v_cmp_gt_f32_e32 vcc, s5, v21
	s_mov_b32 s5, 0x3f317218
	s_nop 0
	v_subbrev_co_u32_e32 v22, vcc, 0, v6, vcc
	v_sub_u32_e32 v6, 0, v22
	v_ldexp_f32 v3, v3, v6
	v_ldexp_f32 v6, v20, v6
	v_add_f32_e32 v20, -1.0, v3
	v_add_f32_e32 v7, 1.0, v20
	v_sub_f32_e32 v7, v3, v7
	v_add_f32_e32 v21, v6, v7
	v_add_f32_e32 v7, 1.0, v3
	v_add_f32_e32 v24, -1.0, v7
	v_sub_f32_e32 v3, v3, v24
	v_add_f32_e32 v3, v6, v3
	v_add_f32_e32 v64, v7, v3
	v_rcp_f32_e32 v66, v64
	v_sub_f32_e32 v6, v7, v64
	v_add_f32_e32 v7, v20, v21
	v_add_f32_e32 v3, v3, v6
	v_mul_f32_e32 v98, v7, v66
	v_sub_f32_e32 v6, v20, v7
	v_mul_f32_e32 v20, v64, v98
	v_fma_f32 v24, v98, v64, -v20
	v_fmac_f32_e32 v24, v98, v3
	v_add_f32_e32 v67, v21, v6
	v_add_f32_e32 v6, v20, v24
	v_sub_f32_e32 v21, v7, v6
	v_pk_add_f32 v[26:27], v[6:7], v[20:21] neg_lo:[0,1] neg_hi:[0,1]
	v_mov_b32_e32 v25, v6
	v_pk_add_f32 v[6:7], v[26:27], v[24:25] neg_lo:[0,1] neg_hi:[0,1]
	v_cmp_eq_f32_e32 vcc, s6, v55
	v_add_f32_e32 v7, v67, v7
	v_add_f32_e32 v6, v6, v7
	;; [unrolled: 1-line block ×3, first 2 shown]
	v_mul_f32_e32 v67, v66, v7
	v_mul_f32_e32 v20, v64, v67
	v_fma_f32 v24, v67, v64, -v20
	v_fmac_f32_e32 v24, v67, v3
	v_sub_f32_e32 v3, v21, v7
	v_add_f32_e32 v3, v6, v3
	v_add_f32_e32 v6, v20, v24
	v_sub_f32_e32 v21, v7, v6
	v_pk_add_f32 v[26:27], v[6:7], v[20:21] neg_lo:[0,1] neg_hi:[0,1]
	v_mov_b32_e32 v25, v6
	v_pk_add_f32 v[6:7], v[26:27], v[24:25] neg_lo:[0,1] neg_hi:[0,1]
	v_cvt_f32_i32_e32 v20, v22
	v_add_f32_e32 v3, v3, v7
	v_add_f32_e32 v3, v6, v3
	;; [unrolled: 1-line block ×4, first 2 shown]
	v_sub_f32_e32 v7, v6, v98
	v_mul_f32_e32 v3, v66, v3
	v_sub_f32_e32 v7, v67, v7
	v_add_f32_e32 v3, v7, v3
	v_add_f32_e32 v21, v6, v3
	v_mul_f32_e32 v24, v21, v21
	v_mov_b32_e32 v7, 0x3ecc95a3
	v_fmac_f32_e32 v7, 0x3e9b6dac, v24
	v_sub_f32_e32 v6, v21, v6
	v_fmaak_f32 v7, v24, v7, 0x3f2aaada
	v_sub_f32_e32 v3, v3, v6
	v_ldexp_f32 v25, v21, 1
	v_mul_f32_e32 v21, v21, v24
	v_mov_b32_e32 v6, 0x3f317218
	v_pk_mul_f32 v[6:7], v[20:21], v[6:7]
	v_ldexp_f32 v3, v3, 1
	v_fma_f32 v21, v20, s5, -v6
	v_fmamk_f32 v24, v20, 0xb102e308, v21
	v_pk_add_f32 v[20:21], v[6:7], v[24:25]
	v_mov_b32_e32 v26, v6
	v_sub_f32_e32 v22, v21, v25
	v_sub_f32_e32 v22, v7, v22
	v_add_f32_e32 v27, v3, v22
	v_pk_add_f32 v[6:7], v[20:21], v[6:7] neg_lo:[0,1] neg_hi:[0,1]
	v_pk_add_f32 v[66:67], v[20:21], v[26:27]
	v_mov_b32_e32 v25, v20
	v_mov_b32_e32 v7, v67
	v_pk_add_f32 v[98:99], v[24:25], v[6:7] neg_lo:[0,1] neg_hi:[0,1]
	v_pk_add_f32 v[6:7], v[24:25], v[6:7]
	s_mov_b32 s5, 0x33800000
	v_mov_b32_e32 v22, v7
	v_pk_add_f32 v[24:25], v[22:23], v[20:21] neg_lo:[0,1] neg_hi:[0,1]
	v_mov_b32_e32 v6, v67
	v_mov_b32_e32 v3, v24
	v_pk_add_f32 v[100:101], v[66:67], v[2:3] neg_lo:[0,1] neg_hi:[0,1]
	v_mov_b32_e32 v66, v21
	v_mov_b32_e32 v67, v24
	;; [unrolled: 1-line block ×3, first 2 shown]
	v_pk_add_f32 v[6:7], v[6:7], v[66:67] neg_lo:[0,1] neg_hi:[0,1]
	v_mov_b32_e32 v24, v27
	v_mov_b32_e32 v25, v20
	v_pk_add_f32 v[6:7], v[24:25], v[6:7] neg_lo:[0,1] neg_hi:[0,1]
	v_mov_b32_e32 v100, v98
	v_pk_add_f32 v[20:21], v[100:101], v[6:7]
	v_cmp_lt_f32_e64 s[6:7], |v55|, s5
	v_mov_b32_e32 v24, v21
	v_pk_add_f32 v[24:25], v[20:21], v[24:25]
	s_or_b64 vcc, vcc, s[6:7]
	v_pk_add_f32 v[26:27], v[22:23], v[24:25]
	v_mov_b32_e32 v7, v24
	v_mov_b32_e32 v21, v26
	v_pk_add_f32 v[66:67], v[20:21], v[98:99] neg_lo:[0,1] neg_hi:[0,1]
	s_nop 0
	v_sub_f32_e32 v3, v20, v66
	v_pk_add_f32 v[6:7], v[6:7], v[66:67] neg_lo:[0,1] neg_hi:[0,1]
	v_sub_f32_e32 v3, v98, v3
	v_add_f32_e32 v3, v6, v3
	v_add_f32_e32 v3, v3, v7
	;; [unrolled: 1-line block ×3, first 2 shown]
	v_cndmask_b32_e32 v3, v3, v55, vcc
	v_add_f32_e32 v3, v2, v3
.LBB519_386:
	s_or_b64 exec, exec, s[2:3]
	v_bfe_u32 v2, v3, 16, 1
	s_movk_i32 s5, 0x7fff
	v_add3_u32 v2, v3, v2, s5
	v_lshrrev_b32_e32 v6, 16, v2
	v_mov_b32_e32 v2, 0x7fc0
	v_cmp_o_f32_e32 vcc, v3, v3
	s_nop 1
	v_cndmask_b32_e32 v55, v2, v6, vcc
	v_lshlrev_b32_e32 v6, 16, v55
	v_max_f32_e32 v3, v6, v6
	v_min_f32_e32 v7, v3, v69
	v_cmp_u_f32_e32 vcc, v6, v6
	v_max_f32_e32 v3, v3, v69
	s_nop 0
	v_cndmask_b32_e32 v7, v7, v6, vcc
	v_cndmask_b32_e32 v3, v3, v6, vcc
	v_cndmask_b32_e64 v7, v7, v65, s[28:29]
	v_cndmask_b32_e64 v3, v3, v65, s[28:29]
	v_cmp_neq_f32_e32 vcc, v7, v3
	v_cmp_class_f32_e64 s[2:3], v7, s4
	s_or_b64 s[6:7], vcc, s[2:3]
	s_and_saveexec_b64 s[2:3], s[6:7]
	s_cbranch_execz .LBB519_388
; %bb.387:
	v_sub_f32_e32 v6, v7, v3
	s_mov_b32 s4, 0x3fb8aa3b
	v_mul_f32_e32 v7, 0x3fb8aa3b, v6
	v_fma_f32 v20, v6, s4, -v7
	v_rndne_f32_e32 v21, v7
	v_fmamk_f32 v20, v6, 0x32a5705f, v20
	v_sub_f32_e32 v7, v7, v21
	v_add_f32_e32 v7, v7, v20
	v_exp_f32_e32 v7, v7
	v_cvt_i32_f32_e32 v20, v21
	s_mov_b32 s4, 0xc2ce8ed0
	v_cmp_ngt_f32_e32 vcc, s4, v6
	s_mov_b32 s4, 0x42b17218
	v_ldexp_f32 v7, v7, v20
	v_cndmask_b32_e32 v7, 0, v7, vcc
	v_mov_b32_e32 v20, 0x7f800000
	v_cmp_nlt_f32_e32 vcc, s4, v6
	s_mov_b32 s4, 0x3f2aaaab
	s_mov_b32 s6, 0x7f800000
	v_cndmask_b32_e32 v69, v20, v7, vcc
	v_add_f32_e32 v20, 1.0, v69
	v_add_f32_e32 v6, -1.0, v20
	v_sub_f32_e32 v7, v6, v20
	v_add_f32_e32 v7, 1.0, v7
	v_sub_f32_e32 v6, v69, v6
	v_add_f32_e32 v21, v6, v7
	v_frexp_mant_f32_e32 v22, v20
	v_cvt_f64_f32_e32 v[6:7], v20
	v_frexp_exp_i32_f64_e32 v6, v[6:7]
	v_cmp_gt_f32_e32 vcc, s4, v22
	s_mov_b32 s4, 0x3f317218
	s_nop 0
	v_subbrev_co_u32_e32 v22, vcc, 0, v6, vcc
	v_sub_u32_e32 v6, 0, v22
	v_ldexp_f32 v7, v20, v6
	v_add_f32_e32 v20, -1.0, v7
	v_add_f32_e32 v24, 1.0, v7
	v_ldexp_f32 v6, v21, v6
	v_add_f32_e32 v21, 1.0, v20
	v_add_f32_e32 v25, -1.0, v24
	v_sub_f32_e32 v21, v7, v21
	v_sub_f32_e32 v7, v7, v25
	v_add_f32_e32 v21, v6, v21
	v_add_f32_e32 v6, v6, v7
	;; [unrolled: 1-line block ×3, first 2 shown]
	v_rcp_f32_e32 v66, v64
	v_sub_f32_e32 v7, v24, v64
	v_add_f32_e32 v65, v6, v7
	v_add_f32_e32 v7, v20, v21
	v_mul_f32_e32 v98, v7, v66
	v_sub_f32_e32 v6, v20, v7
	v_mul_f32_e32 v20, v64, v98
	v_fma_f32 v24, v98, v64, -v20
	v_fmac_f32_e32 v24, v98, v65
	v_add_f32_e32 v67, v21, v6
	v_add_f32_e32 v6, v20, v24
	v_sub_f32_e32 v21, v7, v6
	v_pk_add_f32 v[26:27], v[6:7], v[20:21] neg_lo:[0,1] neg_hi:[0,1]
	v_mov_b32_e32 v25, v6
	v_pk_add_f32 v[6:7], v[26:27], v[24:25] neg_lo:[0,1] neg_hi:[0,1]
	v_cmp_eq_f32_e32 vcc, s6, v69
	v_add_f32_e32 v7, v67, v7
	v_add_f32_e32 v6, v6, v7
	;; [unrolled: 1-line block ×3, first 2 shown]
	v_mul_f32_e32 v67, v66, v7
	v_mul_f32_e32 v20, v64, v67
	v_fma_f32 v24, v67, v64, -v20
	v_fmac_f32_e32 v24, v67, v65
	v_sub_f32_e32 v21, v21, v7
	v_add_f32_e32 v64, v6, v21
	v_add_f32_e32 v6, v20, v24
	v_sub_f32_e32 v21, v7, v6
	v_pk_add_f32 v[26:27], v[6:7], v[20:21] neg_lo:[0,1] neg_hi:[0,1]
	v_mov_b32_e32 v25, v6
	v_pk_add_f32 v[6:7], v[26:27], v[24:25] neg_lo:[0,1] neg_hi:[0,1]
	v_cvt_f32_i32_e32 v20, v22
	v_add_f32_e32 v7, v64, v7
	v_add_f32_e32 v6, v6, v7
	;; [unrolled: 1-line block ×4, first 2 shown]
	v_sub_f32_e32 v7, v21, v98
	v_mul_f32_e32 v6, v66, v6
	v_sub_f32_e32 v7, v67, v7
	v_add_f32_e32 v6, v7, v6
	v_add_f32_e32 v24, v21, v6
	v_mul_f32_e32 v26, v24, v24
	v_mov_b32_e32 v7, 0x3ecc95a3
	v_sub_f32_e32 v21, v24, v21
	v_fmac_f32_e32 v7, 0x3e9b6dac, v26
	v_sub_f32_e32 v6, v6, v21
	v_fmaak_f32 v7, v26, v7, 0x3f2aaada
	v_ldexp_f32 v22, v6, 1
	v_mul_f32_e32 v21, v24, v26
	v_mov_b32_e32 v6, 0x3f317218
	v_pk_mul_f32 v[6:7], v[20:21], v[6:7]
	v_ldexp_f32 v25, v24, 1
	v_fma_f32 v21, v20, s4, -v6
	v_fmamk_f32 v24, v20, 0xb102e308, v21
	v_pk_add_f32 v[20:21], v[6:7], v[24:25]
	v_mov_b32_e32 v26, v6
	v_sub_f32_e32 v25, v21, v25
	v_sub_f32_e32 v25, v7, v25
	v_add_f32_e32 v27, v22, v25
	v_pk_add_f32 v[6:7], v[20:21], v[6:7] neg_lo:[0,1] neg_hi:[0,1]
	v_pk_add_f32 v[64:65], v[20:21], v[26:27]
	v_mov_b32_e32 v25, v20
	v_mov_b32_e32 v7, v65
	v_pk_add_f32 v[66:67], v[24:25], v[6:7] neg_lo:[0,1] neg_hi:[0,1]
	v_pk_add_f32 v[6:7], v[24:25], v[6:7]
	s_mov_b32 s4, 0x33800000
	v_mov_b32_e32 v22, v7
	v_pk_add_f32 v[24:25], v[22:23], v[20:21] neg_lo:[0,1] neg_hi:[0,1]
	v_mov_b32_e32 v6, v65
	v_mov_b32_e32 v25, v24
	v_pk_add_f32 v[98:99], v[64:65], v[24:25] neg_lo:[0,1] neg_hi:[0,1]
	v_mov_b32_e32 v64, v21
	v_mov_b32_e32 v65, v24
	;; [unrolled: 1-line block ×3, first 2 shown]
	v_pk_add_f32 v[6:7], v[6:7], v[64:65] neg_lo:[0,1] neg_hi:[0,1]
	v_mov_b32_e32 v24, v27
	v_mov_b32_e32 v25, v20
	v_pk_add_f32 v[6:7], v[24:25], v[6:7] neg_lo:[0,1] neg_hi:[0,1]
	v_mov_b32_e32 v98, v66
	v_pk_add_f32 v[20:21], v[98:99], v[6:7]
	v_cmp_lt_f32_e64 s[6:7], |v69|, s4
	v_mov_b32_e32 v24, v21
	v_pk_add_f32 v[24:25], v[20:21], v[24:25]
	s_or_b64 vcc, vcc, s[6:7]
	v_pk_add_f32 v[26:27], v[22:23], v[24:25]
	v_mov_b32_e32 v7, v24
	v_mov_b32_e32 v21, v26
	v_pk_add_f32 v[64:65], v[20:21], v[66:67] neg_lo:[0,1] neg_hi:[0,1]
	s_nop 0
	v_sub_f32_e32 v20, v20, v64
	v_pk_add_f32 v[6:7], v[6:7], v[64:65] neg_lo:[0,1] neg_hi:[0,1]
	v_sub_f32_e32 v20, v66, v20
	v_add_f32_e32 v6, v6, v20
	v_add_f32_e32 v6, v6, v7
	;; [unrolled: 1-line block ×3, first 2 shown]
	v_cndmask_b32_e32 v6, v6, v69, vcc
	v_add_f32_e32 v6, v3, v6
.LBB519_388:
	s_or_b64 exec, exec, s[2:3]
	v_bfe_u32 v3, v6, 16, 1
	v_add3_u32 v3, v6, v3, s5
	v_lshrrev_b32_e32 v3, 16, v3
	v_cmp_o_f32_e32 vcc, v6, v6
	s_movk_i32 s4, 0x1f8
	s_nop 0
	v_cndmask_b32_e32 v64, v2, v3, vcc
	v_lshlrev_b32_e32 v3, 16, v64
	v_max_f32_e32 v2, v3, v3
	v_min_f32_e32 v6, v2, v70
	v_cmp_u_f32_e32 vcc, v3, v3
	v_max_f32_e32 v2, v2, v70
	s_nop 0
	v_cndmask_b32_e32 v6, v6, v3, vcc
	v_cndmask_b32_e32 v2, v2, v3, vcc
	v_cndmask_b32_e64 v6, v6, v23, s[30:31]
	v_cndmask_b32_e64 v2, v2, v23, s[30:31]
	v_cmp_neq_f32_e32 vcc, v6, v2
	v_cmp_class_f32_e64 s[2:3], v6, s4
	s_or_b64 s[6:7], vcc, s[2:3]
	s_and_saveexec_b64 s[2:3], s[6:7]
	s_cbranch_execz .LBB519_390
; %bb.389:
	v_sub_f32_e32 v3, v6, v2
	s_mov_b32 s5, 0x3fb8aa3b
	v_mul_f32_e32 v6, 0x3fb8aa3b, v3
	v_fma_f32 v7, v3, s5, -v6
	v_rndne_f32_e32 v20, v6
	v_fmamk_f32 v7, v3, 0x32a5705f, v7
	v_sub_f32_e32 v6, v6, v20
	v_add_f32_e32 v6, v6, v7
	v_exp_f32_e32 v6, v6
	v_cvt_i32_f32_e32 v7, v20
	s_mov_b32 s5, 0xc2ce8ed0
	v_cmp_ngt_f32_e32 vcc, s5, v3
	s_mov_b32 s5, 0x42b17218
	v_ldexp_f32 v6, v6, v7
	v_cndmask_b32_e32 v6, 0, v6, vcc
	v_mov_b32_e32 v7, 0x7f800000
	v_cmp_nlt_f32_e32 vcc, s5, v3
	s_mov_b32 s5, 0x3f2aaaab
	s_mov_b32 s6, 0x7f800000
	v_cndmask_b32_e32 v65, v7, v6, vcc
	v_add_f32_e32 v3, 1.0, v65
	v_add_f32_e32 v6, -1.0, v3
	v_sub_f32_e32 v7, v6, v3
	v_add_f32_e32 v7, 1.0, v7
	v_sub_f32_e32 v6, v65, v6
	v_add_f32_e32 v20, v6, v7
	v_frexp_mant_f32_e32 v21, v3
	v_cvt_f64_f32_e32 v[6:7], v3
	v_frexp_exp_i32_f64_e32 v6, v[6:7]
	v_cmp_gt_f32_e32 vcc, s5, v21
	s_mov_b32 s5, 0x3f317218
	s_nop 0
	v_subbrev_co_u32_e32 v26, vcc, 0, v6, vcc
	v_sub_u32_e32 v6, 0, v26
	v_ldexp_f32 v3, v3, v6
	v_ldexp_f32 v6, v20, v6
	v_add_f32_e32 v20, -1.0, v3
	v_add_f32_e32 v7, 1.0, v20
	v_sub_f32_e32 v7, v3, v7
	v_add_f32_e32 v21, v6, v7
	v_add_f32_e32 v7, 1.0, v3
	v_add_f32_e32 v22, -1.0, v7
	v_sub_f32_e32 v3, v3, v22
	v_add_f32_e32 v3, v6, v3
	v_add_f32_e32 v27, v7, v3
	v_rcp_f32_e32 v66, v27
	v_sub_f32_e32 v6, v7, v27
	v_add_f32_e32 v7, v20, v21
	v_add_f32_e32 v3, v3, v6
	v_mul_f32_e32 v69, v7, v66
	v_sub_f32_e32 v6, v20, v7
	v_mul_f32_e32 v20, v27, v69
	v_fma_f32 v22, v69, v27, -v20
	v_fmac_f32_e32 v22, v69, v3
	v_add_f32_e32 v67, v21, v6
	v_add_f32_e32 v6, v20, v22
	v_sub_f32_e32 v21, v7, v6
	v_pk_add_f32 v[24:25], v[6:7], v[20:21] neg_lo:[0,1] neg_hi:[0,1]
	v_mov_b32_e32 v23, v6
	v_pk_add_f32 v[6:7], v[24:25], v[22:23] neg_lo:[0,1] neg_hi:[0,1]
	v_cmp_eq_f32_e32 vcc, s6, v65
	v_add_f32_e32 v7, v67, v7
	v_add_f32_e32 v6, v6, v7
	;; [unrolled: 1-line block ×3, first 2 shown]
	v_mul_f32_e32 v67, v66, v7
	v_mul_f32_e32 v20, v27, v67
	v_fma_f32 v22, v67, v27, -v20
	v_fmac_f32_e32 v22, v67, v3
	v_sub_f32_e32 v3, v21, v7
	v_add_f32_e32 v3, v6, v3
	v_add_f32_e32 v6, v20, v22
	v_sub_f32_e32 v21, v7, v6
	v_pk_add_f32 v[24:25], v[6:7], v[20:21] neg_lo:[0,1] neg_hi:[0,1]
	v_mov_b32_e32 v23, v6
	v_pk_add_f32 v[6:7], v[24:25], v[22:23] neg_lo:[0,1] neg_hi:[0,1]
	v_cvt_f32_i32_e32 v20, v26
	v_add_f32_e32 v3, v3, v7
	v_add_f32_e32 v3, v6, v3
	;; [unrolled: 1-line block ×4, first 2 shown]
	v_sub_f32_e32 v7, v6, v69
	v_mul_f32_e32 v3, v66, v3
	v_sub_f32_e32 v7, v67, v7
	v_add_f32_e32 v3, v7, v3
	v_add_f32_e32 v21, v6, v3
	v_mul_f32_e32 v22, v21, v21
	v_mov_b32_e32 v7, 0x3ecc95a3
	v_fmac_f32_e32 v7, 0x3e9b6dac, v22
	v_sub_f32_e32 v6, v21, v6
	v_fmaak_f32 v7, v22, v7, 0x3f2aaada
	v_sub_f32_e32 v3, v3, v6
	v_ldexp_f32 v23, v21, 1
	v_mul_f32_e32 v21, v21, v22
	v_mov_b32_e32 v6, 0x3f317218
	v_pk_mul_f32 v[6:7], v[20:21], v[6:7]
	v_ldexp_f32 v3, v3, 1
	v_fma_f32 v21, v20, s5, -v6
	v_fmamk_f32 v22, v20, 0xb102e308, v21
	v_pk_add_f32 v[20:21], v[6:7], v[22:23]
	v_mov_b32_e32 v24, v6
	v_sub_f32_e32 v23, v21, v23
	v_sub_f32_e32 v23, v7, v23
	v_add_f32_e32 v25, v3, v23
	v_pk_add_f32 v[6:7], v[20:21], v[6:7] neg_lo:[0,1] neg_hi:[0,1]
	v_pk_add_f32 v[26:27], v[20:21], v[24:25]
	v_mov_b32_e32 v23, v20
	v_mov_b32_e32 v7, v27
	v_pk_add_f32 v[66:67], v[22:23], v[6:7] neg_lo:[0,1] neg_hi:[0,1]
	v_pk_add_f32 v[6:7], v[22:23], v[6:7]
	v_mov_b32_e32 v24, v25
	v_mov_b32_e32 v22, v7
	v_pk_add_f32 v[98:99], v[22:23], v[20:21] neg_lo:[0,1] neg_hi:[0,1]
	v_mov_b32_e32 v6, v27
	v_mov_b32_e32 v3, v98
	v_pk_add_f32 v[100:101], v[26:27], v[2:3] neg_lo:[0,1] neg_hi:[0,1]
	v_mov_b32_e32 v26, v21
	v_mov_b32_e32 v27, v98
	;; [unrolled: 1-line block ×3, first 2 shown]
	v_pk_add_f32 v[6:7], v[6:7], v[26:27] neg_lo:[0,1] neg_hi:[0,1]
	v_mov_b32_e32 v25, v20
	v_pk_add_f32 v[6:7], v[24:25], v[6:7] neg_lo:[0,1] neg_hi:[0,1]
	v_mov_b32_e32 v100, v66
	v_pk_add_f32 v[20:21], v[100:101], v[6:7]
	s_mov_b32 s5, 0x33800000
	v_mov_b32_e32 v24, v21
	v_pk_add_f32 v[24:25], v[20:21], v[24:25]
	v_cmp_lt_f32_e64 s[6:7], |v65|, s5
	v_pk_add_f32 v[22:23], v[22:23], v[24:25]
	v_mov_b32_e32 v7, v24
	v_mov_b32_e32 v21, v22
	v_pk_add_f32 v[26:27], v[20:21], v[66:67] neg_lo:[0,1] neg_hi:[0,1]
	s_or_b64 vcc, vcc, s[6:7]
	v_sub_f32_e32 v3, v20, v26
	v_pk_add_f32 v[6:7], v[6:7], v[26:27] neg_lo:[0,1] neg_hi:[0,1]
	v_sub_f32_e32 v3, v66, v3
	v_add_f32_e32 v3, v6, v3
	v_add_f32_e32 v3, v3, v7
	;; [unrolled: 1-line block ×3, first 2 shown]
	v_cndmask_b32_e32 v3, v3, v65, vcc
	v_add_f32_e32 v3, v2, v3
.LBB519_390:
	s_or_b64 exec, exec, s[2:3]
	v_bfe_u32 v2, v3, 16, 1
	s_movk_i32 s5, 0x7fff
	v_add3_u32 v2, v3, v2, s5
	v_lshrrev_b32_e32 v6, 16, v2
	v_mov_b32_e32 v2, 0x7fc0
	v_cmp_o_f32_e32 vcc, v3, v3
	s_nop 1
	v_cndmask_b32_e32 v65, v2, v6, vcc
	v_lshlrev_b32_e32 v6, 16, v65
	v_max_f32_e32 v3, v6, v6
	v_min_f32_e32 v7, v3, v80
	v_cmp_u_f32_e32 vcc, v6, v6
	v_max_f32_e32 v3, v3, v80
	s_nop 0
	v_cndmask_b32_e32 v7, v7, v6, vcc
	v_cndmask_b32_e32 v3, v3, v6, vcc
	v_cndmask_b32_e64 v7, v7, v68, s[34:35]
	v_cndmask_b32_e64 v3, v3, v68, s[34:35]
	v_cmp_neq_f32_e32 vcc, v7, v3
	v_cmp_class_f32_e64 s[2:3], v7, s4
	s_or_b64 s[6:7], vcc, s[2:3]
	s_and_saveexec_b64 s[2:3], s[6:7]
	s_cbranch_execz .LBB519_392
; %bb.391:
	v_sub_f32_e32 v6, v7, v3
	s_mov_b32 s4, 0x3fb8aa3b
	v_mul_f32_e32 v7, 0x3fb8aa3b, v6
	v_fma_f32 v20, v6, s4, -v7
	v_rndne_f32_e32 v21, v7
	v_fmamk_f32 v20, v6, 0x32a5705f, v20
	v_sub_f32_e32 v7, v7, v21
	v_add_f32_e32 v7, v7, v20
	v_exp_f32_e32 v7, v7
	v_cvt_i32_f32_e32 v20, v21
	s_mov_b32 s4, 0xc2ce8ed0
	v_cmp_ngt_f32_e32 vcc, s4, v6
	s_mov_b32 s4, 0x42b17218
	v_ldexp_f32 v7, v7, v20
	v_cndmask_b32_e32 v7, 0, v7, vcc
	v_mov_b32_e32 v20, 0x7f800000
	v_cmp_nlt_f32_e32 vcc, s4, v6
	s_mov_b32 s4, 0x3f2aaaab
	s_mov_b32 s6, 0x7f800000
	v_cndmask_b32_e32 v70, v20, v7, vcc
	v_add_f32_e32 v20, 1.0, v70
	v_add_f32_e32 v6, -1.0, v20
	v_sub_f32_e32 v7, v6, v20
	v_add_f32_e32 v7, 1.0, v7
	v_sub_f32_e32 v6, v70, v6
	v_add_f32_e32 v21, v6, v7
	v_frexp_mant_f32_e32 v22, v20
	v_cvt_f64_f32_e32 v[6:7], v20
	v_frexp_exp_i32_f64_e32 v6, v[6:7]
	v_cmp_gt_f32_e32 vcc, s4, v22
	s_mov_b32 s4, 0x3f317218
	s_nop 0
	v_subbrev_co_u32_e32 v26, vcc, 0, v6, vcc
	v_sub_u32_e32 v6, 0, v26
	v_ldexp_f32 v7, v20, v6
	v_add_f32_e32 v20, -1.0, v7
	v_add_f32_e32 v22, 1.0, v7
	v_ldexp_f32 v6, v21, v6
	v_add_f32_e32 v21, 1.0, v20
	v_add_f32_e32 v23, -1.0, v22
	v_sub_f32_e32 v21, v7, v21
	v_sub_f32_e32 v7, v7, v23
	v_add_f32_e32 v21, v6, v21
	v_add_f32_e32 v6, v6, v7
	;; [unrolled: 1-line block ×3, first 2 shown]
	v_rcp_f32_e32 v67, v27
	v_sub_f32_e32 v7, v22, v27
	v_add_f32_e32 v66, v6, v7
	v_add_f32_e32 v7, v20, v21
	v_mul_f32_e32 v69, v7, v67
	v_sub_f32_e32 v6, v20, v7
	v_mul_f32_e32 v20, v27, v69
	v_fma_f32 v22, v69, v27, -v20
	v_fmac_f32_e32 v22, v69, v66
	v_add_f32_e32 v68, v21, v6
	v_add_f32_e32 v6, v20, v22
	v_sub_f32_e32 v21, v7, v6
	v_pk_add_f32 v[24:25], v[6:7], v[20:21] neg_lo:[0,1] neg_hi:[0,1]
	v_mov_b32_e32 v23, v6
	v_pk_add_f32 v[6:7], v[24:25], v[22:23] neg_lo:[0,1] neg_hi:[0,1]
	v_cmp_eq_f32_e32 vcc, s6, v70
	v_add_f32_e32 v7, v68, v7
	v_add_f32_e32 v6, v6, v7
	;; [unrolled: 1-line block ×3, first 2 shown]
	v_mul_f32_e32 v68, v67, v7
	v_mul_f32_e32 v20, v27, v68
	v_fma_f32 v22, v68, v27, -v20
	v_fmac_f32_e32 v22, v68, v66
	v_sub_f32_e32 v21, v21, v7
	v_add_f32_e32 v27, v6, v21
	v_add_f32_e32 v6, v20, v22
	v_sub_f32_e32 v21, v7, v6
	v_pk_add_f32 v[24:25], v[6:7], v[20:21] neg_lo:[0,1] neg_hi:[0,1]
	v_mov_b32_e32 v23, v6
	v_pk_add_f32 v[6:7], v[24:25], v[22:23] neg_lo:[0,1] neg_hi:[0,1]
	v_cvt_f32_i32_e32 v20, v26
	v_add_f32_e32 v7, v27, v7
	v_add_f32_e32 v6, v6, v7
	;; [unrolled: 1-line block ×4, first 2 shown]
	v_sub_f32_e32 v7, v21, v69
	v_mul_f32_e32 v6, v67, v6
	v_sub_f32_e32 v7, v68, v7
	v_add_f32_e32 v6, v7, v6
	v_add_f32_e32 v22, v21, v6
	v_mul_f32_e32 v24, v22, v22
	v_mov_b32_e32 v7, 0x3ecc95a3
	v_sub_f32_e32 v21, v22, v21
	v_fmac_f32_e32 v7, 0x3e9b6dac, v24
	v_sub_f32_e32 v6, v6, v21
	v_fmaak_f32 v7, v24, v7, 0x3f2aaada
	v_ldexp_f32 v25, v6, 1
	v_mul_f32_e32 v21, v22, v24
	v_mov_b32_e32 v6, 0x3f317218
	v_pk_mul_f32 v[6:7], v[20:21], v[6:7]
	v_ldexp_f32 v23, v22, 1
	v_fma_f32 v21, v20, s4, -v6
	v_fmamk_f32 v22, v20, 0xb102e308, v21
	v_pk_add_f32 v[20:21], v[6:7], v[22:23]
	v_mov_b32_e32 v24, v6
	v_sub_f32_e32 v23, v21, v23
	v_sub_f32_e32 v23, v7, v23
	v_add_f32_e32 v25, v25, v23
	v_pk_add_f32 v[6:7], v[20:21], v[6:7] neg_lo:[0,1] neg_hi:[0,1]
	v_pk_add_f32 v[26:27], v[20:21], v[24:25]
	v_mov_b32_e32 v23, v20
	v_mov_b32_e32 v7, v27
	v_pk_add_f32 v[66:67], v[22:23], v[6:7] neg_lo:[0,1] neg_hi:[0,1]
	v_pk_add_f32 v[6:7], v[22:23], v[6:7]
	v_mov_b32_e32 v24, v25
	v_mov_b32_e32 v22, v7
	v_pk_add_f32 v[68:69], v[22:23], v[20:21] neg_lo:[0,1] neg_hi:[0,1]
	v_mov_b32_e32 v6, v27
	v_mov_b32_e32 v23, v68
	v_pk_add_f32 v[98:99], v[26:27], v[22:23] neg_lo:[0,1] neg_hi:[0,1]
	v_mov_b32_e32 v26, v21
	v_mov_b32_e32 v27, v68
	;; [unrolled: 1-line block ×3, first 2 shown]
	v_pk_add_f32 v[6:7], v[6:7], v[26:27] neg_lo:[0,1] neg_hi:[0,1]
	v_mov_b32_e32 v25, v20
	v_pk_add_f32 v[6:7], v[24:25], v[6:7] neg_lo:[0,1] neg_hi:[0,1]
	v_mov_b32_e32 v98, v66
	v_pk_add_f32 v[20:21], v[98:99], v[6:7]
	s_mov_b32 s4, 0x33800000
	v_mov_b32_e32 v24, v21
	v_pk_add_f32 v[24:25], v[20:21], v[24:25]
	v_cmp_lt_f32_e64 s[6:7], |v70|, s4
	v_pk_add_f32 v[22:23], v[22:23], v[24:25]
	v_mov_b32_e32 v7, v24
	v_mov_b32_e32 v21, v22
	v_pk_add_f32 v[26:27], v[20:21], v[66:67] neg_lo:[0,1] neg_hi:[0,1]
	s_or_b64 vcc, vcc, s[6:7]
	v_sub_f32_e32 v20, v20, v26
	v_pk_add_f32 v[6:7], v[6:7], v[26:27] neg_lo:[0,1] neg_hi:[0,1]
	v_sub_f32_e32 v20, v66, v20
	v_add_f32_e32 v6, v6, v20
	v_add_f32_e32 v6, v6, v7
	;; [unrolled: 1-line block ×3, first 2 shown]
	v_cndmask_b32_e32 v6, v6, v70, vcc
	v_add_f32_e32 v6, v3, v6
.LBB519_392:
	s_or_b64 exec, exec, s[2:3]
	v_bfe_u32 v3, v6, 16, 1
	v_add3_u32 v3, v6, v3, s5
	v_lshrrev_b32_e32 v3, 16, v3
	v_cmp_o_f32_e32 vcc, v6, v6
	s_movk_i32 s4, 0x1f8
	s_nop 0
	v_cndmask_b32_e32 v66, v2, v3, vcc
	v_lshlrev_b32_e32 v3, 16, v66
	v_max_f32_e32 v2, v3, v3
	v_min_f32_e32 v6, v2, v81
	v_cmp_u_f32_e32 vcc, v3, v3
	v_max_f32_e32 v2, v2, v81
	s_nop 0
	v_cndmask_b32_e32 v6, v6, v3, vcc
	v_cndmask_b32_e32 v2, v2, v3, vcc
	v_cndmask_b32_e64 v6, v6, v16, s[36:37]
	v_cndmask_b32_e64 v2, v2, v16, s[36:37]
	v_cmp_neq_f32_e32 vcc, v6, v2
	v_cmp_class_f32_e64 s[2:3], v6, s4
	s_or_b64 s[6:7], vcc, s[2:3]
	s_and_saveexec_b64 s[2:3], s[6:7]
	s_cbranch_execz .LBB519_394
; %bb.393:
	v_sub_f32_e32 v3, v6, v2
	s_mov_b32 s5, 0x3fb8aa3b
	v_mul_f32_e32 v6, 0x3fb8aa3b, v3
	v_fma_f32 v7, v3, s5, -v6
	v_rndne_f32_e32 v16, v6
	v_fmamk_f32 v7, v3, 0x32a5705f, v7
	v_sub_f32_e32 v6, v6, v16
	v_add_f32_e32 v6, v6, v7
	v_exp_f32_e32 v6, v6
	v_cvt_i32_f32_e32 v7, v16
	s_mov_b32 s5, 0xc2ce8ed0
	v_cmp_ngt_f32_e32 vcc, s5, v3
	s_mov_b32 s5, 0x42b17218
	v_ldexp_f32 v6, v6, v7
	v_cndmask_b32_e32 v6, 0, v6, vcc
	v_mov_b32_e32 v7, 0x7f800000
	v_cmp_nlt_f32_e32 vcc, s5, v3
	s_mov_b32 s5, 0x3f2aaaab
	s_mov_b32 s6, 0x7f800000
	v_cndmask_b32_e32 v67, v7, v6, vcc
	v_add_f32_e32 v3, 1.0, v67
	v_add_f32_e32 v6, -1.0, v3
	v_sub_f32_e32 v7, v6, v3
	v_add_f32_e32 v7, 1.0, v7
	v_sub_f32_e32 v6, v67, v6
	v_add_f32_e32 v16, v6, v7
	v_frexp_mant_f32_e32 v20, v3
	v_cvt_f64_f32_e32 v[6:7], v3
	v_frexp_exp_i32_f64_e32 v6, v[6:7]
	v_cmp_gt_f32_e32 vcc, s5, v20
	s_mov_b32 s5, 0x3f317218
	s_nop 0
	v_subbrev_co_u32_e32 v26, vcc, 0, v6, vcc
	v_sub_u32_e32 v6, 0, v26
	v_ldexp_f32 v3, v3, v6
	v_ldexp_f32 v6, v16, v6
	v_add_f32_e32 v16, -1.0, v3
	v_add_f32_e32 v7, 1.0, v16
	v_sub_f32_e32 v7, v3, v7
	v_add_f32_e32 v20, v6, v7
	v_add_f32_e32 v7, 1.0, v3
	v_add_f32_e32 v21, -1.0, v7
	v_sub_f32_e32 v3, v3, v21
	v_add_f32_e32 v3, v6, v3
	v_add_f32_e32 v27, v7, v3
	v_rcp_f32_e32 v68, v27
	v_sub_f32_e32 v6, v7, v27
	v_add_f32_e32 v7, v16, v20
	v_add_f32_e32 v3, v3, v6
	v_sub_f32_e32 v6, v16, v7
	v_mul_f32_e32 v69, v7, v68
	v_add_f32_e32 v16, v20, v6
	v_mul_f32_e32 v20, v27, v69
	v_fma_f32 v22, v69, v27, -v20
	v_fmac_f32_e32 v22, v69, v3
	v_add_f32_e32 v6, v20, v22
	v_sub_f32_e32 v21, v7, v6
	v_pk_add_f32 v[24:25], v[6:7], v[20:21] neg_lo:[0,1] neg_hi:[0,1]
	v_mov_b32_e32 v23, v6
	v_pk_add_f32 v[6:7], v[24:25], v[22:23] neg_lo:[0,1] neg_hi:[0,1]
	v_cmp_eq_f32_e32 vcc, s6, v67
	v_add_f32_e32 v7, v16, v7
	v_add_f32_e32 v6, v6, v7
	;; [unrolled: 1-line block ×3, first 2 shown]
	v_mul_f32_e32 v16, v68, v7
	v_mul_f32_e32 v20, v27, v16
	v_fma_f32 v22, v16, v27, -v20
	v_fmac_f32_e32 v22, v16, v3
	v_sub_f32_e32 v3, v21, v7
	v_add_f32_e32 v3, v6, v3
	v_add_f32_e32 v6, v20, v22
	v_sub_f32_e32 v21, v7, v6
	v_pk_add_f32 v[24:25], v[6:7], v[20:21] neg_lo:[0,1] neg_hi:[0,1]
	v_mov_b32_e32 v23, v6
	v_pk_add_f32 v[6:7], v[24:25], v[22:23] neg_lo:[0,1] neg_hi:[0,1]
	v_cvt_f32_i32_e32 v20, v26
	v_add_f32_e32 v3, v3, v7
	v_add_f32_e32 v3, v6, v3
	;; [unrolled: 1-line block ×4, first 2 shown]
	v_sub_f32_e32 v7, v6, v69
	v_mul_f32_e32 v3, v68, v3
	v_sub_f32_e32 v7, v16, v7
	v_add_f32_e32 v3, v7, v3
	v_add_f32_e32 v16, v6, v3
	v_mul_f32_e32 v21, v16, v16
	v_mov_b32_e32 v7, 0x3ecc95a3
	v_fmac_f32_e32 v7, 0x3e9b6dac, v21
	v_sub_f32_e32 v6, v16, v6
	v_fmaak_f32 v7, v21, v7, 0x3f2aaada
	v_sub_f32_e32 v3, v3, v6
	v_mul_f32_e32 v21, v16, v21
	v_mov_b32_e32 v6, 0x3f317218
	v_pk_mul_f32 v[6:7], v[20:21], v[6:7]
	v_ldexp_f32 v23, v16, 1
	v_fma_f32 v16, v20, s5, -v6
	v_fmamk_f32 v22, v20, 0xb102e308, v16
	v_pk_add_f32 v[20:21], v[6:7], v[22:23]
	v_ldexp_f32 v3, v3, 1
	v_sub_f32_e32 v16, v21, v23
	v_sub_f32_e32 v16, v7, v16
	v_add_f32_e32 v25, v3, v16
	v_mov_b32_e32 v24, v6
	v_pk_add_f32 v[6:7], v[20:21], v[6:7] neg_lo:[0,1] neg_hi:[0,1]
	v_pk_add_f32 v[26:27], v[20:21], v[24:25]
	v_mov_b32_e32 v23, v20
	v_mov_b32_e32 v7, v27
	v_pk_add_f32 v[68:69], v[22:23], v[6:7] neg_lo:[0,1] neg_hi:[0,1]
	v_pk_add_f32 v[6:7], v[22:23], v[6:7]
	s_mov_b32 s5, 0x33800000
	v_mov_b32_e32 v16, v7
	v_pk_add_f32 v[22:23], v[16:17], v[20:21] neg_lo:[0,1] neg_hi:[0,1]
	v_mov_b32_e32 v6, v27
	v_mov_b32_e32 v3, v22
	v_pk_add_f32 v[80:81], v[26:27], v[2:3] neg_lo:[0,1] neg_hi:[0,1]
	v_mov_b32_e32 v26, v21
	v_mov_b32_e32 v27, v22
	;; [unrolled: 1-line block ×3, first 2 shown]
	v_pk_add_f32 v[6:7], v[6:7], v[26:27] neg_lo:[0,1] neg_hi:[0,1]
	v_mov_b32_e32 v22, v25
	v_mov_b32_e32 v23, v20
	v_pk_add_f32 v[6:7], v[22:23], v[6:7] neg_lo:[0,1] neg_hi:[0,1]
	v_mov_b32_e32 v80, v68
	v_pk_add_f32 v[20:21], v[80:81], v[6:7]
	v_cmp_lt_f32_e64 s[6:7], |v67|, s5
	v_mov_b32_e32 v22, v21
	v_pk_add_f32 v[22:23], v[20:21], v[22:23]
	s_or_b64 vcc, vcc, s[6:7]
	v_pk_add_f32 v[24:25], v[16:17], v[22:23]
	v_mov_b32_e32 v7, v22
	v_mov_b32_e32 v21, v24
	v_pk_add_f32 v[26:27], v[20:21], v[68:69] neg_lo:[0,1] neg_hi:[0,1]
	s_nop 0
	v_sub_f32_e32 v3, v20, v26
	v_pk_add_f32 v[6:7], v[6:7], v[26:27] neg_lo:[0,1] neg_hi:[0,1]
	v_sub_f32_e32 v3, v68, v3
	v_add_f32_e32 v3, v6, v3
	v_add_f32_e32 v3, v3, v7
	;; [unrolled: 1-line block ×3, first 2 shown]
	v_cndmask_b32_e32 v3, v3, v67, vcc
	v_add_f32_e32 v3, v2, v3
.LBB519_394:
	s_or_b64 exec, exec, s[2:3]
	v_bfe_u32 v2, v3, 16, 1
	s_movk_i32 s5, 0x7fff
	v_add3_u32 v2, v3, v2, s5
	v_lshrrev_b32_e32 v6, 16, v2
	v_mov_b32_e32 v2, 0x7fc0
	v_cmp_o_f32_e32 vcc, v3, v3
	s_nop 1
	v_cndmask_b32_e32 v67, v2, v6, vcc
	v_lshlrev_b32_e32 v6, 16, v67
	v_max_f32_e32 v3, v6, v6
	v_min_f32_e32 v7, v3, v83
	v_cmp_u_f32_e32 vcc, v6, v6
	v_max_f32_e32 v3, v3, v83
	s_nop 0
	v_cndmask_b32_e32 v7, v7, v6, vcc
	v_cndmask_b32_e32 v3, v3, v6, vcc
	v_cndmask_b32_e64 v7, v7, v71, s[38:39]
	v_cndmask_b32_e64 v3, v3, v71, s[38:39]
	v_cmp_neq_f32_e32 vcc, v7, v3
	v_cmp_class_f32_e64 s[2:3], v7, s4
	s_or_b64 s[6:7], vcc, s[2:3]
	s_and_saveexec_b64 s[2:3], s[6:7]
	s_cbranch_execz .LBB519_396
; %bb.395:
	v_sub_f32_e32 v6, v7, v3
	s_mov_b32 s4, 0x3fb8aa3b
	v_mul_f32_e32 v7, 0x3fb8aa3b, v6
	v_fma_f32 v16, v6, s4, -v7
	v_rndne_f32_e32 v20, v7
	v_fmamk_f32 v16, v6, 0x32a5705f, v16
	v_sub_f32_e32 v7, v7, v20
	v_add_f32_e32 v7, v7, v16
	v_exp_f32_e32 v7, v7
	v_cvt_i32_f32_e32 v16, v20
	s_mov_b32 s4, 0xc2ce8ed0
	v_cmp_ngt_f32_e32 vcc, s4, v6
	s_mov_b32 s4, 0x42b17218
	v_ldexp_f32 v7, v7, v16
	v_cndmask_b32_e32 v7, 0, v7, vcc
	v_mov_b32_e32 v16, 0x7f800000
	v_cmp_nlt_f32_e32 vcc, s4, v6
	s_mov_b32 s4, 0x3f2aaaab
	s_mov_b32 s6, 0x7f800000
	v_cndmask_b32_e32 v80, v16, v7, vcc
	v_add_f32_e32 v16, 1.0, v80
	v_add_f32_e32 v6, -1.0, v16
	v_sub_f32_e32 v7, v6, v16
	v_add_f32_e32 v7, 1.0, v7
	v_sub_f32_e32 v6, v80, v6
	v_add_f32_e32 v20, v6, v7
	v_frexp_mant_f32_e32 v21, v16
	v_cvt_f64_f32_e32 v[6:7], v16
	v_frexp_exp_i32_f64_e32 v6, v[6:7]
	v_cmp_gt_f32_e32 vcc, s4, v21
	s_mov_b32 s4, 0x3f317218
	s_nop 0
	v_subbrev_co_u32_e32 v26, vcc, 0, v6, vcc
	v_sub_u32_e32 v6, 0, v26
	v_ldexp_f32 v7, v16, v6
	v_add_f32_e32 v16, -1.0, v7
	v_add_f32_e32 v21, 1.0, v7
	v_ldexp_f32 v6, v20, v6
	v_add_f32_e32 v20, 1.0, v16
	v_add_f32_e32 v22, -1.0, v21
	v_sub_f32_e32 v20, v7, v20
	v_sub_f32_e32 v7, v7, v22
	v_add_f32_e32 v20, v6, v20
	v_add_f32_e32 v6, v6, v7
	;; [unrolled: 1-line block ×3, first 2 shown]
	v_rcp_f32_e32 v69, v27
	v_sub_f32_e32 v7, v21, v27
	v_add_f32_e32 v68, v6, v7
	v_add_f32_e32 v7, v16, v20
	v_sub_f32_e32 v6, v16, v7
	v_mul_f32_e32 v70, v7, v69
	v_add_f32_e32 v16, v20, v6
	v_mul_f32_e32 v20, v27, v70
	v_fma_f32 v22, v70, v27, -v20
	v_fmac_f32_e32 v22, v70, v68
	v_add_f32_e32 v6, v20, v22
	v_sub_f32_e32 v21, v7, v6
	v_pk_add_f32 v[24:25], v[6:7], v[20:21] neg_lo:[0,1] neg_hi:[0,1]
	v_mov_b32_e32 v23, v6
	v_pk_add_f32 v[6:7], v[24:25], v[22:23] neg_lo:[0,1] neg_hi:[0,1]
	v_cmp_eq_f32_e32 vcc, s6, v80
	v_add_f32_e32 v7, v16, v7
	v_add_f32_e32 v6, v6, v7
	;; [unrolled: 1-line block ×3, first 2 shown]
	v_mul_f32_e32 v16, v69, v7
	v_mul_f32_e32 v20, v27, v16
	v_fma_f32 v22, v16, v27, -v20
	v_fmac_f32_e32 v22, v16, v68
	v_sub_f32_e32 v21, v21, v7
	v_add_f32_e32 v27, v6, v21
	v_add_f32_e32 v6, v20, v22
	v_sub_f32_e32 v21, v7, v6
	v_pk_add_f32 v[24:25], v[6:7], v[20:21] neg_lo:[0,1] neg_hi:[0,1]
	v_mov_b32_e32 v23, v6
	v_pk_add_f32 v[6:7], v[24:25], v[22:23] neg_lo:[0,1] neg_hi:[0,1]
	v_cvt_f32_i32_e32 v20, v26
	v_add_f32_e32 v7, v27, v7
	v_add_f32_e32 v6, v6, v7
	;; [unrolled: 1-line block ×4, first 2 shown]
	v_sub_f32_e32 v7, v21, v70
	v_mul_f32_e32 v6, v69, v6
	v_sub_f32_e32 v7, v16, v7
	v_add_f32_e32 v6, v7, v6
	v_add_f32_e32 v16, v21, v6
	v_mul_f32_e32 v22, v16, v16
	v_mov_b32_e32 v7, 0x3ecc95a3
	v_sub_f32_e32 v21, v16, v21
	v_fmac_f32_e32 v7, 0x3e9b6dac, v22
	v_sub_f32_e32 v6, v6, v21
	v_fmaak_f32 v7, v22, v7, 0x3f2aaada
	v_ldexp_f32 v24, v6, 1
	v_mul_f32_e32 v21, v16, v22
	v_mov_b32_e32 v6, 0x3f317218
	v_pk_mul_f32 v[6:7], v[20:21], v[6:7]
	v_ldexp_f32 v23, v16, 1
	v_fma_f32 v16, v20, s4, -v6
	v_fmamk_f32 v22, v20, 0xb102e308, v16
	v_pk_add_f32 v[20:21], v[6:7], v[22:23]
	s_mov_b32 s4, 0x33800000
	v_sub_f32_e32 v16, v21, v23
	v_sub_f32_e32 v16, v7, v16
	v_add_f32_e32 v25, v24, v16
	v_mov_b32_e32 v24, v6
	v_pk_add_f32 v[6:7], v[20:21], v[6:7] neg_lo:[0,1] neg_hi:[0,1]
	v_pk_add_f32 v[26:27], v[20:21], v[24:25]
	v_mov_b32_e32 v23, v20
	v_mov_b32_e32 v7, v27
	v_pk_add_f32 v[68:69], v[22:23], v[6:7] neg_lo:[0,1] neg_hi:[0,1]
	v_pk_add_f32 v[6:7], v[22:23], v[6:7]
	v_cmp_lt_f32_e64 s[6:7], |v80|, s4
	v_mov_b32_e32 v16, v7
	v_pk_add_f32 v[22:23], v[16:17], v[20:21] neg_lo:[0,1] neg_hi:[0,1]
	v_mov_b32_e32 v6, v27
	v_mov_b32_e32 v23, v22
	v_pk_add_f32 v[70:71], v[26:27], v[22:23] neg_lo:[0,1] neg_hi:[0,1]
	v_mov_b32_e32 v26, v21
	v_mov_b32_e32 v27, v22
	v_mov_b32_e32 v69, v7
	v_pk_add_f32 v[6:7], v[6:7], v[26:27] neg_lo:[0,1] neg_hi:[0,1]
	v_mov_b32_e32 v22, v25
	v_mov_b32_e32 v23, v20
	v_pk_add_f32 v[6:7], v[22:23], v[6:7] neg_lo:[0,1] neg_hi:[0,1]
	v_mov_b32_e32 v70, v68
	v_pk_add_f32 v[20:21], v[70:71], v[6:7]
	s_or_b64 vcc, vcc, s[6:7]
	v_mov_b32_e32 v22, v21
	v_pk_add_f32 v[22:23], v[20:21], v[22:23]
	s_nop 0
	v_pk_add_f32 v[24:25], v[16:17], v[22:23]
	v_mov_b32_e32 v7, v22
	v_mov_b32_e32 v21, v24
	v_pk_add_f32 v[26:27], v[20:21], v[68:69] neg_lo:[0,1] neg_hi:[0,1]
	s_nop 0
	v_sub_f32_e32 v16, v20, v26
	v_pk_add_f32 v[6:7], v[6:7], v[26:27] neg_lo:[0,1] neg_hi:[0,1]
	v_sub_f32_e32 v16, v68, v16
	v_add_f32_e32 v6, v6, v16
	v_add_f32_e32 v6, v6, v7
	;; [unrolled: 1-line block ×3, first 2 shown]
	v_cndmask_b32_e32 v6, v6, v80, vcc
	v_add_f32_e32 v6, v3, v6
.LBB519_396:
	s_or_b64 exec, exec, s[2:3]
	v_bfe_u32 v3, v6, 16, 1
	v_add3_u32 v3, v6, v3, s5
	v_lshrrev_b32_e32 v3, 16, v3
	v_cmp_o_f32_e32 vcc, v6, v6
	s_movk_i32 s4, 0x1f8
	s_nop 0
	v_cndmask_b32_e32 v68, v2, v3, vcc
	v_lshlrev_b32_e32 v3, 16, v68
	v_max_f32_e32 v2, v3, v3
	v_min_f32_e32 v6, v2, v84
	v_cmp_u_f32_e32 vcc, v3, v3
	v_max_f32_e32 v2, v2, v84
	s_nop 0
	v_cndmask_b32_e32 v6, v6, v3, vcc
	v_cndmask_b32_e32 v2, v2, v3, vcc
	v_cndmask_b32_e64 v6, v6, v17, s[40:41]
	v_cndmask_b32_e64 v2, v2, v17, s[40:41]
	v_cmp_neq_f32_e32 vcc, v6, v2
	v_cmp_class_f32_e64 s[2:3], v6, s4
	s_or_b64 s[6:7], vcc, s[2:3]
	s_and_saveexec_b64 s[2:3], s[6:7]
	s_cbranch_execz .LBB519_398
; %bb.397:
	v_sub_f32_e32 v3, v6, v2
	s_mov_b32 s5, 0x3fb8aa3b
	v_mul_f32_e32 v6, 0x3fb8aa3b, v3
	v_fma_f32 v7, v3, s5, -v6
	v_rndne_f32_e32 v16, v6
	v_fmamk_f32 v7, v3, 0x32a5705f, v7
	v_sub_f32_e32 v6, v6, v16
	v_add_f32_e32 v6, v6, v7
	v_exp_f32_e32 v6, v6
	v_cvt_i32_f32_e32 v7, v16
	s_mov_b32 s5, 0xc2ce8ed0
	v_cmp_ngt_f32_e32 vcc, s5, v3
	s_mov_b32 s5, 0x42b17218
	v_ldexp_f32 v6, v6, v7
	v_cndmask_b32_e32 v6, 0, v6, vcc
	v_mov_b32_e32 v7, 0x7f800000
	v_cmp_nlt_f32_e32 vcc, s5, v3
	s_mov_b32 s5, 0x3f2aaaab
	s_mov_b32 s6, 0x7f800000
	v_cndmask_b32_e32 v69, v7, v6, vcc
	v_add_f32_e32 v3, 1.0, v69
	v_add_f32_e32 v6, -1.0, v3
	v_sub_f32_e32 v7, v6, v3
	v_add_f32_e32 v7, 1.0, v7
	v_sub_f32_e32 v6, v69, v6
	v_add_f32_e32 v16, v6, v7
	v_frexp_mant_f32_e32 v17, v3
	v_cvt_f64_f32_e32 v[6:7], v3
	v_frexp_exp_i32_f64_e32 v6, v[6:7]
	v_cmp_gt_f32_e32 vcc, s5, v17
	s_mov_b32 s5, 0x3f317218
	s_nop 0
	v_subbrev_co_u32_e32 v24, vcc, 0, v6, vcc
	v_sub_u32_e32 v6, 0, v24
	v_ldexp_f32 v3, v3, v6
	v_ldexp_f32 v6, v16, v6
	v_add_f32_e32 v16, -1.0, v3
	v_add_f32_e32 v7, 1.0, v16
	v_sub_f32_e32 v7, v3, v7
	v_add_f32_e32 v17, v6, v7
	v_add_f32_e32 v7, 1.0, v3
	v_add_f32_e32 v20, -1.0, v7
	v_sub_f32_e32 v3, v3, v20
	v_add_f32_e32 v3, v6, v3
	v_add_f32_e32 v25, v7, v3
	v_rcp_f32_e32 v26, v25
	v_sub_f32_e32 v6, v7, v25
	v_add_f32_e32 v7, v16, v17
	v_add_f32_e32 v3, v3, v6
	v_mul_f32_e32 v70, v7, v26
	v_sub_f32_e32 v6, v16, v7
	v_mul_f32_e32 v16, v25, v70
	v_fma_f32 v20, v70, v25, -v16
	v_fmac_f32_e32 v20, v70, v3
	v_add_f32_e32 v27, v17, v6
	v_add_f32_e32 v6, v16, v20
	v_sub_f32_e32 v17, v7, v6
	v_pk_add_f32 v[22:23], v[6:7], v[16:17] neg_lo:[0,1] neg_hi:[0,1]
	v_mov_b32_e32 v21, v6
	v_pk_add_f32 v[6:7], v[22:23], v[20:21] neg_lo:[0,1] neg_hi:[0,1]
	v_cmp_eq_f32_e32 vcc, s6, v69
	v_add_f32_e32 v7, v27, v7
	v_add_f32_e32 v6, v6, v7
	v_add_f32_e32 v7, v17, v6
	v_mul_f32_e32 v27, v26, v7
	v_mul_f32_e32 v16, v25, v27
	v_fma_f32 v20, v27, v25, -v16
	v_fmac_f32_e32 v20, v27, v3
	v_sub_f32_e32 v3, v17, v7
	v_add_f32_e32 v3, v6, v3
	v_add_f32_e32 v6, v16, v20
	v_sub_f32_e32 v17, v7, v6
	v_pk_add_f32 v[22:23], v[6:7], v[16:17] neg_lo:[0,1] neg_hi:[0,1]
	v_mov_b32_e32 v21, v6
	v_pk_add_f32 v[6:7], v[22:23], v[20:21] neg_lo:[0,1] neg_hi:[0,1]
	v_cvt_f32_i32_e32 v16, v24
	v_add_f32_e32 v3, v3, v7
	v_add_f32_e32 v3, v6, v3
	;; [unrolled: 1-line block ×4, first 2 shown]
	v_sub_f32_e32 v7, v6, v70
	v_mul_f32_e32 v3, v26, v3
	v_sub_f32_e32 v7, v27, v7
	v_add_f32_e32 v3, v7, v3
	v_add_f32_e32 v17, v6, v3
	v_mul_f32_e32 v20, v17, v17
	v_mov_b32_e32 v7, 0x3ecc95a3
	v_fmac_f32_e32 v7, 0x3e9b6dac, v20
	v_sub_f32_e32 v6, v17, v6
	v_fmaak_f32 v7, v20, v7, 0x3f2aaada
	v_sub_f32_e32 v3, v3, v6
	v_ldexp_f32 v21, v17, 1
	v_mul_f32_e32 v17, v17, v20
	v_mov_b32_e32 v6, 0x3f317218
	v_pk_mul_f32 v[6:7], v[16:17], v[6:7]
	v_ldexp_f32 v3, v3, 1
	v_fma_f32 v17, v16, s5, -v6
	v_fmamk_f32 v20, v16, 0xb102e308, v17
	v_pk_add_f32 v[16:17], v[6:7], v[20:21]
	v_mov_b32_e32 v22, v6
	v_sub_f32_e32 v21, v17, v21
	v_sub_f32_e32 v21, v7, v21
	v_add_f32_e32 v23, v3, v21
	v_pk_add_f32 v[6:7], v[16:17], v[6:7] neg_lo:[0,1] neg_hi:[0,1]
	v_pk_add_f32 v[24:25], v[16:17], v[22:23]
	v_mov_b32_e32 v21, v16
	v_mov_b32_e32 v7, v25
	v_pk_add_f32 v[26:27], v[20:21], v[6:7] neg_lo:[0,1] neg_hi:[0,1]
	v_pk_add_f32 v[6:7], v[20:21], v[6:7]
	v_mov_b32_e32 v22, v23
	v_mov_b32_e32 v20, v7
	v_pk_add_f32 v[70:71], v[20:21], v[16:17] neg_lo:[0,1] neg_hi:[0,1]
	v_mov_b32_e32 v6, v25
	v_mov_b32_e32 v3, v70
	v_pk_add_f32 v[80:81], v[24:25], v[2:3] neg_lo:[0,1] neg_hi:[0,1]
	v_mov_b32_e32 v24, v17
	v_mov_b32_e32 v25, v70
	;; [unrolled: 1-line block ×3, first 2 shown]
	v_pk_add_f32 v[6:7], v[6:7], v[24:25] neg_lo:[0,1] neg_hi:[0,1]
	v_mov_b32_e32 v23, v16
	v_pk_add_f32 v[6:7], v[22:23], v[6:7] neg_lo:[0,1] neg_hi:[0,1]
	v_mov_b32_e32 v80, v26
	v_pk_add_f32 v[16:17], v[80:81], v[6:7]
	s_mov_b32 s5, 0x33800000
	v_mov_b32_e32 v22, v17
	v_pk_add_f32 v[22:23], v[16:17], v[22:23]
	v_cmp_lt_f32_e64 s[6:7], |v69|, s5
	v_pk_add_f32 v[20:21], v[20:21], v[22:23]
	v_mov_b32_e32 v7, v22
	v_mov_b32_e32 v17, v20
	v_pk_add_f32 v[24:25], v[16:17], v[26:27] neg_lo:[0,1] neg_hi:[0,1]
	s_or_b64 vcc, vcc, s[6:7]
	v_sub_f32_e32 v3, v16, v24
	v_pk_add_f32 v[6:7], v[6:7], v[24:25] neg_lo:[0,1] neg_hi:[0,1]
	v_sub_f32_e32 v3, v26, v3
	v_add_f32_e32 v3, v6, v3
	v_add_f32_e32 v3, v3, v7
	v_add_f32_e32 v3, v20, v3
	v_cndmask_b32_e32 v3, v3, v69, vcc
	v_add_f32_e32 v3, v2, v3
.LBB519_398:
	s_or_b64 exec, exec, s[2:3]
	v_bfe_u32 v2, v3, 16, 1
	s_movk_i32 s5, 0x7fff
	v_add3_u32 v2, v3, v2, s5
	v_lshrrev_b32_e32 v6, 16, v2
	v_mov_b32_e32 v2, 0x7fc0
	v_cmp_o_f32_e32 vcc, v3, v3
	s_nop 1
	v_cndmask_b32_e32 v69, v2, v6, vcc
	v_lshlrev_b32_e32 v6, 16, v69
	v_max_f32_e32 v3, v6, v6
	v_min_f32_e32 v7, v3, v86
	v_cmp_u_f32_e32 vcc, v6, v6
	v_max_f32_e32 v3, v3, v86
	s_nop 0
	v_cndmask_b32_e32 v7, v7, v6, vcc
	v_cndmask_b32_e32 v3, v3, v6, vcc
	v_cndmask_b32_e64 v7, v7, v82, s[42:43]
	v_cndmask_b32_e64 v3, v3, v82, s[42:43]
	v_cmp_neq_f32_e32 vcc, v7, v3
	v_cmp_class_f32_e64 s[2:3], v7, s4
	s_or_b64 s[6:7], vcc, s[2:3]
	s_and_saveexec_b64 s[2:3], s[6:7]
	s_cbranch_execz .LBB519_400
; %bb.399:
	v_sub_f32_e32 v6, v7, v3
	s_mov_b32 s4, 0x3fb8aa3b
	v_mul_f32_e32 v7, 0x3fb8aa3b, v6
	v_fma_f32 v16, v6, s4, -v7
	v_rndne_f32_e32 v17, v7
	v_fmamk_f32 v16, v6, 0x32a5705f, v16
	v_sub_f32_e32 v7, v7, v17
	v_add_f32_e32 v7, v7, v16
	v_exp_f32_e32 v7, v7
	v_cvt_i32_f32_e32 v16, v17
	s_mov_b32 s4, 0xc2ce8ed0
	v_cmp_ngt_f32_e32 vcc, s4, v6
	s_mov_b32 s4, 0x42b17218
	v_ldexp_f32 v7, v7, v16
	v_cndmask_b32_e32 v7, 0, v7, vcc
	v_mov_b32_e32 v16, 0x7f800000
	v_cmp_nlt_f32_e32 vcc, s4, v6
	s_mov_b32 s4, 0x3f2aaaab
	s_mov_b32 s6, 0x7f800000
	v_cndmask_b32_e32 v82, v16, v7, vcc
	v_add_f32_e32 v16, 1.0, v82
	v_add_f32_e32 v6, -1.0, v16
	v_sub_f32_e32 v7, v6, v16
	v_add_f32_e32 v7, 1.0, v7
	v_sub_f32_e32 v6, v82, v6
	v_add_f32_e32 v17, v6, v7
	v_frexp_mant_f32_e32 v20, v16
	v_cvt_f64_f32_e32 v[6:7], v16
	v_frexp_exp_i32_f64_e32 v6, v[6:7]
	v_cmp_gt_f32_e32 vcc, s4, v20
	s_mov_b32 s4, 0x3f317218
	s_nop 0
	v_subbrev_co_u32_e32 v24, vcc, 0, v6, vcc
	v_sub_u32_e32 v6, 0, v24
	v_ldexp_f32 v7, v16, v6
	v_add_f32_e32 v16, -1.0, v7
	v_add_f32_e32 v20, 1.0, v7
	v_ldexp_f32 v6, v17, v6
	v_add_f32_e32 v17, 1.0, v16
	v_add_f32_e32 v21, -1.0, v20
	v_sub_f32_e32 v17, v7, v17
	v_sub_f32_e32 v7, v7, v21
	v_add_f32_e32 v17, v6, v17
	v_add_f32_e32 v6, v6, v7
	;; [unrolled: 1-line block ×3, first 2 shown]
	v_rcp_f32_e32 v27, v25
	v_sub_f32_e32 v7, v20, v25
	v_add_f32_e32 v26, v6, v7
	v_add_f32_e32 v7, v16, v17
	v_mul_f32_e32 v71, v7, v27
	v_sub_f32_e32 v6, v16, v7
	v_mul_f32_e32 v16, v25, v71
	v_fma_f32 v20, v71, v25, -v16
	v_fmac_f32_e32 v20, v71, v26
	v_add_f32_e32 v70, v17, v6
	v_add_f32_e32 v6, v16, v20
	v_sub_f32_e32 v17, v7, v6
	v_pk_add_f32 v[22:23], v[6:7], v[16:17] neg_lo:[0,1] neg_hi:[0,1]
	v_mov_b32_e32 v21, v6
	v_pk_add_f32 v[6:7], v[22:23], v[20:21] neg_lo:[0,1] neg_hi:[0,1]
	v_cmp_eq_f32_e32 vcc, s6, v82
	v_add_f32_e32 v7, v70, v7
	v_add_f32_e32 v6, v6, v7
	;; [unrolled: 1-line block ×3, first 2 shown]
	v_mul_f32_e32 v70, v27, v7
	v_mul_f32_e32 v16, v25, v70
	v_fma_f32 v20, v70, v25, -v16
	v_fmac_f32_e32 v20, v70, v26
	v_sub_f32_e32 v17, v17, v7
	v_add_f32_e32 v25, v6, v17
	v_add_f32_e32 v6, v16, v20
	v_sub_f32_e32 v17, v7, v6
	v_pk_add_f32 v[22:23], v[6:7], v[16:17] neg_lo:[0,1] neg_hi:[0,1]
	v_mov_b32_e32 v21, v6
	v_pk_add_f32 v[6:7], v[22:23], v[20:21] neg_lo:[0,1] neg_hi:[0,1]
	v_cvt_f32_i32_e32 v16, v24
	v_add_f32_e32 v7, v25, v7
	v_add_f32_e32 v6, v6, v7
	;; [unrolled: 1-line block ×4, first 2 shown]
	v_sub_f32_e32 v7, v17, v71
	v_mul_f32_e32 v6, v27, v6
	v_sub_f32_e32 v7, v70, v7
	v_add_f32_e32 v6, v7, v6
	v_add_f32_e32 v20, v17, v6
	v_mul_f32_e32 v22, v20, v20
	v_mov_b32_e32 v7, 0x3ecc95a3
	v_sub_f32_e32 v17, v20, v17
	v_fmac_f32_e32 v7, 0x3e9b6dac, v22
	v_sub_f32_e32 v6, v6, v17
	v_fmaak_f32 v7, v22, v7, 0x3f2aaada
	v_ldexp_f32 v23, v6, 1
	v_mul_f32_e32 v17, v20, v22
	v_mov_b32_e32 v6, 0x3f317218
	v_pk_mul_f32 v[6:7], v[16:17], v[6:7]
	v_ldexp_f32 v21, v20, 1
	v_fma_f32 v17, v16, s4, -v6
	v_fmamk_f32 v20, v16, 0xb102e308, v17
	v_pk_add_f32 v[16:17], v[6:7], v[20:21]
	v_mov_b32_e32 v22, v6
	v_sub_f32_e32 v21, v17, v21
	v_sub_f32_e32 v21, v7, v21
	v_add_f32_e32 v23, v23, v21
	v_pk_add_f32 v[6:7], v[16:17], v[6:7] neg_lo:[0,1] neg_hi:[0,1]
	v_pk_add_f32 v[24:25], v[16:17], v[22:23]
	v_mov_b32_e32 v21, v16
	v_mov_b32_e32 v7, v25
	v_pk_add_f32 v[26:27], v[20:21], v[6:7] neg_lo:[0,1] neg_hi:[0,1]
	v_pk_add_f32 v[6:7], v[20:21], v[6:7]
	v_mov_b32_e32 v22, v23
	v_mov_b32_e32 v20, v7
	v_pk_add_f32 v[70:71], v[20:21], v[16:17] neg_lo:[0,1] neg_hi:[0,1]
	v_mov_b32_e32 v6, v25
	v_mov_b32_e32 v21, v70
	v_pk_add_f32 v[80:81], v[24:25], v[20:21] neg_lo:[0,1] neg_hi:[0,1]
	v_mov_b32_e32 v24, v17
	v_mov_b32_e32 v25, v70
	;; [unrolled: 1-line block ×3, first 2 shown]
	v_pk_add_f32 v[6:7], v[6:7], v[24:25] neg_lo:[0,1] neg_hi:[0,1]
	v_mov_b32_e32 v23, v16
	v_pk_add_f32 v[6:7], v[22:23], v[6:7] neg_lo:[0,1] neg_hi:[0,1]
	v_mov_b32_e32 v80, v26
	v_pk_add_f32 v[16:17], v[80:81], v[6:7]
	s_mov_b32 s4, 0x33800000
	v_mov_b32_e32 v22, v17
	v_pk_add_f32 v[22:23], v[16:17], v[22:23]
	v_cmp_lt_f32_e64 s[6:7], |v82|, s4
	v_pk_add_f32 v[20:21], v[20:21], v[22:23]
	v_mov_b32_e32 v7, v22
	v_mov_b32_e32 v17, v20
	v_pk_add_f32 v[24:25], v[16:17], v[26:27] neg_lo:[0,1] neg_hi:[0,1]
	s_or_b64 vcc, vcc, s[6:7]
	v_sub_f32_e32 v16, v16, v24
	v_pk_add_f32 v[6:7], v[6:7], v[24:25] neg_lo:[0,1] neg_hi:[0,1]
	v_sub_f32_e32 v16, v26, v16
	v_add_f32_e32 v6, v6, v16
	v_add_f32_e32 v6, v6, v7
	;; [unrolled: 1-line block ×3, first 2 shown]
	v_cndmask_b32_e32 v6, v6, v82, vcc
	v_add_f32_e32 v6, v3, v6
.LBB519_400:
	s_or_b64 exec, exec, s[2:3]
	v_bfe_u32 v3, v6, 16, 1
	v_add3_u32 v3, v6, v3, s5
	v_lshrrev_b32_e32 v3, 16, v3
	v_cmp_o_f32_e32 vcc, v6, v6
	s_movk_i32 s4, 0x1f8
	s_nop 0
	v_cndmask_b32_e32 v70, v2, v3, vcc
	v_lshlrev_b32_e32 v3, 16, v70
	v_max_f32_e32 v2, v3, v3
	v_min_f32_e32 v6, v2, v87
	v_cmp_u_f32_e32 vcc, v3, v3
	v_max_f32_e32 v2, v2, v87
	s_nop 0
	v_cndmask_b32_e32 v6, v6, v3, vcc
	v_cndmask_b32_e32 v2, v2, v3, vcc
	v_cndmask_b32_e64 v6, v6, v18, s[44:45]
	v_cndmask_b32_e64 v2, v2, v18, s[44:45]
	v_cmp_neq_f32_e32 vcc, v6, v2
	v_cmp_class_f32_e64 s[2:3], v6, s4
	s_or_b64 s[6:7], vcc, s[2:3]
	s_and_saveexec_b64 s[2:3], s[6:7]
	s_cbranch_execz .LBB519_402
; %bb.401:
	v_sub_f32_e32 v3, v6, v2
	s_mov_b32 s5, 0x3fb8aa3b
	v_mul_f32_e32 v6, 0x3fb8aa3b, v3
	v_fma_f32 v7, v3, s5, -v6
	v_rndne_f32_e32 v16, v6
	v_fmamk_f32 v7, v3, 0x32a5705f, v7
	v_sub_f32_e32 v6, v6, v16
	v_add_f32_e32 v6, v6, v7
	v_exp_f32_e32 v6, v6
	v_cvt_i32_f32_e32 v7, v16
	s_mov_b32 s5, 0xc2ce8ed0
	v_cmp_ngt_f32_e32 vcc, s5, v3
	s_mov_b32 s5, 0x42b17218
	v_ldexp_f32 v6, v6, v7
	v_cndmask_b32_e32 v6, 0, v6, vcc
	v_mov_b32_e32 v7, 0x7f800000
	v_cmp_nlt_f32_e32 vcc, s5, v3
	s_mov_b32 s5, 0x3f2aaaab
	s_mov_b32 s6, 0x7f800000
	v_cndmask_b32_e32 v71, v7, v6, vcc
	v_add_f32_e32 v3, 1.0, v71
	v_add_f32_e32 v6, -1.0, v3
	v_sub_f32_e32 v7, v6, v3
	v_add_f32_e32 v7, 1.0, v7
	v_sub_f32_e32 v6, v71, v6
	v_add_f32_e32 v16, v6, v7
	v_frexp_mant_f32_e32 v17, v3
	v_cvt_f64_f32_e32 v[6:7], v3
	v_frexp_exp_i32_f64_e32 v6, v[6:7]
	v_cmp_gt_f32_e32 vcc, s5, v17
	s_mov_b32 s5, 0x3f317218
	s_nop 0
	v_subbrev_co_u32_e32 v18, vcc, 0, v6, vcc
	v_sub_u32_e32 v6, 0, v18
	v_ldexp_f32 v3, v3, v6
	v_ldexp_f32 v6, v16, v6
	v_add_f32_e32 v16, -1.0, v3
	v_add_f32_e32 v7, 1.0, v16
	v_sub_f32_e32 v7, v3, v7
	v_add_f32_e32 v17, v6, v7
	v_add_f32_e32 v7, 1.0, v3
	v_add_f32_e32 v20, -1.0, v7
	v_sub_f32_e32 v3, v3, v20
	v_add_f32_e32 v3, v6, v3
	v_add_f32_e32 v24, v7, v3
	v_rcp_f32_e32 v25, v24
	v_sub_f32_e32 v6, v7, v24
	v_add_f32_e32 v7, v16, v17
	v_add_f32_e32 v3, v3, v6
	v_mul_f32_e32 v27, v7, v25
	v_sub_f32_e32 v6, v16, v7
	v_mul_f32_e32 v16, v24, v27
	v_fma_f32 v20, v27, v24, -v16
	v_fmac_f32_e32 v20, v27, v3
	v_add_f32_e32 v26, v17, v6
	v_add_f32_e32 v6, v16, v20
	v_sub_f32_e32 v17, v7, v6
	v_pk_add_f32 v[22:23], v[6:7], v[16:17] neg_lo:[0,1] neg_hi:[0,1]
	v_mov_b32_e32 v21, v6
	v_pk_add_f32 v[6:7], v[22:23], v[20:21] neg_lo:[0,1] neg_hi:[0,1]
	v_cmp_eq_f32_e32 vcc, s6, v71
	v_add_f32_e32 v7, v26, v7
	v_add_f32_e32 v6, v6, v7
	;; [unrolled: 1-line block ×3, first 2 shown]
	v_mul_f32_e32 v26, v25, v7
	v_mul_f32_e32 v16, v24, v26
	v_fma_f32 v20, v26, v24, -v16
	v_fmac_f32_e32 v20, v26, v3
	v_sub_f32_e32 v3, v17, v7
	v_add_f32_e32 v3, v6, v3
	v_add_f32_e32 v6, v16, v20
	v_sub_f32_e32 v17, v7, v6
	v_pk_add_f32 v[22:23], v[6:7], v[16:17] neg_lo:[0,1] neg_hi:[0,1]
	v_mov_b32_e32 v21, v6
	v_pk_add_f32 v[6:7], v[22:23], v[20:21] neg_lo:[0,1] neg_hi:[0,1]
	v_cvt_f32_i32_e32 v16, v18
	v_add_f32_e32 v3, v3, v7
	v_add_f32_e32 v3, v6, v3
	;; [unrolled: 1-line block ×4, first 2 shown]
	v_sub_f32_e32 v7, v6, v27
	v_mul_f32_e32 v3, v25, v3
	v_sub_f32_e32 v7, v26, v7
	v_add_f32_e32 v3, v7, v3
	v_add_f32_e32 v17, v6, v3
	v_mul_f32_e32 v20, v17, v17
	v_mov_b32_e32 v7, 0x3ecc95a3
	v_fmac_f32_e32 v7, 0x3e9b6dac, v20
	v_sub_f32_e32 v6, v17, v6
	v_fmaak_f32 v7, v20, v7, 0x3f2aaada
	v_sub_f32_e32 v3, v3, v6
	v_ldexp_f32 v21, v17, 1
	v_mul_f32_e32 v17, v17, v20
	v_mov_b32_e32 v6, 0x3f317218
	v_pk_mul_f32 v[6:7], v[16:17], v[6:7]
	v_ldexp_f32 v3, v3, 1
	v_fma_f32 v17, v16, s5, -v6
	v_fmamk_f32 v20, v16, 0xb102e308, v17
	v_pk_add_f32 v[16:17], v[6:7], v[20:21]
	v_mov_b32_e32 v22, v6
	v_sub_f32_e32 v18, v17, v21
	v_sub_f32_e32 v18, v7, v18
	v_add_f32_e32 v23, v3, v18
	v_pk_add_f32 v[6:7], v[16:17], v[6:7] neg_lo:[0,1] neg_hi:[0,1]
	v_pk_add_f32 v[24:25], v[16:17], v[22:23]
	v_mov_b32_e32 v21, v16
	v_mov_b32_e32 v7, v25
	v_pk_add_f32 v[26:27], v[20:21], v[6:7] neg_lo:[0,1] neg_hi:[0,1]
	v_pk_add_f32 v[6:7], v[20:21], v[6:7]
	s_mov_b32 s5, 0x33800000
	v_mov_b32_e32 v18, v7
	v_pk_add_f32 v[20:21], v[18:19], v[16:17] neg_lo:[0,1] neg_hi:[0,1]
	v_mov_b32_e32 v6, v25
	v_mov_b32_e32 v3, v20
	v_pk_add_f32 v[80:81], v[24:25], v[2:3] neg_lo:[0,1] neg_hi:[0,1]
	v_mov_b32_e32 v24, v17
	v_mov_b32_e32 v25, v20
	v_mov_b32_e32 v27, v7
	v_pk_add_f32 v[6:7], v[6:7], v[24:25] neg_lo:[0,1] neg_hi:[0,1]
	v_mov_b32_e32 v20, v23
	v_mov_b32_e32 v21, v16
	v_pk_add_f32 v[6:7], v[20:21], v[6:7] neg_lo:[0,1] neg_hi:[0,1]
	v_mov_b32_e32 v80, v26
	v_pk_add_f32 v[16:17], v[80:81], v[6:7]
	v_cmp_lt_f32_e64 s[6:7], |v71|, s5
	v_mov_b32_e32 v20, v17
	v_pk_add_f32 v[20:21], v[16:17], v[20:21]
	s_or_b64 vcc, vcc, s[6:7]
	v_pk_add_f32 v[22:23], v[18:19], v[20:21]
	v_mov_b32_e32 v7, v20
	v_mov_b32_e32 v17, v22
	v_pk_add_f32 v[24:25], v[16:17], v[26:27] neg_lo:[0,1] neg_hi:[0,1]
	s_nop 0
	v_sub_f32_e32 v3, v16, v24
	v_pk_add_f32 v[6:7], v[6:7], v[24:25] neg_lo:[0,1] neg_hi:[0,1]
	v_sub_f32_e32 v3, v26, v3
	v_add_f32_e32 v3, v6, v3
	v_add_f32_e32 v3, v3, v7
	;; [unrolled: 1-line block ×3, first 2 shown]
	v_cndmask_b32_e32 v3, v3, v71, vcc
	v_add_f32_e32 v3, v2, v3
.LBB519_402:
	s_or_b64 exec, exec, s[2:3]
	v_bfe_u32 v2, v3, 16, 1
	s_movk_i32 s5, 0x7fff
	v_add3_u32 v2, v3, v2, s5
	v_lshrrev_b32_e32 v6, 16, v2
	v_mov_b32_e32 v2, 0x7fc0
	v_cmp_o_f32_e32 vcc, v3, v3
	s_nop 1
	v_cndmask_b32_e32 v71, v2, v6, vcc
	v_lshlrev_b32_e32 v6, 16, v71
	v_max_f32_e32 v3, v6, v6
	v_min_f32_e32 v7, v3, v96
	v_cmp_u_f32_e32 vcc, v6, v6
	v_max_f32_e32 v3, v3, v96
	s_nop 0
	v_cndmask_b32_e32 v7, v7, v6, vcc
	v_cndmask_b32_e32 v3, v3, v6, vcc
	v_cndmask_b32_e64 v7, v7, v85, s[46:47]
	v_cndmask_b32_e64 v3, v3, v85, s[46:47]
	v_cmp_neq_f32_e32 vcc, v7, v3
	v_cmp_class_f32_e64 s[2:3], v7, s4
	s_or_b64 s[6:7], vcc, s[2:3]
	s_and_saveexec_b64 s[2:3], s[6:7]
	s_cbranch_execz .LBB519_404
; %bb.403:
	v_sub_f32_e32 v6, v7, v3
	s_mov_b32 s4, 0x3fb8aa3b
	v_mul_f32_e32 v7, 0x3fb8aa3b, v6
	v_fma_f32 v16, v6, s4, -v7
	v_rndne_f32_e32 v17, v7
	v_fmamk_f32 v16, v6, 0x32a5705f, v16
	v_sub_f32_e32 v7, v7, v17
	v_add_f32_e32 v7, v7, v16
	v_exp_f32_e32 v7, v7
	v_cvt_i32_f32_e32 v16, v17
	s_mov_b32 s4, 0xc2ce8ed0
	v_cmp_ngt_f32_e32 vcc, s4, v6
	s_mov_b32 s4, 0x42b17218
	v_ldexp_f32 v7, v7, v16
	v_cndmask_b32_e32 v7, 0, v7, vcc
	v_mov_b32_e32 v16, 0x7f800000
	v_cmp_nlt_f32_e32 vcc, s4, v6
	s_mov_b32 s4, 0x3f2aaaab
	s_mov_b32 s6, 0x7f800000
	v_cndmask_b32_e32 v82, v16, v7, vcc
	v_add_f32_e32 v16, 1.0, v82
	v_add_f32_e32 v6, -1.0, v16
	v_sub_f32_e32 v7, v6, v16
	v_add_f32_e32 v7, 1.0, v7
	v_sub_f32_e32 v6, v82, v6
	v_add_f32_e32 v17, v6, v7
	v_frexp_mant_f32_e32 v18, v16
	v_cvt_f64_f32_e32 v[6:7], v16
	v_frexp_exp_i32_f64_e32 v6, v[6:7]
	v_cmp_gt_f32_e32 vcc, s4, v18
	s_mov_b32 s4, 0x3f317218
	s_nop 0
	v_subbrev_co_u32_e32 v18, vcc, 0, v6, vcc
	v_sub_u32_e32 v6, 0, v18
	v_ldexp_f32 v7, v16, v6
	v_add_f32_e32 v16, -1.0, v7
	v_add_f32_e32 v20, 1.0, v7
	v_ldexp_f32 v6, v17, v6
	v_add_f32_e32 v17, 1.0, v16
	v_add_f32_e32 v21, -1.0, v20
	v_sub_f32_e32 v17, v7, v17
	v_sub_f32_e32 v7, v7, v21
	v_add_f32_e32 v17, v6, v17
	v_add_f32_e32 v6, v6, v7
	;; [unrolled: 1-line block ×3, first 2 shown]
	v_rcp_f32_e32 v26, v24
	v_sub_f32_e32 v7, v20, v24
	v_add_f32_e32 v25, v6, v7
	v_add_f32_e32 v7, v16, v17
	v_mul_f32_e32 v80, v7, v26
	v_sub_f32_e32 v6, v16, v7
	v_mul_f32_e32 v16, v24, v80
	v_fma_f32 v20, v80, v24, -v16
	v_fmac_f32_e32 v20, v80, v25
	v_add_f32_e32 v27, v17, v6
	v_add_f32_e32 v6, v16, v20
	v_sub_f32_e32 v17, v7, v6
	v_pk_add_f32 v[22:23], v[6:7], v[16:17] neg_lo:[0,1] neg_hi:[0,1]
	v_mov_b32_e32 v21, v6
	v_pk_add_f32 v[6:7], v[22:23], v[20:21] neg_lo:[0,1] neg_hi:[0,1]
	v_cmp_eq_f32_e32 vcc, s6, v82
	v_add_f32_e32 v7, v27, v7
	v_add_f32_e32 v6, v6, v7
	v_add_f32_e32 v7, v17, v6
	v_mul_f32_e32 v27, v26, v7
	v_mul_f32_e32 v16, v24, v27
	v_fma_f32 v20, v27, v24, -v16
	v_fmac_f32_e32 v20, v27, v25
	v_sub_f32_e32 v17, v17, v7
	v_add_f32_e32 v24, v6, v17
	v_add_f32_e32 v6, v16, v20
	v_sub_f32_e32 v17, v7, v6
	v_pk_add_f32 v[22:23], v[6:7], v[16:17] neg_lo:[0,1] neg_hi:[0,1]
	v_mov_b32_e32 v21, v6
	v_pk_add_f32 v[6:7], v[22:23], v[20:21] neg_lo:[0,1] neg_hi:[0,1]
	v_cvt_f32_i32_e32 v16, v18
	v_add_f32_e32 v7, v24, v7
	v_add_f32_e32 v6, v6, v7
	;; [unrolled: 1-line block ×4, first 2 shown]
	v_sub_f32_e32 v7, v17, v80
	v_mul_f32_e32 v6, v26, v6
	v_sub_f32_e32 v7, v27, v7
	v_add_f32_e32 v6, v7, v6
	v_add_f32_e32 v20, v17, v6
	v_mul_f32_e32 v22, v20, v20
	v_mov_b32_e32 v7, 0x3ecc95a3
	v_sub_f32_e32 v17, v20, v17
	v_fmac_f32_e32 v7, 0x3e9b6dac, v22
	v_sub_f32_e32 v6, v6, v17
	v_fmaak_f32 v7, v22, v7, 0x3f2aaada
	v_ldexp_f32 v18, v6, 1
	v_mul_f32_e32 v17, v20, v22
	v_mov_b32_e32 v6, 0x3f317218
	v_pk_mul_f32 v[6:7], v[16:17], v[6:7]
	v_ldexp_f32 v21, v20, 1
	v_fma_f32 v17, v16, s4, -v6
	v_fmamk_f32 v20, v16, 0xb102e308, v17
	v_pk_add_f32 v[16:17], v[6:7], v[20:21]
	v_mov_b32_e32 v22, v6
	v_sub_f32_e32 v21, v17, v21
	v_sub_f32_e32 v21, v7, v21
	v_add_f32_e32 v23, v18, v21
	v_pk_add_f32 v[6:7], v[16:17], v[6:7] neg_lo:[0,1] neg_hi:[0,1]
	v_pk_add_f32 v[24:25], v[16:17], v[22:23]
	v_mov_b32_e32 v21, v16
	v_mov_b32_e32 v7, v25
	v_pk_add_f32 v[26:27], v[20:21], v[6:7] neg_lo:[0,1] neg_hi:[0,1]
	v_pk_add_f32 v[6:7], v[20:21], v[6:7]
	s_mov_b32 s4, 0x33800000
	v_mov_b32_e32 v18, v7
	v_pk_add_f32 v[20:21], v[18:19], v[16:17] neg_lo:[0,1] neg_hi:[0,1]
	v_mov_b32_e32 v6, v25
	v_mov_b32_e32 v21, v20
	v_pk_add_f32 v[80:81], v[24:25], v[20:21] neg_lo:[0,1] neg_hi:[0,1]
	v_mov_b32_e32 v24, v17
	v_mov_b32_e32 v25, v20
	;; [unrolled: 1-line block ×3, first 2 shown]
	v_pk_add_f32 v[6:7], v[6:7], v[24:25] neg_lo:[0,1] neg_hi:[0,1]
	v_mov_b32_e32 v20, v23
	v_mov_b32_e32 v21, v16
	v_pk_add_f32 v[6:7], v[20:21], v[6:7] neg_lo:[0,1] neg_hi:[0,1]
	v_mov_b32_e32 v80, v26
	v_pk_add_f32 v[16:17], v[80:81], v[6:7]
	v_cmp_lt_f32_e64 s[6:7], |v82|, s4
	v_mov_b32_e32 v20, v17
	v_pk_add_f32 v[20:21], v[16:17], v[20:21]
	s_or_b64 vcc, vcc, s[6:7]
	v_pk_add_f32 v[22:23], v[18:19], v[20:21]
	v_mov_b32_e32 v7, v20
	v_mov_b32_e32 v17, v22
	v_pk_add_f32 v[24:25], v[16:17], v[26:27] neg_lo:[0,1] neg_hi:[0,1]
	s_nop 0
	v_sub_f32_e32 v16, v16, v24
	v_pk_add_f32 v[6:7], v[6:7], v[24:25] neg_lo:[0,1] neg_hi:[0,1]
	v_sub_f32_e32 v16, v26, v16
	v_add_f32_e32 v6, v6, v16
	v_add_f32_e32 v6, v6, v7
	;; [unrolled: 1-line block ×3, first 2 shown]
	v_cndmask_b32_e32 v6, v6, v82, vcc
	v_add_f32_e32 v6, v3, v6
.LBB519_404:
	s_or_b64 exec, exec, s[2:3]
	v_bfe_u32 v3, v6, 16, 1
	v_add3_u32 v3, v6, v3, s5
	v_lshrrev_b32_e32 v3, 16, v3
	v_cmp_o_f32_e32 vcc, v6, v6
	s_movk_i32 s2, 0x1f8
	s_nop 0
	v_cndmask_b32_e32 v80, v2, v3, vcc
	v_lshlrev_b32_e32 v3, 16, v80
	v_max_f32_e32 v2, v3, v3
	v_min_f32_e32 v6, v2, v97
	v_cmp_u_f32_e32 vcc, v3, v3
	v_max_f32_e32 v2, v2, v97
	s_nop 0
	v_cndmask_b32_e32 v6, v6, v3, vcc
	v_cndmask_b32_e32 v2, v2, v3, vcc
	v_cndmask_b32_e64 v6, v6, v19, s[48:49]
	v_cndmask_b32_e64 v2, v2, v19, s[48:49]
	v_cmp_neq_f32_e32 vcc, v6, v2
	v_cmp_class_f32_e64 s[2:3], v6, s2
	s_or_b64 s[4:5], vcc, s[2:3]
	s_and_saveexec_b64 s[2:3], s[4:5]
	s_cbranch_execz .LBB519_406
; %bb.405:
	v_sub_f32_e32 v3, v6, v2
	s_mov_b32 s4, 0x3fb8aa3b
	v_mul_f32_e32 v6, 0x3fb8aa3b, v3
	v_fma_f32 v7, v3, s4, -v6
	v_rndne_f32_e32 v16, v6
	v_fmamk_f32 v7, v3, 0x32a5705f, v7
	v_sub_f32_e32 v6, v6, v16
	v_add_f32_e32 v6, v6, v7
	v_exp_f32_e32 v6, v6
	v_cvt_i32_f32_e32 v7, v16
	s_mov_b32 s4, 0xc2ce8ed0
	v_cmp_ngt_f32_e32 vcc, s4, v3
	s_mov_b32 s4, 0x42b17218
	v_ldexp_f32 v6, v6, v7
	v_cndmask_b32_e32 v6, 0, v6, vcc
	v_mov_b32_e32 v7, 0x7f800000
	v_cmp_nlt_f32_e32 vcc, s4, v3
	s_mov_b32 s4, 0x3f2aaaab
	s_mov_b32 s5, 0x7f800000
	v_cndmask_b32_e32 v81, v7, v6, vcc
	v_add_f32_e32 v3, 1.0, v81
	v_add_f32_e32 v6, -1.0, v3
	v_sub_f32_e32 v7, v6, v3
	v_add_f32_e32 v7, 1.0, v7
	v_sub_f32_e32 v6, v81, v6
	v_add_f32_e32 v16, v6, v7
	v_frexp_mant_f32_e32 v17, v3
	v_cvt_f64_f32_e32 v[6:7], v3
	v_frexp_exp_i32_f64_e32 v6, v[6:7]
	v_cmp_gt_f32_e32 vcc, s4, v17
	s_mov_b32 s4, 0x3f317218
	s_nop 0
	v_subbrev_co_u32_e32 v22, vcc, 0, v6, vcc
	v_sub_u32_e32 v6, 0, v22
	v_ldexp_f32 v3, v3, v6
	v_ldexp_f32 v6, v16, v6
	v_add_f32_e32 v16, -1.0, v3
	v_add_f32_e32 v7, 1.0, v16
	v_sub_f32_e32 v7, v3, v7
	v_add_f32_e32 v17, v6, v7
	v_add_f32_e32 v7, 1.0, v3
	v_add_f32_e32 v18, -1.0, v7
	v_sub_f32_e32 v3, v3, v18
	v_add_f32_e32 v3, v6, v3
	v_add_f32_e32 v23, v7, v3
	v_rcp_f32_e32 v24, v23
	v_sub_f32_e32 v6, v7, v23
	v_add_f32_e32 v7, v16, v17
	v_add_f32_e32 v3, v3, v6
	v_mul_f32_e32 v26, v7, v24
	v_sub_f32_e32 v6, v16, v7
	v_mul_f32_e32 v16, v23, v26
	v_fma_f32 v18, v26, v23, -v16
	v_fmac_f32_e32 v18, v26, v3
	v_add_f32_e32 v25, v17, v6
	v_add_f32_e32 v6, v16, v18
	v_sub_f32_e32 v17, v7, v6
	v_pk_add_f32 v[20:21], v[6:7], v[16:17] neg_lo:[0,1] neg_hi:[0,1]
	v_mov_b32_e32 v19, v6
	v_pk_add_f32 v[6:7], v[20:21], v[18:19] neg_lo:[0,1] neg_hi:[0,1]
	v_cmp_eq_f32_e32 vcc, s5, v81
	v_add_f32_e32 v7, v25, v7
	v_add_f32_e32 v6, v6, v7
	;; [unrolled: 1-line block ×3, first 2 shown]
	v_mul_f32_e32 v25, v24, v7
	v_mul_f32_e32 v16, v23, v25
	v_fma_f32 v18, v25, v23, -v16
	v_fmac_f32_e32 v18, v25, v3
	v_sub_f32_e32 v3, v17, v7
	v_add_f32_e32 v3, v6, v3
	v_add_f32_e32 v6, v16, v18
	v_sub_f32_e32 v17, v7, v6
	v_pk_add_f32 v[20:21], v[6:7], v[16:17] neg_lo:[0,1] neg_hi:[0,1]
	v_mov_b32_e32 v19, v6
	v_pk_add_f32 v[6:7], v[20:21], v[18:19] neg_lo:[0,1] neg_hi:[0,1]
	v_cvt_f32_i32_e32 v16, v22
	v_add_f32_e32 v3, v3, v7
	v_add_f32_e32 v3, v6, v3
	;; [unrolled: 1-line block ×4, first 2 shown]
	v_sub_f32_e32 v7, v6, v26
	v_mul_f32_e32 v3, v24, v3
	v_sub_f32_e32 v7, v25, v7
	v_add_f32_e32 v3, v7, v3
	v_add_f32_e32 v17, v6, v3
	v_mul_f32_e32 v18, v17, v17
	v_mov_b32_e32 v7, 0x3ecc95a3
	v_fmac_f32_e32 v7, 0x3e9b6dac, v18
	v_sub_f32_e32 v6, v17, v6
	v_fmaak_f32 v7, v18, v7, 0x3f2aaada
	v_sub_f32_e32 v3, v3, v6
	v_ldexp_f32 v19, v17, 1
	v_mul_f32_e32 v17, v17, v18
	v_mov_b32_e32 v6, 0x3f317218
	v_pk_mul_f32 v[6:7], v[16:17], v[6:7]
	v_ldexp_f32 v3, v3, 1
	v_fma_f32 v17, v16, s4, -v6
	v_fmamk_f32 v18, v16, 0xb102e308, v17
	v_pk_add_f32 v[16:17], v[6:7], v[18:19]
	v_mov_b32_e32 v20, v6
	v_sub_f32_e32 v19, v17, v19
	v_sub_f32_e32 v19, v7, v19
	v_add_f32_e32 v21, v3, v19
	v_pk_add_f32 v[6:7], v[16:17], v[6:7] neg_lo:[0,1] neg_hi:[0,1]
	v_pk_add_f32 v[22:23], v[16:17], v[20:21]
	v_mov_b32_e32 v19, v16
	v_mov_b32_e32 v7, v23
	v_pk_add_f32 v[24:25], v[18:19], v[6:7] neg_lo:[0,1] neg_hi:[0,1]
	v_pk_add_f32 v[6:7], v[18:19], v[6:7]
	v_mov_b32_e32 v20, v21
	v_mov_b32_e32 v18, v7
	v_pk_add_f32 v[26:27], v[18:19], v[16:17] neg_lo:[0,1] neg_hi:[0,1]
	v_mov_b32_e32 v6, v23
	v_mov_b32_e32 v3, v26
	v_pk_add_f32 v[82:83], v[22:23], v[2:3] neg_lo:[0,1] neg_hi:[0,1]
	v_mov_b32_e32 v22, v17
	v_mov_b32_e32 v23, v26
	;; [unrolled: 1-line block ×3, first 2 shown]
	v_pk_add_f32 v[6:7], v[6:7], v[22:23] neg_lo:[0,1] neg_hi:[0,1]
	v_mov_b32_e32 v21, v16
	v_pk_add_f32 v[6:7], v[20:21], v[6:7] neg_lo:[0,1] neg_hi:[0,1]
	v_mov_b32_e32 v82, v24
	v_pk_add_f32 v[16:17], v[82:83], v[6:7]
	s_mov_b32 s4, 0x33800000
	v_mov_b32_e32 v20, v17
	v_pk_add_f32 v[20:21], v[16:17], v[20:21]
	v_cmp_lt_f32_e64 s[4:5], |v81|, s4
	v_pk_add_f32 v[18:19], v[18:19], v[20:21]
	v_mov_b32_e32 v7, v20
	v_mov_b32_e32 v17, v18
	v_pk_add_f32 v[22:23], v[16:17], v[24:25] neg_lo:[0,1] neg_hi:[0,1]
	s_or_b64 vcc, vcc, s[4:5]
	v_sub_f32_e32 v3, v16, v22
	v_pk_add_f32 v[6:7], v[6:7], v[22:23] neg_lo:[0,1] neg_hi:[0,1]
	v_sub_f32_e32 v3, v24, v3
	v_add_f32_e32 v3, v6, v3
	v_add_f32_e32 v3, v3, v7
	;; [unrolled: 1-line block ×3, first 2 shown]
	v_cndmask_b32_e32 v3, v3, v81, vcc
	v_add_f32_e32 v3, v2, v3
.LBB519_406:
	s_or_b64 exec, exec, s[2:3]
	v_bfe_u32 v2, v3, 16, 1
	s_movk_i32 s2, 0x7fff
	v_add3_u32 v2, v3, v2, s2
	v_lshrrev_b32_e32 v2, 16, v2
	v_mov_b32_e32 v6, 0x7fc0
	v_cmp_o_f32_e32 vcc, v3, v3
	s_movk_i32 s2, 0xff
	s_nop 0
	v_cndmask_b32_e32 v81, v6, v2, vcc
	v_cmp_eq_u32_e32 vcc, s2, v32
	s_and_saveexec_b64 s[2:3], vcc
	s_cbranch_execz .LBB519_408
; %bb.407:
	s_mov_b32 s4, 0x20000
	v_or_b32_sdwa v2, v81, s4 dst_sel:DWORD dst_unused:UNUSED_PAD src0_sel:WORD_0 src1_sel:DWORD
	flat_store_dword v[28:29], v2 offset:256 sc1
.LBB519_408:
	s_or_b64 exec, exec, s[2:3]
.LBB519_409:
	v_lshl_add_u64 v[2:3], v[12:13], 1, v[14:15]
	v_lshl_add_u64 v[2:3], v[34:35], 1, v[2:3]
	s_waitcnt lgkmcnt(0)
	s_barrier
	s_and_saveexec_b64 s[2:3], s[0:1]
	s_xor_b64 s[0:1], exec, s[2:3]
	s_cbranch_execz .LBB519_411
; %bb.410:
	s_mov_b32 s2, 0x5040100
	v_perm_b32 v7, v49, v39, s2
	v_perm_b32 v6, v38, v37, s2
	;; [unrolled: 1-line block ×4, first 2 shown]
	ds_write_b128 v1, v[4:7]
	v_perm_b32 v7, v65, v64, s2
	v_perm_b32 v6, v55, v54, s2
	;; [unrolled: 1-line block ×4, first 2 shown]
	ds_write_b128 v1, v[4:7] offset:16
	v_perm_b32 v7, v81, v80, s2
	v_perm_b32 v6, v71, v70, s2
	;; [unrolled: 1-line block ×4, first 2 shown]
	ds_write_b128 v1, v[4:7] offset:32
	v_mov_b32_e32 v1, 0
	s_waitcnt lgkmcnt(0)
	s_barrier
	ds_read_u16 v4, v0
	ds_read_u16 v5, v0 offset:512
	ds_read_u16 v6, v0 offset:1024
	;; [unrolled: 1-line block ×23, first 2 shown]
	v_lshl_add_u64 v[0:1], v[2:3], 0, v[0:1]
	s_movk_i32 s2, 0x1000
	v_add_co_u32_e32 v2, vcc, s2, v0
	s_waitcnt lgkmcnt(0)
	flat_store_short v[0:1], v4
	flat_store_short v[0:1], v5 offset:512
	flat_store_short v[0:1], v6 offset:1024
	flat_store_short v[0:1], v7 offset:1536
	flat_store_short v[0:1], v8 offset:2048
	flat_store_short v[0:1], v9 offset:2560
	flat_store_short v[0:1], v10 offset:3072
	flat_store_short v[0:1], v11 offset:3584
	v_addc_co_u32_e32 v3, vcc, 0, v1, vcc
	v_add_co_u32_e32 v0, vcc, 0x2000, v0
	flat_store_short v[2:3], v12
	flat_store_short v[2:3], v13 offset:512
	flat_store_short v[2:3], v14 offset:1024
	;; [unrolled: 1-line block ×7, first 2 shown]
	v_addc_co_u32_e32 v1, vcc, 0, v1, vcc
                                        ; implicit-def: $vgpr2_vgpr3_vgpr4_vgpr5
	flat_store_short v[0:1], v20
	flat_store_short v[0:1], v21 offset:512
	flat_store_short v[0:1], v22 offset:1024
	;; [unrolled: 1-line block ×7, first 2 shown]
                                        ; implicit-def: $vgpr6_vgpr7_vgpr8_vgpr9
                                        ; implicit-def: $vgpr32
                                        ; implicit-def: $vgpr10_vgpr11
                                        ; implicit-def: $vgpr1
                                        ; implicit-def: $vgpr30
                                        ; implicit-def: $vgpr31
                                        ; implicit-def: $vgpr33
                                        ; implicit-def: $vgpr36
                                        ; implicit-def: $vgpr37
                                        ; implicit-def: $vgpr38
                                        ; implicit-def: $vgpr39
                                        ; implicit-def: $vgpr49
                                        ; implicit-def: $vgpr48
                                        ; implicit-def: $vgpr51
                                        ; implicit-def: $vgpr50
                                        ; implicit-def: $vgpr53
                                        ; implicit-def: $vgpr54
                                        ; implicit-def: $vgpr55
                                        ; implicit-def: $vgpr64
                                        ; implicit-def: $vgpr65
                                        ; implicit-def: $vgpr66
                                        ; implicit-def: $vgpr67
                                        ; implicit-def: $vgpr68
                                        ; implicit-def: $vgpr69
                                        ; implicit-def: $vgpr70
                                        ; implicit-def: $vgpr71
                                        ; implicit-def: $vgpr80
                                        ; implicit-def: $vgpr81
                                        ; implicit-def: $vgpr2_vgpr3
                                        ; implicit-def: $vgpr52
                                        ; implicit-def: $vgpr0
.LBB519_411:
	s_andn2_saveexec_b64 s[2:3], s[0:1]
	s_cbranch_execz .LBB519_552
; %bb.412:
	s_mov_b32 s0, 0x5040100
	v_perm_b32 v15, v49, v39, s0
	v_perm_b32 v14, v38, v37, s0
	v_perm_b32 v13, v36, v33, s0
	v_perm_b32 v12, v31, v30, s0
	ds_write_b128 v1, v[12:15]
	v_perm_b32 v15, v65, v64, s0
	v_perm_b32 v14, v55, v54, s0
	;; [unrolled: 1-line block ×4, first 2 shown]
	ds_write_b128 v1, v[12:15] offset:16
	v_perm_b32 v15, v81, v80, s0
	v_perm_b32 v14, v71, v70, s0
	;; [unrolled: 1-line block ×4, first 2 shown]
	ds_write_b128 v1, v[12:15] offset:32
	s_waitcnt lgkmcnt(0)
	s_barrier
	ds_read_u16 v7, v0
	ds_read_u16 v6, v0 offset:512
	ds_read_u16 v13, v0 offset:1024
	;; [unrolled: 1-line block ×23, first 2 shown]
	v_mov_b32_e32 v1, 0
	v_lshl_add_u64 v[2:3], v[2:3], 0, v[0:1]
	v_cmp_lt_u32_e32 vcc, v32, v10
	s_and_saveexec_b64 s[0:1], vcc
	s_cbranch_execz .LBB519_414
; %bb.413:
	s_waitcnt lgkmcnt(0)
	flat_store_short v[2:3], v7
.LBB519_414:
	s_or_b64 exec, exec, s[0:1]
	v_add_u32_e32 v0, 0x100, v32
	v_cmp_lt_u32_e32 vcc, v0, v10
	s_and_saveexec_b64 s[0:1], vcc
	s_cbranch_execz .LBB519_416
; %bb.415:
	s_waitcnt lgkmcnt(0)
	flat_store_short v[2:3], v6 offset:512
.LBB519_416:
	s_or_b64 exec, exec, s[0:1]
	v_add_u32_e32 v0, 0x200, v32
	v_cmp_lt_u32_e32 vcc, v0, v10
	s_and_saveexec_b64 s[0:1], vcc
	s_cbranch_execz .LBB519_418
; %bb.417:
	s_waitcnt lgkmcnt(0)
	flat_store_short v[2:3], v13 offset:1024
.LBB519_418:
	;; [unrolled: 9-line block ×3, first 2 shown]
	s_or_b64 exec, exec, s[0:1]
	v_or_b32_e32 v0, 0x400, v32
	v_cmp_lt_u32_e32 vcc, v0, v10
	s_and_saveexec_b64 s[0:1], vcc
	s_cbranch_execz .LBB519_422
; %bb.421:
	s_waitcnt lgkmcnt(0)
	flat_store_short v[2:3], v12 offset:2048
.LBB519_422:
	s_or_b64 exec, exec, s[0:1]
	v_add_u32_e32 v0, 0x500, v32
	v_cmp_lt_u32_e32 vcc, v0, v10
	s_and_saveexec_b64 s[0:1], vcc
	s_cbranch_execz .LBB519_424
; %bb.423:
	s_waitcnt lgkmcnt(0)
	flat_store_short v[2:3], v15 offset:2560
.LBB519_424:
	s_or_b64 exec, exec, s[0:1]
	v_add_u32_e32 v0, 0x600, v32
	;; [unrolled: 9-line block ×3, first 2 shown]
	v_cmp_lt_u32_e32 vcc, v0, v10
	s_and_saveexec_b64 s[0:1], vcc
	s_cbranch_execz .LBB519_428
; %bb.427:
	s_waitcnt lgkmcnt(0)
	flat_store_short v[2:3], v21 offset:3584
.LBB519_428:
	s_or_b64 exec, exec, s[0:1]
	v_or_b32_e32 v0, 0x800, v32
	v_cmp_lt_u32_e32 vcc, v0, v10
	s_and_saveexec_b64 s[0:1], vcc
	s_cbranch_execz .LBB519_430
; %bb.429:
	v_add_co_u32_e32 v36, vcc, 0x1000, v2
	s_nop 1
	v_addc_co_u32_e32 v37, vcc, 0, v3, vcc
	s_waitcnt lgkmcnt(0)
	flat_store_short v[36:37], v22
.LBB519_430:
	s_or_b64 exec, exec, s[0:1]
	v_add_u32_e32 v0, 0x900, v32
	v_cmp_lt_u32_e32 vcc, v0, v10
	s_and_saveexec_b64 s[0:1], vcc
	s_cbranch_execz .LBB519_432
; %bb.431:
	v_add_co_u32_e32 v36, vcc, 0x1000, v2
	s_nop 1
	v_addc_co_u32_e32 v37, vcc, 0, v3, vcc
	s_waitcnt lgkmcnt(0)
	flat_store_short v[36:37], v29 offset:512
.LBB519_432:
	s_or_b64 exec, exec, s[0:1]
	v_add_u32_e32 v0, 0xa00, v32
	v_cmp_lt_u32_e32 vcc, v0, v10
	s_and_saveexec_b64 s[0:1], vcc
	s_cbranch_execz .LBB519_434
; %bb.433:
	v_add_co_u32_e32 v36, vcc, 0x1000, v2
	s_nop 1
	v_addc_co_u32_e32 v37, vcc, 0, v3, vcc
	s_waitcnt lgkmcnt(0)
	flat_store_short v[36:37], v26 offset:1024
.LBB519_434:
	;; [unrolled: 12-line block ×3, first 2 shown]
	s_or_b64 exec, exec, s[0:1]
	v_or_b32_e32 v0, 0xc00, v32
	v_cmp_lt_u32_e32 vcc, v0, v10
	s_and_saveexec_b64 s[0:1], vcc
	s_cbranch_execz .LBB519_438
; %bb.437:
	v_add_co_u32_e32 v36, vcc, 0x1000, v2
	s_nop 1
	v_addc_co_u32_e32 v37, vcc, 0, v3, vcc
	s_waitcnt lgkmcnt(0)
	flat_store_short v[36:37], v24 offset:2048
.LBB519_438:
	s_or_b64 exec, exec, s[0:1]
	v_add_u32_e32 v0, 0xd00, v32
	v_cmp_lt_u32_e32 vcc, v0, v10
	s_and_saveexec_b64 s[0:1], vcc
	s_cbranch_execz .LBB519_440
; %bb.439:
	v_add_co_u32_e32 v36, vcc, 0x1000, v2
	s_nop 1
	v_addc_co_u32_e32 v37, vcc, 0, v3, vcc
	s_waitcnt lgkmcnt(0)
	flat_store_short v[36:37], v19 offset:2560
.LBB519_440:
	s_or_b64 exec, exec, s[0:1]
	v_add_u32_e32 v0, 0xe00, v32
	;; [unrolled: 12-line block ×3, first 2 shown]
	v_cmp_lt_u32_e32 vcc, v0, v10
	s_and_saveexec_b64 s[0:1], vcc
	s_cbranch_execz .LBB519_444
; %bb.443:
	v_add_co_u32_e32 v36, vcc, 0x1000, v2
	s_nop 1
	v_addc_co_u32_e32 v37, vcc, 0, v3, vcc
	s_waitcnt lgkmcnt(0)
	flat_store_short v[36:37], v16 offset:3584
.LBB519_444:
	s_or_b64 exec, exec, s[0:1]
	v_or_b32_e32 v0, 0x1000, v32
	v_cmp_lt_u32_e32 vcc, v0, v10
	s_and_saveexec_b64 s[0:1], vcc
	s_cbranch_execz .LBB519_446
; %bb.445:
	v_add_co_u32_e32 v36, vcc, 0x2000, v2
	s_nop 1
	v_addc_co_u32_e32 v37, vcc, 0, v3, vcc
	s_waitcnt lgkmcnt(0)
	flat_store_short v[36:37], v28
.LBB519_446:
	s_or_b64 exec, exec, s[0:1]
	v_add_u32_e32 v0, 0x1100, v32
	v_cmp_lt_u32_e32 vcc, v0, v10
	s_and_saveexec_b64 s[0:1], vcc
	s_cbranch_execz .LBB519_448
; %bb.447:
	v_add_co_u32_e32 v36, vcc, 0x2000, v2
	s_nop 1
	v_addc_co_u32_e32 v37, vcc, 0, v3, vcc
	s_waitcnt lgkmcnt(0)
	flat_store_short v[36:37], v34 offset:512
.LBB519_448:
	s_or_b64 exec, exec, s[0:1]
	v_add_u32_e32 v0, 0x1200, v32
	v_cmp_lt_u32_e32 vcc, v0, v10
	s_and_saveexec_b64 s[0:1], vcc
	s_cbranch_execz .LBB519_450
; %bb.449:
	v_add_co_u32_e32 v36, vcc, 0x2000, v2
	s_nop 1
	v_addc_co_u32_e32 v37, vcc, 0, v3, vcc
	s_waitcnt lgkmcnt(0)
	flat_store_short v[36:37], v30 offset:1024
.LBB519_450:
	;; [unrolled: 12-line block ×3, first 2 shown]
	s_or_b64 exec, exec, s[0:1]
	v_or_b32_e32 v0, 0x1400, v32
	v_cmp_lt_u32_e32 vcc, v0, v10
	s_and_saveexec_b64 s[0:1], vcc
	s_cbranch_execz .LBB519_454
; %bb.453:
	v_add_co_u32_e32 v36, vcc, 0x2000, v2
	s_nop 1
	v_addc_co_u32_e32 v37, vcc, 0, v3, vcc
	s_waitcnt lgkmcnt(0)
	flat_store_short v[36:37], v18 offset:2048
.LBB519_454:
	s_or_b64 exec, exec, s[0:1]
	v_add_u32_e32 v0, 0x1500, v32
	v_cmp_lt_u32_e32 vcc, v0, v10
	s_and_saveexec_b64 s[0:1], vcc
	s_cbranch_execz .LBB519_456
; %bb.455:
	v_add_co_u32_e32 v36, vcc, 0x2000, v2
	s_nop 1
	v_addc_co_u32_e32 v37, vcc, 0, v3, vcc
	s_waitcnt lgkmcnt(0)
	flat_store_short v[36:37], v17 offset:2560
.LBB519_456:
	s_or_b64 exec, exec, s[0:1]
	v_add_u32_e32 v0, 0x1600, v32
	;; [unrolled: 12-line block ×3, first 2 shown]
	v_cmp_lt_u32_e32 vcc, v0, v10
	s_and_saveexec_b64 s[0:1], vcc
	s_cbranch_execz .LBB519_460
; %bb.459:
	v_add_co_u32_e32 v2, vcc, 0x2000, v2
	s_nop 1
	v_addc_co_u32_e32 v3, vcc, 0, v3, vcc
	s_waitcnt lgkmcnt(0)
	flat_store_short v[2:3], v35 offset:3584
.LBB519_460:
	s_or_b64 exec, exec, s[0:1]
	v_cmp_lt_u64_e32 vcc, 1, v[8:9]
	s_and_saveexec_b64 s[4:5], vcc
	s_cbranch_execz .LBB519_551
; %bb.461:
	s_add_u32 s0, 0, 0xaaaa0000
	s_addc_u32 s1, 0, 42
	s_add_i32 s1, s1, 0xaaaaa80
	s_mul_hi_u32 s9, s0, 0xffffffe8
	s_sub_i32 s9, s9, s0
	s_mul_i32 s10, s1, 0xffffffe8
	s_mul_i32 s6, s0, 0xffffffe8
	s_add_i32 s9, s9, s10
	s_mul_hi_u32 s7, s1, s6
	s_mul_i32 s8, s1, s6
	s_mul_i32 s11, s0, s9
	s_mul_hi_u32 s6, s0, s6
	s_mul_hi_u32 s10, s0, s9
	s_add_u32 s6, s6, s11
	s_addc_u32 s10, 0, s10
	s_add_u32 s6, s6, s8
	s_mul_hi_u32 s11, s1, s9
	s_addc_u32 s6, s10, s7
	s_addc_u32 s7, s11, 0
	s_mul_i32 s8, s1, s9
	s_add_u32 s6, s6, s8
	v_mov_b32_e32 v2, s6
	s_addc_u32 s7, 0, s7
	v_add_co_u32_e32 v36, vcc, s0, v2
	s_cmp_lg_u64 vcc, 0
	v_mov_b32_e32 v33, v1
	v_lshl_add_u64 v[0:1], v[10:11], 0, -1
	s_addc_u32 s6, s1, s7
	v_mad_u64_u32 v[2:3], s[0:1], v0, s6, 0
	v_mul_hi_u32 v8, v0, v36
	v_mov_b32_e32 v9, 0
	v_lshl_add_u64 v[2:3], v[8:9], 0, v[2:3]
	v_mad_u64_u32 v[36:37], s[0:1], v1, v36, 0
	v_add_co_u32_e32 v2, vcc, v2, v36
	v_mad_u64_u32 v[10:11], s[0:1], v1, s6, 0
	s_nop 0
	v_addc_co_u32_e32 v8, vcc, v3, v37, vcc
	s_nop 1
	v_addc_co_u32_e32 v11, vcc, 0, v11, vcc
	v_lshl_add_u64 v[2:3], v[8:9], 0, v[10:11]
	v_mad_u64_u32 v[8:9], s[0:1], v2, 24, 0
	v_mov_b32_e32 v10, v9
	v_mad_u64_u32 v[10:11], s[0:1], v3, 24, v[10:11]
	v_sub_co_u32_e32 v36, vcc, v0, v8
	v_cmp_lt_u32_e64 s[0:1], 23, v36
	s_nop 0
	v_subb_co_u32_e32 v37, vcc, v1, v10, vcc
	v_subrev_co_u32_e32 v8, vcc, 24, v36
	v_lshl_add_u64 v[10:11], v[2:3], 0, 1
	s_nop 0
	v_subbrev_co_u32_e32 v9, vcc, 0, v37, vcc
	v_cmp_lt_u32_e32 vcc, 23, v8
	s_nop 1
	v_cndmask_b32_e64 v8, 0, -1, vcc
	v_cmp_eq_u32_e32 vcc, 0, v9
	s_nop 1
	v_cndmask_b32_e32 v38, -1, v8, vcc
	v_lshl_add_u64 v[8:9], v[2:3], 0, 2
	v_cmp_ne_u32_e32 vcc, 0, v38
	s_nop 1
	v_cndmask_b32_e32 v9, v11, v9, vcc
	v_cndmask_b32_e64 v11, 0, -1, s[0:1]
	v_cmp_eq_u32_e64 s[0:1], 0, v37
	v_cndmask_b32_e32 v8, v10, v8, vcc
	s_nop 0
	v_cndmask_b32_e64 v11, -1, v11, s[0:1]
	v_cmp_ne_u32_e64 s[0:1], 0, v11
	s_nop 1
	v_cndmask_b32_e64 v3, v3, v9, s[0:1]
	v_cndmask_b32_e64 v2, v2, v8, s[0:1]
	v_cmp_eq_u64_e32 vcc, v[2:3], v[32:33]
	s_and_b64 exec, exec, vcc
	s_cbranch_execz .LBB519_551
; %bb.462:
	v_mul_hi_u32_u24_e32 v2, 24, v32
	v_sub_co_u32_e32 v0, vcc, v0, v52
	s_mov_b64 s[0:1], 0
	s_nop 0
	v_subb_co_u32_e32 v1, vcc, v1, v2, vcc
	v_cmp_lt_i64_e32 vcc, 11, v[0:1]
	s_mov_b64 s[12:13], 0
	s_mov_b64 s[10:11], 0
	;; [unrolled: 1-line block ×3, first 2 shown]
	s_and_saveexec_b64 s[6:7], vcc
	s_xor_b64 s[6:7], exec, s[6:7]
	s_cbranch_execnz .LBB519_468
; %bb.463:
	s_andn2_saveexec_b64 s[6:7], s[6:7]
	s_cbranch_execnz .LBB519_513
.LBB519_464:
	s_or_b64 exec, exec, s[6:7]
	s_and_saveexec_b64 s[6:7], s[12:13]
	s_cbranch_execnz .LBB519_530
.LBB519_465:
	s_or_b64 exec, exec, s[6:7]
	s_and_saveexec_b64 s[6:7], s[10:11]
	s_cbranch_execnz .LBB519_531
.LBB519_466:
	s_or_b64 exec, exec, s[6:7]
	s_and_saveexec_b64 s[6:7], s[8:9]
	s_xor_b64 s[6:7], exec, s[6:7]
	s_cbranch_execnz .LBB519_532
.LBB519_467:
	s_or_b64 exec, exec, s[6:7]
	s_and_b64 exec, exec, s[0:1]
	s_cbranch_execnz .LBB519_533
	s_branch .LBB519_551
.LBB519_468:
	v_cmp_lt_i64_e32 vcc, 17, v[0:1]
	s_and_saveexec_b64 s[14:15], vcc
	s_xor_b64 s[14:15], exec, s[14:15]
	s_cbranch_execz .LBB519_490
; %bb.469:
	v_cmp_lt_i64_e32 vcc, 20, v[0:1]
                                        ; implicit-def: $vgpr16
	s_and_saveexec_b64 s[16:17], vcc
	s_xor_b64 s[16:17], exec, s[16:17]
	s_cbranch_execz .LBB519_479
; %bb.470:
	v_cmp_lt_i64_e32 vcc, 21, v[0:1]
	s_mov_b64 s[18:19], 0
                                        ; implicit-def: $vgpr16
	s_and_saveexec_b64 s[8:9], vcc
	s_xor_b64 s[8:9], exec, s[8:9]
	s_cbranch_execz .LBB519_476
; %bb.471:
	v_cmp_lt_i64_e32 vcc, 22, v[0:1]
	s_and_saveexec_b64 s[18:19], vcc
	s_xor_b64 s[18:19], exec, s[18:19]
	s_cbranch_execz .LBB519_473
; %bb.472:
	s_waitcnt lgkmcnt(0)
	flat_store_short v[4:5], v35
                                        ; implicit-def: $vgpr31
.LBB519_473:
	s_or_saveexec_b64 s[18:19], s[18:19]
	s_mov_b64 s[20:21], 0
	s_xor_b64 exec, exec, s[18:19]
; %bb.474:
	s_mov_b64 s[20:21], exec
; %bb.475:
	s_or_b64 exec, exec, s[18:19]
	s_and_b64 s[18:19], s[20:21], exec
	s_waitcnt lgkmcnt(0)
	v_mov_b32_e32 v16, v31
                                        ; implicit-def: $vgpr17
.LBB519_476:
	s_andn2_saveexec_b64 s[8:9], s[8:9]
; %bb.477:
	s_mov_b64 s[10:11], exec
                                        ; implicit-def: $vgpr16
; %bb.478:
	s_or_b64 exec, exec, s[8:9]
	s_and_b64 s[8:9], s[18:19], exec
	s_and_b64 s[10:11], s[10:11], exec
                                        ; implicit-def: $vgpr30
                                        ; implicit-def: $vgpr18
                                        ; implicit-def: $vgpr27
.LBB519_479:
	s_andn2_saveexec_b64 s[16:17], s[16:17]
	s_cbranch_execz .LBB519_489
; %bb.480:
	v_cmp_lt_i64_e32 vcc, 18, v[0:1]
	s_mov_b64 s[18:19], 0
	s_and_saveexec_b64 s[12:13], vcc
	s_xor_b64 s[12:13], exec, s[12:13]
	s_cbranch_execz .LBB519_486
; %bb.481:
	v_cmp_lt_i64_e32 vcc, 19, v[0:1]
	s_and_saveexec_b64 s[20:21], vcc
	s_xor_b64 s[20:21], exec, s[20:21]
; %bb.482:
	s_mov_b64 s[18:19], exec
                                        ; implicit-def: $vgpr27
; %bb.483:
	s_andn2_saveexec_b64 s[20:21], s[20:21]
	s_cbranch_execz .LBB519_485
; %bb.484:
	s_waitcnt lgkmcnt(0)
	flat_store_short v[4:5], v27
                                        ; implicit-def: $vgpr18
.LBB519_485:
	s_or_b64 exec, exec, s[20:21]
	s_and_b64 s[18:19], s[18:19], exec
                                        ; implicit-def: $vgpr30
.LBB519_486:
	s_andn2_saveexec_b64 s[12:13], s[12:13]
	s_cbranch_execz .LBB519_488
; %bb.487:
	s_waitcnt lgkmcnt(0)
	flat_store_short v[4:5], v30
                                        ; implicit-def: $vgpr18
.LBB519_488:
	s_or_b64 exec, exec, s[12:13]
	s_and_b64 s[12:13], s[18:19], exec
                                        ; implicit-def: $vgpr16
                                        ; implicit-def: $vgpr17
.LBB519_489:
	s_or_b64 exec, exec, s[16:17]
	s_and_b64 s[8:9], s[8:9], exec
	s_and_b64 s[10:11], s[10:11], exec
	;; [unrolled: 1-line block ×3, first 2 shown]
                                        ; implicit-def: $vgpr24
                                        ; implicit-def: $vgpr19
                                        ; implicit-def: $vgpr20
                                        ; implicit-def: $vgpr28
                                        ; implicit-def: $vgpr34
.LBB519_490:
	s_andn2_saveexec_b64 s[14:15], s[14:15]
	s_cbranch_execz .LBB519_512
; %bb.491:
	v_cmp_lt_i64_e32 vcc, 14, v[0:1]
	s_mov_b64 s[16:17], s[8:9]
	s_and_saveexec_b64 s[18:19], vcc
	s_xor_b64 s[18:19], exec, s[18:19]
	s_cbranch_execz .LBB519_501
; %bb.492:
	v_cmp_lt_i64_e32 vcc, 15, v[0:1]
	s_and_saveexec_b64 s[16:17], vcc
	s_xor_b64 s[16:17], exec, s[16:17]
	s_cbranch_execz .LBB519_498
; %bb.493:
	v_cmp_lt_i64_e32 vcc, 16, v[0:1]
	s_and_saveexec_b64 s[20:21], vcc
	s_xor_b64 s[20:21], exec, s[20:21]
	s_cbranch_execz .LBB519_495
; %bb.494:
	s_waitcnt lgkmcnt(0)
	flat_store_short v[4:5], v34
                                        ; implicit-def: $vgpr28
.LBB519_495:
	s_andn2_saveexec_b64 s[20:21], s[20:21]
	s_cbranch_execz .LBB519_497
; %bb.496:
	s_waitcnt lgkmcnt(0)
	flat_store_short v[4:5], v28
.LBB519_497:
	s_or_b64 exec, exec, s[20:21]
                                        ; implicit-def: $vgpr16
.LBB519_498:
	s_or_saveexec_b64 s[16:17], s[16:17]
	s_mov_b64 s[20:21], s[8:9]
	s_xor_b64 exec, exec, s[16:17]
; %bb.499:
	s_or_b64 s[20:21], s[8:9], exec
; %bb.500:
	s_or_b64 exec, exec, s[16:17]
	s_andn2_b64 s[16:17], s[8:9], exec
	s_and_b64 s[20:21], s[20:21], exec
	s_or_b64 s[16:17], s[16:17], s[20:21]
                                        ; implicit-def: $vgpr24
                                        ; implicit-def: $vgpr19
                                        ; implicit-def: $vgpr20
.LBB519_501:
	s_or_saveexec_b64 s[18:19], s[18:19]
	s_mov_b64 s[20:21], s[10:11]
                                        ; implicit-def: $vgpr17
	s_xor_b64 exec, exec, s[18:19]
	s_cbranch_execz .LBB519_511
; %bb.502:
	v_cmp_lt_i64_e32 vcc, 12, v[0:1]
	s_mov_b64 s[22:23], s[10:11]
	s_mov_b64 s[24:25], s[16:17]
                                        ; implicit-def: $vgpr16
                                        ; implicit-def: $vgpr17
	s_and_saveexec_b64 s[20:21], vcc
	s_xor_b64 s[20:21], exec, s[20:21]
	s_cbranch_execz .LBB519_508
; %bb.503:
	v_cmp_lt_i64_e32 vcc, 13, v[0:1]
	s_mov_b64 s[22:23], s[16:17]
	s_and_saveexec_b64 s[24:25], vcc
	s_xor_b64 s[24:25], exec, s[24:25]
; %bb.504:
	s_or_b64 s[22:23], s[16:17], exec
                                        ; implicit-def: $vgpr19
; %bb.505:
	s_or_saveexec_b64 s[24:25], s[24:25]
	s_mov_b64 s[26:27], s[10:11]
	s_xor_b64 exec, exec, s[24:25]
; %bb.506:
	s_or_b64 s[26:27], s[10:11], exec
                                        ; implicit-def: $vgpr20
; %bb.507:
	s_or_b64 exec, exec, s[24:25]
	s_andn2_b64 s[24:25], s[16:17], exec
	s_and_b64 s[22:23], s[22:23], exec
	s_or_b64 s[24:25], s[24:25], s[22:23]
	s_andn2_b64 s[22:23], s[10:11], exec
	s_and_b64 s[26:27], s[26:27], exec
	s_or_b64 s[22:23], s[22:23], s[26:27]
	s_waitcnt lgkmcnt(0)
	v_mov_b32_e32 v16, v20
	v_mov_b32_e32 v17, v19
                                        ; implicit-def: $vgpr24
.LBB519_508:
	s_andn2_saveexec_b64 s[20:21], s[20:21]
	s_cbranch_execz .LBB519_510
; %bb.509:
	s_or_b64 s[22:23], s[22:23], exec
                                        ; implicit-def: $vgpr16
	s_waitcnt lgkmcnt(0)
	v_mov_b32_e32 v17, v24
.LBB519_510:
	s_or_b64 exec, exec, s[20:21]
	s_andn2_b64 s[16:17], s[16:17], exec
	s_and_b64 s[20:21], s[24:25], exec
	s_or_b64 s[16:17], s[16:17], s[20:21]
	s_andn2_b64 s[20:21], s[10:11], exec
	s_and_b64 s[22:23], s[22:23], exec
	s_or_b64 s[20:21], s[20:21], s[22:23]
.LBB519_511:
	s_or_b64 exec, exec, s[18:19]
	s_andn2_b64 s[8:9], s[8:9], exec
	s_and_b64 s[16:17], s[16:17], exec
	s_or_b64 s[8:9], s[8:9], s[16:17]
	s_andn2_b64 s[10:11], s[10:11], exec
	s_and_b64 s[16:17], s[20:21], exec
	s_or_b64 s[10:11], s[10:11], s[16:17]
                                        ; implicit-def: $vgpr18
.LBB519_512:
	s_or_b64 exec, exec, s[14:15]
	s_and_b64 s[8:9], s[8:9], exec
	s_and_b64 s[10:11], s[10:11], exec
	;; [unrolled: 1-line block ×3, first 2 shown]
                                        ; implicit-def: $vgpr23
                                        ; implicit-def: $vgpr21
                                        ; implicit-def: $vgpr22
                                        ; implicit-def: $vgpr29
                                        ; implicit-def: $vgpr26
                                        ; implicit-def: $vgpr25
	s_andn2_saveexec_b64 s[6:7], s[6:7]
	s_cbranch_execz .LBB519_464
.LBB519_513:
	v_cmp_lt_i64_e32 vcc, 5, v[0:1]
	s_mov_b64 s[16:17], -1
	s_mov_b64 s[14:15], s[12:13]
	s_mov_b64 s[18:19], s[10:11]
	;; [unrolled: 1-line block ×3, first 2 shown]
                                        ; implicit-def: $vgpr16
                                        ; implicit-def: $vgpr17
                                        ; implicit-def: $vgpr18
	s_and_saveexec_b64 s[0:1], vcc
	s_cbranch_execz .LBB519_529
; %bb.514:
	v_cmp_lt_i64_e32 vcc, 8, v[0:1]
	s_mov_b64 s[14:15], s[12:13]
                                        ; implicit-def: $vgpr18
	s_and_saveexec_b64 s[16:17], vcc
	s_xor_b64 s[16:17], exec, s[16:17]
	s_cbranch_execz .LBB519_524
; %bb.515:
	v_cmp_lt_i64_e32 vcc, 9, v[0:1]
	s_and_saveexec_b64 s[14:15], vcc
	s_xor_b64 s[14:15], exec, s[14:15]
	s_cbranch_execz .LBB519_521
; %bb.516:
	v_cmp_lt_i64_e32 vcc, 10, v[0:1]
	s_and_saveexec_b64 s[18:19], vcc
	s_xor_b64 s[18:19], exec, s[18:19]
; %bb.517:
                                        ; implicit-def: $vgpr26
; %bb.518:
	s_andn2_saveexec_b64 s[18:19], s[18:19]
	s_cbranch_execz .LBB519_520
; %bb.519:
	s_waitcnt lgkmcnt(0)
	v_mov_b32_e32 v25, v26
.LBB519_520:
	s_or_b64 exec, exec, s[18:19]
                                        ; implicit-def: $vgpr29
.LBB519_521:
	s_andn2_saveexec_b64 s[14:15], s[14:15]
	s_cbranch_execz .LBB519_523
; %bb.522:
	s_waitcnt lgkmcnt(0)
	v_mov_b32_e32 v25, v29
.LBB519_523:
	s_or_b64 exec, exec, s[14:15]
	s_or_b64 s[14:15], s[12:13], exec
	s_waitcnt lgkmcnt(0)
	v_mov_b32_e32 v18, v25
                                        ; implicit-def: $vgpr23
                                        ; implicit-def: $vgpr21
                                        ; implicit-def: $vgpr22
.LBB519_524:
	s_or_saveexec_b64 s[16:17], s[16:17]
	s_mov_b64 s[18:19], s[10:11]
	s_mov_b64 s[22:23], s[8:9]
                                        ; implicit-def: $vgpr16
                                        ; implicit-def: $vgpr17
	s_xor_b64 exec, exec, s[16:17]
	s_cbranch_execz .LBB519_528
; %bb.525:
	v_cmp_lt_i64_e32 vcc, 6, v[0:1]
	s_mov_b64 s[22:23], -1
	s_mov_b64 s[20:21], s[14:15]
	s_mov_b64 s[18:19], s[10:11]
	s_and_saveexec_b64 s[24:25], vcc
; %bb.526:
	v_cmp_lt_i64_e32 vcc, 7, v[0:1]
	s_andn2_b64 s[20:21], s[14:15], exec
	s_and_b64 s[26:27], vcc, exec
	s_xor_b64 s[22:23], exec, -1
	s_or_b64 s[18:19], s[10:11], exec
	s_or_b64 s[20:21], s[20:21], s[26:27]
                                        ; implicit-def: $vgpr23
; %bb.527:
	s_or_b64 exec, exec, s[24:25]
	s_andn2_b64 s[24:25], s[8:9], exec
	s_and_b64 s[22:23], s[22:23], exec
	s_or_b64 s[22:23], s[24:25], s[22:23]
	s_andn2_b64 s[24:25], s[10:11], exec
	s_and_b64 s[18:19], s[18:19], exec
	s_andn2_b64 s[14:15], s[14:15], exec
	s_and_b64 s[20:21], s[20:21], exec
	s_or_b64 s[18:19], s[24:25], s[18:19]
	s_or_b64 s[14:15], s[14:15], s[20:21]
	s_waitcnt lgkmcnt(0)
	v_mov_b32_e32 v16, v23
	v_mov_b32_e32 v17, v21
	;; [unrolled: 1-line block ×3, first 2 shown]
.LBB519_528:
	s_or_b64 exec, exec, s[16:17]
	s_andn2_b64 s[20:21], s[8:9], exec
	s_and_b64 s[22:23], s[22:23], exec
	s_or_b64 s[20:21], s[20:21], s[22:23]
	s_andn2_b64 s[22:23], s[10:11], exec
	s_and_b64 s[18:19], s[18:19], exec
	s_or_b64 s[18:19], s[22:23], s[18:19]
	s_andn2_b64 s[22:23], s[12:13], exec
	s_and_b64 s[14:15], s[14:15], exec
	s_xor_b64 s[16:17], exec, -1
	s_or_b64 s[14:15], s[22:23], s[14:15]
.LBB519_529:
	s_or_b64 exec, exec, s[0:1]
	s_and_b64 s[0:1], s[16:17], exec
	s_andn2_b64 s[8:9], s[8:9], exec
	s_and_b64 s[16:17], s[20:21], exec
	s_or_b64 s[8:9], s[8:9], s[16:17]
	s_andn2_b64 s[10:11], s[10:11], exec
	s_and_b64 s[16:17], s[18:19], exec
	s_andn2_b64 s[12:13], s[12:13], exec
	s_and_b64 s[14:15], s[14:15], exec
	s_or_b64 s[10:11], s[10:11], s[16:17]
	s_or_b64 s[12:13], s[12:13], s[14:15]
	s_or_b64 exec, exec, s[6:7]
	s_and_saveexec_b64 s[6:7], s[12:13]
	s_cbranch_execz .LBB519_465
.LBB519_530:
	s_andn2_b64 s[10:11], s[10:11], exec
	s_waitcnt lgkmcnt(0)
	flat_store_short v[4:5], v18
                                        ; implicit-def: $vgpr16
                                        ; implicit-def: $vgpr17
	s_or_b64 exec, exec, s[6:7]
	s_and_saveexec_b64 s[6:7], s[10:11]
	s_cbranch_execz .LBB519_466
.LBB519_531:
	s_waitcnt lgkmcnt(0)
	flat_store_short v[4:5], v17
                                        ; implicit-def: $vgpr16
	s_or_b64 exec, exec, s[6:7]
	s_and_saveexec_b64 s[6:7], s[8:9]
	s_xor_b64 s[6:7], exec, s[6:7]
	s_cbranch_execz .LBB519_467
.LBB519_532:
	s_waitcnt lgkmcnt(0)
	flat_store_short v[4:5], v16
	s_or_b64 exec, exec, s[6:7]
	s_and_b64 exec, exec, s[0:1]
	s_cbranch_execz .LBB519_551
.LBB519_533:
	v_cmp_lt_i64_e32 vcc, 2, v[0:1]
	s_and_saveexec_b64 s[0:1], vcc
	s_xor_b64 s[0:1], exec, s[0:1]
	s_cbranch_execz .LBB519_543
; %bb.534:
	v_cmp_lt_i64_e32 vcc, 3, v[0:1]
	s_and_saveexec_b64 s[6:7], vcc
	s_xor_b64 s[6:7], exec, s[6:7]
	s_cbranch_execz .LBB519_540
; %bb.535:
	;; [unrolled: 5-line block ×3, first 2 shown]
	s_waitcnt lgkmcnt(0)
	flat_store_short v[4:5], v15
                                        ; implicit-def: $vgpr4_vgpr5
                                        ; implicit-def: $vgpr12
.LBB519_537:
	s_andn2_saveexec_b64 s[8:9], s[8:9]
	s_cbranch_execz .LBB519_539
; %bb.538:
	s_waitcnt lgkmcnt(0)
	flat_store_short v[4:5], v12
.LBB519_539:
	s_or_b64 exec, exec, s[8:9]
                                        ; implicit-def: $vgpr4_vgpr5
                                        ; implicit-def: $vgpr14
.LBB519_540:
	s_andn2_saveexec_b64 s[6:7], s[6:7]
	s_cbranch_execz .LBB519_542
; %bb.541:
	s_waitcnt lgkmcnt(0)
	flat_store_short v[4:5], v14
.LBB519_542:
	s_or_b64 exec, exec, s[6:7]
                                        ; implicit-def: $vgpr0_vgpr1
                                        ; implicit-def: $vgpr4_vgpr5
                                        ; implicit-def: $vgpr13
                                        ; implicit-def: $vgpr6
                                        ; implicit-def: $vgpr7
.LBB519_543:
	s_andn2_saveexec_b64 s[0:1], s[0:1]
	s_cbranch_execz .LBB519_551
; %bb.544:
	v_cmp_lt_i64_e32 vcc, 1, v[0:1]
	s_and_saveexec_b64 s[0:1], vcc
	s_xor_b64 s[0:1], exec, s[0:1]
	s_cbranch_execz .LBB519_546
; %bb.545:
	s_waitcnt lgkmcnt(0)
	flat_store_short v[4:5], v13
                                        ; implicit-def: $vgpr4_vgpr5
                                        ; implicit-def: $vgpr6
                                        ; implicit-def: $vgpr0_vgpr1
                                        ; implicit-def: $vgpr7
.LBB519_546:
	s_andn2_saveexec_b64 s[0:1], s[0:1]
	s_cbranch_execz .LBB519_551
; %bb.547:
	v_cmp_ne_u64_e32 vcc, 1, v[0:1]
	s_and_saveexec_b64 s[0:1], vcc
	s_xor_b64 s[0:1], exec, s[0:1]
	s_cbranch_execz .LBB519_549
; %bb.548:
	s_waitcnt lgkmcnt(0)
	flat_store_short v[4:5], v7
                                        ; implicit-def: $vgpr4_vgpr5
                                        ; implicit-def: $vgpr6
.LBB519_549:
	s_andn2_saveexec_b64 s[0:1], s[0:1]
	s_cbranch_execz .LBB519_551
; %bb.550:
	s_waitcnt lgkmcnt(0)
	flat_store_short v[4:5], v6
.LBB519_551:
	s_or_b64 exec, exec, s[4:5]
.LBB519_552:
	s_or_b64 exec, exec, s[2:3]
	v_readlane_b32 s30, v40, 0
	v_readlane_b32 s31, v40, 1
	s_or_saveexec_b64 s[0:1], -1
	scratch_load_dword v40, off, s32        ; 4-byte Folded Reload
	s_mov_b64 exec, s[0:1]
	s_waitcnt vmcnt(0) lgkmcnt(0)
	s_setpc_b64 s[30:31]
.Lfunc_end519:
	.size	_ZZZN7rocprim17ROCPRIM_400000_NS6detail9scan_implILNS1_25lookback_scan_determinismE0ELb0ELb0ENS0_14default_configEPKN3c108BFloat16EPS6_S6_ZZZN2at6native31launch_logcumsumexp_cuda_kernelERKNSA_10TensorBaseESE_lENKUlvE_clEvENKUlvE4_clEvEUlS6_S6_E_S6_EEDaPvRmT3_T4_T5_mT6_P12ihipStream_tbENKUlT_T0_E_clISt17integral_constantIbLb0EESU_IbLb1EEEEDaSQ_SR_ENKUlSQ_E_clINS1_13target_configIS4_NS1_20scan_config_selectorIS6_EENS1_11comp_targetILNS1_3genE5ELNS1_11target_archE942ELNS1_3gpuE9ELNS1_3repE0EEELNS0_4arch9wavefront6targetE1EEEEEDaSQ_, .Lfunc_end519-_ZZZN7rocprim17ROCPRIM_400000_NS6detail9scan_implILNS1_25lookback_scan_determinismE0ELb0ELb0ENS0_14default_configEPKN3c108BFloat16EPS6_S6_ZZZN2at6native31launch_logcumsumexp_cuda_kernelERKNSA_10TensorBaseESE_lENKUlvE_clEvENKUlvE4_clEvEUlS6_S6_E_S6_EEDaPvRmT3_T4_T5_mT6_P12ihipStream_tbENKUlT_T0_E_clISt17integral_constantIbLb0EESU_IbLb1EEEEDaSQ_SR_ENKUlSQ_E_clINS1_13target_configIS4_NS1_20scan_config_selectorIS6_EENS1_11comp_targetILNS1_3genE5ELNS1_11target_archE942ELNS1_3gpuE9ELNS1_3repE0EEELNS0_4arch9wavefront6targetE1EEEEEDaSQ_
                                        ; -- End function
	.section	.AMDGPU.csdata,"",@progbits
; Function info:
; codeLenInByte = 120700
; NumSgprs: 82
; NumVgprs: 225
; NumAgprs: 0
; TotalNumVgprs: 225
; ScratchSize: 8
; MemoryBound: 0
	.section	.text._ZN7rocprim17ROCPRIM_400000_NS6detail17trampoline_kernelINS0_14default_configENS1_20scan_config_selectorIN3c108BFloat16EEEZZNS1_9scan_implILNS1_25lookback_scan_determinismE0ELb0ELb0ES3_PKS6_PS6_S6_ZZZN2at6native31launch_logcumsumexp_cuda_kernelERKNSD_10TensorBaseESH_lENKUlvE_clEvENKUlvE4_clEvEUlS6_S6_E_S6_EEDaPvRmT3_T4_T5_mT6_P12ihipStream_tbENKUlT_T0_E_clISt17integral_constantIbLb0EESX_IbLb1EEEEDaST_SU_EUlST_E_NS1_11comp_targetILNS1_3genE5ELNS1_11target_archE942ELNS1_3gpuE9ELNS1_3repE0EEENS1_30default_config_static_selectorELNS0_4arch9wavefront6targetE1EEEvT1_,"axG",@progbits,_ZN7rocprim17ROCPRIM_400000_NS6detail17trampoline_kernelINS0_14default_configENS1_20scan_config_selectorIN3c108BFloat16EEEZZNS1_9scan_implILNS1_25lookback_scan_determinismE0ELb0ELb0ES3_PKS6_PS6_S6_ZZZN2at6native31launch_logcumsumexp_cuda_kernelERKNSD_10TensorBaseESH_lENKUlvE_clEvENKUlvE4_clEvEUlS6_S6_E_S6_EEDaPvRmT3_T4_T5_mT6_P12ihipStream_tbENKUlT_T0_E_clISt17integral_constantIbLb0EESX_IbLb1EEEEDaST_SU_EUlST_E_NS1_11comp_targetILNS1_3genE5ELNS1_11target_archE942ELNS1_3gpuE9ELNS1_3repE0EEENS1_30default_config_static_selectorELNS0_4arch9wavefront6targetE1EEEvT1_,comdat
	.globl	_ZN7rocprim17ROCPRIM_400000_NS6detail17trampoline_kernelINS0_14default_configENS1_20scan_config_selectorIN3c108BFloat16EEEZZNS1_9scan_implILNS1_25lookback_scan_determinismE0ELb0ELb0ES3_PKS6_PS6_S6_ZZZN2at6native31launch_logcumsumexp_cuda_kernelERKNSD_10TensorBaseESH_lENKUlvE_clEvENKUlvE4_clEvEUlS6_S6_E_S6_EEDaPvRmT3_T4_T5_mT6_P12ihipStream_tbENKUlT_T0_E_clISt17integral_constantIbLb0EESX_IbLb1EEEEDaST_SU_EUlST_E_NS1_11comp_targetILNS1_3genE5ELNS1_11target_archE942ELNS1_3gpuE9ELNS1_3repE0EEENS1_30default_config_static_selectorELNS0_4arch9wavefront6targetE1EEEvT1_ ; -- Begin function _ZN7rocprim17ROCPRIM_400000_NS6detail17trampoline_kernelINS0_14default_configENS1_20scan_config_selectorIN3c108BFloat16EEEZZNS1_9scan_implILNS1_25lookback_scan_determinismE0ELb0ELb0ES3_PKS6_PS6_S6_ZZZN2at6native31launch_logcumsumexp_cuda_kernelERKNSD_10TensorBaseESH_lENKUlvE_clEvENKUlvE4_clEvEUlS6_S6_E_S6_EEDaPvRmT3_T4_T5_mT6_P12ihipStream_tbENKUlT_T0_E_clISt17integral_constantIbLb0EESX_IbLb1EEEEDaST_SU_EUlST_E_NS1_11comp_targetILNS1_3genE5ELNS1_11target_archE942ELNS1_3gpuE9ELNS1_3repE0EEENS1_30default_config_static_selectorELNS0_4arch9wavefront6targetE1EEEvT1_
	.p2align	8
	.type	_ZN7rocprim17ROCPRIM_400000_NS6detail17trampoline_kernelINS0_14default_configENS1_20scan_config_selectorIN3c108BFloat16EEEZZNS1_9scan_implILNS1_25lookback_scan_determinismE0ELb0ELb0ES3_PKS6_PS6_S6_ZZZN2at6native31launch_logcumsumexp_cuda_kernelERKNSD_10TensorBaseESH_lENKUlvE_clEvENKUlvE4_clEvEUlS6_S6_E_S6_EEDaPvRmT3_T4_T5_mT6_P12ihipStream_tbENKUlT_T0_E_clISt17integral_constantIbLb0EESX_IbLb1EEEEDaST_SU_EUlST_E_NS1_11comp_targetILNS1_3genE5ELNS1_11target_archE942ELNS1_3gpuE9ELNS1_3repE0EEENS1_30default_config_static_selectorELNS0_4arch9wavefront6targetE1EEEvT1_,@function
_ZN7rocprim17ROCPRIM_400000_NS6detail17trampoline_kernelINS0_14default_configENS1_20scan_config_selectorIN3c108BFloat16EEEZZNS1_9scan_implILNS1_25lookback_scan_determinismE0ELb0ELb0ES3_PKS6_PS6_S6_ZZZN2at6native31launch_logcumsumexp_cuda_kernelERKNSD_10TensorBaseESH_lENKUlvE_clEvENKUlvE4_clEvEUlS6_S6_E_S6_EEDaPvRmT3_T4_T5_mT6_P12ihipStream_tbENKUlT_T0_E_clISt17integral_constantIbLb0EESX_IbLb1EEEEDaST_SU_EUlST_E_NS1_11comp_targetILNS1_3genE5ELNS1_11target_archE942ELNS1_3gpuE9ELNS1_3repE0EEENS1_30default_config_static_selectorELNS0_4arch9wavefront6targetE1EEEvT1_: ; @_ZN7rocprim17ROCPRIM_400000_NS6detail17trampoline_kernelINS0_14default_configENS1_20scan_config_selectorIN3c108BFloat16EEEZZNS1_9scan_implILNS1_25lookback_scan_determinismE0ELb0ELb0ES3_PKS6_PS6_S6_ZZZN2at6native31launch_logcumsumexp_cuda_kernelERKNSD_10TensorBaseESH_lENKUlvE_clEvENKUlvE4_clEvEUlS6_S6_E_S6_EEDaPvRmT3_T4_T5_mT6_P12ihipStream_tbENKUlT_T0_E_clISt17integral_constantIbLb0EESX_IbLb1EEEEDaST_SU_EUlST_E_NS1_11comp_targetILNS1_3genE5ELNS1_11target_archE942ELNS1_3gpuE9ELNS1_3repE0EEENS1_30default_config_static_selectorELNS0_4arch9wavefront6targetE1EEEvT1_
; %bb.0:
	s_load_dwordx8 s[4:11], s[0:1], 0x0
	s_load_dwordx8 s[12:19], s[0:1], 0x20
	s_mov_b64 s[2:3], src_private_base
	v_mov_b32_e32 v31, v0
	v_mov_b32_e32 v0, 0
	s_waitcnt lgkmcnt(0)
	v_mov_b64_e32 v[2:3], s[4:5]
	v_mov_b64_e32 v[6:7], s[8:9]
	;; [unrolled: 1-line block ×4, first 2 shown]
	s_load_dwordx8 s[4:11], s[0:1], 0x40
	scratch_store_dwordx4 off, v[2:5], off
	scratch_store_dwordx4 off, v[6:9], off offset:16
	v_mov_b32_e32 v1, s3
	v_mov_b64_e32 v[2:3], s[12:13]
	v_mov_b64_e32 v[4:5], s[14:15]
	scratch_store_dwordx4 off, v[2:5], off offset:32
	s_movk_i32 s32, 0x70
	s_nop 0
	v_mov_b64_e32 v[2:3], s[16:17]
	v_mov_b64_e32 v[4:5], s[18:19]
	scratch_store_dwordx4 off, v[2:5], off offset:48
	s_waitcnt lgkmcnt(0)
	s_nop 0
	v_mov_b64_e32 v[2:3], s[4:5]
	v_mov_b64_e32 v[4:5], s[6:7]
	scratch_store_dwordx4 off, v[2:5], off offset:64
	s_nop 1
	v_mov_b64_e32 v[2:3], s[8:9]
	v_mov_b64_e32 v[4:5], s[10:11]
	s_add_u32 s8, s0, 0x60
	s_addc_u32 s9, s1, 0
	scratch_store_dwordx4 off, v[2:5], off offset:80
	s_getpc_b64 s[0:1]
	s_add_u32 s0, s0, _ZZZN7rocprim17ROCPRIM_400000_NS6detail9scan_implILNS1_25lookback_scan_determinismE0ELb0ELb0ENS0_14default_configEPKN3c108BFloat16EPS6_S6_ZZZN2at6native31launch_logcumsumexp_cuda_kernelERKNSA_10TensorBaseESE_lENKUlvE_clEvENKUlvE4_clEvEUlS6_S6_E_S6_EEDaPvRmT3_T4_T5_mT6_P12ihipStream_tbENKUlT_T0_E_clISt17integral_constantIbLb0EESU_IbLb1EEEEDaSQ_SR_ENKUlSQ_E_clINS1_13target_configIS4_NS1_20scan_config_selectorIS6_EENS1_11comp_targetILNS1_3genE5ELNS1_11target_archE942ELNS1_3gpuE9ELNS1_3repE0EEELNS0_4arch9wavefront6targetE1EEEEEDaSQ_@rel32@lo+4
	s_addc_u32 s1, s1, _ZZZN7rocprim17ROCPRIM_400000_NS6detail9scan_implILNS1_25lookback_scan_determinismE0ELb0ELb0ENS0_14default_configEPKN3c108BFloat16EPS6_S6_ZZZN2at6native31launch_logcumsumexp_cuda_kernelERKNSA_10TensorBaseESE_lENKUlvE_clEvENKUlvE4_clEvEUlS6_S6_E_S6_EEDaPvRmT3_T4_T5_mT6_P12ihipStream_tbENKUlT_T0_E_clISt17integral_constantIbLb0EESU_IbLb1EEEEDaSQ_SR_ENKUlSQ_E_clINS1_13target_configIS4_NS1_20scan_config_selectorIS6_EENS1_11comp_targetILNS1_3genE5ELNS1_11target_archE942ELNS1_3gpuE9ELNS1_3repE0EEELNS0_4arch9wavefront6targetE1EEEEEDaSQ_@rel32@hi+12
	s_swappc_b64 s[30:31], s[0:1]
	s_endpgm
	.section	.rodata,"a",@progbits
	.p2align	6, 0x0
	.amdhsa_kernel _ZN7rocprim17ROCPRIM_400000_NS6detail17trampoline_kernelINS0_14default_configENS1_20scan_config_selectorIN3c108BFloat16EEEZZNS1_9scan_implILNS1_25lookback_scan_determinismE0ELb0ELb0ES3_PKS6_PS6_S6_ZZZN2at6native31launch_logcumsumexp_cuda_kernelERKNSD_10TensorBaseESH_lENKUlvE_clEvENKUlvE4_clEvEUlS6_S6_E_S6_EEDaPvRmT3_T4_T5_mT6_P12ihipStream_tbENKUlT_T0_E_clISt17integral_constantIbLb0EESX_IbLb1EEEEDaST_SU_EUlST_E_NS1_11comp_targetILNS1_3genE5ELNS1_11target_archE942ELNS1_3gpuE9ELNS1_3repE0EEENS1_30default_config_static_selectorELNS0_4arch9wavefront6targetE1EEEvT1_
		.amdhsa_group_segment_fixed_size 12288
		.amdhsa_private_segment_fixed_size 120
		.amdhsa_kernarg_size 352
		.amdhsa_user_sgpr_count 2
		.amdhsa_user_sgpr_dispatch_ptr 0
		.amdhsa_user_sgpr_queue_ptr 0
		.amdhsa_user_sgpr_kernarg_segment_ptr 1
		.amdhsa_user_sgpr_dispatch_id 0
		.amdhsa_user_sgpr_kernarg_preload_length 0
		.amdhsa_user_sgpr_kernarg_preload_offset 0
		.amdhsa_user_sgpr_private_segment_size 0
		.amdhsa_uses_dynamic_stack 0
		.amdhsa_enable_private_segment 1
		.amdhsa_system_sgpr_workgroup_id_x 1
		.amdhsa_system_sgpr_workgroup_id_y 0
		.amdhsa_system_sgpr_workgroup_id_z 0
		.amdhsa_system_sgpr_workgroup_info 0
		.amdhsa_system_vgpr_workitem_id 0
		.amdhsa_next_free_vgpr 225
		.amdhsa_next_free_sgpr 76
		.amdhsa_accum_offset 228
		.amdhsa_reserve_vcc 1
		.amdhsa_float_round_mode_32 0
		.amdhsa_float_round_mode_16_64 0
		.amdhsa_float_denorm_mode_32 3
		.amdhsa_float_denorm_mode_16_64 3
		.amdhsa_dx10_clamp 1
		.amdhsa_ieee_mode 1
		.amdhsa_fp16_overflow 0
		.amdhsa_tg_split 0
		.amdhsa_exception_fp_ieee_invalid_op 0
		.amdhsa_exception_fp_denorm_src 0
		.amdhsa_exception_fp_ieee_div_zero 0
		.amdhsa_exception_fp_ieee_overflow 0
		.amdhsa_exception_fp_ieee_underflow 0
		.amdhsa_exception_fp_ieee_inexact 0
		.amdhsa_exception_int_div_zero 0
	.end_amdhsa_kernel
	.section	.text._ZN7rocprim17ROCPRIM_400000_NS6detail17trampoline_kernelINS0_14default_configENS1_20scan_config_selectorIN3c108BFloat16EEEZZNS1_9scan_implILNS1_25lookback_scan_determinismE0ELb0ELb0ES3_PKS6_PS6_S6_ZZZN2at6native31launch_logcumsumexp_cuda_kernelERKNSD_10TensorBaseESH_lENKUlvE_clEvENKUlvE4_clEvEUlS6_S6_E_S6_EEDaPvRmT3_T4_T5_mT6_P12ihipStream_tbENKUlT_T0_E_clISt17integral_constantIbLb0EESX_IbLb1EEEEDaST_SU_EUlST_E_NS1_11comp_targetILNS1_3genE5ELNS1_11target_archE942ELNS1_3gpuE9ELNS1_3repE0EEENS1_30default_config_static_selectorELNS0_4arch9wavefront6targetE1EEEvT1_,"axG",@progbits,_ZN7rocprim17ROCPRIM_400000_NS6detail17trampoline_kernelINS0_14default_configENS1_20scan_config_selectorIN3c108BFloat16EEEZZNS1_9scan_implILNS1_25lookback_scan_determinismE0ELb0ELb0ES3_PKS6_PS6_S6_ZZZN2at6native31launch_logcumsumexp_cuda_kernelERKNSD_10TensorBaseESH_lENKUlvE_clEvENKUlvE4_clEvEUlS6_S6_E_S6_EEDaPvRmT3_T4_T5_mT6_P12ihipStream_tbENKUlT_T0_E_clISt17integral_constantIbLb0EESX_IbLb1EEEEDaST_SU_EUlST_E_NS1_11comp_targetILNS1_3genE5ELNS1_11target_archE942ELNS1_3gpuE9ELNS1_3repE0EEENS1_30default_config_static_selectorELNS0_4arch9wavefront6targetE1EEEvT1_,comdat
.Lfunc_end520:
	.size	_ZN7rocprim17ROCPRIM_400000_NS6detail17trampoline_kernelINS0_14default_configENS1_20scan_config_selectorIN3c108BFloat16EEEZZNS1_9scan_implILNS1_25lookback_scan_determinismE0ELb0ELb0ES3_PKS6_PS6_S6_ZZZN2at6native31launch_logcumsumexp_cuda_kernelERKNSD_10TensorBaseESH_lENKUlvE_clEvENKUlvE4_clEvEUlS6_S6_E_S6_EEDaPvRmT3_T4_T5_mT6_P12ihipStream_tbENKUlT_T0_E_clISt17integral_constantIbLb0EESX_IbLb1EEEEDaST_SU_EUlST_E_NS1_11comp_targetILNS1_3genE5ELNS1_11target_archE942ELNS1_3gpuE9ELNS1_3repE0EEENS1_30default_config_static_selectorELNS0_4arch9wavefront6targetE1EEEvT1_, .Lfunc_end520-_ZN7rocprim17ROCPRIM_400000_NS6detail17trampoline_kernelINS0_14default_configENS1_20scan_config_selectorIN3c108BFloat16EEEZZNS1_9scan_implILNS1_25lookback_scan_determinismE0ELb0ELb0ES3_PKS6_PS6_S6_ZZZN2at6native31launch_logcumsumexp_cuda_kernelERKNSD_10TensorBaseESH_lENKUlvE_clEvENKUlvE4_clEvEUlS6_S6_E_S6_EEDaPvRmT3_T4_T5_mT6_P12ihipStream_tbENKUlT_T0_E_clISt17integral_constantIbLb0EESX_IbLb1EEEEDaST_SU_EUlST_E_NS1_11comp_targetILNS1_3genE5ELNS1_11target_archE942ELNS1_3gpuE9ELNS1_3repE0EEENS1_30default_config_static_selectorELNS0_4arch9wavefront6targetE1EEEvT1_
                                        ; -- End function
	.section	.AMDGPU.csdata,"",@progbits
; Kernel info:
; codeLenInByte = 200
; NumSgprs: 82
; NumVgprs: 225
; NumAgprs: 0
; TotalNumVgprs: 225
; ScratchSize: 120
; MemoryBound: 0
; FloatMode: 240
; IeeeMode: 1
; LDSByteSize: 12288 bytes/workgroup (compile time only)
; SGPRBlocks: 10
; VGPRBlocks: 28
; NumSGPRsForWavesPerEU: 82
; NumVGPRsForWavesPerEU: 225
; AccumOffset: 228
; Occupancy: 2
; WaveLimiterHint : 1
; COMPUTE_PGM_RSRC2:SCRATCH_EN: 1
; COMPUTE_PGM_RSRC2:USER_SGPR: 2
; COMPUTE_PGM_RSRC2:TRAP_HANDLER: 0
; COMPUTE_PGM_RSRC2:TGID_X_EN: 1
; COMPUTE_PGM_RSRC2:TGID_Y_EN: 0
; COMPUTE_PGM_RSRC2:TGID_Z_EN: 0
; COMPUTE_PGM_RSRC2:TIDIG_COMP_CNT: 0
; COMPUTE_PGM_RSRC3_GFX90A:ACCUM_OFFSET: 56
; COMPUTE_PGM_RSRC3_GFX90A:TG_SPLIT: 0
	.section	.text._ZN7rocprim17ROCPRIM_400000_NS6detail17trampoline_kernelINS0_14default_configENS1_20scan_config_selectorIN3c108BFloat16EEEZZNS1_9scan_implILNS1_25lookback_scan_determinismE0ELb0ELb0ES3_PKS6_PS6_S6_ZZZN2at6native31launch_logcumsumexp_cuda_kernelERKNSD_10TensorBaseESH_lENKUlvE_clEvENKUlvE4_clEvEUlS6_S6_E_S6_EEDaPvRmT3_T4_T5_mT6_P12ihipStream_tbENKUlT_T0_E_clISt17integral_constantIbLb0EESX_IbLb1EEEEDaST_SU_EUlST_E_NS1_11comp_targetILNS1_3genE4ELNS1_11target_archE910ELNS1_3gpuE8ELNS1_3repE0EEENS1_30default_config_static_selectorELNS0_4arch9wavefront6targetE1EEEvT1_,"axG",@progbits,_ZN7rocprim17ROCPRIM_400000_NS6detail17trampoline_kernelINS0_14default_configENS1_20scan_config_selectorIN3c108BFloat16EEEZZNS1_9scan_implILNS1_25lookback_scan_determinismE0ELb0ELb0ES3_PKS6_PS6_S6_ZZZN2at6native31launch_logcumsumexp_cuda_kernelERKNSD_10TensorBaseESH_lENKUlvE_clEvENKUlvE4_clEvEUlS6_S6_E_S6_EEDaPvRmT3_T4_T5_mT6_P12ihipStream_tbENKUlT_T0_E_clISt17integral_constantIbLb0EESX_IbLb1EEEEDaST_SU_EUlST_E_NS1_11comp_targetILNS1_3genE4ELNS1_11target_archE910ELNS1_3gpuE8ELNS1_3repE0EEENS1_30default_config_static_selectorELNS0_4arch9wavefront6targetE1EEEvT1_,comdat
	.globl	_ZN7rocprim17ROCPRIM_400000_NS6detail17trampoline_kernelINS0_14default_configENS1_20scan_config_selectorIN3c108BFloat16EEEZZNS1_9scan_implILNS1_25lookback_scan_determinismE0ELb0ELb0ES3_PKS6_PS6_S6_ZZZN2at6native31launch_logcumsumexp_cuda_kernelERKNSD_10TensorBaseESH_lENKUlvE_clEvENKUlvE4_clEvEUlS6_S6_E_S6_EEDaPvRmT3_T4_T5_mT6_P12ihipStream_tbENKUlT_T0_E_clISt17integral_constantIbLb0EESX_IbLb1EEEEDaST_SU_EUlST_E_NS1_11comp_targetILNS1_3genE4ELNS1_11target_archE910ELNS1_3gpuE8ELNS1_3repE0EEENS1_30default_config_static_selectorELNS0_4arch9wavefront6targetE1EEEvT1_ ; -- Begin function _ZN7rocprim17ROCPRIM_400000_NS6detail17trampoline_kernelINS0_14default_configENS1_20scan_config_selectorIN3c108BFloat16EEEZZNS1_9scan_implILNS1_25lookback_scan_determinismE0ELb0ELb0ES3_PKS6_PS6_S6_ZZZN2at6native31launch_logcumsumexp_cuda_kernelERKNSD_10TensorBaseESH_lENKUlvE_clEvENKUlvE4_clEvEUlS6_S6_E_S6_EEDaPvRmT3_T4_T5_mT6_P12ihipStream_tbENKUlT_T0_E_clISt17integral_constantIbLb0EESX_IbLb1EEEEDaST_SU_EUlST_E_NS1_11comp_targetILNS1_3genE4ELNS1_11target_archE910ELNS1_3gpuE8ELNS1_3repE0EEENS1_30default_config_static_selectorELNS0_4arch9wavefront6targetE1EEEvT1_
	.p2align	8
	.type	_ZN7rocprim17ROCPRIM_400000_NS6detail17trampoline_kernelINS0_14default_configENS1_20scan_config_selectorIN3c108BFloat16EEEZZNS1_9scan_implILNS1_25lookback_scan_determinismE0ELb0ELb0ES3_PKS6_PS6_S6_ZZZN2at6native31launch_logcumsumexp_cuda_kernelERKNSD_10TensorBaseESH_lENKUlvE_clEvENKUlvE4_clEvEUlS6_S6_E_S6_EEDaPvRmT3_T4_T5_mT6_P12ihipStream_tbENKUlT_T0_E_clISt17integral_constantIbLb0EESX_IbLb1EEEEDaST_SU_EUlST_E_NS1_11comp_targetILNS1_3genE4ELNS1_11target_archE910ELNS1_3gpuE8ELNS1_3repE0EEENS1_30default_config_static_selectorELNS0_4arch9wavefront6targetE1EEEvT1_,@function
_ZN7rocprim17ROCPRIM_400000_NS6detail17trampoline_kernelINS0_14default_configENS1_20scan_config_selectorIN3c108BFloat16EEEZZNS1_9scan_implILNS1_25lookback_scan_determinismE0ELb0ELb0ES3_PKS6_PS6_S6_ZZZN2at6native31launch_logcumsumexp_cuda_kernelERKNSD_10TensorBaseESH_lENKUlvE_clEvENKUlvE4_clEvEUlS6_S6_E_S6_EEDaPvRmT3_T4_T5_mT6_P12ihipStream_tbENKUlT_T0_E_clISt17integral_constantIbLb0EESX_IbLb1EEEEDaST_SU_EUlST_E_NS1_11comp_targetILNS1_3genE4ELNS1_11target_archE910ELNS1_3gpuE8ELNS1_3repE0EEENS1_30default_config_static_selectorELNS0_4arch9wavefront6targetE1EEEvT1_: ; @_ZN7rocprim17ROCPRIM_400000_NS6detail17trampoline_kernelINS0_14default_configENS1_20scan_config_selectorIN3c108BFloat16EEEZZNS1_9scan_implILNS1_25lookback_scan_determinismE0ELb0ELb0ES3_PKS6_PS6_S6_ZZZN2at6native31launch_logcumsumexp_cuda_kernelERKNSD_10TensorBaseESH_lENKUlvE_clEvENKUlvE4_clEvEUlS6_S6_E_S6_EEDaPvRmT3_T4_T5_mT6_P12ihipStream_tbENKUlT_T0_E_clISt17integral_constantIbLb0EESX_IbLb1EEEEDaST_SU_EUlST_E_NS1_11comp_targetILNS1_3genE4ELNS1_11target_archE910ELNS1_3gpuE8ELNS1_3repE0EEENS1_30default_config_static_selectorELNS0_4arch9wavefront6targetE1EEEvT1_
; %bb.0:
	.section	.rodata,"a",@progbits
	.p2align	6, 0x0
	.amdhsa_kernel _ZN7rocprim17ROCPRIM_400000_NS6detail17trampoline_kernelINS0_14default_configENS1_20scan_config_selectorIN3c108BFloat16EEEZZNS1_9scan_implILNS1_25lookback_scan_determinismE0ELb0ELb0ES3_PKS6_PS6_S6_ZZZN2at6native31launch_logcumsumexp_cuda_kernelERKNSD_10TensorBaseESH_lENKUlvE_clEvENKUlvE4_clEvEUlS6_S6_E_S6_EEDaPvRmT3_T4_T5_mT6_P12ihipStream_tbENKUlT_T0_E_clISt17integral_constantIbLb0EESX_IbLb1EEEEDaST_SU_EUlST_E_NS1_11comp_targetILNS1_3genE4ELNS1_11target_archE910ELNS1_3gpuE8ELNS1_3repE0EEENS1_30default_config_static_selectorELNS0_4arch9wavefront6targetE1EEEvT1_
		.amdhsa_group_segment_fixed_size 0
		.amdhsa_private_segment_fixed_size 0
		.amdhsa_kernarg_size 96
		.amdhsa_user_sgpr_count 2
		.amdhsa_user_sgpr_dispatch_ptr 0
		.amdhsa_user_sgpr_queue_ptr 0
		.amdhsa_user_sgpr_kernarg_segment_ptr 1
		.amdhsa_user_sgpr_dispatch_id 0
		.amdhsa_user_sgpr_kernarg_preload_length 0
		.amdhsa_user_sgpr_kernarg_preload_offset 0
		.amdhsa_user_sgpr_private_segment_size 0
		.amdhsa_uses_dynamic_stack 0
		.amdhsa_enable_private_segment 0
		.amdhsa_system_sgpr_workgroup_id_x 1
		.amdhsa_system_sgpr_workgroup_id_y 0
		.amdhsa_system_sgpr_workgroup_id_z 0
		.amdhsa_system_sgpr_workgroup_info 0
		.amdhsa_system_vgpr_workitem_id 0
		.amdhsa_next_free_vgpr 1
		.amdhsa_next_free_sgpr 0
		.amdhsa_accum_offset 4
		.amdhsa_reserve_vcc 0
		.amdhsa_float_round_mode_32 0
		.amdhsa_float_round_mode_16_64 0
		.amdhsa_float_denorm_mode_32 3
		.amdhsa_float_denorm_mode_16_64 3
		.amdhsa_dx10_clamp 1
		.amdhsa_ieee_mode 1
		.amdhsa_fp16_overflow 0
		.amdhsa_tg_split 0
		.amdhsa_exception_fp_ieee_invalid_op 0
		.amdhsa_exception_fp_denorm_src 0
		.amdhsa_exception_fp_ieee_div_zero 0
		.amdhsa_exception_fp_ieee_overflow 0
		.amdhsa_exception_fp_ieee_underflow 0
		.amdhsa_exception_fp_ieee_inexact 0
		.amdhsa_exception_int_div_zero 0
	.end_amdhsa_kernel
	.section	.text._ZN7rocprim17ROCPRIM_400000_NS6detail17trampoline_kernelINS0_14default_configENS1_20scan_config_selectorIN3c108BFloat16EEEZZNS1_9scan_implILNS1_25lookback_scan_determinismE0ELb0ELb0ES3_PKS6_PS6_S6_ZZZN2at6native31launch_logcumsumexp_cuda_kernelERKNSD_10TensorBaseESH_lENKUlvE_clEvENKUlvE4_clEvEUlS6_S6_E_S6_EEDaPvRmT3_T4_T5_mT6_P12ihipStream_tbENKUlT_T0_E_clISt17integral_constantIbLb0EESX_IbLb1EEEEDaST_SU_EUlST_E_NS1_11comp_targetILNS1_3genE4ELNS1_11target_archE910ELNS1_3gpuE8ELNS1_3repE0EEENS1_30default_config_static_selectorELNS0_4arch9wavefront6targetE1EEEvT1_,"axG",@progbits,_ZN7rocprim17ROCPRIM_400000_NS6detail17trampoline_kernelINS0_14default_configENS1_20scan_config_selectorIN3c108BFloat16EEEZZNS1_9scan_implILNS1_25lookback_scan_determinismE0ELb0ELb0ES3_PKS6_PS6_S6_ZZZN2at6native31launch_logcumsumexp_cuda_kernelERKNSD_10TensorBaseESH_lENKUlvE_clEvENKUlvE4_clEvEUlS6_S6_E_S6_EEDaPvRmT3_T4_T5_mT6_P12ihipStream_tbENKUlT_T0_E_clISt17integral_constantIbLb0EESX_IbLb1EEEEDaST_SU_EUlST_E_NS1_11comp_targetILNS1_3genE4ELNS1_11target_archE910ELNS1_3gpuE8ELNS1_3repE0EEENS1_30default_config_static_selectorELNS0_4arch9wavefront6targetE1EEEvT1_,comdat
.Lfunc_end521:
	.size	_ZN7rocprim17ROCPRIM_400000_NS6detail17trampoline_kernelINS0_14default_configENS1_20scan_config_selectorIN3c108BFloat16EEEZZNS1_9scan_implILNS1_25lookback_scan_determinismE0ELb0ELb0ES3_PKS6_PS6_S6_ZZZN2at6native31launch_logcumsumexp_cuda_kernelERKNSD_10TensorBaseESH_lENKUlvE_clEvENKUlvE4_clEvEUlS6_S6_E_S6_EEDaPvRmT3_T4_T5_mT6_P12ihipStream_tbENKUlT_T0_E_clISt17integral_constantIbLb0EESX_IbLb1EEEEDaST_SU_EUlST_E_NS1_11comp_targetILNS1_3genE4ELNS1_11target_archE910ELNS1_3gpuE8ELNS1_3repE0EEENS1_30default_config_static_selectorELNS0_4arch9wavefront6targetE1EEEvT1_, .Lfunc_end521-_ZN7rocprim17ROCPRIM_400000_NS6detail17trampoline_kernelINS0_14default_configENS1_20scan_config_selectorIN3c108BFloat16EEEZZNS1_9scan_implILNS1_25lookback_scan_determinismE0ELb0ELb0ES3_PKS6_PS6_S6_ZZZN2at6native31launch_logcumsumexp_cuda_kernelERKNSD_10TensorBaseESH_lENKUlvE_clEvENKUlvE4_clEvEUlS6_S6_E_S6_EEDaPvRmT3_T4_T5_mT6_P12ihipStream_tbENKUlT_T0_E_clISt17integral_constantIbLb0EESX_IbLb1EEEEDaST_SU_EUlST_E_NS1_11comp_targetILNS1_3genE4ELNS1_11target_archE910ELNS1_3gpuE8ELNS1_3repE0EEENS1_30default_config_static_selectorELNS0_4arch9wavefront6targetE1EEEvT1_
                                        ; -- End function
	.section	.AMDGPU.csdata,"",@progbits
; Kernel info:
; codeLenInByte = 0
; NumSgprs: 6
; NumVgprs: 0
; NumAgprs: 0
; TotalNumVgprs: 0
; ScratchSize: 0
; MemoryBound: 0
; FloatMode: 240
; IeeeMode: 1
; LDSByteSize: 0 bytes/workgroup (compile time only)
; SGPRBlocks: 0
; VGPRBlocks: 0
; NumSGPRsForWavesPerEU: 6
; NumVGPRsForWavesPerEU: 1
; AccumOffset: 4
; Occupancy: 8
; WaveLimiterHint : 0
; COMPUTE_PGM_RSRC2:SCRATCH_EN: 0
; COMPUTE_PGM_RSRC2:USER_SGPR: 2
; COMPUTE_PGM_RSRC2:TRAP_HANDLER: 0
; COMPUTE_PGM_RSRC2:TGID_X_EN: 1
; COMPUTE_PGM_RSRC2:TGID_Y_EN: 0
; COMPUTE_PGM_RSRC2:TGID_Z_EN: 0
; COMPUTE_PGM_RSRC2:TIDIG_COMP_CNT: 0
; COMPUTE_PGM_RSRC3_GFX90A:ACCUM_OFFSET: 0
; COMPUTE_PGM_RSRC3_GFX90A:TG_SPLIT: 0
	.section	.text._ZN7rocprim17ROCPRIM_400000_NS6detail17trampoline_kernelINS0_14default_configENS1_20scan_config_selectorIN3c108BFloat16EEEZZNS1_9scan_implILNS1_25lookback_scan_determinismE0ELb0ELb0ES3_PKS6_PS6_S6_ZZZN2at6native31launch_logcumsumexp_cuda_kernelERKNSD_10TensorBaseESH_lENKUlvE_clEvENKUlvE4_clEvEUlS6_S6_E_S6_EEDaPvRmT3_T4_T5_mT6_P12ihipStream_tbENKUlT_T0_E_clISt17integral_constantIbLb0EESX_IbLb1EEEEDaST_SU_EUlST_E_NS1_11comp_targetILNS1_3genE3ELNS1_11target_archE908ELNS1_3gpuE7ELNS1_3repE0EEENS1_30default_config_static_selectorELNS0_4arch9wavefront6targetE1EEEvT1_,"axG",@progbits,_ZN7rocprim17ROCPRIM_400000_NS6detail17trampoline_kernelINS0_14default_configENS1_20scan_config_selectorIN3c108BFloat16EEEZZNS1_9scan_implILNS1_25lookback_scan_determinismE0ELb0ELb0ES3_PKS6_PS6_S6_ZZZN2at6native31launch_logcumsumexp_cuda_kernelERKNSD_10TensorBaseESH_lENKUlvE_clEvENKUlvE4_clEvEUlS6_S6_E_S6_EEDaPvRmT3_T4_T5_mT6_P12ihipStream_tbENKUlT_T0_E_clISt17integral_constantIbLb0EESX_IbLb1EEEEDaST_SU_EUlST_E_NS1_11comp_targetILNS1_3genE3ELNS1_11target_archE908ELNS1_3gpuE7ELNS1_3repE0EEENS1_30default_config_static_selectorELNS0_4arch9wavefront6targetE1EEEvT1_,comdat
	.globl	_ZN7rocprim17ROCPRIM_400000_NS6detail17trampoline_kernelINS0_14default_configENS1_20scan_config_selectorIN3c108BFloat16EEEZZNS1_9scan_implILNS1_25lookback_scan_determinismE0ELb0ELb0ES3_PKS6_PS6_S6_ZZZN2at6native31launch_logcumsumexp_cuda_kernelERKNSD_10TensorBaseESH_lENKUlvE_clEvENKUlvE4_clEvEUlS6_S6_E_S6_EEDaPvRmT3_T4_T5_mT6_P12ihipStream_tbENKUlT_T0_E_clISt17integral_constantIbLb0EESX_IbLb1EEEEDaST_SU_EUlST_E_NS1_11comp_targetILNS1_3genE3ELNS1_11target_archE908ELNS1_3gpuE7ELNS1_3repE0EEENS1_30default_config_static_selectorELNS0_4arch9wavefront6targetE1EEEvT1_ ; -- Begin function _ZN7rocprim17ROCPRIM_400000_NS6detail17trampoline_kernelINS0_14default_configENS1_20scan_config_selectorIN3c108BFloat16EEEZZNS1_9scan_implILNS1_25lookback_scan_determinismE0ELb0ELb0ES3_PKS6_PS6_S6_ZZZN2at6native31launch_logcumsumexp_cuda_kernelERKNSD_10TensorBaseESH_lENKUlvE_clEvENKUlvE4_clEvEUlS6_S6_E_S6_EEDaPvRmT3_T4_T5_mT6_P12ihipStream_tbENKUlT_T0_E_clISt17integral_constantIbLb0EESX_IbLb1EEEEDaST_SU_EUlST_E_NS1_11comp_targetILNS1_3genE3ELNS1_11target_archE908ELNS1_3gpuE7ELNS1_3repE0EEENS1_30default_config_static_selectorELNS0_4arch9wavefront6targetE1EEEvT1_
	.p2align	8
	.type	_ZN7rocprim17ROCPRIM_400000_NS6detail17trampoline_kernelINS0_14default_configENS1_20scan_config_selectorIN3c108BFloat16EEEZZNS1_9scan_implILNS1_25lookback_scan_determinismE0ELb0ELb0ES3_PKS6_PS6_S6_ZZZN2at6native31launch_logcumsumexp_cuda_kernelERKNSD_10TensorBaseESH_lENKUlvE_clEvENKUlvE4_clEvEUlS6_S6_E_S6_EEDaPvRmT3_T4_T5_mT6_P12ihipStream_tbENKUlT_T0_E_clISt17integral_constantIbLb0EESX_IbLb1EEEEDaST_SU_EUlST_E_NS1_11comp_targetILNS1_3genE3ELNS1_11target_archE908ELNS1_3gpuE7ELNS1_3repE0EEENS1_30default_config_static_selectorELNS0_4arch9wavefront6targetE1EEEvT1_,@function
_ZN7rocprim17ROCPRIM_400000_NS6detail17trampoline_kernelINS0_14default_configENS1_20scan_config_selectorIN3c108BFloat16EEEZZNS1_9scan_implILNS1_25lookback_scan_determinismE0ELb0ELb0ES3_PKS6_PS6_S6_ZZZN2at6native31launch_logcumsumexp_cuda_kernelERKNSD_10TensorBaseESH_lENKUlvE_clEvENKUlvE4_clEvEUlS6_S6_E_S6_EEDaPvRmT3_T4_T5_mT6_P12ihipStream_tbENKUlT_T0_E_clISt17integral_constantIbLb0EESX_IbLb1EEEEDaST_SU_EUlST_E_NS1_11comp_targetILNS1_3genE3ELNS1_11target_archE908ELNS1_3gpuE7ELNS1_3repE0EEENS1_30default_config_static_selectorELNS0_4arch9wavefront6targetE1EEEvT1_: ; @_ZN7rocprim17ROCPRIM_400000_NS6detail17trampoline_kernelINS0_14default_configENS1_20scan_config_selectorIN3c108BFloat16EEEZZNS1_9scan_implILNS1_25lookback_scan_determinismE0ELb0ELb0ES3_PKS6_PS6_S6_ZZZN2at6native31launch_logcumsumexp_cuda_kernelERKNSD_10TensorBaseESH_lENKUlvE_clEvENKUlvE4_clEvEUlS6_S6_E_S6_EEDaPvRmT3_T4_T5_mT6_P12ihipStream_tbENKUlT_T0_E_clISt17integral_constantIbLb0EESX_IbLb1EEEEDaST_SU_EUlST_E_NS1_11comp_targetILNS1_3genE3ELNS1_11target_archE908ELNS1_3gpuE7ELNS1_3repE0EEENS1_30default_config_static_selectorELNS0_4arch9wavefront6targetE1EEEvT1_
; %bb.0:
	.section	.rodata,"a",@progbits
	.p2align	6, 0x0
	.amdhsa_kernel _ZN7rocprim17ROCPRIM_400000_NS6detail17trampoline_kernelINS0_14default_configENS1_20scan_config_selectorIN3c108BFloat16EEEZZNS1_9scan_implILNS1_25lookback_scan_determinismE0ELb0ELb0ES3_PKS6_PS6_S6_ZZZN2at6native31launch_logcumsumexp_cuda_kernelERKNSD_10TensorBaseESH_lENKUlvE_clEvENKUlvE4_clEvEUlS6_S6_E_S6_EEDaPvRmT3_T4_T5_mT6_P12ihipStream_tbENKUlT_T0_E_clISt17integral_constantIbLb0EESX_IbLb1EEEEDaST_SU_EUlST_E_NS1_11comp_targetILNS1_3genE3ELNS1_11target_archE908ELNS1_3gpuE7ELNS1_3repE0EEENS1_30default_config_static_selectorELNS0_4arch9wavefront6targetE1EEEvT1_
		.amdhsa_group_segment_fixed_size 0
		.amdhsa_private_segment_fixed_size 0
		.amdhsa_kernarg_size 96
		.amdhsa_user_sgpr_count 2
		.amdhsa_user_sgpr_dispatch_ptr 0
		.amdhsa_user_sgpr_queue_ptr 0
		.amdhsa_user_sgpr_kernarg_segment_ptr 1
		.amdhsa_user_sgpr_dispatch_id 0
		.amdhsa_user_sgpr_kernarg_preload_length 0
		.amdhsa_user_sgpr_kernarg_preload_offset 0
		.amdhsa_user_sgpr_private_segment_size 0
		.amdhsa_uses_dynamic_stack 0
		.amdhsa_enable_private_segment 0
		.amdhsa_system_sgpr_workgroup_id_x 1
		.amdhsa_system_sgpr_workgroup_id_y 0
		.amdhsa_system_sgpr_workgroup_id_z 0
		.amdhsa_system_sgpr_workgroup_info 0
		.amdhsa_system_vgpr_workitem_id 0
		.amdhsa_next_free_vgpr 1
		.amdhsa_next_free_sgpr 0
		.amdhsa_accum_offset 4
		.amdhsa_reserve_vcc 0
		.amdhsa_float_round_mode_32 0
		.amdhsa_float_round_mode_16_64 0
		.amdhsa_float_denorm_mode_32 3
		.amdhsa_float_denorm_mode_16_64 3
		.amdhsa_dx10_clamp 1
		.amdhsa_ieee_mode 1
		.amdhsa_fp16_overflow 0
		.amdhsa_tg_split 0
		.amdhsa_exception_fp_ieee_invalid_op 0
		.amdhsa_exception_fp_denorm_src 0
		.amdhsa_exception_fp_ieee_div_zero 0
		.amdhsa_exception_fp_ieee_overflow 0
		.amdhsa_exception_fp_ieee_underflow 0
		.amdhsa_exception_fp_ieee_inexact 0
		.amdhsa_exception_int_div_zero 0
	.end_amdhsa_kernel
	.section	.text._ZN7rocprim17ROCPRIM_400000_NS6detail17trampoline_kernelINS0_14default_configENS1_20scan_config_selectorIN3c108BFloat16EEEZZNS1_9scan_implILNS1_25lookback_scan_determinismE0ELb0ELb0ES3_PKS6_PS6_S6_ZZZN2at6native31launch_logcumsumexp_cuda_kernelERKNSD_10TensorBaseESH_lENKUlvE_clEvENKUlvE4_clEvEUlS6_S6_E_S6_EEDaPvRmT3_T4_T5_mT6_P12ihipStream_tbENKUlT_T0_E_clISt17integral_constantIbLb0EESX_IbLb1EEEEDaST_SU_EUlST_E_NS1_11comp_targetILNS1_3genE3ELNS1_11target_archE908ELNS1_3gpuE7ELNS1_3repE0EEENS1_30default_config_static_selectorELNS0_4arch9wavefront6targetE1EEEvT1_,"axG",@progbits,_ZN7rocprim17ROCPRIM_400000_NS6detail17trampoline_kernelINS0_14default_configENS1_20scan_config_selectorIN3c108BFloat16EEEZZNS1_9scan_implILNS1_25lookback_scan_determinismE0ELb0ELb0ES3_PKS6_PS6_S6_ZZZN2at6native31launch_logcumsumexp_cuda_kernelERKNSD_10TensorBaseESH_lENKUlvE_clEvENKUlvE4_clEvEUlS6_S6_E_S6_EEDaPvRmT3_T4_T5_mT6_P12ihipStream_tbENKUlT_T0_E_clISt17integral_constantIbLb0EESX_IbLb1EEEEDaST_SU_EUlST_E_NS1_11comp_targetILNS1_3genE3ELNS1_11target_archE908ELNS1_3gpuE7ELNS1_3repE0EEENS1_30default_config_static_selectorELNS0_4arch9wavefront6targetE1EEEvT1_,comdat
.Lfunc_end522:
	.size	_ZN7rocprim17ROCPRIM_400000_NS6detail17trampoline_kernelINS0_14default_configENS1_20scan_config_selectorIN3c108BFloat16EEEZZNS1_9scan_implILNS1_25lookback_scan_determinismE0ELb0ELb0ES3_PKS6_PS6_S6_ZZZN2at6native31launch_logcumsumexp_cuda_kernelERKNSD_10TensorBaseESH_lENKUlvE_clEvENKUlvE4_clEvEUlS6_S6_E_S6_EEDaPvRmT3_T4_T5_mT6_P12ihipStream_tbENKUlT_T0_E_clISt17integral_constantIbLb0EESX_IbLb1EEEEDaST_SU_EUlST_E_NS1_11comp_targetILNS1_3genE3ELNS1_11target_archE908ELNS1_3gpuE7ELNS1_3repE0EEENS1_30default_config_static_selectorELNS0_4arch9wavefront6targetE1EEEvT1_, .Lfunc_end522-_ZN7rocprim17ROCPRIM_400000_NS6detail17trampoline_kernelINS0_14default_configENS1_20scan_config_selectorIN3c108BFloat16EEEZZNS1_9scan_implILNS1_25lookback_scan_determinismE0ELb0ELb0ES3_PKS6_PS6_S6_ZZZN2at6native31launch_logcumsumexp_cuda_kernelERKNSD_10TensorBaseESH_lENKUlvE_clEvENKUlvE4_clEvEUlS6_S6_E_S6_EEDaPvRmT3_T4_T5_mT6_P12ihipStream_tbENKUlT_T0_E_clISt17integral_constantIbLb0EESX_IbLb1EEEEDaST_SU_EUlST_E_NS1_11comp_targetILNS1_3genE3ELNS1_11target_archE908ELNS1_3gpuE7ELNS1_3repE0EEENS1_30default_config_static_selectorELNS0_4arch9wavefront6targetE1EEEvT1_
                                        ; -- End function
	.section	.AMDGPU.csdata,"",@progbits
; Kernel info:
; codeLenInByte = 0
; NumSgprs: 6
; NumVgprs: 0
; NumAgprs: 0
; TotalNumVgprs: 0
; ScratchSize: 0
; MemoryBound: 0
; FloatMode: 240
; IeeeMode: 1
; LDSByteSize: 0 bytes/workgroup (compile time only)
; SGPRBlocks: 0
; VGPRBlocks: 0
; NumSGPRsForWavesPerEU: 6
; NumVGPRsForWavesPerEU: 1
; AccumOffset: 4
; Occupancy: 8
; WaveLimiterHint : 0
; COMPUTE_PGM_RSRC2:SCRATCH_EN: 0
; COMPUTE_PGM_RSRC2:USER_SGPR: 2
; COMPUTE_PGM_RSRC2:TRAP_HANDLER: 0
; COMPUTE_PGM_RSRC2:TGID_X_EN: 1
; COMPUTE_PGM_RSRC2:TGID_Y_EN: 0
; COMPUTE_PGM_RSRC2:TGID_Z_EN: 0
; COMPUTE_PGM_RSRC2:TIDIG_COMP_CNT: 0
; COMPUTE_PGM_RSRC3_GFX90A:ACCUM_OFFSET: 0
; COMPUTE_PGM_RSRC3_GFX90A:TG_SPLIT: 0
	.section	.text._ZN7rocprim17ROCPRIM_400000_NS6detail17trampoline_kernelINS0_14default_configENS1_20scan_config_selectorIN3c108BFloat16EEEZZNS1_9scan_implILNS1_25lookback_scan_determinismE0ELb0ELb0ES3_PKS6_PS6_S6_ZZZN2at6native31launch_logcumsumexp_cuda_kernelERKNSD_10TensorBaseESH_lENKUlvE_clEvENKUlvE4_clEvEUlS6_S6_E_S6_EEDaPvRmT3_T4_T5_mT6_P12ihipStream_tbENKUlT_T0_E_clISt17integral_constantIbLb0EESX_IbLb1EEEEDaST_SU_EUlST_E_NS1_11comp_targetILNS1_3genE2ELNS1_11target_archE906ELNS1_3gpuE6ELNS1_3repE0EEENS1_30default_config_static_selectorELNS0_4arch9wavefront6targetE1EEEvT1_,"axG",@progbits,_ZN7rocprim17ROCPRIM_400000_NS6detail17trampoline_kernelINS0_14default_configENS1_20scan_config_selectorIN3c108BFloat16EEEZZNS1_9scan_implILNS1_25lookback_scan_determinismE0ELb0ELb0ES3_PKS6_PS6_S6_ZZZN2at6native31launch_logcumsumexp_cuda_kernelERKNSD_10TensorBaseESH_lENKUlvE_clEvENKUlvE4_clEvEUlS6_S6_E_S6_EEDaPvRmT3_T4_T5_mT6_P12ihipStream_tbENKUlT_T0_E_clISt17integral_constantIbLb0EESX_IbLb1EEEEDaST_SU_EUlST_E_NS1_11comp_targetILNS1_3genE2ELNS1_11target_archE906ELNS1_3gpuE6ELNS1_3repE0EEENS1_30default_config_static_selectorELNS0_4arch9wavefront6targetE1EEEvT1_,comdat
	.globl	_ZN7rocprim17ROCPRIM_400000_NS6detail17trampoline_kernelINS0_14default_configENS1_20scan_config_selectorIN3c108BFloat16EEEZZNS1_9scan_implILNS1_25lookback_scan_determinismE0ELb0ELb0ES3_PKS6_PS6_S6_ZZZN2at6native31launch_logcumsumexp_cuda_kernelERKNSD_10TensorBaseESH_lENKUlvE_clEvENKUlvE4_clEvEUlS6_S6_E_S6_EEDaPvRmT3_T4_T5_mT6_P12ihipStream_tbENKUlT_T0_E_clISt17integral_constantIbLb0EESX_IbLb1EEEEDaST_SU_EUlST_E_NS1_11comp_targetILNS1_3genE2ELNS1_11target_archE906ELNS1_3gpuE6ELNS1_3repE0EEENS1_30default_config_static_selectorELNS0_4arch9wavefront6targetE1EEEvT1_ ; -- Begin function _ZN7rocprim17ROCPRIM_400000_NS6detail17trampoline_kernelINS0_14default_configENS1_20scan_config_selectorIN3c108BFloat16EEEZZNS1_9scan_implILNS1_25lookback_scan_determinismE0ELb0ELb0ES3_PKS6_PS6_S6_ZZZN2at6native31launch_logcumsumexp_cuda_kernelERKNSD_10TensorBaseESH_lENKUlvE_clEvENKUlvE4_clEvEUlS6_S6_E_S6_EEDaPvRmT3_T4_T5_mT6_P12ihipStream_tbENKUlT_T0_E_clISt17integral_constantIbLb0EESX_IbLb1EEEEDaST_SU_EUlST_E_NS1_11comp_targetILNS1_3genE2ELNS1_11target_archE906ELNS1_3gpuE6ELNS1_3repE0EEENS1_30default_config_static_selectorELNS0_4arch9wavefront6targetE1EEEvT1_
	.p2align	8
	.type	_ZN7rocprim17ROCPRIM_400000_NS6detail17trampoline_kernelINS0_14default_configENS1_20scan_config_selectorIN3c108BFloat16EEEZZNS1_9scan_implILNS1_25lookback_scan_determinismE0ELb0ELb0ES3_PKS6_PS6_S6_ZZZN2at6native31launch_logcumsumexp_cuda_kernelERKNSD_10TensorBaseESH_lENKUlvE_clEvENKUlvE4_clEvEUlS6_S6_E_S6_EEDaPvRmT3_T4_T5_mT6_P12ihipStream_tbENKUlT_T0_E_clISt17integral_constantIbLb0EESX_IbLb1EEEEDaST_SU_EUlST_E_NS1_11comp_targetILNS1_3genE2ELNS1_11target_archE906ELNS1_3gpuE6ELNS1_3repE0EEENS1_30default_config_static_selectorELNS0_4arch9wavefront6targetE1EEEvT1_,@function
_ZN7rocprim17ROCPRIM_400000_NS6detail17trampoline_kernelINS0_14default_configENS1_20scan_config_selectorIN3c108BFloat16EEEZZNS1_9scan_implILNS1_25lookback_scan_determinismE0ELb0ELb0ES3_PKS6_PS6_S6_ZZZN2at6native31launch_logcumsumexp_cuda_kernelERKNSD_10TensorBaseESH_lENKUlvE_clEvENKUlvE4_clEvEUlS6_S6_E_S6_EEDaPvRmT3_T4_T5_mT6_P12ihipStream_tbENKUlT_T0_E_clISt17integral_constantIbLb0EESX_IbLb1EEEEDaST_SU_EUlST_E_NS1_11comp_targetILNS1_3genE2ELNS1_11target_archE906ELNS1_3gpuE6ELNS1_3repE0EEENS1_30default_config_static_selectorELNS0_4arch9wavefront6targetE1EEEvT1_: ; @_ZN7rocprim17ROCPRIM_400000_NS6detail17trampoline_kernelINS0_14default_configENS1_20scan_config_selectorIN3c108BFloat16EEEZZNS1_9scan_implILNS1_25lookback_scan_determinismE0ELb0ELb0ES3_PKS6_PS6_S6_ZZZN2at6native31launch_logcumsumexp_cuda_kernelERKNSD_10TensorBaseESH_lENKUlvE_clEvENKUlvE4_clEvEUlS6_S6_E_S6_EEDaPvRmT3_T4_T5_mT6_P12ihipStream_tbENKUlT_T0_E_clISt17integral_constantIbLb0EESX_IbLb1EEEEDaST_SU_EUlST_E_NS1_11comp_targetILNS1_3genE2ELNS1_11target_archE906ELNS1_3gpuE6ELNS1_3repE0EEENS1_30default_config_static_selectorELNS0_4arch9wavefront6targetE1EEEvT1_
; %bb.0:
	.section	.rodata,"a",@progbits
	.p2align	6, 0x0
	.amdhsa_kernel _ZN7rocprim17ROCPRIM_400000_NS6detail17trampoline_kernelINS0_14default_configENS1_20scan_config_selectorIN3c108BFloat16EEEZZNS1_9scan_implILNS1_25lookback_scan_determinismE0ELb0ELb0ES3_PKS6_PS6_S6_ZZZN2at6native31launch_logcumsumexp_cuda_kernelERKNSD_10TensorBaseESH_lENKUlvE_clEvENKUlvE4_clEvEUlS6_S6_E_S6_EEDaPvRmT3_T4_T5_mT6_P12ihipStream_tbENKUlT_T0_E_clISt17integral_constantIbLb0EESX_IbLb1EEEEDaST_SU_EUlST_E_NS1_11comp_targetILNS1_3genE2ELNS1_11target_archE906ELNS1_3gpuE6ELNS1_3repE0EEENS1_30default_config_static_selectorELNS0_4arch9wavefront6targetE1EEEvT1_
		.amdhsa_group_segment_fixed_size 0
		.amdhsa_private_segment_fixed_size 0
		.amdhsa_kernarg_size 96
		.amdhsa_user_sgpr_count 2
		.amdhsa_user_sgpr_dispatch_ptr 0
		.amdhsa_user_sgpr_queue_ptr 0
		.amdhsa_user_sgpr_kernarg_segment_ptr 1
		.amdhsa_user_sgpr_dispatch_id 0
		.amdhsa_user_sgpr_kernarg_preload_length 0
		.amdhsa_user_sgpr_kernarg_preload_offset 0
		.amdhsa_user_sgpr_private_segment_size 0
		.amdhsa_uses_dynamic_stack 0
		.amdhsa_enable_private_segment 0
		.amdhsa_system_sgpr_workgroup_id_x 1
		.amdhsa_system_sgpr_workgroup_id_y 0
		.amdhsa_system_sgpr_workgroup_id_z 0
		.amdhsa_system_sgpr_workgroup_info 0
		.amdhsa_system_vgpr_workitem_id 0
		.amdhsa_next_free_vgpr 1
		.amdhsa_next_free_sgpr 0
		.amdhsa_accum_offset 4
		.amdhsa_reserve_vcc 0
		.amdhsa_float_round_mode_32 0
		.amdhsa_float_round_mode_16_64 0
		.amdhsa_float_denorm_mode_32 3
		.amdhsa_float_denorm_mode_16_64 3
		.amdhsa_dx10_clamp 1
		.amdhsa_ieee_mode 1
		.amdhsa_fp16_overflow 0
		.amdhsa_tg_split 0
		.amdhsa_exception_fp_ieee_invalid_op 0
		.amdhsa_exception_fp_denorm_src 0
		.amdhsa_exception_fp_ieee_div_zero 0
		.amdhsa_exception_fp_ieee_overflow 0
		.amdhsa_exception_fp_ieee_underflow 0
		.amdhsa_exception_fp_ieee_inexact 0
		.amdhsa_exception_int_div_zero 0
	.end_amdhsa_kernel
	.section	.text._ZN7rocprim17ROCPRIM_400000_NS6detail17trampoline_kernelINS0_14default_configENS1_20scan_config_selectorIN3c108BFloat16EEEZZNS1_9scan_implILNS1_25lookback_scan_determinismE0ELb0ELb0ES3_PKS6_PS6_S6_ZZZN2at6native31launch_logcumsumexp_cuda_kernelERKNSD_10TensorBaseESH_lENKUlvE_clEvENKUlvE4_clEvEUlS6_S6_E_S6_EEDaPvRmT3_T4_T5_mT6_P12ihipStream_tbENKUlT_T0_E_clISt17integral_constantIbLb0EESX_IbLb1EEEEDaST_SU_EUlST_E_NS1_11comp_targetILNS1_3genE2ELNS1_11target_archE906ELNS1_3gpuE6ELNS1_3repE0EEENS1_30default_config_static_selectorELNS0_4arch9wavefront6targetE1EEEvT1_,"axG",@progbits,_ZN7rocprim17ROCPRIM_400000_NS6detail17trampoline_kernelINS0_14default_configENS1_20scan_config_selectorIN3c108BFloat16EEEZZNS1_9scan_implILNS1_25lookback_scan_determinismE0ELb0ELb0ES3_PKS6_PS6_S6_ZZZN2at6native31launch_logcumsumexp_cuda_kernelERKNSD_10TensorBaseESH_lENKUlvE_clEvENKUlvE4_clEvEUlS6_S6_E_S6_EEDaPvRmT3_T4_T5_mT6_P12ihipStream_tbENKUlT_T0_E_clISt17integral_constantIbLb0EESX_IbLb1EEEEDaST_SU_EUlST_E_NS1_11comp_targetILNS1_3genE2ELNS1_11target_archE906ELNS1_3gpuE6ELNS1_3repE0EEENS1_30default_config_static_selectorELNS0_4arch9wavefront6targetE1EEEvT1_,comdat
.Lfunc_end523:
	.size	_ZN7rocprim17ROCPRIM_400000_NS6detail17trampoline_kernelINS0_14default_configENS1_20scan_config_selectorIN3c108BFloat16EEEZZNS1_9scan_implILNS1_25lookback_scan_determinismE0ELb0ELb0ES3_PKS6_PS6_S6_ZZZN2at6native31launch_logcumsumexp_cuda_kernelERKNSD_10TensorBaseESH_lENKUlvE_clEvENKUlvE4_clEvEUlS6_S6_E_S6_EEDaPvRmT3_T4_T5_mT6_P12ihipStream_tbENKUlT_T0_E_clISt17integral_constantIbLb0EESX_IbLb1EEEEDaST_SU_EUlST_E_NS1_11comp_targetILNS1_3genE2ELNS1_11target_archE906ELNS1_3gpuE6ELNS1_3repE0EEENS1_30default_config_static_selectorELNS0_4arch9wavefront6targetE1EEEvT1_, .Lfunc_end523-_ZN7rocprim17ROCPRIM_400000_NS6detail17trampoline_kernelINS0_14default_configENS1_20scan_config_selectorIN3c108BFloat16EEEZZNS1_9scan_implILNS1_25lookback_scan_determinismE0ELb0ELb0ES3_PKS6_PS6_S6_ZZZN2at6native31launch_logcumsumexp_cuda_kernelERKNSD_10TensorBaseESH_lENKUlvE_clEvENKUlvE4_clEvEUlS6_S6_E_S6_EEDaPvRmT3_T4_T5_mT6_P12ihipStream_tbENKUlT_T0_E_clISt17integral_constantIbLb0EESX_IbLb1EEEEDaST_SU_EUlST_E_NS1_11comp_targetILNS1_3genE2ELNS1_11target_archE906ELNS1_3gpuE6ELNS1_3repE0EEENS1_30default_config_static_selectorELNS0_4arch9wavefront6targetE1EEEvT1_
                                        ; -- End function
	.section	.AMDGPU.csdata,"",@progbits
; Kernel info:
; codeLenInByte = 0
; NumSgprs: 6
; NumVgprs: 0
; NumAgprs: 0
; TotalNumVgprs: 0
; ScratchSize: 0
; MemoryBound: 0
; FloatMode: 240
; IeeeMode: 1
; LDSByteSize: 0 bytes/workgroup (compile time only)
; SGPRBlocks: 0
; VGPRBlocks: 0
; NumSGPRsForWavesPerEU: 6
; NumVGPRsForWavesPerEU: 1
; AccumOffset: 4
; Occupancy: 8
; WaveLimiterHint : 0
; COMPUTE_PGM_RSRC2:SCRATCH_EN: 0
; COMPUTE_PGM_RSRC2:USER_SGPR: 2
; COMPUTE_PGM_RSRC2:TRAP_HANDLER: 0
; COMPUTE_PGM_RSRC2:TGID_X_EN: 1
; COMPUTE_PGM_RSRC2:TGID_Y_EN: 0
; COMPUTE_PGM_RSRC2:TGID_Z_EN: 0
; COMPUTE_PGM_RSRC2:TIDIG_COMP_CNT: 0
; COMPUTE_PGM_RSRC3_GFX90A:ACCUM_OFFSET: 0
; COMPUTE_PGM_RSRC3_GFX90A:TG_SPLIT: 0
	.section	.text._ZN7rocprim17ROCPRIM_400000_NS6detail17trampoline_kernelINS0_14default_configENS1_20scan_config_selectorIN3c108BFloat16EEEZZNS1_9scan_implILNS1_25lookback_scan_determinismE0ELb0ELb0ES3_PKS6_PS6_S6_ZZZN2at6native31launch_logcumsumexp_cuda_kernelERKNSD_10TensorBaseESH_lENKUlvE_clEvENKUlvE4_clEvEUlS6_S6_E_S6_EEDaPvRmT3_T4_T5_mT6_P12ihipStream_tbENKUlT_T0_E_clISt17integral_constantIbLb0EESX_IbLb1EEEEDaST_SU_EUlST_E_NS1_11comp_targetILNS1_3genE10ELNS1_11target_archE1201ELNS1_3gpuE5ELNS1_3repE0EEENS1_30default_config_static_selectorELNS0_4arch9wavefront6targetE1EEEvT1_,"axG",@progbits,_ZN7rocprim17ROCPRIM_400000_NS6detail17trampoline_kernelINS0_14default_configENS1_20scan_config_selectorIN3c108BFloat16EEEZZNS1_9scan_implILNS1_25lookback_scan_determinismE0ELb0ELb0ES3_PKS6_PS6_S6_ZZZN2at6native31launch_logcumsumexp_cuda_kernelERKNSD_10TensorBaseESH_lENKUlvE_clEvENKUlvE4_clEvEUlS6_S6_E_S6_EEDaPvRmT3_T4_T5_mT6_P12ihipStream_tbENKUlT_T0_E_clISt17integral_constantIbLb0EESX_IbLb1EEEEDaST_SU_EUlST_E_NS1_11comp_targetILNS1_3genE10ELNS1_11target_archE1201ELNS1_3gpuE5ELNS1_3repE0EEENS1_30default_config_static_selectorELNS0_4arch9wavefront6targetE1EEEvT1_,comdat
	.globl	_ZN7rocprim17ROCPRIM_400000_NS6detail17trampoline_kernelINS0_14default_configENS1_20scan_config_selectorIN3c108BFloat16EEEZZNS1_9scan_implILNS1_25lookback_scan_determinismE0ELb0ELb0ES3_PKS6_PS6_S6_ZZZN2at6native31launch_logcumsumexp_cuda_kernelERKNSD_10TensorBaseESH_lENKUlvE_clEvENKUlvE4_clEvEUlS6_S6_E_S6_EEDaPvRmT3_T4_T5_mT6_P12ihipStream_tbENKUlT_T0_E_clISt17integral_constantIbLb0EESX_IbLb1EEEEDaST_SU_EUlST_E_NS1_11comp_targetILNS1_3genE10ELNS1_11target_archE1201ELNS1_3gpuE5ELNS1_3repE0EEENS1_30default_config_static_selectorELNS0_4arch9wavefront6targetE1EEEvT1_ ; -- Begin function _ZN7rocprim17ROCPRIM_400000_NS6detail17trampoline_kernelINS0_14default_configENS1_20scan_config_selectorIN3c108BFloat16EEEZZNS1_9scan_implILNS1_25lookback_scan_determinismE0ELb0ELb0ES3_PKS6_PS6_S6_ZZZN2at6native31launch_logcumsumexp_cuda_kernelERKNSD_10TensorBaseESH_lENKUlvE_clEvENKUlvE4_clEvEUlS6_S6_E_S6_EEDaPvRmT3_T4_T5_mT6_P12ihipStream_tbENKUlT_T0_E_clISt17integral_constantIbLb0EESX_IbLb1EEEEDaST_SU_EUlST_E_NS1_11comp_targetILNS1_3genE10ELNS1_11target_archE1201ELNS1_3gpuE5ELNS1_3repE0EEENS1_30default_config_static_selectorELNS0_4arch9wavefront6targetE1EEEvT1_
	.p2align	8
	.type	_ZN7rocprim17ROCPRIM_400000_NS6detail17trampoline_kernelINS0_14default_configENS1_20scan_config_selectorIN3c108BFloat16EEEZZNS1_9scan_implILNS1_25lookback_scan_determinismE0ELb0ELb0ES3_PKS6_PS6_S6_ZZZN2at6native31launch_logcumsumexp_cuda_kernelERKNSD_10TensorBaseESH_lENKUlvE_clEvENKUlvE4_clEvEUlS6_S6_E_S6_EEDaPvRmT3_T4_T5_mT6_P12ihipStream_tbENKUlT_T0_E_clISt17integral_constantIbLb0EESX_IbLb1EEEEDaST_SU_EUlST_E_NS1_11comp_targetILNS1_3genE10ELNS1_11target_archE1201ELNS1_3gpuE5ELNS1_3repE0EEENS1_30default_config_static_selectorELNS0_4arch9wavefront6targetE1EEEvT1_,@function
_ZN7rocprim17ROCPRIM_400000_NS6detail17trampoline_kernelINS0_14default_configENS1_20scan_config_selectorIN3c108BFloat16EEEZZNS1_9scan_implILNS1_25lookback_scan_determinismE0ELb0ELb0ES3_PKS6_PS6_S6_ZZZN2at6native31launch_logcumsumexp_cuda_kernelERKNSD_10TensorBaseESH_lENKUlvE_clEvENKUlvE4_clEvEUlS6_S6_E_S6_EEDaPvRmT3_T4_T5_mT6_P12ihipStream_tbENKUlT_T0_E_clISt17integral_constantIbLb0EESX_IbLb1EEEEDaST_SU_EUlST_E_NS1_11comp_targetILNS1_3genE10ELNS1_11target_archE1201ELNS1_3gpuE5ELNS1_3repE0EEENS1_30default_config_static_selectorELNS0_4arch9wavefront6targetE1EEEvT1_: ; @_ZN7rocprim17ROCPRIM_400000_NS6detail17trampoline_kernelINS0_14default_configENS1_20scan_config_selectorIN3c108BFloat16EEEZZNS1_9scan_implILNS1_25lookback_scan_determinismE0ELb0ELb0ES3_PKS6_PS6_S6_ZZZN2at6native31launch_logcumsumexp_cuda_kernelERKNSD_10TensorBaseESH_lENKUlvE_clEvENKUlvE4_clEvEUlS6_S6_E_S6_EEDaPvRmT3_T4_T5_mT6_P12ihipStream_tbENKUlT_T0_E_clISt17integral_constantIbLb0EESX_IbLb1EEEEDaST_SU_EUlST_E_NS1_11comp_targetILNS1_3genE10ELNS1_11target_archE1201ELNS1_3gpuE5ELNS1_3repE0EEENS1_30default_config_static_selectorELNS0_4arch9wavefront6targetE1EEEvT1_
; %bb.0:
	.section	.rodata,"a",@progbits
	.p2align	6, 0x0
	.amdhsa_kernel _ZN7rocprim17ROCPRIM_400000_NS6detail17trampoline_kernelINS0_14default_configENS1_20scan_config_selectorIN3c108BFloat16EEEZZNS1_9scan_implILNS1_25lookback_scan_determinismE0ELb0ELb0ES3_PKS6_PS6_S6_ZZZN2at6native31launch_logcumsumexp_cuda_kernelERKNSD_10TensorBaseESH_lENKUlvE_clEvENKUlvE4_clEvEUlS6_S6_E_S6_EEDaPvRmT3_T4_T5_mT6_P12ihipStream_tbENKUlT_T0_E_clISt17integral_constantIbLb0EESX_IbLb1EEEEDaST_SU_EUlST_E_NS1_11comp_targetILNS1_3genE10ELNS1_11target_archE1201ELNS1_3gpuE5ELNS1_3repE0EEENS1_30default_config_static_selectorELNS0_4arch9wavefront6targetE1EEEvT1_
		.amdhsa_group_segment_fixed_size 0
		.amdhsa_private_segment_fixed_size 0
		.amdhsa_kernarg_size 96
		.amdhsa_user_sgpr_count 2
		.amdhsa_user_sgpr_dispatch_ptr 0
		.amdhsa_user_sgpr_queue_ptr 0
		.amdhsa_user_sgpr_kernarg_segment_ptr 1
		.amdhsa_user_sgpr_dispatch_id 0
		.amdhsa_user_sgpr_kernarg_preload_length 0
		.amdhsa_user_sgpr_kernarg_preload_offset 0
		.amdhsa_user_sgpr_private_segment_size 0
		.amdhsa_uses_dynamic_stack 0
		.amdhsa_enable_private_segment 0
		.amdhsa_system_sgpr_workgroup_id_x 1
		.amdhsa_system_sgpr_workgroup_id_y 0
		.amdhsa_system_sgpr_workgroup_id_z 0
		.amdhsa_system_sgpr_workgroup_info 0
		.amdhsa_system_vgpr_workitem_id 0
		.amdhsa_next_free_vgpr 1
		.amdhsa_next_free_sgpr 0
		.amdhsa_accum_offset 4
		.amdhsa_reserve_vcc 0
		.amdhsa_float_round_mode_32 0
		.amdhsa_float_round_mode_16_64 0
		.amdhsa_float_denorm_mode_32 3
		.amdhsa_float_denorm_mode_16_64 3
		.amdhsa_dx10_clamp 1
		.amdhsa_ieee_mode 1
		.amdhsa_fp16_overflow 0
		.amdhsa_tg_split 0
		.amdhsa_exception_fp_ieee_invalid_op 0
		.amdhsa_exception_fp_denorm_src 0
		.amdhsa_exception_fp_ieee_div_zero 0
		.amdhsa_exception_fp_ieee_overflow 0
		.amdhsa_exception_fp_ieee_underflow 0
		.amdhsa_exception_fp_ieee_inexact 0
		.amdhsa_exception_int_div_zero 0
	.end_amdhsa_kernel
	.section	.text._ZN7rocprim17ROCPRIM_400000_NS6detail17trampoline_kernelINS0_14default_configENS1_20scan_config_selectorIN3c108BFloat16EEEZZNS1_9scan_implILNS1_25lookback_scan_determinismE0ELb0ELb0ES3_PKS6_PS6_S6_ZZZN2at6native31launch_logcumsumexp_cuda_kernelERKNSD_10TensorBaseESH_lENKUlvE_clEvENKUlvE4_clEvEUlS6_S6_E_S6_EEDaPvRmT3_T4_T5_mT6_P12ihipStream_tbENKUlT_T0_E_clISt17integral_constantIbLb0EESX_IbLb1EEEEDaST_SU_EUlST_E_NS1_11comp_targetILNS1_3genE10ELNS1_11target_archE1201ELNS1_3gpuE5ELNS1_3repE0EEENS1_30default_config_static_selectorELNS0_4arch9wavefront6targetE1EEEvT1_,"axG",@progbits,_ZN7rocprim17ROCPRIM_400000_NS6detail17trampoline_kernelINS0_14default_configENS1_20scan_config_selectorIN3c108BFloat16EEEZZNS1_9scan_implILNS1_25lookback_scan_determinismE0ELb0ELb0ES3_PKS6_PS6_S6_ZZZN2at6native31launch_logcumsumexp_cuda_kernelERKNSD_10TensorBaseESH_lENKUlvE_clEvENKUlvE4_clEvEUlS6_S6_E_S6_EEDaPvRmT3_T4_T5_mT6_P12ihipStream_tbENKUlT_T0_E_clISt17integral_constantIbLb0EESX_IbLb1EEEEDaST_SU_EUlST_E_NS1_11comp_targetILNS1_3genE10ELNS1_11target_archE1201ELNS1_3gpuE5ELNS1_3repE0EEENS1_30default_config_static_selectorELNS0_4arch9wavefront6targetE1EEEvT1_,comdat
.Lfunc_end524:
	.size	_ZN7rocprim17ROCPRIM_400000_NS6detail17trampoline_kernelINS0_14default_configENS1_20scan_config_selectorIN3c108BFloat16EEEZZNS1_9scan_implILNS1_25lookback_scan_determinismE0ELb0ELb0ES3_PKS6_PS6_S6_ZZZN2at6native31launch_logcumsumexp_cuda_kernelERKNSD_10TensorBaseESH_lENKUlvE_clEvENKUlvE4_clEvEUlS6_S6_E_S6_EEDaPvRmT3_T4_T5_mT6_P12ihipStream_tbENKUlT_T0_E_clISt17integral_constantIbLb0EESX_IbLb1EEEEDaST_SU_EUlST_E_NS1_11comp_targetILNS1_3genE10ELNS1_11target_archE1201ELNS1_3gpuE5ELNS1_3repE0EEENS1_30default_config_static_selectorELNS0_4arch9wavefront6targetE1EEEvT1_, .Lfunc_end524-_ZN7rocprim17ROCPRIM_400000_NS6detail17trampoline_kernelINS0_14default_configENS1_20scan_config_selectorIN3c108BFloat16EEEZZNS1_9scan_implILNS1_25lookback_scan_determinismE0ELb0ELb0ES3_PKS6_PS6_S6_ZZZN2at6native31launch_logcumsumexp_cuda_kernelERKNSD_10TensorBaseESH_lENKUlvE_clEvENKUlvE4_clEvEUlS6_S6_E_S6_EEDaPvRmT3_T4_T5_mT6_P12ihipStream_tbENKUlT_T0_E_clISt17integral_constantIbLb0EESX_IbLb1EEEEDaST_SU_EUlST_E_NS1_11comp_targetILNS1_3genE10ELNS1_11target_archE1201ELNS1_3gpuE5ELNS1_3repE0EEENS1_30default_config_static_selectorELNS0_4arch9wavefront6targetE1EEEvT1_
                                        ; -- End function
	.section	.AMDGPU.csdata,"",@progbits
; Kernel info:
; codeLenInByte = 0
; NumSgprs: 6
; NumVgprs: 0
; NumAgprs: 0
; TotalNumVgprs: 0
; ScratchSize: 0
; MemoryBound: 0
; FloatMode: 240
; IeeeMode: 1
; LDSByteSize: 0 bytes/workgroup (compile time only)
; SGPRBlocks: 0
; VGPRBlocks: 0
; NumSGPRsForWavesPerEU: 6
; NumVGPRsForWavesPerEU: 1
; AccumOffset: 4
; Occupancy: 8
; WaveLimiterHint : 0
; COMPUTE_PGM_RSRC2:SCRATCH_EN: 0
; COMPUTE_PGM_RSRC2:USER_SGPR: 2
; COMPUTE_PGM_RSRC2:TRAP_HANDLER: 0
; COMPUTE_PGM_RSRC2:TGID_X_EN: 1
; COMPUTE_PGM_RSRC2:TGID_Y_EN: 0
; COMPUTE_PGM_RSRC2:TGID_Z_EN: 0
; COMPUTE_PGM_RSRC2:TIDIG_COMP_CNT: 0
; COMPUTE_PGM_RSRC3_GFX90A:ACCUM_OFFSET: 0
; COMPUTE_PGM_RSRC3_GFX90A:TG_SPLIT: 0
	.section	.text._ZN7rocprim17ROCPRIM_400000_NS6detail17trampoline_kernelINS0_14default_configENS1_20scan_config_selectorIN3c108BFloat16EEEZZNS1_9scan_implILNS1_25lookback_scan_determinismE0ELb0ELb0ES3_PKS6_PS6_S6_ZZZN2at6native31launch_logcumsumexp_cuda_kernelERKNSD_10TensorBaseESH_lENKUlvE_clEvENKUlvE4_clEvEUlS6_S6_E_S6_EEDaPvRmT3_T4_T5_mT6_P12ihipStream_tbENKUlT_T0_E_clISt17integral_constantIbLb0EESX_IbLb1EEEEDaST_SU_EUlST_E_NS1_11comp_targetILNS1_3genE10ELNS1_11target_archE1200ELNS1_3gpuE4ELNS1_3repE0EEENS1_30default_config_static_selectorELNS0_4arch9wavefront6targetE1EEEvT1_,"axG",@progbits,_ZN7rocprim17ROCPRIM_400000_NS6detail17trampoline_kernelINS0_14default_configENS1_20scan_config_selectorIN3c108BFloat16EEEZZNS1_9scan_implILNS1_25lookback_scan_determinismE0ELb0ELb0ES3_PKS6_PS6_S6_ZZZN2at6native31launch_logcumsumexp_cuda_kernelERKNSD_10TensorBaseESH_lENKUlvE_clEvENKUlvE4_clEvEUlS6_S6_E_S6_EEDaPvRmT3_T4_T5_mT6_P12ihipStream_tbENKUlT_T0_E_clISt17integral_constantIbLb0EESX_IbLb1EEEEDaST_SU_EUlST_E_NS1_11comp_targetILNS1_3genE10ELNS1_11target_archE1200ELNS1_3gpuE4ELNS1_3repE0EEENS1_30default_config_static_selectorELNS0_4arch9wavefront6targetE1EEEvT1_,comdat
	.globl	_ZN7rocprim17ROCPRIM_400000_NS6detail17trampoline_kernelINS0_14default_configENS1_20scan_config_selectorIN3c108BFloat16EEEZZNS1_9scan_implILNS1_25lookback_scan_determinismE0ELb0ELb0ES3_PKS6_PS6_S6_ZZZN2at6native31launch_logcumsumexp_cuda_kernelERKNSD_10TensorBaseESH_lENKUlvE_clEvENKUlvE4_clEvEUlS6_S6_E_S6_EEDaPvRmT3_T4_T5_mT6_P12ihipStream_tbENKUlT_T0_E_clISt17integral_constantIbLb0EESX_IbLb1EEEEDaST_SU_EUlST_E_NS1_11comp_targetILNS1_3genE10ELNS1_11target_archE1200ELNS1_3gpuE4ELNS1_3repE0EEENS1_30default_config_static_selectorELNS0_4arch9wavefront6targetE1EEEvT1_ ; -- Begin function _ZN7rocprim17ROCPRIM_400000_NS6detail17trampoline_kernelINS0_14default_configENS1_20scan_config_selectorIN3c108BFloat16EEEZZNS1_9scan_implILNS1_25lookback_scan_determinismE0ELb0ELb0ES3_PKS6_PS6_S6_ZZZN2at6native31launch_logcumsumexp_cuda_kernelERKNSD_10TensorBaseESH_lENKUlvE_clEvENKUlvE4_clEvEUlS6_S6_E_S6_EEDaPvRmT3_T4_T5_mT6_P12ihipStream_tbENKUlT_T0_E_clISt17integral_constantIbLb0EESX_IbLb1EEEEDaST_SU_EUlST_E_NS1_11comp_targetILNS1_3genE10ELNS1_11target_archE1200ELNS1_3gpuE4ELNS1_3repE0EEENS1_30default_config_static_selectorELNS0_4arch9wavefront6targetE1EEEvT1_
	.p2align	8
	.type	_ZN7rocprim17ROCPRIM_400000_NS6detail17trampoline_kernelINS0_14default_configENS1_20scan_config_selectorIN3c108BFloat16EEEZZNS1_9scan_implILNS1_25lookback_scan_determinismE0ELb0ELb0ES3_PKS6_PS6_S6_ZZZN2at6native31launch_logcumsumexp_cuda_kernelERKNSD_10TensorBaseESH_lENKUlvE_clEvENKUlvE4_clEvEUlS6_S6_E_S6_EEDaPvRmT3_T4_T5_mT6_P12ihipStream_tbENKUlT_T0_E_clISt17integral_constantIbLb0EESX_IbLb1EEEEDaST_SU_EUlST_E_NS1_11comp_targetILNS1_3genE10ELNS1_11target_archE1200ELNS1_3gpuE4ELNS1_3repE0EEENS1_30default_config_static_selectorELNS0_4arch9wavefront6targetE1EEEvT1_,@function
_ZN7rocprim17ROCPRIM_400000_NS6detail17trampoline_kernelINS0_14default_configENS1_20scan_config_selectorIN3c108BFloat16EEEZZNS1_9scan_implILNS1_25lookback_scan_determinismE0ELb0ELb0ES3_PKS6_PS6_S6_ZZZN2at6native31launch_logcumsumexp_cuda_kernelERKNSD_10TensorBaseESH_lENKUlvE_clEvENKUlvE4_clEvEUlS6_S6_E_S6_EEDaPvRmT3_T4_T5_mT6_P12ihipStream_tbENKUlT_T0_E_clISt17integral_constantIbLb0EESX_IbLb1EEEEDaST_SU_EUlST_E_NS1_11comp_targetILNS1_3genE10ELNS1_11target_archE1200ELNS1_3gpuE4ELNS1_3repE0EEENS1_30default_config_static_selectorELNS0_4arch9wavefront6targetE1EEEvT1_: ; @_ZN7rocprim17ROCPRIM_400000_NS6detail17trampoline_kernelINS0_14default_configENS1_20scan_config_selectorIN3c108BFloat16EEEZZNS1_9scan_implILNS1_25lookback_scan_determinismE0ELb0ELb0ES3_PKS6_PS6_S6_ZZZN2at6native31launch_logcumsumexp_cuda_kernelERKNSD_10TensorBaseESH_lENKUlvE_clEvENKUlvE4_clEvEUlS6_S6_E_S6_EEDaPvRmT3_T4_T5_mT6_P12ihipStream_tbENKUlT_T0_E_clISt17integral_constantIbLb0EESX_IbLb1EEEEDaST_SU_EUlST_E_NS1_11comp_targetILNS1_3genE10ELNS1_11target_archE1200ELNS1_3gpuE4ELNS1_3repE0EEENS1_30default_config_static_selectorELNS0_4arch9wavefront6targetE1EEEvT1_
; %bb.0:
	.section	.rodata,"a",@progbits
	.p2align	6, 0x0
	.amdhsa_kernel _ZN7rocprim17ROCPRIM_400000_NS6detail17trampoline_kernelINS0_14default_configENS1_20scan_config_selectorIN3c108BFloat16EEEZZNS1_9scan_implILNS1_25lookback_scan_determinismE0ELb0ELb0ES3_PKS6_PS6_S6_ZZZN2at6native31launch_logcumsumexp_cuda_kernelERKNSD_10TensorBaseESH_lENKUlvE_clEvENKUlvE4_clEvEUlS6_S6_E_S6_EEDaPvRmT3_T4_T5_mT6_P12ihipStream_tbENKUlT_T0_E_clISt17integral_constantIbLb0EESX_IbLb1EEEEDaST_SU_EUlST_E_NS1_11comp_targetILNS1_3genE10ELNS1_11target_archE1200ELNS1_3gpuE4ELNS1_3repE0EEENS1_30default_config_static_selectorELNS0_4arch9wavefront6targetE1EEEvT1_
		.amdhsa_group_segment_fixed_size 0
		.amdhsa_private_segment_fixed_size 0
		.amdhsa_kernarg_size 96
		.amdhsa_user_sgpr_count 2
		.amdhsa_user_sgpr_dispatch_ptr 0
		.amdhsa_user_sgpr_queue_ptr 0
		.amdhsa_user_sgpr_kernarg_segment_ptr 1
		.amdhsa_user_sgpr_dispatch_id 0
		.amdhsa_user_sgpr_kernarg_preload_length 0
		.amdhsa_user_sgpr_kernarg_preload_offset 0
		.amdhsa_user_sgpr_private_segment_size 0
		.amdhsa_uses_dynamic_stack 0
		.amdhsa_enable_private_segment 0
		.amdhsa_system_sgpr_workgroup_id_x 1
		.amdhsa_system_sgpr_workgroup_id_y 0
		.amdhsa_system_sgpr_workgroup_id_z 0
		.amdhsa_system_sgpr_workgroup_info 0
		.amdhsa_system_vgpr_workitem_id 0
		.amdhsa_next_free_vgpr 1
		.amdhsa_next_free_sgpr 0
		.amdhsa_accum_offset 4
		.amdhsa_reserve_vcc 0
		.amdhsa_float_round_mode_32 0
		.amdhsa_float_round_mode_16_64 0
		.amdhsa_float_denorm_mode_32 3
		.amdhsa_float_denorm_mode_16_64 3
		.amdhsa_dx10_clamp 1
		.amdhsa_ieee_mode 1
		.amdhsa_fp16_overflow 0
		.amdhsa_tg_split 0
		.amdhsa_exception_fp_ieee_invalid_op 0
		.amdhsa_exception_fp_denorm_src 0
		.amdhsa_exception_fp_ieee_div_zero 0
		.amdhsa_exception_fp_ieee_overflow 0
		.amdhsa_exception_fp_ieee_underflow 0
		.amdhsa_exception_fp_ieee_inexact 0
		.amdhsa_exception_int_div_zero 0
	.end_amdhsa_kernel
	.section	.text._ZN7rocprim17ROCPRIM_400000_NS6detail17trampoline_kernelINS0_14default_configENS1_20scan_config_selectorIN3c108BFloat16EEEZZNS1_9scan_implILNS1_25lookback_scan_determinismE0ELb0ELb0ES3_PKS6_PS6_S6_ZZZN2at6native31launch_logcumsumexp_cuda_kernelERKNSD_10TensorBaseESH_lENKUlvE_clEvENKUlvE4_clEvEUlS6_S6_E_S6_EEDaPvRmT3_T4_T5_mT6_P12ihipStream_tbENKUlT_T0_E_clISt17integral_constantIbLb0EESX_IbLb1EEEEDaST_SU_EUlST_E_NS1_11comp_targetILNS1_3genE10ELNS1_11target_archE1200ELNS1_3gpuE4ELNS1_3repE0EEENS1_30default_config_static_selectorELNS0_4arch9wavefront6targetE1EEEvT1_,"axG",@progbits,_ZN7rocprim17ROCPRIM_400000_NS6detail17trampoline_kernelINS0_14default_configENS1_20scan_config_selectorIN3c108BFloat16EEEZZNS1_9scan_implILNS1_25lookback_scan_determinismE0ELb0ELb0ES3_PKS6_PS6_S6_ZZZN2at6native31launch_logcumsumexp_cuda_kernelERKNSD_10TensorBaseESH_lENKUlvE_clEvENKUlvE4_clEvEUlS6_S6_E_S6_EEDaPvRmT3_T4_T5_mT6_P12ihipStream_tbENKUlT_T0_E_clISt17integral_constantIbLb0EESX_IbLb1EEEEDaST_SU_EUlST_E_NS1_11comp_targetILNS1_3genE10ELNS1_11target_archE1200ELNS1_3gpuE4ELNS1_3repE0EEENS1_30default_config_static_selectorELNS0_4arch9wavefront6targetE1EEEvT1_,comdat
.Lfunc_end525:
	.size	_ZN7rocprim17ROCPRIM_400000_NS6detail17trampoline_kernelINS0_14default_configENS1_20scan_config_selectorIN3c108BFloat16EEEZZNS1_9scan_implILNS1_25lookback_scan_determinismE0ELb0ELb0ES3_PKS6_PS6_S6_ZZZN2at6native31launch_logcumsumexp_cuda_kernelERKNSD_10TensorBaseESH_lENKUlvE_clEvENKUlvE4_clEvEUlS6_S6_E_S6_EEDaPvRmT3_T4_T5_mT6_P12ihipStream_tbENKUlT_T0_E_clISt17integral_constantIbLb0EESX_IbLb1EEEEDaST_SU_EUlST_E_NS1_11comp_targetILNS1_3genE10ELNS1_11target_archE1200ELNS1_3gpuE4ELNS1_3repE0EEENS1_30default_config_static_selectorELNS0_4arch9wavefront6targetE1EEEvT1_, .Lfunc_end525-_ZN7rocprim17ROCPRIM_400000_NS6detail17trampoline_kernelINS0_14default_configENS1_20scan_config_selectorIN3c108BFloat16EEEZZNS1_9scan_implILNS1_25lookback_scan_determinismE0ELb0ELb0ES3_PKS6_PS6_S6_ZZZN2at6native31launch_logcumsumexp_cuda_kernelERKNSD_10TensorBaseESH_lENKUlvE_clEvENKUlvE4_clEvEUlS6_S6_E_S6_EEDaPvRmT3_T4_T5_mT6_P12ihipStream_tbENKUlT_T0_E_clISt17integral_constantIbLb0EESX_IbLb1EEEEDaST_SU_EUlST_E_NS1_11comp_targetILNS1_3genE10ELNS1_11target_archE1200ELNS1_3gpuE4ELNS1_3repE0EEENS1_30default_config_static_selectorELNS0_4arch9wavefront6targetE1EEEvT1_
                                        ; -- End function
	.section	.AMDGPU.csdata,"",@progbits
; Kernel info:
; codeLenInByte = 0
; NumSgprs: 6
; NumVgprs: 0
; NumAgprs: 0
; TotalNumVgprs: 0
; ScratchSize: 0
; MemoryBound: 0
; FloatMode: 240
; IeeeMode: 1
; LDSByteSize: 0 bytes/workgroup (compile time only)
; SGPRBlocks: 0
; VGPRBlocks: 0
; NumSGPRsForWavesPerEU: 6
; NumVGPRsForWavesPerEU: 1
; AccumOffset: 4
; Occupancy: 8
; WaveLimiterHint : 0
; COMPUTE_PGM_RSRC2:SCRATCH_EN: 0
; COMPUTE_PGM_RSRC2:USER_SGPR: 2
; COMPUTE_PGM_RSRC2:TRAP_HANDLER: 0
; COMPUTE_PGM_RSRC2:TGID_X_EN: 1
; COMPUTE_PGM_RSRC2:TGID_Y_EN: 0
; COMPUTE_PGM_RSRC2:TGID_Z_EN: 0
; COMPUTE_PGM_RSRC2:TIDIG_COMP_CNT: 0
; COMPUTE_PGM_RSRC3_GFX90A:ACCUM_OFFSET: 0
; COMPUTE_PGM_RSRC3_GFX90A:TG_SPLIT: 0
	.section	.text._ZN7rocprim17ROCPRIM_400000_NS6detail17trampoline_kernelINS0_14default_configENS1_20scan_config_selectorIN3c108BFloat16EEEZZNS1_9scan_implILNS1_25lookback_scan_determinismE0ELb0ELb0ES3_PKS6_PS6_S6_ZZZN2at6native31launch_logcumsumexp_cuda_kernelERKNSD_10TensorBaseESH_lENKUlvE_clEvENKUlvE4_clEvEUlS6_S6_E_S6_EEDaPvRmT3_T4_T5_mT6_P12ihipStream_tbENKUlT_T0_E_clISt17integral_constantIbLb0EESX_IbLb1EEEEDaST_SU_EUlST_E_NS1_11comp_targetILNS1_3genE9ELNS1_11target_archE1100ELNS1_3gpuE3ELNS1_3repE0EEENS1_30default_config_static_selectorELNS0_4arch9wavefront6targetE1EEEvT1_,"axG",@progbits,_ZN7rocprim17ROCPRIM_400000_NS6detail17trampoline_kernelINS0_14default_configENS1_20scan_config_selectorIN3c108BFloat16EEEZZNS1_9scan_implILNS1_25lookback_scan_determinismE0ELb0ELb0ES3_PKS6_PS6_S6_ZZZN2at6native31launch_logcumsumexp_cuda_kernelERKNSD_10TensorBaseESH_lENKUlvE_clEvENKUlvE4_clEvEUlS6_S6_E_S6_EEDaPvRmT3_T4_T5_mT6_P12ihipStream_tbENKUlT_T0_E_clISt17integral_constantIbLb0EESX_IbLb1EEEEDaST_SU_EUlST_E_NS1_11comp_targetILNS1_3genE9ELNS1_11target_archE1100ELNS1_3gpuE3ELNS1_3repE0EEENS1_30default_config_static_selectorELNS0_4arch9wavefront6targetE1EEEvT1_,comdat
	.globl	_ZN7rocprim17ROCPRIM_400000_NS6detail17trampoline_kernelINS0_14default_configENS1_20scan_config_selectorIN3c108BFloat16EEEZZNS1_9scan_implILNS1_25lookback_scan_determinismE0ELb0ELb0ES3_PKS6_PS6_S6_ZZZN2at6native31launch_logcumsumexp_cuda_kernelERKNSD_10TensorBaseESH_lENKUlvE_clEvENKUlvE4_clEvEUlS6_S6_E_S6_EEDaPvRmT3_T4_T5_mT6_P12ihipStream_tbENKUlT_T0_E_clISt17integral_constantIbLb0EESX_IbLb1EEEEDaST_SU_EUlST_E_NS1_11comp_targetILNS1_3genE9ELNS1_11target_archE1100ELNS1_3gpuE3ELNS1_3repE0EEENS1_30default_config_static_selectorELNS0_4arch9wavefront6targetE1EEEvT1_ ; -- Begin function _ZN7rocprim17ROCPRIM_400000_NS6detail17trampoline_kernelINS0_14default_configENS1_20scan_config_selectorIN3c108BFloat16EEEZZNS1_9scan_implILNS1_25lookback_scan_determinismE0ELb0ELb0ES3_PKS6_PS6_S6_ZZZN2at6native31launch_logcumsumexp_cuda_kernelERKNSD_10TensorBaseESH_lENKUlvE_clEvENKUlvE4_clEvEUlS6_S6_E_S6_EEDaPvRmT3_T4_T5_mT6_P12ihipStream_tbENKUlT_T0_E_clISt17integral_constantIbLb0EESX_IbLb1EEEEDaST_SU_EUlST_E_NS1_11comp_targetILNS1_3genE9ELNS1_11target_archE1100ELNS1_3gpuE3ELNS1_3repE0EEENS1_30default_config_static_selectorELNS0_4arch9wavefront6targetE1EEEvT1_
	.p2align	8
	.type	_ZN7rocprim17ROCPRIM_400000_NS6detail17trampoline_kernelINS0_14default_configENS1_20scan_config_selectorIN3c108BFloat16EEEZZNS1_9scan_implILNS1_25lookback_scan_determinismE0ELb0ELb0ES3_PKS6_PS6_S6_ZZZN2at6native31launch_logcumsumexp_cuda_kernelERKNSD_10TensorBaseESH_lENKUlvE_clEvENKUlvE4_clEvEUlS6_S6_E_S6_EEDaPvRmT3_T4_T5_mT6_P12ihipStream_tbENKUlT_T0_E_clISt17integral_constantIbLb0EESX_IbLb1EEEEDaST_SU_EUlST_E_NS1_11comp_targetILNS1_3genE9ELNS1_11target_archE1100ELNS1_3gpuE3ELNS1_3repE0EEENS1_30default_config_static_selectorELNS0_4arch9wavefront6targetE1EEEvT1_,@function
_ZN7rocprim17ROCPRIM_400000_NS6detail17trampoline_kernelINS0_14default_configENS1_20scan_config_selectorIN3c108BFloat16EEEZZNS1_9scan_implILNS1_25lookback_scan_determinismE0ELb0ELb0ES3_PKS6_PS6_S6_ZZZN2at6native31launch_logcumsumexp_cuda_kernelERKNSD_10TensorBaseESH_lENKUlvE_clEvENKUlvE4_clEvEUlS6_S6_E_S6_EEDaPvRmT3_T4_T5_mT6_P12ihipStream_tbENKUlT_T0_E_clISt17integral_constantIbLb0EESX_IbLb1EEEEDaST_SU_EUlST_E_NS1_11comp_targetILNS1_3genE9ELNS1_11target_archE1100ELNS1_3gpuE3ELNS1_3repE0EEENS1_30default_config_static_selectorELNS0_4arch9wavefront6targetE1EEEvT1_: ; @_ZN7rocprim17ROCPRIM_400000_NS6detail17trampoline_kernelINS0_14default_configENS1_20scan_config_selectorIN3c108BFloat16EEEZZNS1_9scan_implILNS1_25lookback_scan_determinismE0ELb0ELb0ES3_PKS6_PS6_S6_ZZZN2at6native31launch_logcumsumexp_cuda_kernelERKNSD_10TensorBaseESH_lENKUlvE_clEvENKUlvE4_clEvEUlS6_S6_E_S6_EEDaPvRmT3_T4_T5_mT6_P12ihipStream_tbENKUlT_T0_E_clISt17integral_constantIbLb0EESX_IbLb1EEEEDaST_SU_EUlST_E_NS1_11comp_targetILNS1_3genE9ELNS1_11target_archE1100ELNS1_3gpuE3ELNS1_3repE0EEENS1_30default_config_static_selectorELNS0_4arch9wavefront6targetE1EEEvT1_
; %bb.0:
	.section	.rodata,"a",@progbits
	.p2align	6, 0x0
	.amdhsa_kernel _ZN7rocprim17ROCPRIM_400000_NS6detail17trampoline_kernelINS0_14default_configENS1_20scan_config_selectorIN3c108BFloat16EEEZZNS1_9scan_implILNS1_25lookback_scan_determinismE0ELb0ELb0ES3_PKS6_PS6_S6_ZZZN2at6native31launch_logcumsumexp_cuda_kernelERKNSD_10TensorBaseESH_lENKUlvE_clEvENKUlvE4_clEvEUlS6_S6_E_S6_EEDaPvRmT3_T4_T5_mT6_P12ihipStream_tbENKUlT_T0_E_clISt17integral_constantIbLb0EESX_IbLb1EEEEDaST_SU_EUlST_E_NS1_11comp_targetILNS1_3genE9ELNS1_11target_archE1100ELNS1_3gpuE3ELNS1_3repE0EEENS1_30default_config_static_selectorELNS0_4arch9wavefront6targetE1EEEvT1_
		.amdhsa_group_segment_fixed_size 0
		.amdhsa_private_segment_fixed_size 0
		.amdhsa_kernarg_size 96
		.amdhsa_user_sgpr_count 2
		.amdhsa_user_sgpr_dispatch_ptr 0
		.amdhsa_user_sgpr_queue_ptr 0
		.amdhsa_user_sgpr_kernarg_segment_ptr 1
		.amdhsa_user_sgpr_dispatch_id 0
		.amdhsa_user_sgpr_kernarg_preload_length 0
		.amdhsa_user_sgpr_kernarg_preload_offset 0
		.amdhsa_user_sgpr_private_segment_size 0
		.amdhsa_uses_dynamic_stack 0
		.amdhsa_enable_private_segment 0
		.amdhsa_system_sgpr_workgroup_id_x 1
		.amdhsa_system_sgpr_workgroup_id_y 0
		.amdhsa_system_sgpr_workgroup_id_z 0
		.amdhsa_system_sgpr_workgroup_info 0
		.amdhsa_system_vgpr_workitem_id 0
		.amdhsa_next_free_vgpr 1
		.amdhsa_next_free_sgpr 0
		.amdhsa_accum_offset 4
		.amdhsa_reserve_vcc 0
		.amdhsa_float_round_mode_32 0
		.amdhsa_float_round_mode_16_64 0
		.amdhsa_float_denorm_mode_32 3
		.amdhsa_float_denorm_mode_16_64 3
		.amdhsa_dx10_clamp 1
		.amdhsa_ieee_mode 1
		.amdhsa_fp16_overflow 0
		.amdhsa_tg_split 0
		.amdhsa_exception_fp_ieee_invalid_op 0
		.amdhsa_exception_fp_denorm_src 0
		.amdhsa_exception_fp_ieee_div_zero 0
		.amdhsa_exception_fp_ieee_overflow 0
		.amdhsa_exception_fp_ieee_underflow 0
		.amdhsa_exception_fp_ieee_inexact 0
		.amdhsa_exception_int_div_zero 0
	.end_amdhsa_kernel
	.section	.text._ZN7rocprim17ROCPRIM_400000_NS6detail17trampoline_kernelINS0_14default_configENS1_20scan_config_selectorIN3c108BFloat16EEEZZNS1_9scan_implILNS1_25lookback_scan_determinismE0ELb0ELb0ES3_PKS6_PS6_S6_ZZZN2at6native31launch_logcumsumexp_cuda_kernelERKNSD_10TensorBaseESH_lENKUlvE_clEvENKUlvE4_clEvEUlS6_S6_E_S6_EEDaPvRmT3_T4_T5_mT6_P12ihipStream_tbENKUlT_T0_E_clISt17integral_constantIbLb0EESX_IbLb1EEEEDaST_SU_EUlST_E_NS1_11comp_targetILNS1_3genE9ELNS1_11target_archE1100ELNS1_3gpuE3ELNS1_3repE0EEENS1_30default_config_static_selectorELNS0_4arch9wavefront6targetE1EEEvT1_,"axG",@progbits,_ZN7rocprim17ROCPRIM_400000_NS6detail17trampoline_kernelINS0_14default_configENS1_20scan_config_selectorIN3c108BFloat16EEEZZNS1_9scan_implILNS1_25lookback_scan_determinismE0ELb0ELb0ES3_PKS6_PS6_S6_ZZZN2at6native31launch_logcumsumexp_cuda_kernelERKNSD_10TensorBaseESH_lENKUlvE_clEvENKUlvE4_clEvEUlS6_S6_E_S6_EEDaPvRmT3_T4_T5_mT6_P12ihipStream_tbENKUlT_T0_E_clISt17integral_constantIbLb0EESX_IbLb1EEEEDaST_SU_EUlST_E_NS1_11comp_targetILNS1_3genE9ELNS1_11target_archE1100ELNS1_3gpuE3ELNS1_3repE0EEENS1_30default_config_static_selectorELNS0_4arch9wavefront6targetE1EEEvT1_,comdat
.Lfunc_end526:
	.size	_ZN7rocprim17ROCPRIM_400000_NS6detail17trampoline_kernelINS0_14default_configENS1_20scan_config_selectorIN3c108BFloat16EEEZZNS1_9scan_implILNS1_25lookback_scan_determinismE0ELb0ELb0ES3_PKS6_PS6_S6_ZZZN2at6native31launch_logcumsumexp_cuda_kernelERKNSD_10TensorBaseESH_lENKUlvE_clEvENKUlvE4_clEvEUlS6_S6_E_S6_EEDaPvRmT3_T4_T5_mT6_P12ihipStream_tbENKUlT_T0_E_clISt17integral_constantIbLb0EESX_IbLb1EEEEDaST_SU_EUlST_E_NS1_11comp_targetILNS1_3genE9ELNS1_11target_archE1100ELNS1_3gpuE3ELNS1_3repE0EEENS1_30default_config_static_selectorELNS0_4arch9wavefront6targetE1EEEvT1_, .Lfunc_end526-_ZN7rocprim17ROCPRIM_400000_NS6detail17trampoline_kernelINS0_14default_configENS1_20scan_config_selectorIN3c108BFloat16EEEZZNS1_9scan_implILNS1_25lookback_scan_determinismE0ELb0ELb0ES3_PKS6_PS6_S6_ZZZN2at6native31launch_logcumsumexp_cuda_kernelERKNSD_10TensorBaseESH_lENKUlvE_clEvENKUlvE4_clEvEUlS6_S6_E_S6_EEDaPvRmT3_T4_T5_mT6_P12ihipStream_tbENKUlT_T0_E_clISt17integral_constantIbLb0EESX_IbLb1EEEEDaST_SU_EUlST_E_NS1_11comp_targetILNS1_3genE9ELNS1_11target_archE1100ELNS1_3gpuE3ELNS1_3repE0EEENS1_30default_config_static_selectorELNS0_4arch9wavefront6targetE1EEEvT1_
                                        ; -- End function
	.section	.AMDGPU.csdata,"",@progbits
; Kernel info:
; codeLenInByte = 0
; NumSgprs: 6
; NumVgprs: 0
; NumAgprs: 0
; TotalNumVgprs: 0
; ScratchSize: 0
; MemoryBound: 0
; FloatMode: 240
; IeeeMode: 1
; LDSByteSize: 0 bytes/workgroup (compile time only)
; SGPRBlocks: 0
; VGPRBlocks: 0
; NumSGPRsForWavesPerEU: 6
; NumVGPRsForWavesPerEU: 1
; AccumOffset: 4
; Occupancy: 8
; WaveLimiterHint : 0
; COMPUTE_PGM_RSRC2:SCRATCH_EN: 0
; COMPUTE_PGM_RSRC2:USER_SGPR: 2
; COMPUTE_PGM_RSRC2:TRAP_HANDLER: 0
; COMPUTE_PGM_RSRC2:TGID_X_EN: 1
; COMPUTE_PGM_RSRC2:TGID_Y_EN: 0
; COMPUTE_PGM_RSRC2:TGID_Z_EN: 0
; COMPUTE_PGM_RSRC2:TIDIG_COMP_CNT: 0
; COMPUTE_PGM_RSRC3_GFX90A:ACCUM_OFFSET: 0
; COMPUTE_PGM_RSRC3_GFX90A:TG_SPLIT: 0
	.section	.text._ZN7rocprim17ROCPRIM_400000_NS6detail17trampoline_kernelINS0_14default_configENS1_20scan_config_selectorIN3c108BFloat16EEEZZNS1_9scan_implILNS1_25lookback_scan_determinismE0ELb0ELb0ES3_PKS6_PS6_S6_ZZZN2at6native31launch_logcumsumexp_cuda_kernelERKNSD_10TensorBaseESH_lENKUlvE_clEvENKUlvE4_clEvEUlS6_S6_E_S6_EEDaPvRmT3_T4_T5_mT6_P12ihipStream_tbENKUlT_T0_E_clISt17integral_constantIbLb0EESX_IbLb1EEEEDaST_SU_EUlST_E_NS1_11comp_targetILNS1_3genE8ELNS1_11target_archE1030ELNS1_3gpuE2ELNS1_3repE0EEENS1_30default_config_static_selectorELNS0_4arch9wavefront6targetE1EEEvT1_,"axG",@progbits,_ZN7rocprim17ROCPRIM_400000_NS6detail17trampoline_kernelINS0_14default_configENS1_20scan_config_selectorIN3c108BFloat16EEEZZNS1_9scan_implILNS1_25lookback_scan_determinismE0ELb0ELb0ES3_PKS6_PS6_S6_ZZZN2at6native31launch_logcumsumexp_cuda_kernelERKNSD_10TensorBaseESH_lENKUlvE_clEvENKUlvE4_clEvEUlS6_S6_E_S6_EEDaPvRmT3_T4_T5_mT6_P12ihipStream_tbENKUlT_T0_E_clISt17integral_constantIbLb0EESX_IbLb1EEEEDaST_SU_EUlST_E_NS1_11comp_targetILNS1_3genE8ELNS1_11target_archE1030ELNS1_3gpuE2ELNS1_3repE0EEENS1_30default_config_static_selectorELNS0_4arch9wavefront6targetE1EEEvT1_,comdat
	.globl	_ZN7rocprim17ROCPRIM_400000_NS6detail17trampoline_kernelINS0_14default_configENS1_20scan_config_selectorIN3c108BFloat16EEEZZNS1_9scan_implILNS1_25lookback_scan_determinismE0ELb0ELb0ES3_PKS6_PS6_S6_ZZZN2at6native31launch_logcumsumexp_cuda_kernelERKNSD_10TensorBaseESH_lENKUlvE_clEvENKUlvE4_clEvEUlS6_S6_E_S6_EEDaPvRmT3_T4_T5_mT6_P12ihipStream_tbENKUlT_T0_E_clISt17integral_constantIbLb0EESX_IbLb1EEEEDaST_SU_EUlST_E_NS1_11comp_targetILNS1_3genE8ELNS1_11target_archE1030ELNS1_3gpuE2ELNS1_3repE0EEENS1_30default_config_static_selectorELNS0_4arch9wavefront6targetE1EEEvT1_ ; -- Begin function _ZN7rocprim17ROCPRIM_400000_NS6detail17trampoline_kernelINS0_14default_configENS1_20scan_config_selectorIN3c108BFloat16EEEZZNS1_9scan_implILNS1_25lookback_scan_determinismE0ELb0ELb0ES3_PKS6_PS6_S6_ZZZN2at6native31launch_logcumsumexp_cuda_kernelERKNSD_10TensorBaseESH_lENKUlvE_clEvENKUlvE4_clEvEUlS6_S6_E_S6_EEDaPvRmT3_T4_T5_mT6_P12ihipStream_tbENKUlT_T0_E_clISt17integral_constantIbLb0EESX_IbLb1EEEEDaST_SU_EUlST_E_NS1_11comp_targetILNS1_3genE8ELNS1_11target_archE1030ELNS1_3gpuE2ELNS1_3repE0EEENS1_30default_config_static_selectorELNS0_4arch9wavefront6targetE1EEEvT1_
	.p2align	8
	.type	_ZN7rocprim17ROCPRIM_400000_NS6detail17trampoline_kernelINS0_14default_configENS1_20scan_config_selectorIN3c108BFloat16EEEZZNS1_9scan_implILNS1_25lookback_scan_determinismE0ELb0ELb0ES3_PKS6_PS6_S6_ZZZN2at6native31launch_logcumsumexp_cuda_kernelERKNSD_10TensorBaseESH_lENKUlvE_clEvENKUlvE4_clEvEUlS6_S6_E_S6_EEDaPvRmT3_T4_T5_mT6_P12ihipStream_tbENKUlT_T0_E_clISt17integral_constantIbLb0EESX_IbLb1EEEEDaST_SU_EUlST_E_NS1_11comp_targetILNS1_3genE8ELNS1_11target_archE1030ELNS1_3gpuE2ELNS1_3repE0EEENS1_30default_config_static_selectorELNS0_4arch9wavefront6targetE1EEEvT1_,@function
_ZN7rocprim17ROCPRIM_400000_NS6detail17trampoline_kernelINS0_14default_configENS1_20scan_config_selectorIN3c108BFloat16EEEZZNS1_9scan_implILNS1_25lookback_scan_determinismE0ELb0ELb0ES3_PKS6_PS6_S6_ZZZN2at6native31launch_logcumsumexp_cuda_kernelERKNSD_10TensorBaseESH_lENKUlvE_clEvENKUlvE4_clEvEUlS6_S6_E_S6_EEDaPvRmT3_T4_T5_mT6_P12ihipStream_tbENKUlT_T0_E_clISt17integral_constantIbLb0EESX_IbLb1EEEEDaST_SU_EUlST_E_NS1_11comp_targetILNS1_3genE8ELNS1_11target_archE1030ELNS1_3gpuE2ELNS1_3repE0EEENS1_30default_config_static_selectorELNS0_4arch9wavefront6targetE1EEEvT1_: ; @_ZN7rocprim17ROCPRIM_400000_NS6detail17trampoline_kernelINS0_14default_configENS1_20scan_config_selectorIN3c108BFloat16EEEZZNS1_9scan_implILNS1_25lookback_scan_determinismE0ELb0ELb0ES3_PKS6_PS6_S6_ZZZN2at6native31launch_logcumsumexp_cuda_kernelERKNSD_10TensorBaseESH_lENKUlvE_clEvENKUlvE4_clEvEUlS6_S6_E_S6_EEDaPvRmT3_T4_T5_mT6_P12ihipStream_tbENKUlT_T0_E_clISt17integral_constantIbLb0EESX_IbLb1EEEEDaST_SU_EUlST_E_NS1_11comp_targetILNS1_3genE8ELNS1_11target_archE1030ELNS1_3gpuE2ELNS1_3repE0EEENS1_30default_config_static_selectorELNS0_4arch9wavefront6targetE1EEEvT1_
; %bb.0:
	.section	.rodata,"a",@progbits
	.p2align	6, 0x0
	.amdhsa_kernel _ZN7rocprim17ROCPRIM_400000_NS6detail17trampoline_kernelINS0_14default_configENS1_20scan_config_selectorIN3c108BFloat16EEEZZNS1_9scan_implILNS1_25lookback_scan_determinismE0ELb0ELb0ES3_PKS6_PS6_S6_ZZZN2at6native31launch_logcumsumexp_cuda_kernelERKNSD_10TensorBaseESH_lENKUlvE_clEvENKUlvE4_clEvEUlS6_S6_E_S6_EEDaPvRmT3_T4_T5_mT6_P12ihipStream_tbENKUlT_T0_E_clISt17integral_constantIbLb0EESX_IbLb1EEEEDaST_SU_EUlST_E_NS1_11comp_targetILNS1_3genE8ELNS1_11target_archE1030ELNS1_3gpuE2ELNS1_3repE0EEENS1_30default_config_static_selectorELNS0_4arch9wavefront6targetE1EEEvT1_
		.amdhsa_group_segment_fixed_size 0
		.amdhsa_private_segment_fixed_size 0
		.amdhsa_kernarg_size 96
		.amdhsa_user_sgpr_count 2
		.amdhsa_user_sgpr_dispatch_ptr 0
		.amdhsa_user_sgpr_queue_ptr 0
		.amdhsa_user_sgpr_kernarg_segment_ptr 1
		.amdhsa_user_sgpr_dispatch_id 0
		.amdhsa_user_sgpr_kernarg_preload_length 0
		.amdhsa_user_sgpr_kernarg_preload_offset 0
		.amdhsa_user_sgpr_private_segment_size 0
		.amdhsa_uses_dynamic_stack 0
		.amdhsa_enable_private_segment 0
		.amdhsa_system_sgpr_workgroup_id_x 1
		.amdhsa_system_sgpr_workgroup_id_y 0
		.amdhsa_system_sgpr_workgroup_id_z 0
		.amdhsa_system_sgpr_workgroup_info 0
		.amdhsa_system_vgpr_workitem_id 0
		.amdhsa_next_free_vgpr 1
		.amdhsa_next_free_sgpr 0
		.amdhsa_accum_offset 4
		.amdhsa_reserve_vcc 0
		.amdhsa_float_round_mode_32 0
		.amdhsa_float_round_mode_16_64 0
		.amdhsa_float_denorm_mode_32 3
		.amdhsa_float_denorm_mode_16_64 3
		.amdhsa_dx10_clamp 1
		.amdhsa_ieee_mode 1
		.amdhsa_fp16_overflow 0
		.amdhsa_tg_split 0
		.amdhsa_exception_fp_ieee_invalid_op 0
		.amdhsa_exception_fp_denorm_src 0
		.amdhsa_exception_fp_ieee_div_zero 0
		.amdhsa_exception_fp_ieee_overflow 0
		.amdhsa_exception_fp_ieee_underflow 0
		.amdhsa_exception_fp_ieee_inexact 0
		.amdhsa_exception_int_div_zero 0
	.end_amdhsa_kernel
	.section	.text._ZN7rocprim17ROCPRIM_400000_NS6detail17trampoline_kernelINS0_14default_configENS1_20scan_config_selectorIN3c108BFloat16EEEZZNS1_9scan_implILNS1_25lookback_scan_determinismE0ELb0ELb0ES3_PKS6_PS6_S6_ZZZN2at6native31launch_logcumsumexp_cuda_kernelERKNSD_10TensorBaseESH_lENKUlvE_clEvENKUlvE4_clEvEUlS6_S6_E_S6_EEDaPvRmT3_T4_T5_mT6_P12ihipStream_tbENKUlT_T0_E_clISt17integral_constantIbLb0EESX_IbLb1EEEEDaST_SU_EUlST_E_NS1_11comp_targetILNS1_3genE8ELNS1_11target_archE1030ELNS1_3gpuE2ELNS1_3repE0EEENS1_30default_config_static_selectorELNS0_4arch9wavefront6targetE1EEEvT1_,"axG",@progbits,_ZN7rocprim17ROCPRIM_400000_NS6detail17trampoline_kernelINS0_14default_configENS1_20scan_config_selectorIN3c108BFloat16EEEZZNS1_9scan_implILNS1_25lookback_scan_determinismE0ELb0ELb0ES3_PKS6_PS6_S6_ZZZN2at6native31launch_logcumsumexp_cuda_kernelERKNSD_10TensorBaseESH_lENKUlvE_clEvENKUlvE4_clEvEUlS6_S6_E_S6_EEDaPvRmT3_T4_T5_mT6_P12ihipStream_tbENKUlT_T0_E_clISt17integral_constantIbLb0EESX_IbLb1EEEEDaST_SU_EUlST_E_NS1_11comp_targetILNS1_3genE8ELNS1_11target_archE1030ELNS1_3gpuE2ELNS1_3repE0EEENS1_30default_config_static_selectorELNS0_4arch9wavefront6targetE1EEEvT1_,comdat
.Lfunc_end527:
	.size	_ZN7rocprim17ROCPRIM_400000_NS6detail17trampoline_kernelINS0_14default_configENS1_20scan_config_selectorIN3c108BFloat16EEEZZNS1_9scan_implILNS1_25lookback_scan_determinismE0ELb0ELb0ES3_PKS6_PS6_S6_ZZZN2at6native31launch_logcumsumexp_cuda_kernelERKNSD_10TensorBaseESH_lENKUlvE_clEvENKUlvE4_clEvEUlS6_S6_E_S6_EEDaPvRmT3_T4_T5_mT6_P12ihipStream_tbENKUlT_T0_E_clISt17integral_constantIbLb0EESX_IbLb1EEEEDaST_SU_EUlST_E_NS1_11comp_targetILNS1_3genE8ELNS1_11target_archE1030ELNS1_3gpuE2ELNS1_3repE0EEENS1_30default_config_static_selectorELNS0_4arch9wavefront6targetE1EEEvT1_, .Lfunc_end527-_ZN7rocprim17ROCPRIM_400000_NS6detail17trampoline_kernelINS0_14default_configENS1_20scan_config_selectorIN3c108BFloat16EEEZZNS1_9scan_implILNS1_25lookback_scan_determinismE0ELb0ELb0ES3_PKS6_PS6_S6_ZZZN2at6native31launch_logcumsumexp_cuda_kernelERKNSD_10TensorBaseESH_lENKUlvE_clEvENKUlvE4_clEvEUlS6_S6_E_S6_EEDaPvRmT3_T4_T5_mT6_P12ihipStream_tbENKUlT_T0_E_clISt17integral_constantIbLb0EESX_IbLb1EEEEDaST_SU_EUlST_E_NS1_11comp_targetILNS1_3genE8ELNS1_11target_archE1030ELNS1_3gpuE2ELNS1_3repE0EEENS1_30default_config_static_selectorELNS0_4arch9wavefront6targetE1EEEvT1_
                                        ; -- End function
	.section	.AMDGPU.csdata,"",@progbits
; Kernel info:
; codeLenInByte = 0
; NumSgprs: 6
; NumVgprs: 0
; NumAgprs: 0
; TotalNumVgprs: 0
; ScratchSize: 0
; MemoryBound: 0
; FloatMode: 240
; IeeeMode: 1
; LDSByteSize: 0 bytes/workgroup (compile time only)
; SGPRBlocks: 0
; VGPRBlocks: 0
; NumSGPRsForWavesPerEU: 6
; NumVGPRsForWavesPerEU: 1
; AccumOffset: 4
; Occupancy: 8
; WaveLimiterHint : 0
; COMPUTE_PGM_RSRC2:SCRATCH_EN: 0
; COMPUTE_PGM_RSRC2:USER_SGPR: 2
; COMPUTE_PGM_RSRC2:TRAP_HANDLER: 0
; COMPUTE_PGM_RSRC2:TGID_X_EN: 1
; COMPUTE_PGM_RSRC2:TGID_Y_EN: 0
; COMPUTE_PGM_RSRC2:TGID_Z_EN: 0
; COMPUTE_PGM_RSRC2:TIDIG_COMP_CNT: 0
; COMPUTE_PGM_RSRC3_GFX90A:ACCUM_OFFSET: 0
; COMPUTE_PGM_RSRC3_GFX90A:TG_SPLIT: 0
	.section	.text._ZN7rocprim17ROCPRIM_400000_NS6detail17trampoline_kernelINS0_14default_configENS1_20scan_config_selectorIN3c108BFloat16EEEZZNS1_9scan_implILNS1_25lookback_scan_determinismE0ELb0ELb0ES3_PKS6_PS6_S6_ZZZN2at6native31launch_logcumsumexp_cuda_kernelERKNSD_10TensorBaseESH_lENKUlvE_clEvENKUlvE4_clEvEUlS6_S6_E_S6_EEDaPvRmT3_T4_T5_mT6_P12ihipStream_tbENKUlT_T0_E_clISt17integral_constantIbLb0EESX_IbLb1EEEEDaST_SU_EUlST_E0_NS1_11comp_targetILNS1_3genE0ELNS1_11target_archE4294967295ELNS1_3gpuE0ELNS1_3repE0EEENS1_30default_config_static_selectorELNS0_4arch9wavefront6targetE1EEEvT1_,"axG",@progbits,_ZN7rocprim17ROCPRIM_400000_NS6detail17trampoline_kernelINS0_14default_configENS1_20scan_config_selectorIN3c108BFloat16EEEZZNS1_9scan_implILNS1_25lookback_scan_determinismE0ELb0ELb0ES3_PKS6_PS6_S6_ZZZN2at6native31launch_logcumsumexp_cuda_kernelERKNSD_10TensorBaseESH_lENKUlvE_clEvENKUlvE4_clEvEUlS6_S6_E_S6_EEDaPvRmT3_T4_T5_mT6_P12ihipStream_tbENKUlT_T0_E_clISt17integral_constantIbLb0EESX_IbLb1EEEEDaST_SU_EUlST_E0_NS1_11comp_targetILNS1_3genE0ELNS1_11target_archE4294967295ELNS1_3gpuE0ELNS1_3repE0EEENS1_30default_config_static_selectorELNS0_4arch9wavefront6targetE1EEEvT1_,comdat
	.globl	_ZN7rocprim17ROCPRIM_400000_NS6detail17trampoline_kernelINS0_14default_configENS1_20scan_config_selectorIN3c108BFloat16EEEZZNS1_9scan_implILNS1_25lookback_scan_determinismE0ELb0ELb0ES3_PKS6_PS6_S6_ZZZN2at6native31launch_logcumsumexp_cuda_kernelERKNSD_10TensorBaseESH_lENKUlvE_clEvENKUlvE4_clEvEUlS6_S6_E_S6_EEDaPvRmT3_T4_T5_mT6_P12ihipStream_tbENKUlT_T0_E_clISt17integral_constantIbLb0EESX_IbLb1EEEEDaST_SU_EUlST_E0_NS1_11comp_targetILNS1_3genE0ELNS1_11target_archE4294967295ELNS1_3gpuE0ELNS1_3repE0EEENS1_30default_config_static_selectorELNS0_4arch9wavefront6targetE1EEEvT1_ ; -- Begin function _ZN7rocprim17ROCPRIM_400000_NS6detail17trampoline_kernelINS0_14default_configENS1_20scan_config_selectorIN3c108BFloat16EEEZZNS1_9scan_implILNS1_25lookback_scan_determinismE0ELb0ELb0ES3_PKS6_PS6_S6_ZZZN2at6native31launch_logcumsumexp_cuda_kernelERKNSD_10TensorBaseESH_lENKUlvE_clEvENKUlvE4_clEvEUlS6_S6_E_S6_EEDaPvRmT3_T4_T5_mT6_P12ihipStream_tbENKUlT_T0_E_clISt17integral_constantIbLb0EESX_IbLb1EEEEDaST_SU_EUlST_E0_NS1_11comp_targetILNS1_3genE0ELNS1_11target_archE4294967295ELNS1_3gpuE0ELNS1_3repE0EEENS1_30default_config_static_selectorELNS0_4arch9wavefront6targetE1EEEvT1_
	.p2align	8
	.type	_ZN7rocprim17ROCPRIM_400000_NS6detail17trampoline_kernelINS0_14default_configENS1_20scan_config_selectorIN3c108BFloat16EEEZZNS1_9scan_implILNS1_25lookback_scan_determinismE0ELb0ELb0ES3_PKS6_PS6_S6_ZZZN2at6native31launch_logcumsumexp_cuda_kernelERKNSD_10TensorBaseESH_lENKUlvE_clEvENKUlvE4_clEvEUlS6_S6_E_S6_EEDaPvRmT3_T4_T5_mT6_P12ihipStream_tbENKUlT_T0_E_clISt17integral_constantIbLb0EESX_IbLb1EEEEDaST_SU_EUlST_E0_NS1_11comp_targetILNS1_3genE0ELNS1_11target_archE4294967295ELNS1_3gpuE0ELNS1_3repE0EEENS1_30default_config_static_selectorELNS0_4arch9wavefront6targetE1EEEvT1_,@function
_ZN7rocprim17ROCPRIM_400000_NS6detail17trampoline_kernelINS0_14default_configENS1_20scan_config_selectorIN3c108BFloat16EEEZZNS1_9scan_implILNS1_25lookback_scan_determinismE0ELb0ELb0ES3_PKS6_PS6_S6_ZZZN2at6native31launch_logcumsumexp_cuda_kernelERKNSD_10TensorBaseESH_lENKUlvE_clEvENKUlvE4_clEvEUlS6_S6_E_S6_EEDaPvRmT3_T4_T5_mT6_P12ihipStream_tbENKUlT_T0_E_clISt17integral_constantIbLb0EESX_IbLb1EEEEDaST_SU_EUlST_E0_NS1_11comp_targetILNS1_3genE0ELNS1_11target_archE4294967295ELNS1_3gpuE0ELNS1_3repE0EEENS1_30default_config_static_selectorELNS0_4arch9wavefront6targetE1EEEvT1_: ; @_ZN7rocprim17ROCPRIM_400000_NS6detail17trampoline_kernelINS0_14default_configENS1_20scan_config_selectorIN3c108BFloat16EEEZZNS1_9scan_implILNS1_25lookback_scan_determinismE0ELb0ELb0ES3_PKS6_PS6_S6_ZZZN2at6native31launch_logcumsumexp_cuda_kernelERKNSD_10TensorBaseESH_lENKUlvE_clEvENKUlvE4_clEvEUlS6_S6_E_S6_EEDaPvRmT3_T4_T5_mT6_P12ihipStream_tbENKUlT_T0_E_clISt17integral_constantIbLb0EESX_IbLb1EEEEDaST_SU_EUlST_E0_NS1_11comp_targetILNS1_3genE0ELNS1_11target_archE4294967295ELNS1_3gpuE0ELNS1_3repE0EEENS1_30default_config_static_selectorELNS0_4arch9wavefront6targetE1EEEvT1_
; %bb.0:
	.section	.rodata,"a",@progbits
	.p2align	6, 0x0
	.amdhsa_kernel _ZN7rocprim17ROCPRIM_400000_NS6detail17trampoline_kernelINS0_14default_configENS1_20scan_config_selectorIN3c108BFloat16EEEZZNS1_9scan_implILNS1_25lookback_scan_determinismE0ELb0ELb0ES3_PKS6_PS6_S6_ZZZN2at6native31launch_logcumsumexp_cuda_kernelERKNSD_10TensorBaseESH_lENKUlvE_clEvENKUlvE4_clEvEUlS6_S6_E_S6_EEDaPvRmT3_T4_T5_mT6_P12ihipStream_tbENKUlT_T0_E_clISt17integral_constantIbLb0EESX_IbLb1EEEEDaST_SU_EUlST_E0_NS1_11comp_targetILNS1_3genE0ELNS1_11target_archE4294967295ELNS1_3gpuE0ELNS1_3repE0EEENS1_30default_config_static_selectorELNS0_4arch9wavefront6targetE1EEEvT1_
		.amdhsa_group_segment_fixed_size 0
		.amdhsa_private_segment_fixed_size 0
		.amdhsa_kernarg_size 32
		.amdhsa_user_sgpr_count 2
		.amdhsa_user_sgpr_dispatch_ptr 0
		.amdhsa_user_sgpr_queue_ptr 0
		.amdhsa_user_sgpr_kernarg_segment_ptr 1
		.amdhsa_user_sgpr_dispatch_id 0
		.amdhsa_user_sgpr_kernarg_preload_length 0
		.amdhsa_user_sgpr_kernarg_preload_offset 0
		.amdhsa_user_sgpr_private_segment_size 0
		.amdhsa_uses_dynamic_stack 0
		.amdhsa_enable_private_segment 0
		.amdhsa_system_sgpr_workgroup_id_x 1
		.amdhsa_system_sgpr_workgroup_id_y 0
		.amdhsa_system_sgpr_workgroup_id_z 0
		.amdhsa_system_sgpr_workgroup_info 0
		.amdhsa_system_vgpr_workitem_id 0
		.amdhsa_next_free_vgpr 1
		.amdhsa_next_free_sgpr 0
		.amdhsa_accum_offset 4
		.amdhsa_reserve_vcc 0
		.amdhsa_float_round_mode_32 0
		.amdhsa_float_round_mode_16_64 0
		.amdhsa_float_denorm_mode_32 3
		.amdhsa_float_denorm_mode_16_64 3
		.amdhsa_dx10_clamp 1
		.amdhsa_ieee_mode 1
		.amdhsa_fp16_overflow 0
		.amdhsa_tg_split 0
		.amdhsa_exception_fp_ieee_invalid_op 0
		.amdhsa_exception_fp_denorm_src 0
		.amdhsa_exception_fp_ieee_div_zero 0
		.amdhsa_exception_fp_ieee_overflow 0
		.amdhsa_exception_fp_ieee_underflow 0
		.amdhsa_exception_fp_ieee_inexact 0
		.amdhsa_exception_int_div_zero 0
	.end_amdhsa_kernel
	.section	.text._ZN7rocprim17ROCPRIM_400000_NS6detail17trampoline_kernelINS0_14default_configENS1_20scan_config_selectorIN3c108BFloat16EEEZZNS1_9scan_implILNS1_25lookback_scan_determinismE0ELb0ELb0ES3_PKS6_PS6_S6_ZZZN2at6native31launch_logcumsumexp_cuda_kernelERKNSD_10TensorBaseESH_lENKUlvE_clEvENKUlvE4_clEvEUlS6_S6_E_S6_EEDaPvRmT3_T4_T5_mT6_P12ihipStream_tbENKUlT_T0_E_clISt17integral_constantIbLb0EESX_IbLb1EEEEDaST_SU_EUlST_E0_NS1_11comp_targetILNS1_3genE0ELNS1_11target_archE4294967295ELNS1_3gpuE0ELNS1_3repE0EEENS1_30default_config_static_selectorELNS0_4arch9wavefront6targetE1EEEvT1_,"axG",@progbits,_ZN7rocprim17ROCPRIM_400000_NS6detail17trampoline_kernelINS0_14default_configENS1_20scan_config_selectorIN3c108BFloat16EEEZZNS1_9scan_implILNS1_25lookback_scan_determinismE0ELb0ELb0ES3_PKS6_PS6_S6_ZZZN2at6native31launch_logcumsumexp_cuda_kernelERKNSD_10TensorBaseESH_lENKUlvE_clEvENKUlvE4_clEvEUlS6_S6_E_S6_EEDaPvRmT3_T4_T5_mT6_P12ihipStream_tbENKUlT_T0_E_clISt17integral_constantIbLb0EESX_IbLb1EEEEDaST_SU_EUlST_E0_NS1_11comp_targetILNS1_3genE0ELNS1_11target_archE4294967295ELNS1_3gpuE0ELNS1_3repE0EEENS1_30default_config_static_selectorELNS0_4arch9wavefront6targetE1EEEvT1_,comdat
.Lfunc_end528:
	.size	_ZN7rocprim17ROCPRIM_400000_NS6detail17trampoline_kernelINS0_14default_configENS1_20scan_config_selectorIN3c108BFloat16EEEZZNS1_9scan_implILNS1_25lookback_scan_determinismE0ELb0ELb0ES3_PKS6_PS6_S6_ZZZN2at6native31launch_logcumsumexp_cuda_kernelERKNSD_10TensorBaseESH_lENKUlvE_clEvENKUlvE4_clEvEUlS6_S6_E_S6_EEDaPvRmT3_T4_T5_mT6_P12ihipStream_tbENKUlT_T0_E_clISt17integral_constantIbLb0EESX_IbLb1EEEEDaST_SU_EUlST_E0_NS1_11comp_targetILNS1_3genE0ELNS1_11target_archE4294967295ELNS1_3gpuE0ELNS1_3repE0EEENS1_30default_config_static_selectorELNS0_4arch9wavefront6targetE1EEEvT1_, .Lfunc_end528-_ZN7rocprim17ROCPRIM_400000_NS6detail17trampoline_kernelINS0_14default_configENS1_20scan_config_selectorIN3c108BFloat16EEEZZNS1_9scan_implILNS1_25lookback_scan_determinismE0ELb0ELb0ES3_PKS6_PS6_S6_ZZZN2at6native31launch_logcumsumexp_cuda_kernelERKNSD_10TensorBaseESH_lENKUlvE_clEvENKUlvE4_clEvEUlS6_S6_E_S6_EEDaPvRmT3_T4_T5_mT6_P12ihipStream_tbENKUlT_T0_E_clISt17integral_constantIbLb0EESX_IbLb1EEEEDaST_SU_EUlST_E0_NS1_11comp_targetILNS1_3genE0ELNS1_11target_archE4294967295ELNS1_3gpuE0ELNS1_3repE0EEENS1_30default_config_static_selectorELNS0_4arch9wavefront6targetE1EEEvT1_
                                        ; -- End function
	.section	.AMDGPU.csdata,"",@progbits
; Kernel info:
; codeLenInByte = 0
; NumSgprs: 6
; NumVgprs: 0
; NumAgprs: 0
; TotalNumVgprs: 0
; ScratchSize: 0
; MemoryBound: 0
; FloatMode: 240
; IeeeMode: 1
; LDSByteSize: 0 bytes/workgroup (compile time only)
; SGPRBlocks: 0
; VGPRBlocks: 0
; NumSGPRsForWavesPerEU: 6
; NumVGPRsForWavesPerEU: 1
; AccumOffset: 4
; Occupancy: 8
; WaveLimiterHint : 0
; COMPUTE_PGM_RSRC2:SCRATCH_EN: 0
; COMPUTE_PGM_RSRC2:USER_SGPR: 2
; COMPUTE_PGM_RSRC2:TRAP_HANDLER: 0
; COMPUTE_PGM_RSRC2:TGID_X_EN: 1
; COMPUTE_PGM_RSRC2:TGID_Y_EN: 0
; COMPUTE_PGM_RSRC2:TGID_Z_EN: 0
; COMPUTE_PGM_RSRC2:TIDIG_COMP_CNT: 0
; COMPUTE_PGM_RSRC3_GFX90A:ACCUM_OFFSET: 0
; COMPUTE_PGM_RSRC3_GFX90A:TG_SPLIT: 0
	.section	.text._ZN7rocprim17ROCPRIM_400000_NS6detail17trampoline_kernelINS0_14default_configENS1_20scan_config_selectorIN3c108BFloat16EEEZZNS1_9scan_implILNS1_25lookback_scan_determinismE0ELb0ELb0ES3_PKS6_PS6_S6_ZZZN2at6native31launch_logcumsumexp_cuda_kernelERKNSD_10TensorBaseESH_lENKUlvE_clEvENKUlvE4_clEvEUlS6_S6_E_S6_EEDaPvRmT3_T4_T5_mT6_P12ihipStream_tbENKUlT_T0_E_clISt17integral_constantIbLb0EESX_IbLb1EEEEDaST_SU_EUlST_E0_NS1_11comp_targetILNS1_3genE5ELNS1_11target_archE942ELNS1_3gpuE9ELNS1_3repE0EEENS1_30default_config_static_selectorELNS0_4arch9wavefront6targetE1EEEvT1_,"axG",@progbits,_ZN7rocprim17ROCPRIM_400000_NS6detail17trampoline_kernelINS0_14default_configENS1_20scan_config_selectorIN3c108BFloat16EEEZZNS1_9scan_implILNS1_25lookback_scan_determinismE0ELb0ELb0ES3_PKS6_PS6_S6_ZZZN2at6native31launch_logcumsumexp_cuda_kernelERKNSD_10TensorBaseESH_lENKUlvE_clEvENKUlvE4_clEvEUlS6_S6_E_S6_EEDaPvRmT3_T4_T5_mT6_P12ihipStream_tbENKUlT_T0_E_clISt17integral_constantIbLb0EESX_IbLb1EEEEDaST_SU_EUlST_E0_NS1_11comp_targetILNS1_3genE5ELNS1_11target_archE942ELNS1_3gpuE9ELNS1_3repE0EEENS1_30default_config_static_selectorELNS0_4arch9wavefront6targetE1EEEvT1_,comdat
	.globl	_ZN7rocprim17ROCPRIM_400000_NS6detail17trampoline_kernelINS0_14default_configENS1_20scan_config_selectorIN3c108BFloat16EEEZZNS1_9scan_implILNS1_25lookback_scan_determinismE0ELb0ELb0ES3_PKS6_PS6_S6_ZZZN2at6native31launch_logcumsumexp_cuda_kernelERKNSD_10TensorBaseESH_lENKUlvE_clEvENKUlvE4_clEvEUlS6_S6_E_S6_EEDaPvRmT3_T4_T5_mT6_P12ihipStream_tbENKUlT_T0_E_clISt17integral_constantIbLb0EESX_IbLb1EEEEDaST_SU_EUlST_E0_NS1_11comp_targetILNS1_3genE5ELNS1_11target_archE942ELNS1_3gpuE9ELNS1_3repE0EEENS1_30default_config_static_selectorELNS0_4arch9wavefront6targetE1EEEvT1_ ; -- Begin function _ZN7rocprim17ROCPRIM_400000_NS6detail17trampoline_kernelINS0_14default_configENS1_20scan_config_selectorIN3c108BFloat16EEEZZNS1_9scan_implILNS1_25lookback_scan_determinismE0ELb0ELb0ES3_PKS6_PS6_S6_ZZZN2at6native31launch_logcumsumexp_cuda_kernelERKNSD_10TensorBaseESH_lENKUlvE_clEvENKUlvE4_clEvEUlS6_S6_E_S6_EEDaPvRmT3_T4_T5_mT6_P12ihipStream_tbENKUlT_T0_E_clISt17integral_constantIbLb0EESX_IbLb1EEEEDaST_SU_EUlST_E0_NS1_11comp_targetILNS1_3genE5ELNS1_11target_archE942ELNS1_3gpuE9ELNS1_3repE0EEENS1_30default_config_static_selectorELNS0_4arch9wavefront6targetE1EEEvT1_
	.p2align	8
	.type	_ZN7rocprim17ROCPRIM_400000_NS6detail17trampoline_kernelINS0_14default_configENS1_20scan_config_selectorIN3c108BFloat16EEEZZNS1_9scan_implILNS1_25lookback_scan_determinismE0ELb0ELb0ES3_PKS6_PS6_S6_ZZZN2at6native31launch_logcumsumexp_cuda_kernelERKNSD_10TensorBaseESH_lENKUlvE_clEvENKUlvE4_clEvEUlS6_S6_E_S6_EEDaPvRmT3_T4_T5_mT6_P12ihipStream_tbENKUlT_T0_E_clISt17integral_constantIbLb0EESX_IbLb1EEEEDaST_SU_EUlST_E0_NS1_11comp_targetILNS1_3genE5ELNS1_11target_archE942ELNS1_3gpuE9ELNS1_3repE0EEENS1_30default_config_static_selectorELNS0_4arch9wavefront6targetE1EEEvT1_,@function
_ZN7rocprim17ROCPRIM_400000_NS6detail17trampoline_kernelINS0_14default_configENS1_20scan_config_selectorIN3c108BFloat16EEEZZNS1_9scan_implILNS1_25lookback_scan_determinismE0ELb0ELb0ES3_PKS6_PS6_S6_ZZZN2at6native31launch_logcumsumexp_cuda_kernelERKNSD_10TensorBaseESH_lENKUlvE_clEvENKUlvE4_clEvEUlS6_S6_E_S6_EEDaPvRmT3_T4_T5_mT6_P12ihipStream_tbENKUlT_T0_E_clISt17integral_constantIbLb0EESX_IbLb1EEEEDaST_SU_EUlST_E0_NS1_11comp_targetILNS1_3genE5ELNS1_11target_archE942ELNS1_3gpuE9ELNS1_3repE0EEENS1_30default_config_static_selectorELNS0_4arch9wavefront6targetE1EEEvT1_: ; @_ZN7rocprim17ROCPRIM_400000_NS6detail17trampoline_kernelINS0_14default_configENS1_20scan_config_selectorIN3c108BFloat16EEEZZNS1_9scan_implILNS1_25lookback_scan_determinismE0ELb0ELb0ES3_PKS6_PS6_S6_ZZZN2at6native31launch_logcumsumexp_cuda_kernelERKNSD_10TensorBaseESH_lENKUlvE_clEvENKUlvE4_clEvEUlS6_S6_E_S6_EEDaPvRmT3_T4_T5_mT6_P12ihipStream_tbENKUlT_T0_E_clISt17integral_constantIbLb0EESX_IbLb1EEEEDaST_SU_EUlST_E0_NS1_11comp_targetILNS1_3genE5ELNS1_11target_archE942ELNS1_3gpuE9ELNS1_3repE0EEENS1_30default_config_static_selectorELNS0_4arch9wavefront6targetE1EEEvT1_
; %bb.0:
	s_load_dwordx4 s[48:51], s[0:1], 0x0
	v_mov_b32_e32 v1, 0
	v_lshlrev_b32_e32 v14, 1, v0
	s_waitcnt lgkmcnt(0)
	global_load_ushort v1, v1, s[48:49]
	v_cmp_gt_u32_e64 s[4:5], s50, v0
	s_waitcnt vmcnt(0)
	v_mov_b32_e32 v2, v1
	s_mov_b64 s[2:3], exec
                                        ; implicit-def: $vgpr77 : SGPR spill to VGPR lane
	v_writelane_b32 v77, s4, 0
	s_nop 1
	v_writelane_b32 v77, s5, 1
	s_and_b64 s[4:5], s[2:3], s[4:5]
	s_mov_b64 exec, s[4:5]
	s_cbranch_execz .LBB529_2
; %bb.1:
	global_load_ushort v2, v14, s[48:49]
.LBB529_2:
	s_or_b64 exec, exec, s[2:3]
	v_or_b32_e32 v3, 0x100, v0
	v_cmp_gt_u32_e64 s[4:5], s50, v3
	v_mov_b32_e32 v3, v1
	s_mov_b64 s[2:3], exec
	v_writelane_b32 v77, s4, 2
	s_nop 1
	v_writelane_b32 v77, s5, 3
	s_and_b64 s[4:5], s[2:3], s[4:5]
	s_mov_b64 exec, s[4:5]
	s_cbranch_execz .LBB529_4
; %bb.3:
	global_load_ushort v3, v14, s[48:49] offset:512
.LBB529_4:
	s_or_b64 exec, exec, s[2:3]
	v_or_b32_e32 v4, 0x200, v0
	v_cmp_gt_u32_e64 s[2:3], s50, v4
	v_mov_b32_e32 v4, v1
	s_nop 0
	v_writelane_b32 v77, s2, 4
	s_nop 1
	v_writelane_b32 v77, s3, 5
	s_and_saveexec_b64 s[4:5], s[2:3]
	s_cbranch_execz .LBB529_6
; %bb.5:
	global_load_ushort v4, v14, s[48:49] offset:1024
.LBB529_6:
	s_or_b64 exec, exec, s[4:5]
	v_or_b32_e32 v5, 0x300, v0
	v_cmp_gt_u32_e64 s[4:5], s50, v5
	v_mov_b32_e32 v5, v1
	s_and_saveexec_b64 s[6:7], s[4:5]
	s_cbranch_execz .LBB529_8
; %bb.7:
	global_load_ushort v5, v14, s[48:49] offset:1536
.LBB529_8:
	s_or_b64 exec, exec, s[6:7]
	v_or_b32_e32 v6, 0x400, v0
	v_cmp_gt_u32_e64 s[6:7], s50, v6
	v_mov_b32_e32 v6, v1
	;; [unrolled: 9-line block ×6, first 2 shown]
	s_and_saveexec_b64 s[16:17], s[14:15]
	s_cbranch_execz .LBB529_18
; %bb.17:
	v_lshlrev_b32_e32 v10, 1, v11
	global_load_ushort v10, v10, s[48:49]
.LBB529_18:
	s_or_b64 exec, exec, s[16:17]
	v_or_b32_e32 v12, 0x900, v0
	v_cmp_gt_u32_e64 s[16:17], s50, v12
	v_mov_b32_e32 v11, v1
	s_and_saveexec_b64 s[18:19], s[16:17]
	s_cbranch_execz .LBB529_20
; %bb.19:
	v_lshlrev_b32_e32 v11, 1, v12
	global_load_ushort v11, v11, s[48:49]
.LBB529_20:
	s_or_b64 exec, exec, s[18:19]
	v_or_b32_e32 v13, 0xa00, v0
	v_cmp_gt_u32_e64 s[18:19], s50, v13
	v_mov_b32_e32 v12, v1
	s_and_saveexec_b64 s[20:21], s[18:19]
	s_cbranch_execz .LBB529_22
; %bb.21:
	v_lshlrev_b32_e32 v12, 1, v13
	global_load_ushort v12, v12, s[48:49]
.LBB529_22:
	s_or_b64 exec, exec, s[20:21]
	v_or_b32_e32 v15, 0xb00, v0
	v_cmp_gt_u32_e64 s[20:21], s50, v15
	v_mov_b32_e32 v13, v1
	s_and_saveexec_b64 s[22:23], s[20:21]
	s_cbranch_execz .LBB529_24
; %bb.23:
	v_lshlrev_b32_e32 v13, 1, v15
	global_load_ushort v13, v13, s[48:49]
.LBB529_24:
	s_or_b64 exec, exec, s[22:23]
	v_or_b32_e32 v16, 0xc00, v0
	v_cmp_gt_u32_e64 s[22:23], s50, v16
	v_mov_b32_e32 v15, v1
	s_and_saveexec_b64 s[24:25], s[22:23]
	s_cbranch_execz .LBB529_26
; %bb.25:
	v_lshlrev_b32_e32 v15, 1, v16
	global_load_ushort v15, v15, s[48:49]
.LBB529_26:
	s_or_b64 exec, exec, s[24:25]
	v_or_b32_e32 v17, 0xd00, v0
	v_cmp_gt_u32_e64 s[24:25], s50, v17
	v_mov_b32_e32 v16, v1
	s_and_saveexec_b64 s[26:27], s[24:25]
	s_cbranch_execz .LBB529_28
; %bb.27:
	v_lshlrev_b32_e32 v16, 1, v17
	global_load_ushort v16, v16, s[48:49]
.LBB529_28:
	s_or_b64 exec, exec, s[26:27]
	v_or_b32_e32 v18, 0xe00, v0
	v_cmp_gt_u32_e64 s[26:27], s50, v18
	v_mov_b32_e32 v17, v1
	s_and_saveexec_b64 s[28:29], s[26:27]
	s_cbranch_execz .LBB529_30
; %bb.29:
	v_lshlrev_b32_e32 v17, 1, v18
	global_load_ushort v17, v17, s[48:49]
.LBB529_30:
	s_or_b64 exec, exec, s[28:29]
	v_or_b32_e32 v19, 0xf00, v0
	v_cmp_gt_u32_e64 s[28:29], s50, v19
	v_mov_b32_e32 v18, v1
	s_and_saveexec_b64 s[30:31], s[28:29]
	s_cbranch_execz .LBB529_32
; %bb.31:
	v_lshlrev_b32_e32 v18, 1, v19
	global_load_ushort v18, v18, s[48:49]
.LBB529_32:
	s_or_b64 exec, exec, s[30:31]
	v_or_b32_e32 v20, 0x1000, v0
	v_cmp_gt_u32_e64 s[30:31], s50, v20
	v_mov_b32_e32 v19, v1
	s_and_saveexec_b64 s[34:35], s[30:31]
	s_cbranch_execz .LBB529_34
; %bb.33:
	v_lshlrev_b32_e32 v19, 1, v20
	global_load_ushort v19, v19, s[48:49]
.LBB529_34:
	s_or_b64 exec, exec, s[34:35]
	v_or_b32_e32 v21, 0x1100, v0
	v_cmp_gt_u32_e64 s[34:35], s50, v21
	v_mov_b32_e32 v20, v1
	s_and_saveexec_b64 s[36:37], s[34:35]
	s_cbranch_execz .LBB529_36
; %bb.35:
	v_lshlrev_b32_e32 v20, 1, v21
	global_load_ushort v20, v20, s[48:49]
.LBB529_36:
	s_or_b64 exec, exec, s[36:37]
	v_or_b32_e32 v22, 0x1200, v0
	v_cmp_gt_u32_e64 s[36:37], s50, v22
	v_mov_b32_e32 v21, v1
	s_and_saveexec_b64 s[38:39], s[36:37]
	s_cbranch_execz .LBB529_38
; %bb.37:
	v_lshlrev_b32_e32 v21, 1, v22
	global_load_ushort v21, v21, s[48:49]
.LBB529_38:
	s_or_b64 exec, exec, s[38:39]
	v_or_b32_e32 v23, 0x1300, v0
	v_cmp_gt_u32_e64 s[38:39], s50, v23
	v_mov_b32_e32 v22, v1
	s_and_saveexec_b64 s[40:41], s[38:39]
	s_cbranch_execz .LBB529_40
; %bb.39:
	v_lshlrev_b32_e32 v22, 1, v23
	global_load_ushort v22, v22, s[48:49]
.LBB529_40:
	s_or_b64 exec, exec, s[40:41]
	v_or_b32_e32 v24, 0x1400, v0
	v_cmp_gt_u32_e64 s[40:41], s50, v24
	v_mov_b32_e32 v23, v1
	s_and_saveexec_b64 s[42:43], s[40:41]
	s_cbranch_execz .LBB529_42
; %bb.41:
	v_lshlrev_b32_e32 v23, 1, v24
	global_load_ushort v23, v23, s[48:49]
.LBB529_42:
	s_or_b64 exec, exec, s[42:43]
	v_or_b32_e32 v25, 0x1500, v0
	v_cmp_gt_u32_e64 s[42:43], s50, v25
	v_mov_b32_e32 v24, v1
	s_and_saveexec_b64 s[44:45], s[42:43]
	s_cbranch_execz .LBB529_44
; %bb.43:
	v_lshlrev_b32_e32 v24, 1, v25
	global_load_ushort v24, v24, s[48:49]
.LBB529_44:
	s_or_b64 exec, exec, s[44:45]
	v_or_b32_e32 v26, 0x1600, v0
	v_cmp_gt_u32_e64 s[44:45], s50, v26
	v_mov_b32_e32 v25, v1
	s_and_saveexec_b64 s[46:47], s[44:45]
	s_cbranch_execz .LBB529_46
; %bb.45:
	v_lshlrev_b32_e32 v25, 1, v26
	global_load_ushort v25, v25, s[48:49]
.LBB529_46:
	s_or_b64 exec, exec, s[46:47]
	v_or_b32_e32 v26, 0x1700, v0
	v_cmp_gt_u32_e64 s[46:47], s50, v26
	s_and_saveexec_b64 s[50:51], s[46:47]
	s_cbranch_execz .LBB529_48
; %bb.47:
	v_lshlrev_b32_e32 v1, 1, v26
	global_load_ushort v1, v1, s[48:49]
.LBB529_48:
	s_or_b64 exec, exec, s[50:51]
	s_waitcnt vmcnt(0)
	ds_write_b16 v14, v2
	ds_write_b16 v14, v3 offset:512
	ds_write_b16 v14, v4 offset:1024
	;; [unrolled: 1-line block ×23, first 2 shown]
	v_mad_u32_u24 v1, v0, 46, v14
	s_waitcnt lgkmcnt(0)
	s_barrier
	ds_read_b128 v[2:5], v1
	ds_read_b128 v[10:13], v1 offset:16
	ds_read_b128 v[6:9], v1 offset:32
	s_movk_i32 s33, 0x1f8
	s_waitcnt lgkmcnt(0)
	v_lshlrev_b32_e32 v49, 16, v2
	v_and_b32_e32 v1, 0xffff0000, v2
	v_max_f32_e32 v24, v1, v1
	v_max_f32_e32 v51, v49, v49
	v_min_f32_e32 v50, v51, v24
	v_cmp_u_f32_e64 s[94:95], v49, v49
	v_cmp_u_f32_e64 s[48:49], v1, v1
	v_max_f32_e32 v52, v51, v24
	v_cndmask_b32_e64 v15, v50, v49, s[94:95]
	v_cndmask_b32_e64 v16, v15, v1, s[48:49]
	;; [unrolled: 1-line block ×4, first 2 shown]
	v_cmp_neq_f32_e64 s[50:51], v16, v15
	v_cmp_class_f32_e64 s[52:53], v16, s33
	s_or_b64 s[50:51], s[50:51], s[52:53]
	v_mov_b32_e32 v17, v49
	s_barrier
	s_and_saveexec_b64 s[52:53], s[50:51]
	s_cbranch_execz .LBB529_50
; %bb.49:
	v_sub_f32_e32 v16, v16, v15
	s_mov_b32 s2, 0x3fb8aa3b
	v_mul_f32_e32 v17, 0x3fb8aa3b, v16
	v_fma_f32 v18, v16, s2, -v17
	v_rndne_f32_e32 v19, v17
	v_fmamk_f32 v18, v16, 0x32a5705f, v18
	v_sub_f32_e32 v17, v17, v19
	v_add_f32_e32 v17, v17, v18
	v_exp_f32_e32 v17, v17
	v_cvt_i32_f32_e32 v18, v19
	s_mov_b32 s2, 0xc2ce8ed0
	v_cmp_ngt_f32_e64 s[50:51], s2, v16
	s_mov_b32 s2, 0x42b17218
	v_ldexp_f32 v17, v17, v18
	v_cndmask_b32_e64 v17, 0, v17, s[50:51]
	v_mov_b32_e32 v18, 0x7f800000
	v_cmp_nlt_f32_e64 s[50:51], s2, v16
	s_mov_b32 s2, 0x3f2aaaab
	s_mov_b32 s3, 0x7f800000
	v_cndmask_b32_e64 v25, v18, v17, s[50:51]
	v_add_f32_e32 v18, 1.0, v25
	v_add_f32_e32 v16, -1.0, v18
	v_sub_f32_e32 v17, v16, v18
	v_add_f32_e32 v17, 1.0, v17
	v_sub_f32_e32 v16, v25, v16
	v_add_f32_e32 v19, v16, v17
	v_frexp_mant_f32_e32 v20, v18
	v_cvt_f64_f32_e32 v[16:17], v18
	v_frexp_exp_i32_f64_e32 v16, v[16:17]
	v_cmp_gt_f32_e64 s[50:51], s2, v20
	s_mov_b32 s2, 0x3f317218
	s_nop 0
	v_subbrev_co_u32_e64 v26, s[50:51], 0, v16, s[50:51]
	v_sub_u32_e32 v16, 0, v26
	v_ldexp_f32 v17, v18, v16
	v_add_f32_e32 v18, -1.0, v17
	v_add_f32_e32 v20, 1.0, v17
	v_ldexp_f32 v16, v19, v16
	v_add_f32_e32 v19, 1.0, v18
	v_add_f32_e32 v21, -1.0, v20
	v_sub_f32_e32 v19, v17, v19
	v_sub_f32_e32 v17, v17, v21
	v_add_f32_e32 v19, v16, v19
	v_add_f32_e32 v16, v16, v17
	;; [unrolled: 1-line block ×3, first 2 shown]
	v_rcp_f32_e32 v29, v27
	v_sub_f32_e32 v17, v20, v27
	v_add_f32_e32 v28, v16, v17
	v_add_f32_e32 v17, v18, v19
	v_mul_f32_e32 v31, v17, v29
	v_sub_f32_e32 v16, v18, v17
	v_mul_f32_e32 v18, v27, v31
	v_fma_f32 v20, v31, v27, -v18
	v_fmac_f32_e32 v20, v31, v28
	v_add_f32_e32 v30, v19, v16
	v_add_f32_e32 v16, v18, v20
	v_sub_f32_e32 v19, v17, v16
	v_pk_add_f32 v[22:23], v[16:17], v[18:19] neg_lo:[0,1] neg_hi:[0,1]
	v_mov_b32_e32 v21, v16
	v_pk_add_f32 v[16:17], v[22:23], v[20:21] neg_lo:[0,1] neg_hi:[0,1]
	v_cmp_eq_f32_e64 s[50:51], s3, v25
	v_add_f32_e32 v17, v30, v17
	v_add_f32_e32 v16, v16, v17
	;; [unrolled: 1-line block ×3, first 2 shown]
	v_mul_f32_e32 v30, v29, v17
	v_mul_f32_e32 v18, v27, v30
	v_fma_f32 v20, v30, v27, -v18
	v_fmac_f32_e32 v20, v30, v28
	v_sub_f32_e32 v19, v19, v17
	v_add_f32_e32 v27, v16, v19
	v_add_f32_e32 v16, v18, v20
	v_sub_f32_e32 v19, v17, v16
	v_pk_add_f32 v[22:23], v[16:17], v[18:19] neg_lo:[0,1] neg_hi:[0,1]
	v_mov_b32_e32 v21, v16
	v_pk_add_f32 v[16:17], v[22:23], v[20:21] neg_lo:[0,1] neg_hi:[0,1]
	v_cvt_f32_i32_e32 v18, v26
	v_add_f32_e32 v17, v27, v17
	v_add_f32_e32 v16, v16, v17
	;; [unrolled: 1-line block ×4, first 2 shown]
	v_sub_f32_e32 v17, v19, v31
	v_mul_f32_e32 v16, v29, v16
	v_sub_f32_e32 v17, v30, v17
	v_add_f32_e32 v16, v17, v16
	v_add_f32_e32 v20, v19, v16
	v_mul_f32_e32 v22, v20, v20
	v_mov_b32_e32 v17, 0x3ecc95a3
	v_sub_f32_e32 v19, v20, v19
	v_fmac_f32_e32 v17, 0x3e9b6dac, v22
	v_sub_f32_e32 v16, v16, v19
	v_fmaak_f32 v17, v22, v17, 0x3f2aaada
	v_ldexp_f32 v23, v16, 1
	v_mul_f32_e32 v19, v20, v22
	v_mov_b32_e32 v16, 0x3f317218
	v_pk_mul_f32 v[16:17], v[18:19], v[16:17]
	v_ldexp_f32 v21, v20, 1
	v_fma_f32 v19, v18, s2, -v16
	v_fmamk_f32 v20, v18, 0xb102e308, v19
	v_pk_add_f32 v[18:19], v[16:17], v[20:21]
	v_mov_b32_e32 v22, v16
	v_sub_f32_e32 v21, v19, v21
	v_sub_f32_e32 v21, v17, v21
	v_add_f32_e32 v23, v23, v21
	v_pk_add_f32 v[16:17], v[18:19], v[16:17] neg_lo:[0,1] neg_hi:[0,1]
	v_pk_add_f32 v[26:27], v[18:19], v[22:23]
	v_mov_b32_e32 v21, v18
	v_mov_b32_e32 v17, v27
	v_pk_add_f32 v[28:29], v[20:21], v[16:17] neg_lo:[0,1] neg_hi:[0,1]
	v_pk_add_f32 v[16:17], v[20:21], v[16:17]
	v_mov_b32_e32 v22, v23
	v_mov_b32_e32 v20, v17
	v_pk_add_f32 v[30:31], v[20:21], v[18:19] neg_lo:[0,1] neg_hi:[0,1]
	v_mov_b32_e32 v16, v27
	v_mov_b32_e32 v21, v30
	v_pk_add_f32 v[32:33], v[26:27], v[20:21] neg_lo:[0,1] neg_hi:[0,1]
	v_mov_b32_e32 v26, v19
	v_mov_b32_e32 v27, v30
	v_mov_b32_e32 v29, v17
	v_pk_add_f32 v[16:17], v[16:17], v[26:27] neg_lo:[0,1] neg_hi:[0,1]
	v_mov_b32_e32 v23, v18
	v_pk_add_f32 v[16:17], v[22:23], v[16:17] neg_lo:[0,1] neg_hi:[0,1]
	v_mov_b32_e32 v32, v28
	v_pk_add_f32 v[18:19], v[32:33], v[16:17]
	s_mov_b32 s2, 0x33800000
	v_mov_b32_e32 v22, v19
	v_pk_add_f32 v[22:23], v[18:19], v[22:23]
	v_cmp_lt_f32_e64 s[54:55], |v25|, s2
	v_pk_add_f32 v[20:21], v[20:21], v[22:23]
	v_mov_b32_e32 v17, v22
	v_mov_b32_e32 v19, v20
	v_pk_add_f32 v[26:27], v[18:19], v[28:29] neg_lo:[0,1] neg_hi:[0,1]
	s_or_b64 s[50:51], s[50:51], s[54:55]
	v_sub_f32_e32 v18, v18, v26
	v_pk_add_f32 v[16:17], v[16:17], v[26:27] neg_lo:[0,1] neg_hi:[0,1]
	v_sub_f32_e32 v18, v28, v18
	v_add_f32_e32 v16, v16, v18
	v_add_f32_e32 v16, v16, v17
	;; [unrolled: 1-line block ×3, first 2 shown]
	v_cndmask_b32_e64 v16, v16, v25, s[50:51]
	v_add_f32_e32 v17, v15, v16
.LBB529_50:
	s_or_b64 exec, exec, s[52:53]
	v_bfe_u32 v15, v17, 16, 1
	s_movk_i32 s56, 0x7fff
	v_add3_u32 v15, v17, v15, s56
	v_and_b32_e32 v15, 0xffff0000, v15
	v_mov_b32_e32 v16, 0x7fc00000
	v_cmp_o_f32_e64 s[50:51], v17, v17
	s_nop 1
	v_cndmask_b32_e64 v19, v16, v15, s[50:51]
	v_lshlrev_b32_e32 v15, 16, v3
	v_max_f32_e32 v18, v19, v19
	v_max_f32_e32 v17, v15, v15
	v_min_f32_e32 v20, v18, v17
	v_cmp_u_f32_e64 s[52:53], v19, v19
	v_max_f32_e32 v18, v18, v17
	v_cmp_u_f32_e64 s[50:51], v15, v15
	v_cndmask_b32_e64 v20, v20, v19, s[52:53]
	v_cndmask_b32_e64 v18, v18, v19, s[52:53]
	;; [unrolled: 1-line block ×4, first 2 shown]
	v_cmp_neq_f32_e64 s[52:53], v20, v18
	v_cmp_class_f32_e64 s[54:55], v20, s33
	s_or_b64 s[52:53], s[52:53], s[54:55]
	s_and_saveexec_b64 s[54:55], s[52:53]
	s_cbranch_execz .LBB529_52
; %bb.51:
	v_sub_f32_e32 v19, v20, v18
	s_mov_b32 s2, 0x3fb8aa3b
	v_mul_f32_e32 v20, 0x3fb8aa3b, v19
	v_fma_f32 v21, v19, s2, -v20
	v_rndne_f32_e32 v22, v20
	v_fmamk_f32 v21, v19, 0x32a5705f, v21
	v_sub_f32_e32 v20, v20, v22
	v_add_f32_e32 v20, v20, v21
	v_exp_f32_e32 v20, v20
	v_cvt_i32_f32_e32 v21, v22
	s_mov_b32 s2, 0xc2ce8ed0
	v_cmp_ngt_f32_e64 s[52:53], s2, v19
	s_mov_b32 s2, 0x42b17218
	v_ldexp_f32 v20, v20, v21
	v_cndmask_b32_e64 v20, 0, v20, s[52:53]
	v_mov_b32_e32 v21, 0x7f800000
	v_cmp_nlt_f32_e64 s[52:53], s2, v19
	s_mov_b32 s2, 0x3f2aaaab
	s_mov_b32 s3, 0x7f800000
	v_cndmask_b32_e64 v25, v21, v20, s[52:53]
	v_add_f32_e32 v19, 1.0, v25
	v_add_f32_e32 v20, -1.0, v19
	v_sub_f32_e32 v21, v20, v19
	v_add_f32_e32 v21, 1.0, v21
	v_sub_f32_e32 v20, v25, v20
	v_add_f32_e32 v22, v20, v21
	v_frexp_mant_f32_e32 v23, v19
	v_cvt_f64_f32_e32 v[20:21], v19
	v_frexp_exp_i32_f64_e32 v20, v[20:21]
	v_cmp_gt_f32_e64 s[52:53], s2, v23
	s_mov_b32 s2, 0x3f317218
	s_nop 0
	v_subbrev_co_u32_e64 v30, s[52:53], 0, v20, s[52:53]
	v_sub_u32_e32 v20, 0, v30
	v_ldexp_f32 v19, v19, v20
	v_ldexp_f32 v20, v22, v20
	v_add_f32_e32 v22, -1.0, v19
	v_add_f32_e32 v21, 1.0, v22
	v_sub_f32_e32 v21, v19, v21
	v_add_f32_e32 v23, v20, v21
	v_add_f32_e32 v21, 1.0, v19
	v_add_f32_e32 v26, -1.0, v21
	v_sub_f32_e32 v19, v19, v26
	v_add_f32_e32 v19, v20, v19
	v_add_f32_e32 v31, v21, v19
	v_rcp_f32_e32 v32, v31
	v_sub_f32_e32 v20, v21, v31
	v_add_f32_e32 v21, v22, v23
	v_add_f32_e32 v19, v19, v20
	v_mul_f32_e32 v34, v21, v32
	v_sub_f32_e32 v20, v22, v21
	v_mul_f32_e32 v22, v31, v34
	v_fma_f32 v26, v34, v31, -v22
	v_fmac_f32_e32 v26, v34, v19
	v_add_f32_e32 v33, v23, v20
	v_add_f32_e32 v20, v22, v26
	v_sub_f32_e32 v23, v21, v20
	v_pk_add_f32 v[28:29], v[20:21], v[22:23] neg_lo:[0,1] neg_hi:[0,1]
	v_mov_b32_e32 v27, v20
	v_pk_add_f32 v[20:21], v[28:29], v[26:27] neg_lo:[0,1] neg_hi:[0,1]
	v_cmp_eq_f32_e64 s[52:53], s3, v25
	v_add_f32_e32 v21, v33, v21
	v_add_f32_e32 v20, v20, v21
	;; [unrolled: 1-line block ×3, first 2 shown]
	v_mul_f32_e32 v33, v32, v21
	v_mul_f32_e32 v22, v31, v33
	v_fma_f32 v26, v33, v31, -v22
	v_fmac_f32_e32 v26, v33, v19
	v_sub_f32_e32 v19, v23, v21
	v_add_f32_e32 v19, v20, v19
	v_add_f32_e32 v20, v22, v26
	v_sub_f32_e32 v23, v21, v20
	v_pk_add_f32 v[28:29], v[20:21], v[22:23] neg_lo:[0,1] neg_hi:[0,1]
	v_mov_b32_e32 v27, v20
	v_pk_add_f32 v[20:21], v[28:29], v[26:27] neg_lo:[0,1] neg_hi:[0,1]
	v_cvt_f32_i32_e32 v22, v30
	v_add_f32_e32 v19, v19, v21
	v_add_f32_e32 v19, v20, v19
	;; [unrolled: 1-line block ×4, first 2 shown]
	v_sub_f32_e32 v21, v20, v34
	v_mul_f32_e32 v19, v32, v19
	v_sub_f32_e32 v21, v33, v21
	v_add_f32_e32 v19, v21, v19
	v_add_f32_e32 v23, v20, v19
	v_mul_f32_e32 v26, v23, v23
	v_mov_b32_e32 v21, 0x3ecc95a3
	v_fmac_f32_e32 v21, 0x3e9b6dac, v26
	v_sub_f32_e32 v20, v23, v20
	v_fmaak_f32 v21, v26, v21, 0x3f2aaada
	v_sub_f32_e32 v19, v19, v20
	v_ldexp_f32 v27, v23, 1
	v_mul_f32_e32 v23, v23, v26
	v_mov_b32_e32 v20, 0x3f317218
	v_pk_mul_f32 v[20:21], v[22:23], v[20:21]
	v_ldexp_f32 v19, v19, 1
	v_fma_f32 v23, v22, s2, -v20
	v_fmamk_f32 v26, v22, 0xb102e308, v23
	v_pk_add_f32 v[22:23], v[20:21], v[26:27]
	v_mov_b32_e32 v28, v20
	v_sub_f32_e32 v27, v23, v27
	v_sub_f32_e32 v27, v21, v27
	v_add_f32_e32 v29, v19, v27
	v_pk_add_f32 v[20:21], v[22:23], v[20:21] neg_lo:[0,1] neg_hi:[0,1]
	v_pk_add_f32 v[30:31], v[22:23], v[28:29]
	v_mov_b32_e32 v27, v22
	v_mov_b32_e32 v21, v31
	v_pk_add_f32 v[32:33], v[26:27], v[20:21] neg_lo:[0,1] neg_hi:[0,1]
	v_pk_add_f32 v[20:21], v[26:27], v[20:21]
	v_mov_b32_e32 v28, v29
	v_mov_b32_e32 v26, v21
	v_pk_add_f32 v[34:35], v[26:27], v[22:23] neg_lo:[0,1] neg_hi:[0,1]
	v_mov_b32_e32 v20, v31
	v_mov_b32_e32 v19, v34
	v_pk_add_f32 v[36:37], v[30:31], v[18:19] neg_lo:[0,1] neg_hi:[0,1]
	v_mov_b32_e32 v30, v23
	v_mov_b32_e32 v31, v34
	;; [unrolled: 1-line block ×3, first 2 shown]
	v_pk_add_f32 v[20:21], v[20:21], v[30:31] neg_lo:[0,1] neg_hi:[0,1]
	v_mov_b32_e32 v29, v22
	v_pk_add_f32 v[20:21], v[28:29], v[20:21] neg_lo:[0,1] neg_hi:[0,1]
	v_mov_b32_e32 v36, v32
	v_pk_add_f32 v[22:23], v[36:37], v[20:21]
	s_mov_b32 s2, 0x33800000
	v_mov_b32_e32 v28, v23
	v_pk_add_f32 v[28:29], v[22:23], v[28:29]
	v_cmp_lt_f32_e64 s[58:59], |v25|, s2
	v_pk_add_f32 v[26:27], v[26:27], v[28:29]
	v_mov_b32_e32 v21, v28
	v_mov_b32_e32 v23, v26
	v_pk_add_f32 v[30:31], v[22:23], v[32:33] neg_lo:[0,1] neg_hi:[0,1]
	s_or_b64 s[52:53], s[52:53], s[58:59]
	v_sub_f32_e32 v19, v22, v30
	v_pk_add_f32 v[20:21], v[20:21], v[30:31] neg_lo:[0,1] neg_hi:[0,1]
	v_sub_f32_e32 v19, v32, v19
	v_add_f32_e32 v19, v20, v19
	v_add_f32_e32 v19, v19, v21
	;; [unrolled: 1-line block ×3, first 2 shown]
	v_cndmask_b32_e64 v19, v19, v25, s[52:53]
	v_add_f32_e32 v19, v18, v19
.LBB529_52:
	s_or_b64 exec, exec, s[54:55]
	v_bfe_u32 v18, v19, 16, 1
	v_add3_u32 v18, v19, v18, s56
	v_and_b32_e32 v18, 0xffff0000, v18
	v_cmp_o_f32_e64 s[52:53], v19, v19
	v_and_b32_e32 v3, 0xffff0000, v3
	s_nop 0
	v_cndmask_b32_e64 v20, v16, v18, s[52:53]
	v_max_f32_e32 v16, v20, v20
	v_max_f32_e32 v18, v3, v3
	v_min_f32_e32 v19, v16, v18
	v_cmp_u_f32_e64 s[54:55], v20, v20
	v_max_f32_e32 v16, v16, v18
	v_cmp_u_f32_e64 s[52:53], v3, v3
	v_cndmask_b32_e64 v19, v19, v20, s[54:55]
	v_cndmask_b32_e64 v16, v16, v20, s[54:55]
	;; [unrolled: 1-line block ×4, first 2 shown]
	v_cmp_neq_f32_e64 s[54:55], v19, v16
	v_cmp_class_f32_e64 s[56:57], v19, s33
	s_or_b64 s[54:55], s[54:55], s[56:57]
	s_and_saveexec_b64 s[56:57], s[54:55]
	s_cbranch_execz .LBB529_54
; %bb.53:
	v_sub_f32_e32 v19, v19, v16
	s_mov_b32 s2, 0x3fb8aa3b
	v_mul_f32_e32 v20, 0x3fb8aa3b, v19
	v_fma_f32 v21, v19, s2, -v20
	v_rndne_f32_e32 v22, v20
	v_fmamk_f32 v21, v19, 0x32a5705f, v21
	v_sub_f32_e32 v20, v20, v22
	v_add_f32_e32 v20, v20, v21
	v_exp_f32_e32 v20, v20
	v_cvt_i32_f32_e32 v21, v22
	s_mov_b32 s2, 0xc2ce8ed0
	v_cmp_ngt_f32_e64 s[54:55], s2, v19
	s_mov_b32 s2, 0x42b17218
	v_ldexp_f32 v20, v20, v21
	v_cndmask_b32_e64 v20, 0, v20, s[54:55]
	v_mov_b32_e32 v21, 0x7f800000
	v_cmp_nlt_f32_e64 s[54:55], s2, v19
	s_mov_b32 s2, 0x3f2aaaab
	s_mov_b32 s3, 0x7f800000
	v_cndmask_b32_e64 v25, v21, v20, s[54:55]
	v_add_f32_e32 v19, 1.0, v25
	v_add_f32_e32 v20, -1.0, v19
	v_sub_f32_e32 v21, v20, v19
	v_add_f32_e32 v21, 1.0, v21
	v_sub_f32_e32 v20, v25, v20
	v_add_f32_e32 v22, v20, v21
	v_frexp_mant_f32_e32 v23, v19
	v_cvt_f64_f32_e32 v[20:21], v19
	v_frexp_exp_i32_f64_e32 v20, v[20:21]
	v_cmp_gt_f32_e64 s[54:55], s2, v23
	s_mov_b32 s2, 0x3f317218
	s_nop 0
	v_subbrev_co_u32_e64 v30, s[54:55], 0, v20, s[54:55]
	v_sub_u32_e32 v20, 0, v30
	v_ldexp_f32 v19, v19, v20
	v_ldexp_f32 v20, v22, v20
	v_add_f32_e32 v22, -1.0, v19
	v_add_f32_e32 v21, 1.0, v22
	v_sub_f32_e32 v21, v19, v21
	v_add_f32_e32 v23, v20, v21
	v_add_f32_e32 v21, 1.0, v19
	v_add_f32_e32 v26, -1.0, v21
	v_sub_f32_e32 v19, v19, v26
	v_add_f32_e32 v19, v20, v19
	v_add_f32_e32 v31, v21, v19
	v_rcp_f32_e32 v32, v31
	v_sub_f32_e32 v20, v21, v31
	v_add_f32_e32 v21, v22, v23
	v_add_f32_e32 v19, v19, v20
	v_mul_f32_e32 v34, v21, v32
	v_sub_f32_e32 v20, v22, v21
	v_mul_f32_e32 v22, v31, v34
	v_fma_f32 v26, v34, v31, -v22
	v_fmac_f32_e32 v26, v34, v19
	v_add_f32_e32 v33, v23, v20
	v_add_f32_e32 v20, v22, v26
	v_sub_f32_e32 v23, v21, v20
	v_pk_add_f32 v[28:29], v[20:21], v[22:23] neg_lo:[0,1] neg_hi:[0,1]
	v_mov_b32_e32 v27, v20
	v_pk_add_f32 v[20:21], v[28:29], v[26:27] neg_lo:[0,1] neg_hi:[0,1]
	v_cmp_eq_f32_e64 s[54:55], s3, v25
	v_add_f32_e32 v21, v33, v21
	v_add_f32_e32 v20, v20, v21
	;; [unrolled: 1-line block ×3, first 2 shown]
	v_mul_f32_e32 v33, v32, v21
	v_mul_f32_e32 v22, v31, v33
	v_fma_f32 v26, v33, v31, -v22
	v_fmac_f32_e32 v26, v33, v19
	v_sub_f32_e32 v19, v23, v21
	v_add_f32_e32 v19, v20, v19
	v_add_f32_e32 v20, v22, v26
	v_sub_f32_e32 v23, v21, v20
	v_pk_add_f32 v[28:29], v[20:21], v[22:23] neg_lo:[0,1] neg_hi:[0,1]
	v_mov_b32_e32 v27, v20
	v_pk_add_f32 v[20:21], v[28:29], v[26:27] neg_lo:[0,1] neg_hi:[0,1]
	v_cvt_f32_i32_e32 v22, v30
	v_add_f32_e32 v19, v19, v21
	v_add_f32_e32 v19, v20, v19
	;; [unrolled: 1-line block ×4, first 2 shown]
	v_sub_f32_e32 v21, v20, v34
	v_mul_f32_e32 v19, v32, v19
	v_sub_f32_e32 v21, v33, v21
	v_add_f32_e32 v19, v21, v19
	v_add_f32_e32 v23, v20, v19
	v_mul_f32_e32 v26, v23, v23
	v_mov_b32_e32 v21, 0x3ecc95a3
	v_fmac_f32_e32 v21, 0x3e9b6dac, v26
	v_sub_f32_e32 v20, v23, v20
	v_fmaak_f32 v21, v26, v21, 0x3f2aaada
	v_sub_f32_e32 v19, v19, v20
	v_ldexp_f32 v27, v23, 1
	v_mul_f32_e32 v23, v23, v26
	v_mov_b32_e32 v20, 0x3f317218
	v_pk_mul_f32 v[20:21], v[22:23], v[20:21]
	v_ldexp_f32 v19, v19, 1
	v_fma_f32 v23, v22, s2, -v20
	v_fmamk_f32 v26, v22, 0xb102e308, v23
	v_pk_add_f32 v[22:23], v[20:21], v[26:27]
	v_mov_b32_e32 v28, v20
	v_sub_f32_e32 v27, v23, v27
	v_sub_f32_e32 v27, v21, v27
	v_add_f32_e32 v29, v19, v27
	v_pk_add_f32 v[20:21], v[22:23], v[20:21] neg_lo:[0,1] neg_hi:[0,1]
	v_pk_add_f32 v[30:31], v[22:23], v[28:29]
	v_mov_b32_e32 v27, v22
	v_mov_b32_e32 v21, v31
	v_pk_add_f32 v[32:33], v[26:27], v[20:21] neg_lo:[0,1] neg_hi:[0,1]
	v_pk_add_f32 v[20:21], v[26:27], v[20:21]
	v_mov_b32_e32 v28, v29
	v_mov_b32_e32 v26, v21
	v_pk_add_f32 v[34:35], v[26:27], v[22:23] neg_lo:[0,1] neg_hi:[0,1]
	v_mov_b32_e32 v20, v31
	v_mov_b32_e32 v19, v34
	v_pk_add_f32 v[36:37], v[30:31], v[18:19] neg_lo:[0,1] neg_hi:[0,1]
	v_mov_b32_e32 v30, v23
	v_mov_b32_e32 v31, v34
	;; [unrolled: 1-line block ×3, first 2 shown]
	v_pk_add_f32 v[20:21], v[20:21], v[30:31] neg_lo:[0,1] neg_hi:[0,1]
	v_mov_b32_e32 v29, v22
	v_pk_add_f32 v[20:21], v[28:29], v[20:21] neg_lo:[0,1] neg_hi:[0,1]
	v_mov_b32_e32 v36, v32
	v_pk_add_f32 v[22:23], v[36:37], v[20:21]
	s_mov_b32 s2, 0x33800000
	v_mov_b32_e32 v28, v23
	v_pk_add_f32 v[28:29], v[22:23], v[28:29]
	v_cmp_lt_f32_e64 s[58:59], |v25|, s2
	v_pk_add_f32 v[26:27], v[26:27], v[28:29]
	v_mov_b32_e32 v21, v28
	v_mov_b32_e32 v23, v26
	v_pk_add_f32 v[30:31], v[22:23], v[32:33] neg_lo:[0,1] neg_hi:[0,1]
	s_or_b64 s[54:55], s[54:55], s[58:59]
	v_sub_f32_e32 v19, v22, v30
	v_pk_add_f32 v[20:21], v[20:21], v[30:31] neg_lo:[0,1] neg_hi:[0,1]
	v_sub_f32_e32 v19, v32, v19
	v_add_f32_e32 v19, v20, v19
	v_add_f32_e32 v19, v19, v21
	;; [unrolled: 1-line block ×3, first 2 shown]
	v_cndmask_b32_e64 v19, v19, v25, s[54:55]
	v_add_f32_e32 v20, v16, v19
.LBB529_54:
	s_or_b64 exec, exec, s[56:57]
	v_bfe_u32 v16, v20, 16, 1
	s_movk_i32 s60, 0x7fff
	v_add3_u32 v16, v20, v16, s60
	v_and_b32_e32 v16, 0xffff0000, v16
	v_mov_b32_e32 v19, 0x7fc00000
	v_cmp_o_f32_e64 s[54:55], v20, v20
	s_nop 1
	v_cndmask_b32_e64 v22, v19, v16, s[54:55]
	v_lshlrev_b32_e32 v16, 16, v4
	v_max_f32_e32 v21, v22, v22
	v_max_f32_e32 v20, v16, v16
	v_min_f32_e32 v23, v21, v20
	v_cmp_u_f32_e64 s[56:57], v22, v22
	v_max_f32_e32 v21, v21, v20
	v_cmp_u_f32_e64 s[54:55], v16, v16
	v_cndmask_b32_e64 v23, v23, v22, s[56:57]
	v_cndmask_b32_e64 v21, v21, v22, s[56:57]
	v_cndmask_b32_e64 v23, v23, v16, s[54:55]
	v_cndmask_b32_e64 v21, v21, v16, s[54:55]
	v_cmp_neq_f32_e64 s[56:57], v23, v21
	v_cmp_class_f32_e64 s[58:59], v23, s33
	s_or_b64 s[56:57], s[56:57], s[58:59]
	s_and_saveexec_b64 s[58:59], s[56:57]
	s_cbranch_execz .LBB529_56
; %bb.55:
	v_sub_f32_e32 v22, v23, v21
	s_mov_b32 s2, 0x3fb8aa3b
	v_mul_f32_e32 v23, 0x3fb8aa3b, v22
	v_fma_f32 v25, v22, s2, -v23
	v_rndne_f32_e32 v26, v23
	v_fmamk_f32 v25, v22, 0x32a5705f, v25
	v_sub_f32_e32 v23, v23, v26
	v_add_f32_e32 v23, v23, v25
	v_exp_f32_e32 v23, v23
	v_cvt_i32_f32_e32 v25, v26
	s_mov_b32 s2, 0xc2ce8ed0
	v_cmp_ngt_f32_e64 s[56:57], s2, v22
	s_mov_b32 s2, 0x42b17218
	v_ldexp_f32 v23, v23, v25
	v_cndmask_b32_e64 v23, 0, v23, s[56:57]
	v_mov_b32_e32 v25, 0x7f800000
	v_cmp_nlt_f32_e64 s[56:57], s2, v22
	s_mov_b32 s2, 0x3f2aaaab
	s_mov_b32 s3, 0x7f800000
	v_cndmask_b32_e64 v40, v25, v23, s[56:57]
	v_add_f32_e32 v25, 1.0, v40
	v_add_f32_e32 v22, -1.0, v25
	v_sub_f32_e32 v23, v22, v25
	v_add_f32_e32 v23, 1.0, v23
	v_sub_f32_e32 v22, v40, v22
	v_add_f32_e32 v26, v22, v23
	v_frexp_mant_f32_e32 v27, v25
	v_cvt_f64_f32_e32 v[22:23], v25
	v_frexp_exp_i32_f64_e32 v22, v[22:23]
	v_cmp_gt_f32_e64 s[56:57], s2, v27
	s_mov_b32 s2, 0x3f317218
	s_nop 0
	v_subbrev_co_u32_e64 v32, s[56:57], 0, v22, s[56:57]
	v_sub_u32_e32 v22, 0, v32
	v_ldexp_f32 v23, v25, v22
	v_add_f32_e32 v25, -1.0, v23
	v_add_f32_e32 v27, 1.0, v23
	v_ldexp_f32 v22, v26, v22
	v_add_f32_e32 v26, 1.0, v25
	v_add_f32_e32 v28, -1.0, v27
	v_sub_f32_e32 v26, v23, v26
	v_sub_f32_e32 v23, v23, v28
	v_add_f32_e32 v26, v22, v26
	v_add_f32_e32 v22, v22, v23
	;; [unrolled: 1-line block ×3, first 2 shown]
	v_rcp_f32_e32 v35, v33
	v_sub_f32_e32 v23, v27, v33
	v_add_f32_e32 v34, v22, v23
	v_add_f32_e32 v23, v25, v26
	v_sub_f32_e32 v22, v25, v23
	v_mul_f32_e32 v36, v23, v35
	v_add_f32_e32 v25, v26, v22
	v_mul_f32_e32 v26, v33, v36
	v_fma_f32 v28, v36, v33, -v26
	v_fmac_f32_e32 v28, v36, v34
	v_add_f32_e32 v22, v26, v28
	v_sub_f32_e32 v27, v23, v22
	v_pk_add_f32 v[30:31], v[22:23], v[26:27] neg_lo:[0,1] neg_hi:[0,1]
	v_mov_b32_e32 v29, v22
	v_pk_add_f32 v[22:23], v[30:31], v[28:29] neg_lo:[0,1] neg_hi:[0,1]
	v_cmp_eq_f32_e64 s[56:57], s3, v40
	v_add_f32_e32 v23, v25, v23
	v_add_f32_e32 v22, v22, v23
	;; [unrolled: 1-line block ×3, first 2 shown]
	v_mul_f32_e32 v25, v35, v23
	v_mul_f32_e32 v26, v33, v25
	v_fma_f32 v28, v25, v33, -v26
	v_fmac_f32_e32 v28, v25, v34
	v_sub_f32_e32 v27, v27, v23
	v_add_f32_e32 v33, v22, v27
	v_add_f32_e32 v22, v26, v28
	v_sub_f32_e32 v27, v23, v22
	v_pk_add_f32 v[30:31], v[22:23], v[26:27] neg_lo:[0,1] neg_hi:[0,1]
	v_mov_b32_e32 v29, v22
	v_pk_add_f32 v[22:23], v[30:31], v[28:29] neg_lo:[0,1] neg_hi:[0,1]
	v_cvt_f32_i32_e32 v26, v32
	v_add_f32_e32 v23, v33, v23
	v_add_f32_e32 v22, v22, v23
	;; [unrolled: 1-line block ×4, first 2 shown]
	v_sub_f32_e32 v23, v27, v36
	v_mul_f32_e32 v22, v35, v22
	v_sub_f32_e32 v23, v25, v23
	v_add_f32_e32 v22, v23, v22
	v_add_f32_e32 v25, v27, v22
	v_mul_f32_e32 v28, v25, v25
	v_mov_b32_e32 v23, 0x3ecc95a3
	v_sub_f32_e32 v27, v25, v27
	v_fmac_f32_e32 v23, 0x3e9b6dac, v28
	v_sub_f32_e32 v22, v22, v27
	v_fmaak_f32 v23, v28, v23, 0x3f2aaada
	v_ldexp_f32 v30, v22, 1
	v_mul_f32_e32 v27, v25, v28
	v_mov_b32_e32 v22, 0x3f317218
	v_pk_mul_f32 v[22:23], v[26:27], v[22:23]
	v_ldexp_f32 v29, v25, 1
	v_fma_f32 v25, v26, s2, -v22
	v_fmamk_f32 v28, v26, 0xb102e308, v25
	v_pk_add_f32 v[26:27], v[22:23], v[28:29]
	s_mov_b32 s2, 0x33800000
	v_sub_f32_e32 v25, v27, v29
	v_sub_f32_e32 v25, v23, v25
	v_add_f32_e32 v31, v30, v25
	v_mov_b32_e32 v30, v22
	v_pk_add_f32 v[22:23], v[26:27], v[22:23] neg_lo:[0,1] neg_hi:[0,1]
	v_pk_add_f32 v[32:33], v[26:27], v[30:31]
	v_mov_b32_e32 v29, v26
	v_mov_b32_e32 v23, v33
	v_pk_add_f32 v[34:35], v[28:29], v[22:23] neg_lo:[0,1] neg_hi:[0,1]
	v_pk_add_f32 v[22:23], v[28:29], v[22:23]
	v_mov_b32_e32 v30, v31
	v_mov_b32_e32 v28, v23
	v_pk_add_f32 v[36:37], v[28:29], v[26:27] neg_lo:[0,1] neg_hi:[0,1]
	v_mov_b32_e32 v22, v33
	v_mov_b32_e32 v25, v36
	v_pk_add_f32 v[38:39], v[32:33], v[24:25] neg_lo:[0,1] neg_hi:[0,1]
	v_mov_b32_e32 v32, v27
	v_mov_b32_e32 v33, v36
	;; [unrolled: 1-line block ×3, first 2 shown]
	v_pk_add_f32 v[22:23], v[22:23], v[32:33] neg_lo:[0,1] neg_hi:[0,1]
	v_mov_b32_e32 v31, v26
	v_pk_add_f32 v[22:23], v[30:31], v[22:23] neg_lo:[0,1] neg_hi:[0,1]
	v_mov_b32_e32 v38, v34
	v_pk_add_f32 v[26:27], v[38:39], v[22:23]
	v_cmp_lt_f32_e64 s[62:63], |v40|, s2
	v_mov_b32_e32 v30, v27
	v_pk_add_f32 v[30:31], v[26:27], v[30:31]
	s_or_b64 s[56:57], s[56:57], s[62:63]
	v_pk_add_f32 v[28:29], v[28:29], v[30:31]
	v_mov_b32_e32 v23, v30
	v_mov_b32_e32 v27, v28
	v_pk_add_f32 v[32:33], v[26:27], v[34:35] neg_lo:[0,1] neg_hi:[0,1]
	s_nop 0
	v_sub_f32_e32 v25, v26, v32
	v_pk_add_f32 v[22:23], v[22:23], v[32:33] neg_lo:[0,1] neg_hi:[0,1]
	v_sub_f32_e32 v25, v34, v25
	v_add_f32_e32 v22, v22, v25
	v_add_f32_e32 v22, v22, v23
	;; [unrolled: 1-line block ×3, first 2 shown]
	v_cndmask_b32_e64 v22, v22, v40, s[56:57]
	v_add_f32_e32 v22, v21, v22
.LBB529_56:
	s_or_b64 exec, exec, s[58:59]
	v_bfe_u32 v21, v22, 16, 1
	v_add3_u32 v21, v22, v21, s60
	v_and_b32_e32 v21, 0xffff0000, v21
	v_cmp_o_f32_e64 s[56:57], v22, v22
	v_and_b32_e32 v4, 0xffff0000, v4
	s_nop 0
	v_cndmask_b32_e64 v23, v19, v21, s[56:57]
	v_max_f32_e32 v19, v23, v23
	v_max_f32_e32 v21, v4, v4
	v_min_f32_e32 v22, v19, v21
	v_cmp_u_f32_e64 s[58:59], v23, v23
	v_max_f32_e32 v19, v19, v21
	v_cmp_u_f32_e64 s[56:57], v4, v4
	v_cndmask_b32_e64 v22, v22, v23, s[58:59]
	v_cndmask_b32_e64 v19, v19, v23, s[58:59]
	;; [unrolled: 1-line block ×4, first 2 shown]
	v_cmp_neq_f32_e64 s[58:59], v22, v19
	v_cmp_class_f32_e64 s[60:61], v22, s33
	s_or_b64 s[58:59], s[58:59], s[60:61]
	s_and_saveexec_b64 s[60:61], s[58:59]
	s_cbranch_execz .LBB529_58
; %bb.57:
	v_sub_f32_e32 v22, v22, v19
	s_mov_b32 s2, 0x3fb8aa3b
	v_mul_f32_e32 v23, 0x3fb8aa3b, v22
	v_fma_f32 v25, v22, s2, -v23
	v_rndne_f32_e32 v26, v23
	v_fmamk_f32 v25, v22, 0x32a5705f, v25
	v_sub_f32_e32 v23, v23, v26
	v_add_f32_e32 v23, v23, v25
	v_exp_f32_e32 v23, v23
	v_cvt_i32_f32_e32 v25, v26
	s_mov_b32 s2, 0xc2ce8ed0
	v_cmp_ngt_f32_e64 s[58:59], s2, v22
	s_mov_b32 s2, 0x42b17218
	v_ldexp_f32 v23, v23, v25
	v_cndmask_b32_e64 v23, 0, v23, s[58:59]
	v_mov_b32_e32 v25, 0x7f800000
	v_cmp_nlt_f32_e64 s[58:59], s2, v22
	s_mov_b32 s2, 0x3f2aaaab
	s_mov_b32 s3, 0x7f800000
	v_cndmask_b32_e64 v40, v25, v23, s[58:59]
	v_add_f32_e32 v25, 1.0, v40
	v_add_f32_e32 v22, -1.0, v25
	v_sub_f32_e32 v23, v22, v25
	v_add_f32_e32 v23, 1.0, v23
	v_sub_f32_e32 v22, v40, v22
	v_add_f32_e32 v26, v22, v23
	v_frexp_mant_f32_e32 v27, v25
	v_cvt_f64_f32_e32 v[22:23], v25
	v_frexp_exp_i32_f64_e32 v22, v[22:23]
	v_cmp_gt_f32_e64 s[58:59], s2, v27
	s_mov_b32 s2, 0x3f317218
	s_nop 0
	v_subbrev_co_u32_e64 v32, s[58:59], 0, v22, s[58:59]
	v_sub_u32_e32 v22, 0, v32
	v_ldexp_f32 v23, v25, v22
	v_add_f32_e32 v25, -1.0, v23
	v_add_f32_e32 v27, 1.0, v23
	v_ldexp_f32 v22, v26, v22
	v_add_f32_e32 v26, 1.0, v25
	v_add_f32_e32 v28, -1.0, v27
	v_sub_f32_e32 v26, v23, v26
	v_sub_f32_e32 v23, v23, v28
	v_add_f32_e32 v26, v22, v26
	v_add_f32_e32 v22, v22, v23
	;; [unrolled: 1-line block ×3, first 2 shown]
	v_rcp_f32_e32 v35, v33
	v_sub_f32_e32 v23, v27, v33
	v_add_f32_e32 v34, v22, v23
	v_add_f32_e32 v23, v25, v26
	v_sub_f32_e32 v22, v25, v23
	v_mul_f32_e32 v36, v23, v35
	v_add_f32_e32 v25, v26, v22
	v_mul_f32_e32 v26, v33, v36
	v_fma_f32 v28, v36, v33, -v26
	v_fmac_f32_e32 v28, v36, v34
	v_add_f32_e32 v22, v26, v28
	v_sub_f32_e32 v27, v23, v22
	v_pk_add_f32 v[30:31], v[22:23], v[26:27] neg_lo:[0,1] neg_hi:[0,1]
	v_mov_b32_e32 v29, v22
	v_pk_add_f32 v[22:23], v[30:31], v[28:29] neg_lo:[0,1] neg_hi:[0,1]
	v_cmp_eq_f32_e64 s[58:59], s3, v40
	v_add_f32_e32 v23, v25, v23
	v_add_f32_e32 v22, v22, v23
	;; [unrolled: 1-line block ×3, first 2 shown]
	v_mul_f32_e32 v25, v35, v23
	v_mul_f32_e32 v26, v33, v25
	v_fma_f32 v28, v25, v33, -v26
	v_fmac_f32_e32 v28, v25, v34
	v_sub_f32_e32 v27, v27, v23
	v_add_f32_e32 v33, v22, v27
	v_add_f32_e32 v22, v26, v28
	v_sub_f32_e32 v27, v23, v22
	v_pk_add_f32 v[30:31], v[22:23], v[26:27] neg_lo:[0,1] neg_hi:[0,1]
	v_mov_b32_e32 v29, v22
	v_pk_add_f32 v[22:23], v[30:31], v[28:29] neg_lo:[0,1] neg_hi:[0,1]
	v_cvt_f32_i32_e32 v26, v32
	v_add_f32_e32 v23, v33, v23
	v_add_f32_e32 v22, v22, v23
	;; [unrolled: 1-line block ×4, first 2 shown]
	v_sub_f32_e32 v23, v27, v36
	v_mul_f32_e32 v22, v35, v22
	v_sub_f32_e32 v23, v25, v23
	v_add_f32_e32 v22, v23, v22
	v_add_f32_e32 v25, v27, v22
	v_mul_f32_e32 v28, v25, v25
	v_mov_b32_e32 v23, 0x3ecc95a3
	v_sub_f32_e32 v27, v25, v27
	v_fmac_f32_e32 v23, 0x3e9b6dac, v28
	v_sub_f32_e32 v22, v22, v27
	v_fmaak_f32 v23, v28, v23, 0x3f2aaada
	v_ldexp_f32 v30, v22, 1
	v_mul_f32_e32 v27, v25, v28
	v_mov_b32_e32 v22, 0x3f317218
	v_pk_mul_f32 v[22:23], v[26:27], v[22:23]
	v_ldexp_f32 v29, v25, 1
	v_fma_f32 v25, v26, s2, -v22
	v_fmamk_f32 v28, v26, 0xb102e308, v25
	v_pk_add_f32 v[26:27], v[22:23], v[28:29]
	s_mov_b32 s2, 0x33800000
	v_sub_f32_e32 v25, v27, v29
	v_sub_f32_e32 v25, v23, v25
	v_add_f32_e32 v31, v30, v25
	v_mov_b32_e32 v30, v22
	v_pk_add_f32 v[22:23], v[26:27], v[22:23] neg_lo:[0,1] neg_hi:[0,1]
	v_pk_add_f32 v[32:33], v[26:27], v[30:31]
	v_mov_b32_e32 v29, v26
	v_mov_b32_e32 v23, v33
	v_pk_add_f32 v[34:35], v[28:29], v[22:23] neg_lo:[0,1] neg_hi:[0,1]
	v_pk_add_f32 v[22:23], v[28:29], v[22:23]
	v_mov_b32_e32 v30, v31
	v_mov_b32_e32 v28, v23
	v_pk_add_f32 v[36:37], v[28:29], v[26:27] neg_lo:[0,1] neg_hi:[0,1]
	v_mov_b32_e32 v22, v33
	v_mov_b32_e32 v25, v36
	v_pk_add_f32 v[38:39], v[32:33], v[24:25] neg_lo:[0,1] neg_hi:[0,1]
	v_mov_b32_e32 v32, v27
	v_mov_b32_e32 v33, v36
	;; [unrolled: 1-line block ×3, first 2 shown]
	v_pk_add_f32 v[22:23], v[22:23], v[32:33] neg_lo:[0,1] neg_hi:[0,1]
	v_mov_b32_e32 v31, v26
	v_pk_add_f32 v[22:23], v[30:31], v[22:23] neg_lo:[0,1] neg_hi:[0,1]
	v_mov_b32_e32 v38, v34
	v_pk_add_f32 v[26:27], v[38:39], v[22:23]
	v_cmp_lt_f32_e64 s[62:63], |v40|, s2
	v_mov_b32_e32 v30, v27
	v_pk_add_f32 v[30:31], v[26:27], v[30:31]
	s_or_b64 s[58:59], s[58:59], s[62:63]
	v_pk_add_f32 v[28:29], v[28:29], v[30:31]
	v_mov_b32_e32 v23, v30
	v_mov_b32_e32 v27, v28
	v_pk_add_f32 v[32:33], v[26:27], v[34:35] neg_lo:[0,1] neg_hi:[0,1]
	s_nop 0
	v_sub_f32_e32 v25, v26, v32
	v_pk_add_f32 v[22:23], v[22:23], v[32:33] neg_lo:[0,1] neg_hi:[0,1]
	v_sub_f32_e32 v25, v34, v25
	v_add_f32_e32 v22, v22, v25
	v_add_f32_e32 v22, v22, v23
	;; [unrolled: 1-line block ×3, first 2 shown]
	v_cndmask_b32_e64 v22, v22, v40, s[58:59]
	v_add_f32_e32 v23, v19, v22
.LBB529_58:
	s_or_b64 exec, exec, s[60:61]
	v_bfe_u32 v19, v23, 16, 1
	s_movk_i32 s64, 0x7fff
	v_add3_u32 v19, v23, v19, s64
	v_and_b32_e32 v19, 0xffff0000, v19
	v_mov_b32_e32 v22, 0x7fc00000
	v_cmp_o_f32_e64 s[58:59], v23, v23
	s_nop 1
	v_cndmask_b32_e64 v26, v22, v19, s[58:59]
	v_lshlrev_b32_e32 v19, 16, v5
	v_max_f32_e32 v25, v26, v26
	v_max_f32_e32 v23, v19, v19
	v_min_f32_e32 v27, v25, v23
	v_cmp_u_f32_e64 s[60:61], v26, v26
	v_max_f32_e32 v25, v25, v23
	v_cmp_u_f32_e64 s[58:59], v19, v19
	v_cndmask_b32_e64 v27, v27, v26, s[60:61]
	v_cndmask_b32_e64 v25, v25, v26, s[60:61]
	;; [unrolled: 1-line block ×4, first 2 shown]
	v_cmp_neq_f32_e64 s[60:61], v27, v25
	v_cmp_class_f32_e64 s[62:63], v27, s33
	s_or_b64 s[60:61], s[60:61], s[62:63]
	s_and_saveexec_b64 s[62:63], s[60:61]
	s_cbranch_execz .LBB529_60
; %bb.59:
	v_sub_f32_e32 v26, v27, v25
	s_mov_b32 s2, 0x3fb8aa3b
	v_mul_f32_e32 v27, 0x3fb8aa3b, v26
	v_fma_f32 v28, v26, s2, -v27
	v_rndne_f32_e32 v29, v27
	v_fmamk_f32 v28, v26, 0x32a5705f, v28
	v_sub_f32_e32 v27, v27, v29
	v_add_f32_e32 v27, v27, v28
	v_exp_f32_e32 v27, v27
	v_cvt_i32_f32_e32 v28, v29
	s_mov_b32 s2, 0xc2ce8ed0
	v_cmp_ngt_f32_e64 s[60:61], s2, v26
	s_mov_b32 s2, 0x42b17218
	v_ldexp_f32 v27, v27, v28
	v_cndmask_b32_e64 v27, 0, v27, s[60:61]
	v_mov_b32_e32 v28, 0x7f800000
	v_cmp_nlt_f32_e64 s[60:61], s2, v26
	s_mov_b32 s2, 0x3f2aaaab
	s_mov_b32 s3, 0x7f800000
	v_cndmask_b32_e64 v42, v28, v27, s[60:61]
	v_add_f32_e32 v28, 1.0, v42
	v_add_f32_e32 v26, -1.0, v28
	v_sub_f32_e32 v27, v26, v28
	v_add_f32_e32 v27, 1.0, v27
	v_sub_f32_e32 v26, v42, v26
	v_add_f32_e32 v29, v26, v27
	v_frexp_mant_f32_e32 v30, v28
	v_cvt_f64_f32_e32 v[26:27], v28
	v_frexp_exp_i32_f64_e32 v26, v[26:27]
	v_cmp_gt_f32_e64 s[60:61], s2, v30
	s_mov_b32 s2, 0x3f317218
	s_nop 0
	v_subbrev_co_u32_e64 v34, s[60:61], 0, v26, s[60:61]
	v_sub_u32_e32 v26, 0, v34
	v_ldexp_f32 v27, v28, v26
	v_add_f32_e32 v28, -1.0, v27
	v_add_f32_e32 v30, 1.0, v27
	v_ldexp_f32 v26, v29, v26
	v_add_f32_e32 v29, 1.0, v28
	v_add_f32_e32 v31, -1.0, v30
	v_sub_f32_e32 v29, v27, v29
	v_sub_f32_e32 v27, v27, v31
	v_add_f32_e32 v29, v26, v29
	v_add_f32_e32 v26, v26, v27
	;; [unrolled: 1-line block ×3, first 2 shown]
	v_rcp_f32_e32 v37, v35
	v_sub_f32_e32 v27, v30, v35
	v_add_f32_e32 v36, v26, v27
	v_add_f32_e32 v27, v28, v29
	v_mul_f32_e32 v39, v27, v37
	v_sub_f32_e32 v26, v28, v27
	v_mul_f32_e32 v28, v35, v39
	v_fma_f32 v30, v39, v35, -v28
	v_fmac_f32_e32 v30, v39, v36
	v_add_f32_e32 v38, v29, v26
	v_add_f32_e32 v26, v28, v30
	v_sub_f32_e32 v29, v27, v26
	v_pk_add_f32 v[32:33], v[26:27], v[28:29] neg_lo:[0,1] neg_hi:[0,1]
	v_mov_b32_e32 v31, v26
	v_pk_add_f32 v[26:27], v[32:33], v[30:31] neg_lo:[0,1] neg_hi:[0,1]
	v_cmp_eq_f32_e64 s[60:61], s3, v42
	v_add_f32_e32 v27, v38, v27
	v_add_f32_e32 v26, v26, v27
	;; [unrolled: 1-line block ×3, first 2 shown]
	v_mul_f32_e32 v38, v37, v27
	v_mul_f32_e32 v28, v35, v38
	v_fma_f32 v30, v38, v35, -v28
	v_fmac_f32_e32 v30, v38, v36
	v_sub_f32_e32 v29, v29, v27
	v_add_f32_e32 v35, v26, v29
	v_add_f32_e32 v26, v28, v30
	v_sub_f32_e32 v29, v27, v26
	v_pk_add_f32 v[32:33], v[26:27], v[28:29] neg_lo:[0,1] neg_hi:[0,1]
	v_mov_b32_e32 v31, v26
	v_pk_add_f32 v[26:27], v[32:33], v[30:31] neg_lo:[0,1] neg_hi:[0,1]
	v_cvt_f32_i32_e32 v28, v34
	v_add_f32_e32 v27, v35, v27
	v_add_f32_e32 v26, v26, v27
	;; [unrolled: 1-line block ×4, first 2 shown]
	v_sub_f32_e32 v27, v29, v39
	v_mul_f32_e32 v26, v37, v26
	v_sub_f32_e32 v27, v38, v27
	v_add_f32_e32 v26, v27, v26
	v_add_f32_e32 v30, v29, v26
	v_mul_f32_e32 v32, v30, v30
	v_mov_b32_e32 v27, 0x3ecc95a3
	v_sub_f32_e32 v29, v30, v29
	v_fmac_f32_e32 v27, 0x3e9b6dac, v32
	v_sub_f32_e32 v26, v26, v29
	v_fmaak_f32 v27, v32, v27, 0x3f2aaada
	v_ldexp_f32 v33, v26, 1
	v_mul_f32_e32 v29, v30, v32
	v_mov_b32_e32 v26, 0x3f317218
	v_pk_mul_f32 v[26:27], v[28:29], v[26:27]
	v_ldexp_f32 v31, v30, 1
	v_fma_f32 v29, v28, s2, -v26
	v_fmamk_f32 v30, v28, 0xb102e308, v29
	v_pk_add_f32 v[28:29], v[26:27], v[30:31]
	v_mov_b32_e32 v32, v26
	v_sub_f32_e32 v31, v29, v31
	v_sub_f32_e32 v31, v27, v31
	v_add_f32_e32 v33, v33, v31
	v_pk_add_f32 v[26:27], v[28:29], v[26:27] neg_lo:[0,1] neg_hi:[0,1]
	v_pk_add_f32 v[34:35], v[28:29], v[32:33]
	v_mov_b32_e32 v31, v28
	v_mov_b32_e32 v27, v35
	v_pk_add_f32 v[36:37], v[30:31], v[26:27] neg_lo:[0,1] neg_hi:[0,1]
	v_pk_add_f32 v[26:27], v[30:31], v[26:27]
	v_mov_b32_e32 v32, v33
	v_mov_b32_e32 v30, v27
	v_pk_add_f32 v[38:39], v[30:31], v[28:29] neg_lo:[0,1] neg_hi:[0,1]
	v_mov_b32_e32 v26, v35
	v_mov_b32_e32 v31, v38
	v_pk_add_f32 v[40:41], v[34:35], v[30:31] neg_lo:[0,1] neg_hi:[0,1]
	v_mov_b32_e32 v34, v29
	v_mov_b32_e32 v35, v38
	;; [unrolled: 1-line block ×3, first 2 shown]
	v_pk_add_f32 v[26:27], v[26:27], v[34:35] neg_lo:[0,1] neg_hi:[0,1]
	v_mov_b32_e32 v33, v28
	v_pk_add_f32 v[26:27], v[32:33], v[26:27] neg_lo:[0,1] neg_hi:[0,1]
	v_mov_b32_e32 v40, v36
	v_pk_add_f32 v[28:29], v[40:41], v[26:27]
	s_mov_b32 s2, 0x33800000
	v_mov_b32_e32 v32, v29
	v_pk_add_f32 v[32:33], v[28:29], v[32:33]
	v_cmp_lt_f32_e64 s[66:67], |v42|, s2
	v_pk_add_f32 v[30:31], v[30:31], v[32:33]
	v_mov_b32_e32 v27, v32
	v_mov_b32_e32 v29, v30
	v_pk_add_f32 v[34:35], v[28:29], v[36:37] neg_lo:[0,1] neg_hi:[0,1]
	s_or_b64 s[60:61], s[60:61], s[66:67]
	v_sub_f32_e32 v28, v28, v34
	v_pk_add_f32 v[26:27], v[26:27], v[34:35] neg_lo:[0,1] neg_hi:[0,1]
	v_sub_f32_e32 v28, v36, v28
	v_add_f32_e32 v26, v26, v28
	v_add_f32_e32 v26, v26, v27
	;; [unrolled: 1-line block ×3, first 2 shown]
	v_cndmask_b32_e64 v26, v26, v42, s[60:61]
	v_add_f32_e32 v26, v25, v26
.LBB529_60:
	s_or_b64 exec, exec, s[62:63]
	v_bfe_u32 v25, v26, 16, 1
	v_add3_u32 v25, v26, v25, s64
	v_and_b32_e32 v25, 0xffff0000, v25
	v_cmp_o_f32_e64 s[60:61], v26, v26
	v_and_b32_e32 v5, 0xffff0000, v5
	s_nop 0
	v_cndmask_b32_e64 v27, v22, v25, s[60:61]
	v_max_f32_e32 v22, v27, v27
	v_max_f32_e32 v25, v5, v5
	v_min_f32_e32 v26, v22, v25
	v_cmp_u_f32_e64 s[62:63], v27, v27
	v_max_f32_e32 v22, v22, v25
	v_cmp_u_f32_e64 s[60:61], v5, v5
	v_cndmask_b32_e64 v26, v26, v27, s[62:63]
	v_cndmask_b32_e64 v22, v22, v27, s[62:63]
	v_cndmask_b32_e64 v26, v26, v5, s[60:61]
	v_cndmask_b32_e64 v22, v22, v5, s[60:61]
	v_cmp_neq_f32_e64 s[62:63], v26, v22
	v_cmp_class_f32_e64 s[64:65], v26, s33
	s_or_b64 s[62:63], s[62:63], s[64:65]
	s_and_saveexec_b64 s[64:65], s[62:63]
	s_cbranch_execz .LBB529_62
; %bb.61:
	v_sub_f32_e32 v26, v26, v22
	s_mov_b32 s2, 0x3fb8aa3b
	v_mul_f32_e32 v27, 0x3fb8aa3b, v26
	v_fma_f32 v28, v26, s2, -v27
	v_rndne_f32_e32 v29, v27
	v_fmamk_f32 v28, v26, 0x32a5705f, v28
	v_sub_f32_e32 v27, v27, v29
	v_add_f32_e32 v27, v27, v28
	v_exp_f32_e32 v27, v27
	v_cvt_i32_f32_e32 v28, v29
	s_mov_b32 s2, 0xc2ce8ed0
	v_cmp_ngt_f32_e64 s[62:63], s2, v26
	s_mov_b32 s2, 0x42b17218
	v_ldexp_f32 v27, v27, v28
	v_cndmask_b32_e64 v27, 0, v27, s[62:63]
	v_mov_b32_e32 v28, 0x7f800000
	v_cmp_nlt_f32_e64 s[62:63], s2, v26
	s_mov_b32 s2, 0x3f2aaaab
	s_mov_b32 s3, 0x7f800000
	v_cndmask_b32_e64 v42, v28, v27, s[62:63]
	v_add_f32_e32 v28, 1.0, v42
	v_add_f32_e32 v26, -1.0, v28
	v_sub_f32_e32 v27, v26, v28
	v_add_f32_e32 v27, 1.0, v27
	v_sub_f32_e32 v26, v42, v26
	v_add_f32_e32 v29, v26, v27
	v_frexp_mant_f32_e32 v30, v28
	v_cvt_f64_f32_e32 v[26:27], v28
	v_frexp_exp_i32_f64_e32 v26, v[26:27]
	v_cmp_gt_f32_e64 s[62:63], s2, v30
	s_mov_b32 s2, 0x3f317218
	s_nop 0
	v_subbrev_co_u32_e64 v34, s[62:63], 0, v26, s[62:63]
	v_sub_u32_e32 v26, 0, v34
	v_ldexp_f32 v27, v28, v26
	v_add_f32_e32 v28, -1.0, v27
	v_add_f32_e32 v30, 1.0, v27
	v_ldexp_f32 v26, v29, v26
	v_add_f32_e32 v29, 1.0, v28
	v_add_f32_e32 v31, -1.0, v30
	v_sub_f32_e32 v29, v27, v29
	v_sub_f32_e32 v27, v27, v31
	v_add_f32_e32 v29, v26, v29
	v_add_f32_e32 v26, v26, v27
	;; [unrolled: 1-line block ×3, first 2 shown]
	v_rcp_f32_e32 v37, v35
	v_sub_f32_e32 v27, v30, v35
	v_add_f32_e32 v36, v26, v27
	v_add_f32_e32 v27, v28, v29
	v_mul_f32_e32 v39, v27, v37
	v_sub_f32_e32 v26, v28, v27
	v_mul_f32_e32 v28, v35, v39
	v_fma_f32 v30, v39, v35, -v28
	v_fmac_f32_e32 v30, v39, v36
	v_add_f32_e32 v38, v29, v26
	v_add_f32_e32 v26, v28, v30
	v_sub_f32_e32 v29, v27, v26
	v_pk_add_f32 v[32:33], v[26:27], v[28:29] neg_lo:[0,1] neg_hi:[0,1]
	v_mov_b32_e32 v31, v26
	v_pk_add_f32 v[26:27], v[32:33], v[30:31] neg_lo:[0,1] neg_hi:[0,1]
	v_cmp_eq_f32_e64 s[62:63], s3, v42
	v_add_f32_e32 v27, v38, v27
	v_add_f32_e32 v26, v26, v27
	;; [unrolled: 1-line block ×3, first 2 shown]
	v_mul_f32_e32 v38, v37, v27
	v_mul_f32_e32 v28, v35, v38
	v_fma_f32 v30, v38, v35, -v28
	v_fmac_f32_e32 v30, v38, v36
	v_sub_f32_e32 v29, v29, v27
	v_add_f32_e32 v35, v26, v29
	v_add_f32_e32 v26, v28, v30
	v_sub_f32_e32 v29, v27, v26
	v_pk_add_f32 v[32:33], v[26:27], v[28:29] neg_lo:[0,1] neg_hi:[0,1]
	v_mov_b32_e32 v31, v26
	v_pk_add_f32 v[26:27], v[32:33], v[30:31] neg_lo:[0,1] neg_hi:[0,1]
	v_cvt_f32_i32_e32 v28, v34
	v_add_f32_e32 v27, v35, v27
	v_add_f32_e32 v26, v26, v27
	;; [unrolled: 1-line block ×4, first 2 shown]
	v_sub_f32_e32 v27, v29, v39
	v_mul_f32_e32 v26, v37, v26
	v_sub_f32_e32 v27, v38, v27
	v_add_f32_e32 v26, v27, v26
	v_add_f32_e32 v30, v29, v26
	v_mul_f32_e32 v32, v30, v30
	v_mov_b32_e32 v27, 0x3ecc95a3
	v_sub_f32_e32 v29, v30, v29
	v_fmac_f32_e32 v27, 0x3e9b6dac, v32
	v_sub_f32_e32 v26, v26, v29
	v_fmaak_f32 v27, v32, v27, 0x3f2aaada
	v_ldexp_f32 v33, v26, 1
	v_mul_f32_e32 v29, v30, v32
	v_mov_b32_e32 v26, 0x3f317218
	v_pk_mul_f32 v[26:27], v[28:29], v[26:27]
	v_ldexp_f32 v31, v30, 1
	v_fma_f32 v29, v28, s2, -v26
	v_fmamk_f32 v30, v28, 0xb102e308, v29
	v_pk_add_f32 v[28:29], v[26:27], v[30:31]
	v_mov_b32_e32 v32, v26
	v_sub_f32_e32 v31, v29, v31
	v_sub_f32_e32 v31, v27, v31
	v_add_f32_e32 v33, v33, v31
	v_pk_add_f32 v[26:27], v[28:29], v[26:27] neg_lo:[0,1] neg_hi:[0,1]
	v_pk_add_f32 v[34:35], v[28:29], v[32:33]
	v_mov_b32_e32 v31, v28
	v_mov_b32_e32 v27, v35
	v_pk_add_f32 v[36:37], v[30:31], v[26:27] neg_lo:[0,1] neg_hi:[0,1]
	v_pk_add_f32 v[26:27], v[30:31], v[26:27]
	v_mov_b32_e32 v32, v33
	v_mov_b32_e32 v30, v27
	v_pk_add_f32 v[38:39], v[30:31], v[28:29] neg_lo:[0,1] neg_hi:[0,1]
	v_mov_b32_e32 v26, v35
	v_mov_b32_e32 v31, v38
	v_pk_add_f32 v[40:41], v[34:35], v[30:31] neg_lo:[0,1] neg_hi:[0,1]
	v_mov_b32_e32 v34, v29
	v_mov_b32_e32 v35, v38
	;; [unrolled: 1-line block ×3, first 2 shown]
	v_pk_add_f32 v[26:27], v[26:27], v[34:35] neg_lo:[0,1] neg_hi:[0,1]
	v_mov_b32_e32 v33, v28
	v_pk_add_f32 v[26:27], v[32:33], v[26:27] neg_lo:[0,1] neg_hi:[0,1]
	v_mov_b32_e32 v40, v36
	v_pk_add_f32 v[28:29], v[40:41], v[26:27]
	s_mov_b32 s2, 0x33800000
	v_mov_b32_e32 v32, v29
	v_pk_add_f32 v[32:33], v[28:29], v[32:33]
	v_cmp_lt_f32_e64 s[66:67], |v42|, s2
	v_pk_add_f32 v[30:31], v[30:31], v[32:33]
	v_mov_b32_e32 v27, v32
	v_mov_b32_e32 v29, v30
	v_pk_add_f32 v[34:35], v[28:29], v[36:37] neg_lo:[0,1] neg_hi:[0,1]
	s_or_b64 s[62:63], s[62:63], s[66:67]
	v_sub_f32_e32 v28, v28, v34
	v_pk_add_f32 v[26:27], v[26:27], v[34:35] neg_lo:[0,1] neg_hi:[0,1]
	v_sub_f32_e32 v28, v36, v28
	v_add_f32_e32 v26, v26, v28
	v_add_f32_e32 v26, v26, v27
	;; [unrolled: 1-line block ×3, first 2 shown]
	v_cndmask_b32_e64 v26, v26, v42, s[62:63]
	v_add_f32_e32 v27, v22, v26
.LBB529_62:
	s_or_b64 exec, exec, s[64:65]
	v_bfe_u32 v22, v27, 16, 1
	s_movk_i32 s68, 0x7fff
	v_add3_u32 v22, v27, v22, s68
	v_and_b32_e32 v22, 0xffff0000, v22
	v_mov_b32_e32 v26, 0x7fc00000
	v_cmp_o_f32_e64 s[62:63], v27, v27
	s_nop 1
	v_cndmask_b32_e64 v29, v26, v22, s[62:63]
	v_lshlrev_b32_e32 v22, 16, v10
	v_max_f32_e32 v28, v29, v29
	v_max_f32_e32 v27, v22, v22
	v_min_f32_e32 v30, v28, v27
	v_cmp_u_f32_e64 s[64:65], v29, v29
	v_max_f32_e32 v28, v28, v27
	v_cmp_u_f32_e64 s[62:63], v22, v22
	v_cndmask_b32_e64 v30, v30, v29, s[64:65]
	v_cndmask_b32_e64 v28, v28, v29, s[64:65]
	;; [unrolled: 1-line block ×4, first 2 shown]
	v_cmp_neq_f32_e64 s[64:65], v30, v28
	v_cmp_class_f32_e64 s[66:67], v30, s33
	s_or_b64 s[64:65], s[64:65], s[66:67]
	s_and_saveexec_b64 s[66:67], s[64:65]
	s_cbranch_execz .LBB529_64
; %bb.63:
	v_sub_f32_e32 v29, v30, v28
	s_mov_b32 s2, 0x3fb8aa3b
	v_mul_f32_e32 v30, 0x3fb8aa3b, v29
	v_fma_f32 v31, v29, s2, -v30
	v_rndne_f32_e32 v32, v30
	v_fmamk_f32 v31, v29, 0x32a5705f, v31
	v_sub_f32_e32 v30, v30, v32
	v_add_f32_e32 v30, v30, v31
	v_exp_f32_e32 v30, v30
	v_cvt_i32_f32_e32 v31, v32
	s_mov_b32 s2, 0xc2ce8ed0
	v_cmp_ngt_f32_e64 s[64:65], s2, v29
	s_mov_b32 s2, 0x42b17218
	v_ldexp_f32 v30, v30, v31
	v_cndmask_b32_e64 v30, 0, v30, s[64:65]
	v_mov_b32_e32 v31, 0x7f800000
	v_cmp_nlt_f32_e64 s[64:65], s2, v29
	s_mov_b32 s2, 0x3f2aaaab
	s_mov_b32 s3, 0x7f800000
	v_cndmask_b32_e64 v46, v31, v30, s[64:65]
	v_add_f32_e32 v29, 1.0, v46
	v_add_f32_e32 v30, -1.0, v29
	v_sub_f32_e32 v31, v30, v29
	v_add_f32_e32 v31, 1.0, v31
	v_sub_f32_e32 v30, v46, v30
	v_add_f32_e32 v32, v30, v31
	v_frexp_mant_f32_e32 v33, v29
	v_cvt_f64_f32_e32 v[30:31], v29
	v_frexp_exp_i32_f64_e32 v30, v[30:31]
	v_cmp_gt_f32_e64 s[64:65], s2, v33
	s_mov_b32 s2, 0x3f317218
	s_nop 0
	v_subbrev_co_u32_e64 v38, s[64:65], 0, v30, s[64:65]
	v_sub_u32_e32 v30, 0, v38
	v_ldexp_f32 v29, v29, v30
	v_ldexp_f32 v30, v32, v30
	v_add_f32_e32 v32, -1.0, v29
	v_add_f32_e32 v31, 1.0, v32
	v_sub_f32_e32 v31, v29, v31
	v_add_f32_e32 v33, v30, v31
	v_add_f32_e32 v31, 1.0, v29
	v_add_f32_e32 v34, -1.0, v31
	v_sub_f32_e32 v29, v29, v34
	v_add_f32_e32 v29, v30, v29
	v_add_f32_e32 v39, v31, v29
	v_rcp_f32_e32 v40, v39
	v_sub_f32_e32 v30, v31, v39
	v_add_f32_e32 v31, v32, v33
	v_add_f32_e32 v29, v29, v30
	v_mul_f32_e32 v42, v31, v40
	v_sub_f32_e32 v30, v32, v31
	v_mul_f32_e32 v32, v39, v42
	v_fma_f32 v34, v42, v39, -v32
	v_fmac_f32_e32 v34, v42, v29
	v_add_f32_e32 v41, v33, v30
	v_add_f32_e32 v30, v32, v34
	v_sub_f32_e32 v33, v31, v30
	v_pk_add_f32 v[36:37], v[30:31], v[32:33] neg_lo:[0,1] neg_hi:[0,1]
	v_mov_b32_e32 v35, v30
	v_pk_add_f32 v[30:31], v[36:37], v[34:35] neg_lo:[0,1] neg_hi:[0,1]
	v_cmp_eq_f32_e64 s[64:65], s3, v46
	v_add_f32_e32 v31, v41, v31
	v_add_f32_e32 v30, v30, v31
	;; [unrolled: 1-line block ×3, first 2 shown]
	v_mul_f32_e32 v41, v40, v31
	v_mul_f32_e32 v32, v39, v41
	v_fma_f32 v34, v41, v39, -v32
	v_fmac_f32_e32 v34, v41, v29
	v_sub_f32_e32 v29, v33, v31
	v_add_f32_e32 v29, v30, v29
	v_add_f32_e32 v30, v32, v34
	v_sub_f32_e32 v33, v31, v30
	v_pk_add_f32 v[36:37], v[30:31], v[32:33] neg_lo:[0,1] neg_hi:[0,1]
	v_mov_b32_e32 v35, v30
	v_pk_add_f32 v[30:31], v[36:37], v[34:35] neg_lo:[0,1] neg_hi:[0,1]
	v_cvt_f32_i32_e32 v32, v38
	v_add_f32_e32 v29, v29, v31
	v_add_f32_e32 v29, v30, v29
	;; [unrolled: 1-line block ×4, first 2 shown]
	v_sub_f32_e32 v31, v30, v42
	v_mul_f32_e32 v29, v40, v29
	v_sub_f32_e32 v31, v41, v31
	v_add_f32_e32 v29, v31, v29
	v_add_f32_e32 v33, v30, v29
	v_mul_f32_e32 v34, v33, v33
	v_mov_b32_e32 v31, 0x3ecc95a3
	v_fmac_f32_e32 v31, 0x3e9b6dac, v34
	v_sub_f32_e32 v30, v33, v30
	v_fmaak_f32 v31, v34, v31, 0x3f2aaada
	v_sub_f32_e32 v29, v29, v30
	v_ldexp_f32 v35, v33, 1
	v_mul_f32_e32 v33, v33, v34
	v_mov_b32_e32 v30, 0x3f317218
	v_pk_mul_f32 v[30:31], v[32:33], v[30:31]
	v_ldexp_f32 v29, v29, 1
	v_fma_f32 v33, v32, s2, -v30
	v_fmamk_f32 v34, v32, 0xb102e308, v33
	v_pk_add_f32 v[32:33], v[30:31], v[34:35]
	v_mov_b32_e32 v36, v30
	v_sub_f32_e32 v35, v33, v35
	v_sub_f32_e32 v35, v31, v35
	v_add_f32_e32 v37, v29, v35
	v_pk_add_f32 v[30:31], v[32:33], v[30:31] neg_lo:[0,1] neg_hi:[0,1]
	v_pk_add_f32 v[38:39], v[32:33], v[36:37]
	v_mov_b32_e32 v35, v32
	v_mov_b32_e32 v31, v39
	v_pk_add_f32 v[40:41], v[34:35], v[30:31] neg_lo:[0,1] neg_hi:[0,1]
	v_pk_add_f32 v[30:31], v[34:35], v[30:31]
	v_mov_b32_e32 v36, v37
	v_mov_b32_e32 v34, v31
	v_pk_add_f32 v[42:43], v[34:35], v[32:33] neg_lo:[0,1] neg_hi:[0,1]
	v_mov_b32_e32 v30, v39
	v_mov_b32_e32 v29, v42
	v_pk_add_f32 v[44:45], v[38:39], v[28:29] neg_lo:[0,1] neg_hi:[0,1]
	v_mov_b32_e32 v38, v33
	v_mov_b32_e32 v39, v42
	;; [unrolled: 1-line block ×3, first 2 shown]
	v_pk_add_f32 v[30:31], v[30:31], v[38:39] neg_lo:[0,1] neg_hi:[0,1]
	v_mov_b32_e32 v37, v32
	v_pk_add_f32 v[30:31], v[36:37], v[30:31] neg_lo:[0,1] neg_hi:[0,1]
	v_mov_b32_e32 v44, v40
	v_pk_add_f32 v[32:33], v[44:45], v[30:31]
	s_mov_b32 s2, 0x33800000
	v_mov_b32_e32 v36, v33
	v_pk_add_f32 v[36:37], v[32:33], v[36:37]
	v_cmp_lt_f32_e64 s[70:71], |v46|, s2
	v_pk_add_f32 v[34:35], v[34:35], v[36:37]
	v_mov_b32_e32 v31, v36
	v_mov_b32_e32 v33, v34
	v_pk_add_f32 v[38:39], v[32:33], v[40:41] neg_lo:[0,1] neg_hi:[0,1]
	s_or_b64 s[64:65], s[64:65], s[70:71]
	v_sub_f32_e32 v29, v32, v38
	v_pk_add_f32 v[30:31], v[30:31], v[38:39] neg_lo:[0,1] neg_hi:[0,1]
	v_sub_f32_e32 v29, v40, v29
	v_add_f32_e32 v29, v30, v29
	v_add_f32_e32 v29, v29, v31
	;; [unrolled: 1-line block ×3, first 2 shown]
	v_cndmask_b32_e64 v29, v29, v46, s[64:65]
	v_add_f32_e32 v29, v28, v29
.LBB529_64:
	s_or_b64 exec, exec, s[66:67]
	v_bfe_u32 v28, v29, 16, 1
	v_add3_u32 v28, v29, v28, s68
	v_and_b32_e32 v28, 0xffff0000, v28
	v_cmp_o_f32_e64 s[64:65], v29, v29
	v_and_b32_e32 v10, 0xffff0000, v10
	s_nop 0
	v_cndmask_b32_e64 v30, v26, v28, s[64:65]
	v_max_f32_e32 v26, v30, v30
	v_max_f32_e32 v28, v10, v10
	v_min_f32_e32 v29, v26, v28
	v_cmp_u_f32_e64 s[66:67], v30, v30
	v_max_f32_e32 v26, v26, v28
	v_cmp_u_f32_e64 s[64:65], v10, v10
	v_cndmask_b32_e64 v29, v29, v30, s[66:67]
	v_cndmask_b32_e64 v26, v26, v30, s[66:67]
	;; [unrolled: 1-line block ×4, first 2 shown]
	v_cmp_neq_f32_e64 s[66:67], v29, v26
	v_cmp_class_f32_e64 s[68:69], v29, s33
	s_or_b64 s[66:67], s[66:67], s[68:69]
	s_and_saveexec_b64 s[68:69], s[66:67]
	s_cbranch_execz .LBB529_66
; %bb.65:
	v_sub_f32_e32 v29, v29, v26
	s_mov_b32 s2, 0x3fb8aa3b
	v_mul_f32_e32 v30, 0x3fb8aa3b, v29
	v_fma_f32 v31, v29, s2, -v30
	v_rndne_f32_e32 v32, v30
	v_fmamk_f32 v31, v29, 0x32a5705f, v31
	v_sub_f32_e32 v30, v30, v32
	v_add_f32_e32 v30, v30, v31
	v_exp_f32_e32 v30, v30
	v_cvt_i32_f32_e32 v31, v32
	s_mov_b32 s2, 0xc2ce8ed0
	v_cmp_ngt_f32_e64 s[66:67], s2, v29
	s_mov_b32 s2, 0x42b17218
	v_ldexp_f32 v30, v30, v31
	v_cndmask_b32_e64 v30, 0, v30, s[66:67]
	v_mov_b32_e32 v31, 0x7f800000
	v_cmp_nlt_f32_e64 s[66:67], s2, v29
	s_mov_b32 s2, 0x3f2aaaab
	s_mov_b32 s3, 0x7f800000
	v_cndmask_b32_e64 v46, v31, v30, s[66:67]
	v_add_f32_e32 v29, 1.0, v46
	v_add_f32_e32 v30, -1.0, v29
	v_sub_f32_e32 v31, v30, v29
	v_add_f32_e32 v31, 1.0, v31
	v_sub_f32_e32 v30, v46, v30
	v_add_f32_e32 v32, v30, v31
	v_frexp_mant_f32_e32 v33, v29
	v_cvt_f64_f32_e32 v[30:31], v29
	v_frexp_exp_i32_f64_e32 v30, v[30:31]
	v_cmp_gt_f32_e64 s[66:67], s2, v33
	s_mov_b32 s2, 0x3f317218
	s_nop 0
	v_subbrev_co_u32_e64 v38, s[66:67], 0, v30, s[66:67]
	v_sub_u32_e32 v30, 0, v38
	v_ldexp_f32 v29, v29, v30
	v_ldexp_f32 v30, v32, v30
	v_add_f32_e32 v32, -1.0, v29
	v_add_f32_e32 v31, 1.0, v32
	v_sub_f32_e32 v31, v29, v31
	v_add_f32_e32 v33, v30, v31
	v_add_f32_e32 v31, 1.0, v29
	v_add_f32_e32 v34, -1.0, v31
	v_sub_f32_e32 v29, v29, v34
	v_add_f32_e32 v29, v30, v29
	v_add_f32_e32 v39, v31, v29
	v_rcp_f32_e32 v40, v39
	v_sub_f32_e32 v30, v31, v39
	v_add_f32_e32 v31, v32, v33
	v_add_f32_e32 v29, v29, v30
	v_mul_f32_e32 v42, v31, v40
	v_sub_f32_e32 v30, v32, v31
	v_mul_f32_e32 v32, v39, v42
	v_fma_f32 v34, v42, v39, -v32
	v_fmac_f32_e32 v34, v42, v29
	v_add_f32_e32 v41, v33, v30
	v_add_f32_e32 v30, v32, v34
	v_sub_f32_e32 v33, v31, v30
	v_pk_add_f32 v[36:37], v[30:31], v[32:33] neg_lo:[0,1] neg_hi:[0,1]
	v_mov_b32_e32 v35, v30
	v_pk_add_f32 v[30:31], v[36:37], v[34:35] neg_lo:[0,1] neg_hi:[0,1]
	v_cmp_eq_f32_e64 s[66:67], s3, v46
	v_add_f32_e32 v31, v41, v31
	v_add_f32_e32 v30, v30, v31
	;; [unrolled: 1-line block ×3, first 2 shown]
	v_mul_f32_e32 v41, v40, v31
	v_mul_f32_e32 v32, v39, v41
	v_fma_f32 v34, v41, v39, -v32
	v_fmac_f32_e32 v34, v41, v29
	v_sub_f32_e32 v29, v33, v31
	v_add_f32_e32 v29, v30, v29
	v_add_f32_e32 v30, v32, v34
	v_sub_f32_e32 v33, v31, v30
	v_pk_add_f32 v[36:37], v[30:31], v[32:33] neg_lo:[0,1] neg_hi:[0,1]
	v_mov_b32_e32 v35, v30
	v_pk_add_f32 v[30:31], v[36:37], v[34:35] neg_lo:[0,1] neg_hi:[0,1]
	v_cvt_f32_i32_e32 v32, v38
	v_add_f32_e32 v29, v29, v31
	v_add_f32_e32 v29, v30, v29
	;; [unrolled: 1-line block ×4, first 2 shown]
	v_sub_f32_e32 v31, v30, v42
	v_mul_f32_e32 v29, v40, v29
	v_sub_f32_e32 v31, v41, v31
	v_add_f32_e32 v29, v31, v29
	v_add_f32_e32 v33, v30, v29
	v_mul_f32_e32 v34, v33, v33
	v_mov_b32_e32 v31, 0x3ecc95a3
	v_fmac_f32_e32 v31, 0x3e9b6dac, v34
	v_sub_f32_e32 v30, v33, v30
	v_fmaak_f32 v31, v34, v31, 0x3f2aaada
	v_sub_f32_e32 v29, v29, v30
	v_ldexp_f32 v35, v33, 1
	v_mul_f32_e32 v33, v33, v34
	v_mov_b32_e32 v30, 0x3f317218
	v_pk_mul_f32 v[30:31], v[32:33], v[30:31]
	v_ldexp_f32 v29, v29, 1
	v_fma_f32 v33, v32, s2, -v30
	v_fmamk_f32 v34, v32, 0xb102e308, v33
	v_pk_add_f32 v[32:33], v[30:31], v[34:35]
	v_mov_b32_e32 v36, v30
	v_sub_f32_e32 v35, v33, v35
	v_sub_f32_e32 v35, v31, v35
	v_add_f32_e32 v37, v29, v35
	v_pk_add_f32 v[30:31], v[32:33], v[30:31] neg_lo:[0,1] neg_hi:[0,1]
	v_pk_add_f32 v[38:39], v[32:33], v[36:37]
	v_mov_b32_e32 v35, v32
	v_mov_b32_e32 v31, v39
	v_pk_add_f32 v[40:41], v[34:35], v[30:31] neg_lo:[0,1] neg_hi:[0,1]
	v_pk_add_f32 v[30:31], v[34:35], v[30:31]
	v_mov_b32_e32 v36, v37
	v_mov_b32_e32 v34, v31
	v_pk_add_f32 v[42:43], v[34:35], v[32:33] neg_lo:[0,1] neg_hi:[0,1]
	v_mov_b32_e32 v30, v39
	v_mov_b32_e32 v29, v42
	v_pk_add_f32 v[44:45], v[38:39], v[28:29] neg_lo:[0,1] neg_hi:[0,1]
	v_mov_b32_e32 v38, v33
	v_mov_b32_e32 v39, v42
	;; [unrolled: 1-line block ×3, first 2 shown]
	v_pk_add_f32 v[30:31], v[30:31], v[38:39] neg_lo:[0,1] neg_hi:[0,1]
	v_mov_b32_e32 v37, v32
	v_pk_add_f32 v[30:31], v[36:37], v[30:31] neg_lo:[0,1] neg_hi:[0,1]
	v_mov_b32_e32 v44, v40
	v_pk_add_f32 v[32:33], v[44:45], v[30:31]
	s_mov_b32 s2, 0x33800000
	v_mov_b32_e32 v36, v33
	v_pk_add_f32 v[36:37], v[32:33], v[36:37]
	v_cmp_lt_f32_e64 s[70:71], |v46|, s2
	v_pk_add_f32 v[34:35], v[34:35], v[36:37]
	v_mov_b32_e32 v31, v36
	v_mov_b32_e32 v33, v34
	v_pk_add_f32 v[38:39], v[32:33], v[40:41] neg_lo:[0,1] neg_hi:[0,1]
	s_or_b64 s[66:67], s[66:67], s[70:71]
	v_sub_f32_e32 v29, v32, v38
	v_pk_add_f32 v[30:31], v[30:31], v[38:39] neg_lo:[0,1] neg_hi:[0,1]
	v_sub_f32_e32 v29, v40, v29
	v_add_f32_e32 v29, v30, v29
	v_add_f32_e32 v29, v29, v31
	;; [unrolled: 1-line block ×3, first 2 shown]
	v_cndmask_b32_e64 v29, v29, v46, s[66:67]
	v_add_f32_e32 v30, v26, v29
.LBB529_66:
	s_or_b64 exec, exec, s[68:69]
	v_bfe_u32 v26, v30, 16, 1
	s_movk_i32 s72, 0x7fff
	v_add3_u32 v26, v30, v26, s72
	v_and_b32_e32 v26, 0xffff0000, v26
	v_mov_b32_e32 v29, 0x7fc00000
	v_cmp_o_f32_e64 s[66:67], v30, v30
	s_nop 1
	v_cndmask_b32_e64 v32, v29, v26, s[66:67]
	v_lshlrev_b32_e32 v26, 16, v11
	v_max_f32_e32 v31, v32, v32
	v_max_f32_e32 v30, v26, v26
	v_min_f32_e32 v33, v31, v30
	v_cmp_u_f32_e64 s[68:69], v32, v32
	v_max_f32_e32 v31, v31, v30
	v_cmp_u_f32_e64 s[66:67], v26, v26
	v_cndmask_b32_e64 v33, v33, v32, s[68:69]
	v_cndmask_b32_e64 v31, v31, v32, s[68:69]
	;; [unrolled: 1-line block ×4, first 2 shown]
	v_cmp_neq_f32_e64 s[68:69], v33, v31
	v_cmp_class_f32_e64 s[70:71], v33, s33
	s_or_b64 s[68:69], s[68:69], s[70:71]
	s_and_saveexec_b64 s[70:71], s[68:69]
	s_cbranch_execz .LBB529_68
; %bb.67:
	v_sub_f32_e32 v32, v33, v31
	s_mov_b32 s2, 0x3fb8aa3b
	v_mul_f32_e32 v33, 0x3fb8aa3b, v32
	v_fma_f32 v34, v32, s2, -v33
	v_rndne_f32_e32 v35, v33
	v_fmamk_f32 v34, v32, 0x32a5705f, v34
	v_sub_f32_e32 v33, v33, v35
	v_add_f32_e32 v33, v33, v34
	v_exp_f32_e32 v33, v33
	v_cvt_i32_f32_e32 v34, v35
	s_mov_b32 s2, 0xc2ce8ed0
	v_cmp_ngt_f32_e64 s[68:69], s2, v32
	s_mov_b32 s2, 0x42b17218
	v_ldexp_f32 v33, v33, v34
	v_cndmask_b32_e64 v33, 0, v33, s[68:69]
	v_mov_b32_e32 v34, 0x7f800000
	v_cmp_nlt_f32_e64 s[68:69], s2, v32
	s_mov_b32 s2, 0x3f2aaaab
	s_mov_b32 s3, 0x7f800000
	v_cndmask_b32_e64 v48, v34, v33, s[68:69]
	v_add_f32_e32 v34, 1.0, v48
	v_add_f32_e32 v32, -1.0, v34
	v_sub_f32_e32 v33, v32, v34
	v_add_f32_e32 v33, 1.0, v33
	v_sub_f32_e32 v32, v48, v32
	v_add_f32_e32 v35, v32, v33
	v_frexp_mant_f32_e32 v36, v34
	v_cvt_f64_f32_e32 v[32:33], v34
	v_frexp_exp_i32_f64_e32 v32, v[32:33]
	v_cmp_gt_f32_e64 s[68:69], s2, v36
	s_mov_b32 s2, 0x3f317218
	s_nop 0
	v_subbrev_co_u32_e64 v40, s[68:69], 0, v32, s[68:69]
	v_sub_u32_e32 v32, 0, v40
	v_ldexp_f32 v33, v34, v32
	v_add_f32_e32 v34, -1.0, v33
	v_add_f32_e32 v36, 1.0, v33
	v_ldexp_f32 v32, v35, v32
	v_add_f32_e32 v35, 1.0, v34
	v_add_f32_e32 v37, -1.0, v36
	v_sub_f32_e32 v35, v33, v35
	v_sub_f32_e32 v33, v33, v37
	v_add_f32_e32 v35, v32, v35
	v_add_f32_e32 v32, v32, v33
	;; [unrolled: 1-line block ×3, first 2 shown]
	v_rcp_f32_e32 v43, v41
	v_sub_f32_e32 v33, v36, v41
	v_add_f32_e32 v42, v32, v33
	v_add_f32_e32 v33, v34, v35
	v_mul_f32_e32 v45, v33, v43
	v_sub_f32_e32 v32, v34, v33
	v_mul_f32_e32 v34, v41, v45
	v_fma_f32 v36, v45, v41, -v34
	v_fmac_f32_e32 v36, v45, v42
	v_add_f32_e32 v44, v35, v32
	v_add_f32_e32 v32, v34, v36
	v_sub_f32_e32 v35, v33, v32
	v_pk_add_f32 v[38:39], v[32:33], v[34:35] neg_lo:[0,1] neg_hi:[0,1]
	v_mov_b32_e32 v37, v32
	v_pk_add_f32 v[32:33], v[38:39], v[36:37] neg_lo:[0,1] neg_hi:[0,1]
	v_cmp_eq_f32_e64 s[68:69], s3, v48
	v_add_f32_e32 v33, v44, v33
	v_add_f32_e32 v32, v32, v33
	;; [unrolled: 1-line block ×3, first 2 shown]
	v_mul_f32_e32 v44, v43, v33
	v_mul_f32_e32 v34, v41, v44
	v_fma_f32 v36, v44, v41, -v34
	v_fmac_f32_e32 v36, v44, v42
	v_sub_f32_e32 v35, v35, v33
	v_add_f32_e32 v41, v32, v35
	v_add_f32_e32 v32, v34, v36
	v_sub_f32_e32 v35, v33, v32
	v_pk_add_f32 v[38:39], v[32:33], v[34:35] neg_lo:[0,1] neg_hi:[0,1]
	v_mov_b32_e32 v37, v32
	v_pk_add_f32 v[32:33], v[38:39], v[36:37] neg_lo:[0,1] neg_hi:[0,1]
	v_cvt_f32_i32_e32 v34, v40
	v_add_f32_e32 v33, v41, v33
	v_add_f32_e32 v32, v32, v33
	;; [unrolled: 1-line block ×4, first 2 shown]
	v_sub_f32_e32 v33, v35, v45
	v_mul_f32_e32 v32, v43, v32
	v_sub_f32_e32 v33, v44, v33
	v_add_f32_e32 v32, v33, v32
	v_add_f32_e32 v36, v35, v32
	v_mul_f32_e32 v38, v36, v36
	v_mov_b32_e32 v33, 0x3ecc95a3
	v_sub_f32_e32 v35, v36, v35
	v_fmac_f32_e32 v33, 0x3e9b6dac, v38
	v_sub_f32_e32 v32, v32, v35
	v_fmaak_f32 v33, v38, v33, 0x3f2aaada
	v_ldexp_f32 v39, v32, 1
	v_mul_f32_e32 v35, v36, v38
	v_mov_b32_e32 v32, 0x3f317218
	v_pk_mul_f32 v[32:33], v[34:35], v[32:33]
	v_ldexp_f32 v37, v36, 1
	v_fma_f32 v35, v34, s2, -v32
	v_fmamk_f32 v36, v34, 0xb102e308, v35
	v_pk_add_f32 v[34:35], v[32:33], v[36:37]
	v_mov_b32_e32 v38, v32
	v_sub_f32_e32 v37, v35, v37
	v_sub_f32_e32 v37, v33, v37
	v_add_f32_e32 v39, v39, v37
	v_pk_add_f32 v[32:33], v[34:35], v[32:33] neg_lo:[0,1] neg_hi:[0,1]
	v_pk_add_f32 v[40:41], v[34:35], v[38:39]
	v_mov_b32_e32 v37, v34
	v_mov_b32_e32 v33, v41
	v_pk_add_f32 v[42:43], v[36:37], v[32:33] neg_lo:[0,1] neg_hi:[0,1]
	v_pk_add_f32 v[32:33], v[36:37], v[32:33]
	v_mov_b32_e32 v38, v39
	v_mov_b32_e32 v36, v33
	v_pk_add_f32 v[44:45], v[36:37], v[34:35] neg_lo:[0,1] neg_hi:[0,1]
	v_mov_b32_e32 v32, v41
	v_mov_b32_e32 v37, v44
	v_pk_add_f32 v[46:47], v[40:41], v[36:37] neg_lo:[0,1] neg_hi:[0,1]
	v_mov_b32_e32 v40, v35
	v_mov_b32_e32 v41, v44
	;; [unrolled: 1-line block ×3, first 2 shown]
	v_pk_add_f32 v[32:33], v[32:33], v[40:41] neg_lo:[0,1] neg_hi:[0,1]
	v_mov_b32_e32 v39, v34
	v_pk_add_f32 v[32:33], v[38:39], v[32:33] neg_lo:[0,1] neg_hi:[0,1]
	v_mov_b32_e32 v46, v42
	v_pk_add_f32 v[34:35], v[46:47], v[32:33]
	s_mov_b32 s2, 0x33800000
	v_mov_b32_e32 v38, v35
	v_pk_add_f32 v[38:39], v[34:35], v[38:39]
	v_cmp_lt_f32_e64 s[74:75], |v48|, s2
	v_pk_add_f32 v[36:37], v[36:37], v[38:39]
	v_mov_b32_e32 v33, v38
	v_mov_b32_e32 v35, v36
	v_pk_add_f32 v[40:41], v[34:35], v[42:43] neg_lo:[0,1] neg_hi:[0,1]
	s_or_b64 s[68:69], s[68:69], s[74:75]
	v_sub_f32_e32 v34, v34, v40
	v_pk_add_f32 v[32:33], v[32:33], v[40:41] neg_lo:[0,1] neg_hi:[0,1]
	v_sub_f32_e32 v34, v42, v34
	v_add_f32_e32 v32, v32, v34
	v_add_f32_e32 v32, v32, v33
	;; [unrolled: 1-line block ×3, first 2 shown]
	v_cndmask_b32_e64 v32, v32, v48, s[68:69]
	v_add_f32_e32 v32, v31, v32
.LBB529_68:
	s_or_b64 exec, exec, s[70:71]
	v_bfe_u32 v31, v32, 16, 1
	v_add3_u32 v31, v32, v31, s72
	v_and_b32_e32 v31, 0xffff0000, v31
	v_cmp_o_f32_e64 s[68:69], v32, v32
	v_and_b32_e32 v11, 0xffff0000, v11
	s_nop 0
	v_cndmask_b32_e64 v33, v29, v31, s[68:69]
	v_max_f32_e32 v29, v33, v33
	v_max_f32_e32 v31, v11, v11
	v_min_f32_e32 v32, v29, v31
	v_cmp_u_f32_e64 s[70:71], v33, v33
	v_max_f32_e32 v29, v29, v31
	v_cmp_u_f32_e64 s[68:69], v11, v11
	v_cndmask_b32_e64 v32, v32, v33, s[70:71]
	v_cndmask_b32_e64 v29, v29, v33, s[70:71]
	;; [unrolled: 1-line block ×4, first 2 shown]
	v_cmp_neq_f32_e64 s[70:71], v32, v29
	v_cmp_class_f32_e64 s[72:73], v32, s33
	s_or_b64 s[70:71], s[70:71], s[72:73]
	s_and_saveexec_b64 s[72:73], s[70:71]
	s_cbranch_execz .LBB529_70
; %bb.69:
	v_sub_f32_e32 v32, v32, v29
	s_mov_b32 s2, 0x3fb8aa3b
	v_mul_f32_e32 v33, 0x3fb8aa3b, v32
	v_fma_f32 v34, v32, s2, -v33
	v_rndne_f32_e32 v35, v33
	v_fmamk_f32 v34, v32, 0x32a5705f, v34
	v_sub_f32_e32 v33, v33, v35
	v_add_f32_e32 v33, v33, v34
	v_exp_f32_e32 v33, v33
	v_cvt_i32_f32_e32 v34, v35
	s_mov_b32 s2, 0xc2ce8ed0
	v_cmp_ngt_f32_e64 s[70:71], s2, v32
	s_mov_b32 s2, 0x42b17218
	v_ldexp_f32 v33, v33, v34
	v_cndmask_b32_e64 v33, 0, v33, s[70:71]
	v_mov_b32_e32 v34, 0x7f800000
	v_cmp_nlt_f32_e64 s[70:71], s2, v32
	s_mov_b32 s2, 0x3f2aaaab
	s_mov_b32 s3, 0x7f800000
	v_cndmask_b32_e64 v48, v34, v33, s[70:71]
	v_add_f32_e32 v34, 1.0, v48
	v_add_f32_e32 v32, -1.0, v34
	v_sub_f32_e32 v33, v32, v34
	v_add_f32_e32 v33, 1.0, v33
	v_sub_f32_e32 v32, v48, v32
	v_add_f32_e32 v35, v32, v33
	v_frexp_mant_f32_e32 v36, v34
	v_cvt_f64_f32_e32 v[32:33], v34
	v_frexp_exp_i32_f64_e32 v32, v[32:33]
	v_cmp_gt_f32_e64 s[70:71], s2, v36
	s_mov_b32 s2, 0x3f317218
	s_nop 0
	v_subbrev_co_u32_e64 v40, s[70:71], 0, v32, s[70:71]
	v_sub_u32_e32 v32, 0, v40
	v_ldexp_f32 v33, v34, v32
	v_add_f32_e32 v34, -1.0, v33
	v_add_f32_e32 v36, 1.0, v33
	v_ldexp_f32 v32, v35, v32
	v_add_f32_e32 v35, 1.0, v34
	v_add_f32_e32 v37, -1.0, v36
	v_sub_f32_e32 v35, v33, v35
	v_sub_f32_e32 v33, v33, v37
	v_add_f32_e32 v35, v32, v35
	v_add_f32_e32 v32, v32, v33
	;; [unrolled: 1-line block ×3, first 2 shown]
	v_rcp_f32_e32 v43, v41
	v_sub_f32_e32 v33, v36, v41
	v_add_f32_e32 v42, v32, v33
	v_add_f32_e32 v33, v34, v35
	v_mul_f32_e32 v45, v33, v43
	v_sub_f32_e32 v32, v34, v33
	v_mul_f32_e32 v34, v41, v45
	v_fma_f32 v36, v45, v41, -v34
	v_fmac_f32_e32 v36, v45, v42
	v_add_f32_e32 v44, v35, v32
	v_add_f32_e32 v32, v34, v36
	v_sub_f32_e32 v35, v33, v32
	v_pk_add_f32 v[38:39], v[32:33], v[34:35] neg_lo:[0,1] neg_hi:[0,1]
	v_mov_b32_e32 v37, v32
	v_pk_add_f32 v[32:33], v[38:39], v[36:37] neg_lo:[0,1] neg_hi:[0,1]
	v_cmp_eq_f32_e64 s[70:71], s3, v48
	v_add_f32_e32 v33, v44, v33
	v_add_f32_e32 v32, v32, v33
	;; [unrolled: 1-line block ×3, first 2 shown]
	v_mul_f32_e32 v44, v43, v33
	v_mul_f32_e32 v34, v41, v44
	v_fma_f32 v36, v44, v41, -v34
	v_fmac_f32_e32 v36, v44, v42
	v_sub_f32_e32 v35, v35, v33
	v_add_f32_e32 v41, v32, v35
	v_add_f32_e32 v32, v34, v36
	v_sub_f32_e32 v35, v33, v32
	v_pk_add_f32 v[38:39], v[32:33], v[34:35] neg_lo:[0,1] neg_hi:[0,1]
	v_mov_b32_e32 v37, v32
	v_pk_add_f32 v[32:33], v[38:39], v[36:37] neg_lo:[0,1] neg_hi:[0,1]
	v_cvt_f32_i32_e32 v34, v40
	v_add_f32_e32 v33, v41, v33
	v_add_f32_e32 v32, v32, v33
	;; [unrolled: 1-line block ×4, first 2 shown]
	v_sub_f32_e32 v33, v35, v45
	v_mul_f32_e32 v32, v43, v32
	v_sub_f32_e32 v33, v44, v33
	v_add_f32_e32 v32, v33, v32
	v_add_f32_e32 v36, v35, v32
	v_mul_f32_e32 v38, v36, v36
	v_mov_b32_e32 v33, 0x3ecc95a3
	v_sub_f32_e32 v35, v36, v35
	v_fmac_f32_e32 v33, 0x3e9b6dac, v38
	v_sub_f32_e32 v32, v32, v35
	v_fmaak_f32 v33, v38, v33, 0x3f2aaada
	v_ldexp_f32 v39, v32, 1
	v_mul_f32_e32 v35, v36, v38
	v_mov_b32_e32 v32, 0x3f317218
	v_pk_mul_f32 v[32:33], v[34:35], v[32:33]
	v_ldexp_f32 v37, v36, 1
	v_fma_f32 v35, v34, s2, -v32
	v_fmamk_f32 v36, v34, 0xb102e308, v35
	v_pk_add_f32 v[34:35], v[32:33], v[36:37]
	v_mov_b32_e32 v38, v32
	v_sub_f32_e32 v37, v35, v37
	v_sub_f32_e32 v37, v33, v37
	v_add_f32_e32 v39, v39, v37
	v_pk_add_f32 v[32:33], v[34:35], v[32:33] neg_lo:[0,1] neg_hi:[0,1]
	v_pk_add_f32 v[40:41], v[34:35], v[38:39]
	v_mov_b32_e32 v37, v34
	v_mov_b32_e32 v33, v41
	v_pk_add_f32 v[42:43], v[36:37], v[32:33] neg_lo:[0,1] neg_hi:[0,1]
	v_pk_add_f32 v[32:33], v[36:37], v[32:33]
	v_mov_b32_e32 v38, v39
	v_mov_b32_e32 v36, v33
	v_pk_add_f32 v[44:45], v[36:37], v[34:35] neg_lo:[0,1] neg_hi:[0,1]
	v_mov_b32_e32 v32, v41
	v_mov_b32_e32 v37, v44
	v_pk_add_f32 v[46:47], v[40:41], v[36:37] neg_lo:[0,1] neg_hi:[0,1]
	v_mov_b32_e32 v40, v35
	v_mov_b32_e32 v41, v44
	;; [unrolled: 1-line block ×3, first 2 shown]
	v_pk_add_f32 v[32:33], v[32:33], v[40:41] neg_lo:[0,1] neg_hi:[0,1]
	v_mov_b32_e32 v39, v34
	v_pk_add_f32 v[32:33], v[38:39], v[32:33] neg_lo:[0,1] neg_hi:[0,1]
	v_mov_b32_e32 v46, v42
	v_pk_add_f32 v[34:35], v[46:47], v[32:33]
	s_mov_b32 s2, 0x33800000
	v_mov_b32_e32 v38, v35
	v_pk_add_f32 v[38:39], v[34:35], v[38:39]
	v_cmp_lt_f32_e64 s[74:75], |v48|, s2
	v_pk_add_f32 v[36:37], v[36:37], v[38:39]
	v_mov_b32_e32 v33, v38
	v_mov_b32_e32 v35, v36
	v_pk_add_f32 v[40:41], v[34:35], v[42:43] neg_lo:[0,1] neg_hi:[0,1]
	s_or_b64 s[70:71], s[70:71], s[74:75]
	v_sub_f32_e32 v34, v34, v40
	v_pk_add_f32 v[32:33], v[32:33], v[40:41] neg_lo:[0,1] neg_hi:[0,1]
	v_sub_f32_e32 v34, v42, v34
	v_add_f32_e32 v32, v32, v34
	v_add_f32_e32 v32, v32, v33
	;; [unrolled: 1-line block ×3, first 2 shown]
	v_cndmask_b32_e64 v32, v32, v48, s[70:71]
	v_add_f32_e32 v33, v29, v32
.LBB529_70:
	s_or_b64 exec, exec, s[72:73]
	v_bfe_u32 v29, v33, 16, 1
	s_movk_i32 s76, 0x7fff
	v_add3_u32 v29, v33, v29, s76
	v_and_b32_e32 v29, 0xffff0000, v29
	v_mov_b32_e32 v32, 0x7fc00000
	v_cmp_o_f32_e64 s[70:71], v33, v33
	s_nop 1
	v_cndmask_b32_e64 v35, v32, v29, s[70:71]
	v_lshlrev_b32_e32 v29, 16, v12
	v_max_f32_e32 v34, v35, v35
	v_max_f32_e32 v33, v29, v29
	v_min_f32_e32 v36, v34, v33
	v_cmp_u_f32_e64 s[72:73], v35, v35
	v_max_f32_e32 v34, v34, v33
	v_cmp_u_f32_e64 s[70:71], v29, v29
	v_cndmask_b32_e64 v36, v36, v35, s[72:73]
	v_cndmask_b32_e64 v34, v34, v35, s[72:73]
	;; [unrolled: 1-line block ×4, first 2 shown]
	v_cmp_neq_f32_e64 s[72:73], v36, v34
	v_cmp_class_f32_e64 s[74:75], v36, s33
	s_or_b64 s[72:73], s[72:73], s[74:75]
	s_and_saveexec_b64 s[74:75], s[72:73]
	s_cbranch_execz .LBB529_72
; %bb.71:
	v_sub_f32_e32 v35, v36, v34
	s_mov_b32 s2, 0x3fb8aa3b
	v_mul_f32_e32 v36, 0x3fb8aa3b, v35
	v_fma_f32 v37, v35, s2, -v36
	v_rndne_f32_e32 v38, v36
	v_fmamk_f32 v37, v35, 0x32a5705f, v37
	v_sub_f32_e32 v36, v36, v38
	v_add_f32_e32 v36, v36, v37
	v_exp_f32_e32 v36, v36
	v_cvt_i32_f32_e32 v37, v38
	s_mov_b32 s2, 0xc2ce8ed0
	v_cmp_ngt_f32_e64 s[72:73], s2, v35
	s_mov_b32 s2, 0x42b17218
	v_ldexp_f32 v36, v36, v37
	v_cndmask_b32_e64 v36, 0, v36, s[72:73]
	v_mov_b32_e32 v37, 0x7f800000
	v_cmp_nlt_f32_e64 s[72:73], s2, v35
	s_mov_b32 s2, 0x3f2aaaab
	s_mov_b32 s3, 0x7f800000
	v_cndmask_b32_e64 v48, v37, v36, s[72:73]
	v_add_f32_e32 v35, 1.0, v48
	v_add_f32_e32 v36, -1.0, v35
	v_sub_f32_e32 v37, v36, v35
	v_add_f32_e32 v37, 1.0, v37
	v_sub_f32_e32 v36, v48, v36
	v_add_f32_e32 v38, v36, v37
	v_frexp_mant_f32_e32 v39, v35
	v_cvt_f64_f32_e32 v[36:37], v35
	v_frexp_exp_i32_f64_e32 v36, v[36:37]
	v_cmp_gt_f32_e64 s[72:73], s2, v39
	s_mov_b32 s2, 0x3f317218
	s_nop 0
	v_subbrev_co_u32_e64 v44, s[72:73], 0, v36, s[72:73]
	v_sub_u32_e32 v36, 0, v44
	v_ldexp_f32 v35, v35, v36
	v_ldexp_f32 v36, v38, v36
	v_add_f32_e32 v38, -1.0, v35
	v_add_f32_e32 v37, 1.0, v38
	v_sub_f32_e32 v37, v35, v37
	v_add_f32_e32 v39, v36, v37
	v_add_f32_e32 v37, 1.0, v35
	v_add_f32_e32 v40, -1.0, v37
	v_sub_f32_e32 v35, v35, v40
	v_add_f32_e32 v35, v36, v35
	v_add_f32_e32 v45, v37, v35
	v_rcp_f32_e32 v46, v45
	v_sub_f32_e32 v36, v37, v45
	v_add_f32_e32 v37, v38, v39
	v_add_f32_e32 v35, v35, v36
	v_mul_f32_e32 v53, v37, v46
	v_sub_f32_e32 v36, v38, v37
	v_mul_f32_e32 v38, v45, v53
	v_fma_f32 v40, v53, v45, -v38
	v_fmac_f32_e32 v40, v53, v35
	v_add_f32_e32 v47, v39, v36
	v_add_f32_e32 v36, v38, v40
	v_sub_f32_e32 v39, v37, v36
	v_pk_add_f32 v[42:43], v[36:37], v[38:39] neg_lo:[0,1] neg_hi:[0,1]
	v_mov_b32_e32 v41, v36
	v_pk_add_f32 v[36:37], v[42:43], v[40:41] neg_lo:[0,1] neg_hi:[0,1]
	v_cmp_eq_f32_e64 s[72:73], s3, v48
	v_add_f32_e32 v37, v47, v37
	v_add_f32_e32 v36, v36, v37
	;; [unrolled: 1-line block ×3, first 2 shown]
	v_mul_f32_e32 v47, v46, v37
	v_mul_f32_e32 v38, v45, v47
	v_fma_f32 v40, v47, v45, -v38
	v_fmac_f32_e32 v40, v47, v35
	v_sub_f32_e32 v35, v39, v37
	v_add_f32_e32 v35, v36, v35
	v_add_f32_e32 v36, v38, v40
	v_sub_f32_e32 v39, v37, v36
	v_pk_add_f32 v[42:43], v[36:37], v[38:39] neg_lo:[0,1] neg_hi:[0,1]
	v_mov_b32_e32 v41, v36
	v_pk_add_f32 v[36:37], v[42:43], v[40:41] neg_lo:[0,1] neg_hi:[0,1]
	v_cvt_f32_i32_e32 v38, v44
	v_add_f32_e32 v35, v35, v37
	v_add_f32_e32 v35, v36, v35
	v_add_f32_e32 v36, v53, v47
	v_add_f32_e32 v35, v39, v35
	v_sub_f32_e32 v37, v36, v53
	v_mul_f32_e32 v35, v46, v35
	v_sub_f32_e32 v37, v47, v37
	v_add_f32_e32 v35, v37, v35
	v_add_f32_e32 v39, v36, v35
	v_mul_f32_e32 v40, v39, v39
	v_mov_b32_e32 v37, 0x3ecc95a3
	v_fmac_f32_e32 v37, 0x3e9b6dac, v40
	v_sub_f32_e32 v36, v39, v36
	v_fmaak_f32 v37, v40, v37, 0x3f2aaada
	v_sub_f32_e32 v35, v35, v36
	v_ldexp_f32 v41, v39, 1
	v_mul_f32_e32 v39, v39, v40
	v_mov_b32_e32 v36, 0x3f317218
	v_pk_mul_f32 v[36:37], v[38:39], v[36:37]
	v_ldexp_f32 v35, v35, 1
	v_fma_f32 v39, v38, s2, -v36
	v_fmamk_f32 v40, v38, 0xb102e308, v39
	v_pk_add_f32 v[38:39], v[36:37], v[40:41]
	v_mov_b32_e32 v42, v36
	v_sub_f32_e32 v41, v39, v41
	v_sub_f32_e32 v41, v37, v41
	v_add_f32_e32 v43, v35, v41
	v_pk_add_f32 v[36:37], v[38:39], v[36:37] neg_lo:[0,1] neg_hi:[0,1]
	v_pk_add_f32 v[44:45], v[38:39], v[42:43]
	v_mov_b32_e32 v41, v38
	v_mov_b32_e32 v37, v45
	v_pk_add_f32 v[46:47], v[40:41], v[36:37] neg_lo:[0,1] neg_hi:[0,1]
	v_pk_add_f32 v[36:37], v[40:41], v[36:37]
	v_mov_b32_e32 v42, v43
	v_mov_b32_e32 v40, v37
	v_pk_add_f32 v[54:55], v[40:41], v[38:39] neg_lo:[0,1] neg_hi:[0,1]
	v_mov_b32_e32 v36, v45
	v_mov_b32_e32 v35, v54
	v_pk_add_f32 v[56:57], v[44:45], v[34:35] neg_lo:[0,1] neg_hi:[0,1]
	v_mov_b32_e32 v44, v39
	v_mov_b32_e32 v45, v54
	;; [unrolled: 1-line block ×3, first 2 shown]
	v_pk_add_f32 v[36:37], v[36:37], v[44:45] neg_lo:[0,1] neg_hi:[0,1]
	v_mov_b32_e32 v43, v38
	v_pk_add_f32 v[36:37], v[42:43], v[36:37] neg_lo:[0,1] neg_hi:[0,1]
	v_mov_b32_e32 v56, v46
	v_pk_add_f32 v[38:39], v[56:57], v[36:37]
	s_mov_b32 s2, 0x33800000
	v_mov_b32_e32 v42, v39
	v_pk_add_f32 v[42:43], v[38:39], v[42:43]
	v_cmp_lt_f32_e64 s[78:79], |v48|, s2
	v_pk_add_f32 v[40:41], v[40:41], v[42:43]
	v_mov_b32_e32 v37, v42
	v_mov_b32_e32 v39, v40
	v_pk_add_f32 v[44:45], v[38:39], v[46:47] neg_lo:[0,1] neg_hi:[0,1]
	s_or_b64 s[72:73], s[72:73], s[78:79]
	v_sub_f32_e32 v35, v38, v44
	v_pk_add_f32 v[36:37], v[36:37], v[44:45] neg_lo:[0,1] neg_hi:[0,1]
	v_sub_f32_e32 v35, v46, v35
	v_add_f32_e32 v35, v36, v35
	v_add_f32_e32 v35, v35, v37
	v_add_f32_e32 v35, v40, v35
	v_cndmask_b32_e64 v35, v35, v48, s[72:73]
	v_add_f32_e32 v35, v34, v35
.LBB529_72:
	s_or_b64 exec, exec, s[74:75]
	v_bfe_u32 v34, v35, 16, 1
	v_add3_u32 v34, v35, v34, s76
	v_and_b32_e32 v34, 0xffff0000, v34
	v_cmp_o_f32_e64 s[72:73], v35, v35
	v_and_b32_e32 v12, 0xffff0000, v12
	s_nop 0
	v_cndmask_b32_e64 v36, v32, v34, s[72:73]
	v_max_f32_e32 v32, v36, v36
	v_max_f32_e32 v34, v12, v12
	v_min_f32_e32 v35, v32, v34
	v_cmp_u_f32_e64 s[74:75], v36, v36
	v_max_f32_e32 v32, v32, v34
	v_cmp_u_f32_e64 s[72:73], v12, v12
	v_cndmask_b32_e64 v35, v35, v36, s[74:75]
	v_cndmask_b32_e64 v32, v32, v36, s[74:75]
	;; [unrolled: 1-line block ×4, first 2 shown]
	v_cmp_neq_f32_e64 s[74:75], v35, v32
	v_cmp_class_f32_e64 s[76:77], v35, s33
	s_or_b64 s[74:75], s[74:75], s[76:77]
	s_and_saveexec_b64 s[76:77], s[74:75]
	s_cbranch_execz .LBB529_74
; %bb.73:
	v_sub_f32_e32 v35, v35, v32
	s_mov_b32 s2, 0x3fb8aa3b
	v_mul_f32_e32 v36, 0x3fb8aa3b, v35
	v_fma_f32 v37, v35, s2, -v36
	v_rndne_f32_e32 v38, v36
	v_fmamk_f32 v37, v35, 0x32a5705f, v37
	v_sub_f32_e32 v36, v36, v38
	v_add_f32_e32 v36, v36, v37
	v_exp_f32_e32 v36, v36
	v_cvt_i32_f32_e32 v37, v38
	s_mov_b32 s2, 0xc2ce8ed0
	v_cmp_ngt_f32_e64 s[74:75], s2, v35
	s_mov_b32 s2, 0x42b17218
	v_ldexp_f32 v36, v36, v37
	v_cndmask_b32_e64 v36, 0, v36, s[74:75]
	v_mov_b32_e32 v37, 0x7f800000
	v_cmp_nlt_f32_e64 s[74:75], s2, v35
	s_mov_b32 s2, 0x3f2aaaab
	s_mov_b32 s3, 0x7f800000
	v_cndmask_b32_e64 v48, v37, v36, s[74:75]
	v_add_f32_e32 v35, 1.0, v48
	v_add_f32_e32 v36, -1.0, v35
	v_sub_f32_e32 v37, v36, v35
	v_add_f32_e32 v37, 1.0, v37
	v_sub_f32_e32 v36, v48, v36
	v_add_f32_e32 v38, v36, v37
	v_frexp_mant_f32_e32 v39, v35
	v_cvt_f64_f32_e32 v[36:37], v35
	v_frexp_exp_i32_f64_e32 v36, v[36:37]
	v_cmp_gt_f32_e64 s[74:75], s2, v39
	s_mov_b32 s2, 0x3f317218
	s_nop 0
	v_subbrev_co_u32_e64 v44, s[74:75], 0, v36, s[74:75]
	v_sub_u32_e32 v36, 0, v44
	v_ldexp_f32 v35, v35, v36
	v_ldexp_f32 v36, v38, v36
	v_add_f32_e32 v38, -1.0, v35
	v_add_f32_e32 v37, 1.0, v38
	v_sub_f32_e32 v37, v35, v37
	v_add_f32_e32 v39, v36, v37
	v_add_f32_e32 v37, 1.0, v35
	v_add_f32_e32 v40, -1.0, v37
	v_sub_f32_e32 v35, v35, v40
	v_add_f32_e32 v35, v36, v35
	v_add_f32_e32 v45, v37, v35
	v_rcp_f32_e32 v46, v45
	v_sub_f32_e32 v36, v37, v45
	v_add_f32_e32 v37, v38, v39
	v_add_f32_e32 v35, v35, v36
	v_mul_f32_e32 v53, v37, v46
	v_sub_f32_e32 v36, v38, v37
	v_mul_f32_e32 v38, v45, v53
	v_fma_f32 v40, v53, v45, -v38
	v_fmac_f32_e32 v40, v53, v35
	v_add_f32_e32 v47, v39, v36
	v_add_f32_e32 v36, v38, v40
	v_sub_f32_e32 v39, v37, v36
	v_pk_add_f32 v[42:43], v[36:37], v[38:39] neg_lo:[0,1] neg_hi:[0,1]
	v_mov_b32_e32 v41, v36
	v_pk_add_f32 v[36:37], v[42:43], v[40:41] neg_lo:[0,1] neg_hi:[0,1]
	v_cmp_eq_f32_e64 s[74:75], s3, v48
	v_add_f32_e32 v37, v47, v37
	v_add_f32_e32 v36, v36, v37
	;; [unrolled: 1-line block ×3, first 2 shown]
	v_mul_f32_e32 v47, v46, v37
	v_mul_f32_e32 v38, v45, v47
	v_fma_f32 v40, v47, v45, -v38
	v_fmac_f32_e32 v40, v47, v35
	v_sub_f32_e32 v35, v39, v37
	v_add_f32_e32 v35, v36, v35
	v_add_f32_e32 v36, v38, v40
	v_sub_f32_e32 v39, v37, v36
	v_pk_add_f32 v[42:43], v[36:37], v[38:39] neg_lo:[0,1] neg_hi:[0,1]
	v_mov_b32_e32 v41, v36
	v_pk_add_f32 v[36:37], v[42:43], v[40:41] neg_lo:[0,1] neg_hi:[0,1]
	v_cvt_f32_i32_e32 v38, v44
	v_add_f32_e32 v35, v35, v37
	v_add_f32_e32 v35, v36, v35
	;; [unrolled: 1-line block ×4, first 2 shown]
	v_sub_f32_e32 v37, v36, v53
	v_mul_f32_e32 v35, v46, v35
	v_sub_f32_e32 v37, v47, v37
	v_add_f32_e32 v35, v37, v35
	v_add_f32_e32 v39, v36, v35
	v_mul_f32_e32 v40, v39, v39
	v_mov_b32_e32 v37, 0x3ecc95a3
	v_fmac_f32_e32 v37, 0x3e9b6dac, v40
	v_sub_f32_e32 v36, v39, v36
	v_fmaak_f32 v37, v40, v37, 0x3f2aaada
	v_sub_f32_e32 v35, v35, v36
	v_ldexp_f32 v41, v39, 1
	v_mul_f32_e32 v39, v39, v40
	v_mov_b32_e32 v36, 0x3f317218
	v_pk_mul_f32 v[36:37], v[38:39], v[36:37]
	v_ldexp_f32 v35, v35, 1
	v_fma_f32 v39, v38, s2, -v36
	v_fmamk_f32 v40, v38, 0xb102e308, v39
	v_pk_add_f32 v[38:39], v[36:37], v[40:41]
	v_mov_b32_e32 v42, v36
	v_sub_f32_e32 v41, v39, v41
	v_sub_f32_e32 v41, v37, v41
	v_add_f32_e32 v43, v35, v41
	v_pk_add_f32 v[36:37], v[38:39], v[36:37] neg_lo:[0,1] neg_hi:[0,1]
	v_pk_add_f32 v[44:45], v[38:39], v[42:43]
	v_mov_b32_e32 v41, v38
	v_mov_b32_e32 v37, v45
	v_pk_add_f32 v[46:47], v[40:41], v[36:37] neg_lo:[0,1] neg_hi:[0,1]
	v_pk_add_f32 v[36:37], v[40:41], v[36:37]
	v_mov_b32_e32 v42, v43
	v_mov_b32_e32 v40, v37
	v_pk_add_f32 v[54:55], v[40:41], v[38:39] neg_lo:[0,1] neg_hi:[0,1]
	v_mov_b32_e32 v36, v45
	v_mov_b32_e32 v35, v54
	v_pk_add_f32 v[56:57], v[44:45], v[34:35] neg_lo:[0,1] neg_hi:[0,1]
	v_mov_b32_e32 v44, v39
	v_mov_b32_e32 v45, v54
	;; [unrolled: 1-line block ×3, first 2 shown]
	v_pk_add_f32 v[36:37], v[36:37], v[44:45] neg_lo:[0,1] neg_hi:[0,1]
	v_mov_b32_e32 v43, v38
	v_pk_add_f32 v[36:37], v[42:43], v[36:37] neg_lo:[0,1] neg_hi:[0,1]
	v_mov_b32_e32 v56, v46
	v_pk_add_f32 v[38:39], v[56:57], v[36:37]
	s_mov_b32 s2, 0x33800000
	v_mov_b32_e32 v42, v39
	v_pk_add_f32 v[42:43], v[38:39], v[42:43]
	v_cmp_lt_f32_e64 s[78:79], |v48|, s2
	v_pk_add_f32 v[40:41], v[40:41], v[42:43]
	v_mov_b32_e32 v37, v42
	v_mov_b32_e32 v39, v40
	v_pk_add_f32 v[44:45], v[38:39], v[46:47] neg_lo:[0,1] neg_hi:[0,1]
	s_or_b64 s[74:75], s[74:75], s[78:79]
	v_sub_f32_e32 v35, v38, v44
	v_pk_add_f32 v[36:37], v[36:37], v[44:45] neg_lo:[0,1] neg_hi:[0,1]
	v_sub_f32_e32 v35, v46, v35
	v_add_f32_e32 v35, v36, v35
	v_add_f32_e32 v35, v35, v37
	;; [unrolled: 1-line block ×3, first 2 shown]
	v_cndmask_b32_e64 v35, v35, v48, s[74:75]
	v_add_f32_e32 v36, v32, v35
.LBB529_74:
	s_or_b64 exec, exec, s[76:77]
	v_bfe_u32 v32, v36, 16, 1
	s_movk_i32 s80, 0x7fff
	v_add3_u32 v32, v36, v32, s80
	v_and_b32_e32 v32, 0xffff0000, v32
	v_mov_b32_e32 v35, 0x7fc00000
	v_cmp_o_f32_e64 s[74:75], v36, v36
	s_nop 1
	v_cndmask_b32_e64 v38, v35, v32, s[74:75]
	v_lshlrev_b32_e32 v32, 16, v13
	v_max_f32_e32 v37, v38, v38
	v_max_f32_e32 v36, v32, v32
	v_min_f32_e32 v39, v37, v36
	v_cmp_u_f32_e64 s[76:77], v38, v38
	v_max_f32_e32 v37, v37, v36
	v_cmp_u_f32_e64 s[74:75], v32, v32
	v_cndmask_b32_e64 v39, v39, v38, s[76:77]
	v_cndmask_b32_e64 v37, v37, v38, s[76:77]
	;; [unrolled: 1-line block ×4, first 2 shown]
	v_cmp_neq_f32_e64 s[76:77], v39, v37
	v_cmp_class_f32_e64 s[78:79], v39, s33
	s_or_b64 s[76:77], s[76:77], s[78:79]
	s_and_saveexec_b64 s[78:79], s[76:77]
	s_cbranch_execz .LBB529_76
; %bb.75:
	v_sub_f32_e32 v38, v39, v37
	s_mov_b32 s2, 0x3fb8aa3b
	v_mul_f32_e32 v39, 0x3fb8aa3b, v38
	v_fma_f32 v40, v38, s2, -v39
	v_rndne_f32_e32 v41, v39
	v_fmamk_f32 v40, v38, 0x32a5705f, v40
	v_sub_f32_e32 v39, v39, v41
	v_add_f32_e32 v39, v39, v40
	v_exp_f32_e32 v39, v39
	v_cvt_i32_f32_e32 v40, v41
	s_mov_b32 s2, 0xc2ce8ed0
	v_cmp_ngt_f32_e64 s[76:77], s2, v38
	s_mov_b32 s2, 0x42b17218
	v_ldexp_f32 v39, v39, v40
	v_cndmask_b32_e64 v39, 0, v39, s[76:77]
	v_mov_b32_e32 v40, 0x7f800000
	v_cmp_nlt_f32_e64 s[76:77], s2, v38
	s_mov_b32 s2, 0x3f2aaaab
	s_mov_b32 s3, 0x7f800000
	v_cndmask_b32_e64 v48, v40, v39, s[76:77]
	v_add_f32_e32 v40, 1.0, v48
	v_add_f32_e32 v38, -1.0, v40
	v_sub_f32_e32 v39, v38, v40
	v_add_f32_e32 v39, 1.0, v39
	v_sub_f32_e32 v38, v48, v38
	v_add_f32_e32 v41, v38, v39
	v_frexp_mant_f32_e32 v42, v40
	v_cvt_f64_f32_e32 v[38:39], v40
	v_frexp_exp_i32_f64_e32 v38, v[38:39]
	v_cmp_gt_f32_e64 s[76:77], s2, v42
	s_mov_b32 s2, 0x3f317218
	s_nop 0
	v_subbrev_co_u32_e64 v46, s[76:77], 0, v38, s[76:77]
	v_sub_u32_e32 v38, 0, v46
	v_ldexp_f32 v39, v40, v38
	v_add_f32_e32 v40, -1.0, v39
	v_add_f32_e32 v42, 1.0, v39
	v_ldexp_f32 v38, v41, v38
	v_add_f32_e32 v41, 1.0, v40
	v_add_f32_e32 v43, -1.0, v42
	v_sub_f32_e32 v41, v39, v41
	v_sub_f32_e32 v39, v39, v43
	v_add_f32_e32 v41, v38, v41
	v_add_f32_e32 v38, v38, v39
	;; [unrolled: 1-line block ×3, first 2 shown]
	v_rcp_f32_e32 v54, v47
	v_sub_f32_e32 v39, v42, v47
	v_add_f32_e32 v53, v38, v39
	v_add_f32_e32 v39, v40, v41
	v_mul_f32_e32 v56, v39, v54
	v_sub_f32_e32 v38, v40, v39
	v_mul_f32_e32 v40, v47, v56
	v_fma_f32 v42, v56, v47, -v40
	v_fmac_f32_e32 v42, v56, v53
	v_add_f32_e32 v55, v41, v38
	v_add_f32_e32 v38, v40, v42
	v_sub_f32_e32 v41, v39, v38
	v_pk_add_f32 v[44:45], v[38:39], v[40:41] neg_lo:[0,1] neg_hi:[0,1]
	v_mov_b32_e32 v43, v38
	v_pk_add_f32 v[38:39], v[44:45], v[42:43] neg_lo:[0,1] neg_hi:[0,1]
	v_cmp_eq_f32_e64 s[76:77], s3, v48
	v_add_f32_e32 v39, v55, v39
	v_add_f32_e32 v38, v38, v39
	v_add_f32_e32 v39, v41, v38
	v_mul_f32_e32 v55, v54, v39
	v_mul_f32_e32 v40, v47, v55
	v_fma_f32 v42, v55, v47, -v40
	v_fmac_f32_e32 v42, v55, v53
	v_sub_f32_e32 v41, v41, v39
	v_add_f32_e32 v47, v38, v41
	v_add_f32_e32 v38, v40, v42
	v_sub_f32_e32 v41, v39, v38
	v_pk_add_f32 v[44:45], v[38:39], v[40:41] neg_lo:[0,1] neg_hi:[0,1]
	v_mov_b32_e32 v43, v38
	v_pk_add_f32 v[38:39], v[44:45], v[42:43] neg_lo:[0,1] neg_hi:[0,1]
	v_cvt_f32_i32_e32 v40, v46
	v_add_f32_e32 v39, v47, v39
	v_add_f32_e32 v38, v38, v39
	;; [unrolled: 1-line block ×4, first 2 shown]
	v_sub_f32_e32 v39, v41, v56
	v_mul_f32_e32 v38, v54, v38
	v_sub_f32_e32 v39, v55, v39
	v_add_f32_e32 v38, v39, v38
	v_add_f32_e32 v42, v41, v38
	v_mul_f32_e32 v44, v42, v42
	v_mov_b32_e32 v39, 0x3ecc95a3
	v_sub_f32_e32 v41, v42, v41
	v_fmac_f32_e32 v39, 0x3e9b6dac, v44
	v_sub_f32_e32 v38, v38, v41
	v_fmaak_f32 v39, v44, v39, 0x3f2aaada
	v_ldexp_f32 v45, v38, 1
	v_mul_f32_e32 v41, v42, v44
	v_mov_b32_e32 v38, 0x3f317218
	v_pk_mul_f32 v[38:39], v[40:41], v[38:39]
	v_ldexp_f32 v43, v42, 1
	v_fma_f32 v41, v40, s2, -v38
	v_fmamk_f32 v42, v40, 0xb102e308, v41
	v_pk_add_f32 v[40:41], v[38:39], v[42:43]
	v_mov_b32_e32 v44, v38
	v_sub_f32_e32 v43, v41, v43
	v_sub_f32_e32 v43, v39, v43
	v_add_f32_e32 v45, v45, v43
	v_pk_add_f32 v[38:39], v[40:41], v[38:39] neg_lo:[0,1] neg_hi:[0,1]
	v_pk_add_f32 v[46:47], v[40:41], v[44:45]
	v_mov_b32_e32 v43, v40
	v_mov_b32_e32 v39, v47
	v_pk_add_f32 v[54:55], v[42:43], v[38:39] neg_lo:[0,1] neg_hi:[0,1]
	v_pk_add_f32 v[38:39], v[42:43], v[38:39]
	v_mov_b32_e32 v44, v45
	v_mov_b32_e32 v42, v39
	v_pk_add_f32 v[56:57], v[42:43], v[40:41] neg_lo:[0,1] neg_hi:[0,1]
	v_mov_b32_e32 v38, v47
	v_mov_b32_e32 v43, v56
	v_pk_add_f32 v[58:59], v[46:47], v[42:43] neg_lo:[0,1] neg_hi:[0,1]
	v_mov_b32_e32 v46, v41
	v_mov_b32_e32 v47, v56
	;; [unrolled: 1-line block ×3, first 2 shown]
	v_pk_add_f32 v[38:39], v[38:39], v[46:47] neg_lo:[0,1] neg_hi:[0,1]
	v_mov_b32_e32 v45, v40
	v_pk_add_f32 v[38:39], v[44:45], v[38:39] neg_lo:[0,1] neg_hi:[0,1]
	v_mov_b32_e32 v58, v54
	v_pk_add_f32 v[40:41], v[58:59], v[38:39]
	s_mov_b32 s2, 0x33800000
	v_mov_b32_e32 v44, v41
	v_pk_add_f32 v[44:45], v[40:41], v[44:45]
	v_cmp_lt_f32_e64 s[82:83], |v48|, s2
	v_pk_add_f32 v[42:43], v[42:43], v[44:45]
	v_mov_b32_e32 v39, v44
	v_mov_b32_e32 v41, v42
	v_pk_add_f32 v[46:47], v[40:41], v[54:55] neg_lo:[0,1] neg_hi:[0,1]
	s_or_b64 s[76:77], s[76:77], s[82:83]
	v_sub_f32_e32 v40, v40, v46
	v_pk_add_f32 v[38:39], v[38:39], v[46:47] neg_lo:[0,1] neg_hi:[0,1]
	v_sub_f32_e32 v40, v54, v40
	v_add_f32_e32 v38, v38, v40
	v_add_f32_e32 v38, v38, v39
	;; [unrolled: 1-line block ×3, first 2 shown]
	v_cndmask_b32_e64 v38, v38, v48, s[76:77]
	v_add_f32_e32 v38, v37, v38
.LBB529_76:
	s_or_b64 exec, exec, s[78:79]
	v_bfe_u32 v37, v38, 16, 1
	v_add3_u32 v37, v38, v37, s80
	v_and_b32_e32 v37, 0xffff0000, v37
	v_cmp_o_f32_e64 s[76:77], v38, v38
	v_and_b32_e32 v13, 0xffff0000, v13
	s_nop 0
	v_cndmask_b32_e64 v39, v35, v37, s[76:77]
	v_max_f32_e32 v35, v39, v39
	v_max_f32_e32 v37, v13, v13
	v_min_f32_e32 v38, v35, v37
	v_cmp_u_f32_e64 s[78:79], v39, v39
	v_max_f32_e32 v35, v35, v37
	v_cmp_u_f32_e64 s[76:77], v13, v13
	v_cndmask_b32_e64 v38, v38, v39, s[78:79]
	v_cndmask_b32_e64 v35, v35, v39, s[78:79]
	;; [unrolled: 1-line block ×4, first 2 shown]
	v_cmp_neq_f32_e64 s[78:79], v38, v35
	v_cmp_class_f32_e64 s[80:81], v38, s33
	s_or_b64 s[78:79], s[78:79], s[80:81]
	s_and_saveexec_b64 s[80:81], s[78:79]
	s_cbranch_execz .LBB529_78
; %bb.77:
	v_sub_f32_e32 v38, v38, v35
	s_mov_b32 s2, 0x3fb8aa3b
	v_mul_f32_e32 v39, 0x3fb8aa3b, v38
	v_fma_f32 v40, v38, s2, -v39
	v_rndne_f32_e32 v41, v39
	v_fmamk_f32 v40, v38, 0x32a5705f, v40
	v_sub_f32_e32 v39, v39, v41
	v_add_f32_e32 v39, v39, v40
	v_exp_f32_e32 v39, v39
	v_cvt_i32_f32_e32 v40, v41
	s_mov_b32 s2, 0xc2ce8ed0
	v_cmp_ngt_f32_e64 s[78:79], s2, v38
	s_mov_b32 s2, 0x42b17218
	v_ldexp_f32 v39, v39, v40
	v_cndmask_b32_e64 v39, 0, v39, s[78:79]
	v_mov_b32_e32 v40, 0x7f800000
	v_cmp_nlt_f32_e64 s[78:79], s2, v38
	s_mov_b32 s2, 0x3f2aaaab
	s_mov_b32 s3, 0x7f800000
	v_cndmask_b32_e64 v48, v40, v39, s[78:79]
	v_add_f32_e32 v40, 1.0, v48
	v_add_f32_e32 v38, -1.0, v40
	v_sub_f32_e32 v39, v38, v40
	v_add_f32_e32 v39, 1.0, v39
	v_sub_f32_e32 v38, v48, v38
	v_add_f32_e32 v41, v38, v39
	v_frexp_mant_f32_e32 v42, v40
	v_cvt_f64_f32_e32 v[38:39], v40
	v_frexp_exp_i32_f64_e32 v38, v[38:39]
	v_cmp_gt_f32_e64 s[78:79], s2, v42
	s_mov_b32 s2, 0x3f317218
	s_nop 0
	v_subbrev_co_u32_e64 v46, s[78:79], 0, v38, s[78:79]
	v_sub_u32_e32 v38, 0, v46
	v_ldexp_f32 v39, v40, v38
	v_add_f32_e32 v40, -1.0, v39
	v_add_f32_e32 v42, 1.0, v39
	v_ldexp_f32 v38, v41, v38
	v_add_f32_e32 v41, 1.0, v40
	v_add_f32_e32 v43, -1.0, v42
	v_sub_f32_e32 v41, v39, v41
	v_sub_f32_e32 v39, v39, v43
	v_add_f32_e32 v41, v38, v41
	v_add_f32_e32 v38, v38, v39
	;; [unrolled: 1-line block ×3, first 2 shown]
	v_rcp_f32_e32 v54, v47
	v_sub_f32_e32 v39, v42, v47
	v_add_f32_e32 v53, v38, v39
	v_add_f32_e32 v39, v40, v41
	v_mul_f32_e32 v56, v39, v54
	v_sub_f32_e32 v38, v40, v39
	v_mul_f32_e32 v40, v47, v56
	v_fma_f32 v42, v56, v47, -v40
	v_fmac_f32_e32 v42, v56, v53
	v_add_f32_e32 v55, v41, v38
	v_add_f32_e32 v38, v40, v42
	v_sub_f32_e32 v41, v39, v38
	v_pk_add_f32 v[44:45], v[38:39], v[40:41] neg_lo:[0,1] neg_hi:[0,1]
	v_mov_b32_e32 v43, v38
	v_pk_add_f32 v[38:39], v[44:45], v[42:43] neg_lo:[0,1] neg_hi:[0,1]
	v_cmp_eq_f32_e64 s[78:79], s3, v48
	v_add_f32_e32 v39, v55, v39
	v_add_f32_e32 v38, v38, v39
	;; [unrolled: 1-line block ×3, first 2 shown]
	v_mul_f32_e32 v55, v54, v39
	v_mul_f32_e32 v40, v47, v55
	v_fma_f32 v42, v55, v47, -v40
	v_fmac_f32_e32 v42, v55, v53
	v_sub_f32_e32 v41, v41, v39
	v_add_f32_e32 v47, v38, v41
	v_add_f32_e32 v38, v40, v42
	v_sub_f32_e32 v41, v39, v38
	v_pk_add_f32 v[44:45], v[38:39], v[40:41] neg_lo:[0,1] neg_hi:[0,1]
	v_mov_b32_e32 v43, v38
	v_pk_add_f32 v[38:39], v[44:45], v[42:43] neg_lo:[0,1] neg_hi:[0,1]
	v_cvt_f32_i32_e32 v40, v46
	v_add_f32_e32 v39, v47, v39
	v_add_f32_e32 v38, v38, v39
	;; [unrolled: 1-line block ×4, first 2 shown]
	v_sub_f32_e32 v39, v41, v56
	v_mul_f32_e32 v38, v54, v38
	v_sub_f32_e32 v39, v55, v39
	v_add_f32_e32 v38, v39, v38
	v_add_f32_e32 v42, v41, v38
	v_mul_f32_e32 v44, v42, v42
	v_mov_b32_e32 v39, 0x3ecc95a3
	v_sub_f32_e32 v41, v42, v41
	v_fmac_f32_e32 v39, 0x3e9b6dac, v44
	v_sub_f32_e32 v38, v38, v41
	v_fmaak_f32 v39, v44, v39, 0x3f2aaada
	v_ldexp_f32 v45, v38, 1
	v_mul_f32_e32 v41, v42, v44
	v_mov_b32_e32 v38, 0x3f317218
	v_pk_mul_f32 v[38:39], v[40:41], v[38:39]
	v_ldexp_f32 v43, v42, 1
	v_fma_f32 v41, v40, s2, -v38
	v_fmamk_f32 v42, v40, 0xb102e308, v41
	v_pk_add_f32 v[40:41], v[38:39], v[42:43]
	v_mov_b32_e32 v44, v38
	v_sub_f32_e32 v43, v41, v43
	v_sub_f32_e32 v43, v39, v43
	v_add_f32_e32 v45, v45, v43
	v_pk_add_f32 v[38:39], v[40:41], v[38:39] neg_lo:[0,1] neg_hi:[0,1]
	v_pk_add_f32 v[46:47], v[40:41], v[44:45]
	v_mov_b32_e32 v43, v40
	v_mov_b32_e32 v39, v47
	v_pk_add_f32 v[54:55], v[42:43], v[38:39] neg_lo:[0,1] neg_hi:[0,1]
	v_pk_add_f32 v[38:39], v[42:43], v[38:39]
	v_mov_b32_e32 v44, v45
	v_mov_b32_e32 v42, v39
	v_pk_add_f32 v[56:57], v[42:43], v[40:41] neg_lo:[0,1] neg_hi:[0,1]
	v_mov_b32_e32 v38, v47
	v_mov_b32_e32 v43, v56
	v_pk_add_f32 v[58:59], v[46:47], v[42:43] neg_lo:[0,1] neg_hi:[0,1]
	v_mov_b32_e32 v46, v41
	v_mov_b32_e32 v47, v56
	;; [unrolled: 1-line block ×3, first 2 shown]
	v_pk_add_f32 v[38:39], v[38:39], v[46:47] neg_lo:[0,1] neg_hi:[0,1]
	v_mov_b32_e32 v45, v40
	v_pk_add_f32 v[38:39], v[44:45], v[38:39] neg_lo:[0,1] neg_hi:[0,1]
	v_mov_b32_e32 v58, v54
	v_pk_add_f32 v[40:41], v[58:59], v[38:39]
	s_mov_b32 s2, 0x33800000
	v_mov_b32_e32 v44, v41
	v_pk_add_f32 v[44:45], v[40:41], v[44:45]
	v_cmp_lt_f32_e64 s[82:83], |v48|, s2
	v_pk_add_f32 v[42:43], v[42:43], v[44:45]
	v_mov_b32_e32 v39, v44
	v_mov_b32_e32 v41, v42
	v_pk_add_f32 v[46:47], v[40:41], v[54:55] neg_lo:[0,1] neg_hi:[0,1]
	s_or_b64 s[78:79], s[78:79], s[82:83]
	v_sub_f32_e32 v40, v40, v46
	v_pk_add_f32 v[38:39], v[38:39], v[46:47] neg_lo:[0,1] neg_hi:[0,1]
	v_sub_f32_e32 v40, v54, v40
	v_add_f32_e32 v38, v38, v40
	v_add_f32_e32 v38, v38, v39
	v_add_f32_e32 v38, v42, v38
	v_cndmask_b32_e64 v38, v38, v48, s[78:79]
	v_add_f32_e32 v39, v35, v38
.LBB529_78:
	s_or_b64 exec, exec, s[80:81]
	v_bfe_u32 v35, v39, 16, 1
	s_movk_i32 s84, 0x7fff
	v_add3_u32 v35, v39, v35, s84
	v_and_b32_e32 v35, 0xffff0000, v35
	v_mov_b32_e32 v38, 0x7fc00000
	v_cmp_o_f32_e64 s[78:79], v39, v39
	s_nop 1
	v_cndmask_b32_e64 v41, v38, v35, s[78:79]
	v_lshlrev_b32_e32 v35, 16, v6
	v_max_f32_e32 v40, v41, v41
	v_max_f32_e32 v39, v35, v35
	v_min_f32_e32 v42, v40, v39
	v_cmp_u_f32_e64 s[80:81], v41, v41
	v_max_f32_e32 v40, v40, v39
	v_cmp_u_f32_e64 s[78:79], v35, v35
	v_cndmask_b32_e64 v42, v42, v41, s[80:81]
	v_cndmask_b32_e64 v40, v40, v41, s[80:81]
	v_cndmask_b32_e64 v42, v42, v35, s[78:79]
	v_cndmask_b32_e64 v40, v40, v35, s[78:79]
	v_cmp_neq_f32_e64 s[80:81], v42, v40
	v_cmp_class_f32_e64 s[82:83], v42, s33
	s_or_b64 s[80:81], s[80:81], s[82:83]
	s_and_saveexec_b64 s[82:83], s[80:81]
	s_cbranch_execz .LBB529_80
; %bb.79:
	v_sub_f32_e32 v41, v42, v40
	s_mov_b32 s2, 0x3fb8aa3b
	v_mul_f32_e32 v42, 0x3fb8aa3b, v41
	v_fma_f32 v43, v41, s2, -v42
	v_rndne_f32_e32 v44, v42
	v_fmamk_f32 v43, v41, 0x32a5705f, v43
	v_sub_f32_e32 v42, v42, v44
	v_add_f32_e32 v42, v42, v43
	v_exp_f32_e32 v42, v42
	v_cvt_i32_f32_e32 v43, v44
	s_mov_b32 s2, 0xc2ce8ed0
	v_cmp_ngt_f32_e64 s[80:81], s2, v41
	s_mov_b32 s2, 0x42b17218
	v_ldexp_f32 v42, v42, v43
	v_cndmask_b32_e64 v42, 0, v42, s[80:81]
	v_mov_b32_e32 v43, 0x7f800000
	v_cmp_nlt_f32_e64 s[80:81], s2, v41
	s_mov_b32 s2, 0x3f2aaaab
	s_mov_b32 s3, 0x7f800000
	v_cndmask_b32_e64 v53, v43, v42, s[80:81]
	v_add_f32_e32 v41, 1.0, v53
	v_add_f32_e32 v42, -1.0, v41
	v_sub_f32_e32 v43, v42, v41
	v_add_f32_e32 v43, 1.0, v43
	v_sub_f32_e32 v42, v53, v42
	v_add_f32_e32 v44, v42, v43
	v_frexp_mant_f32_e32 v45, v41
	v_cvt_f64_f32_e32 v[42:43], v41
	v_frexp_exp_i32_f64_e32 v42, v[42:43]
	v_cmp_gt_f32_e64 s[80:81], s2, v45
	s_mov_b32 s2, 0x3f317218
	s_nop 0
	v_subbrev_co_u32_e64 v48, s[80:81], 0, v42, s[80:81]
	v_sub_u32_e32 v42, 0, v48
	v_ldexp_f32 v41, v41, v42
	v_ldexp_f32 v42, v44, v42
	v_add_f32_e32 v44, -1.0, v41
	v_add_f32_e32 v43, 1.0, v44
	v_sub_f32_e32 v43, v41, v43
	v_add_f32_e32 v45, v42, v43
	v_add_f32_e32 v43, 1.0, v41
	v_add_f32_e32 v46, -1.0, v43
	v_sub_f32_e32 v41, v41, v46
	v_add_f32_e32 v41, v42, v41
	v_add_f32_e32 v56, v43, v41
	v_rcp_f32_e32 v57, v56
	v_sub_f32_e32 v42, v43, v56
	v_add_f32_e32 v43, v44, v45
	v_add_f32_e32 v41, v41, v42
	v_mul_f32_e32 v59, v43, v57
	v_sub_f32_e32 v42, v44, v43
	v_mul_f32_e32 v44, v56, v59
	v_fma_f32 v46, v59, v56, -v44
	v_fmac_f32_e32 v46, v59, v41
	v_add_f32_e32 v58, v45, v42
	v_add_f32_e32 v42, v44, v46
	v_sub_f32_e32 v45, v43, v42
	v_pk_add_f32 v[54:55], v[42:43], v[44:45] neg_lo:[0,1] neg_hi:[0,1]
	v_mov_b32_e32 v47, v42
	v_pk_add_f32 v[42:43], v[54:55], v[46:47] neg_lo:[0,1] neg_hi:[0,1]
	v_cmp_eq_f32_e64 s[80:81], s3, v53
	v_add_f32_e32 v43, v58, v43
	v_add_f32_e32 v42, v42, v43
	;; [unrolled: 1-line block ×3, first 2 shown]
	v_mul_f32_e32 v58, v57, v43
	v_mul_f32_e32 v44, v56, v58
	v_fma_f32 v46, v58, v56, -v44
	v_fmac_f32_e32 v46, v58, v41
	v_sub_f32_e32 v41, v45, v43
	v_add_f32_e32 v41, v42, v41
	v_add_f32_e32 v42, v44, v46
	v_sub_f32_e32 v45, v43, v42
	v_pk_add_f32 v[54:55], v[42:43], v[44:45] neg_lo:[0,1] neg_hi:[0,1]
	v_mov_b32_e32 v47, v42
	v_pk_add_f32 v[42:43], v[54:55], v[46:47] neg_lo:[0,1] neg_hi:[0,1]
	v_cvt_f32_i32_e32 v44, v48
	v_add_f32_e32 v41, v41, v43
	v_add_f32_e32 v41, v42, v41
	;; [unrolled: 1-line block ×4, first 2 shown]
	v_sub_f32_e32 v43, v42, v59
	v_mul_f32_e32 v41, v57, v41
	v_sub_f32_e32 v43, v58, v43
	v_add_f32_e32 v41, v43, v41
	v_add_f32_e32 v45, v42, v41
	v_mul_f32_e32 v46, v45, v45
	v_mov_b32_e32 v43, 0x3ecc95a3
	v_fmac_f32_e32 v43, 0x3e9b6dac, v46
	v_sub_f32_e32 v42, v45, v42
	v_fmaak_f32 v43, v46, v43, 0x3f2aaada
	v_sub_f32_e32 v41, v41, v42
	v_ldexp_f32 v47, v45, 1
	v_mul_f32_e32 v45, v45, v46
	v_mov_b32_e32 v42, 0x3f317218
	v_pk_mul_f32 v[42:43], v[44:45], v[42:43]
	v_ldexp_f32 v41, v41, 1
	v_fma_f32 v45, v44, s2, -v42
	v_fmamk_f32 v46, v44, 0xb102e308, v45
	v_pk_add_f32 v[44:45], v[42:43], v[46:47]
	v_mov_b32_e32 v54, v42
	v_sub_f32_e32 v47, v45, v47
	v_sub_f32_e32 v47, v43, v47
	v_add_f32_e32 v55, v41, v47
	v_pk_add_f32 v[42:43], v[44:45], v[42:43] neg_lo:[0,1] neg_hi:[0,1]
	v_pk_add_f32 v[56:57], v[44:45], v[54:55]
	v_mov_b32_e32 v47, v44
	v_mov_b32_e32 v43, v57
	v_pk_add_f32 v[58:59], v[46:47], v[42:43] neg_lo:[0,1] neg_hi:[0,1]
	v_pk_add_f32 v[42:43], v[46:47], v[42:43]
	v_mov_b32_e32 v54, v55
	v_mov_b32_e32 v46, v43
	v_pk_add_f32 v[60:61], v[46:47], v[44:45] neg_lo:[0,1] neg_hi:[0,1]
	v_mov_b32_e32 v42, v57
	v_mov_b32_e32 v41, v60
	v_pk_add_f32 v[62:63], v[56:57], v[40:41] neg_lo:[0,1] neg_hi:[0,1]
	v_mov_b32_e32 v56, v45
	v_mov_b32_e32 v57, v60
	v_mov_b32_e32 v59, v43
	v_pk_add_f32 v[42:43], v[42:43], v[56:57] neg_lo:[0,1] neg_hi:[0,1]
	v_mov_b32_e32 v55, v44
	v_pk_add_f32 v[42:43], v[54:55], v[42:43] neg_lo:[0,1] neg_hi:[0,1]
	v_mov_b32_e32 v62, v58
	v_pk_add_f32 v[44:45], v[62:63], v[42:43]
	s_mov_b32 s2, 0x33800000
	v_mov_b32_e32 v48, v45
	v_pk_add_f32 v[54:55], v[44:45], v[48:49]
	v_cmp_lt_f32_e64 s[86:87], |v53|, s2
	v_pk_add_f32 v[46:47], v[46:47], v[54:55]
	v_mov_b32_e32 v43, v54
	v_mov_b32_e32 v45, v46
	v_pk_add_f32 v[56:57], v[44:45], v[58:59] neg_lo:[0,1] neg_hi:[0,1]
	s_or_b64 s[80:81], s[80:81], s[86:87]
	v_sub_f32_e32 v41, v44, v56
	v_pk_add_f32 v[42:43], v[42:43], v[56:57] neg_lo:[0,1] neg_hi:[0,1]
	v_sub_f32_e32 v41, v58, v41
	v_add_f32_e32 v41, v42, v41
	v_add_f32_e32 v41, v41, v43
	;; [unrolled: 1-line block ×3, first 2 shown]
	v_cndmask_b32_e64 v41, v41, v53, s[80:81]
	v_add_f32_e32 v41, v40, v41
.LBB529_80:
	s_or_b64 exec, exec, s[82:83]
	v_bfe_u32 v40, v41, 16, 1
	v_add3_u32 v40, v41, v40, s84
	v_and_b32_e32 v40, 0xffff0000, v40
	v_cmp_o_f32_e64 s[80:81], v41, v41
	v_and_b32_e32 v6, 0xffff0000, v6
	s_nop 0
	v_cndmask_b32_e64 v42, v38, v40, s[80:81]
	v_max_f32_e32 v38, v42, v42
	v_max_f32_e32 v40, v6, v6
	v_min_f32_e32 v41, v38, v40
	v_cmp_u_f32_e64 s[82:83], v42, v42
	v_max_f32_e32 v38, v38, v40
	v_cmp_u_f32_e64 s[80:81], v6, v6
	v_cndmask_b32_e64 v41, v41, v42, s[82:83]
	v_cndmask_b32_e64 v38, v38, v42, s[82:83]
	;; [unrolled: 1-line block ×4, first 2 shown]
	v_cmp_neq_f32_e64 s[82:83], v41, v38
	v_cmp_class_f32_e64 s[84:85], v41, s33
	s_or_b64 s[82:83], s[82:83], s[84:85]
	s_and_saveexec_b64 s[84:85], s[82:83]
	s_cbranch_execz .LBB529_82
; %bb.81:
	v_sub_f32_e32 v41, v41, v38
	s_mov_b32 s2, 0x3fb8aa3b
	v_mul_f32_e32 v42, 0x3fb8aa3b, v41
	v_fma_f32 v43, v41, s2, -v42
	v_rndne_f32_e32 v44, v42
	v_fmamk_f32 v43, v41, 0x32a5705f, v43
	v_sub_f32_e32 v42, v42, v44
	v_add_f32_e32 v42, v42, v43
	v_exp_f32_e32 v42, v42
	v_cvt_i32_f32_e32 v43, v44
	s_mov_b32 s2, 0xc2ce8ed0
	v_cmp_ngt_f32_e64 s[82:83], s2, v41
	s_mov_b32 s2, 0x42b17218
	v_ldexp_f32 v42, v42, v43
	v_cndmask_b32_e64 v42, 0, v42, s[82:83]
	v_mov_b32_e32 v43, 0x7f800000
	v_cmp_nlt_f32_e64 s[82:83], s2, v41
	s_mov_b32 s2, 0x3f2aaaab
	s_mov_b32 s3, 0x7f800000
	v_cndmask_b32_e64 v53, v43, v42, s[82:83]
	v_add_f32_e32 v41, 1.0, v53
	v_add_f32_e32 v42, -1.0, v41
	v_sub_f32_e32 v43, v42, v41
	v_add_f32_e32 v43, 1.0, v43
	v_sub_f32_e32 v42, v53, v42
	v_add_f32_e32 v44, v42, v43
	v_frexp_mant_f32_e32 v45, v41
	v_cvt_f64_f32_e32 v[42:43], v41
	v_frexp_exp_i32_f64_e32 v42, v[42:43]
	v_cmp_gt_f32_e64 s[82:83], s2, v45
	s_mov_b32 s2, 0x3f317218
	s_nop 0
	v_subbrev_co_u32_e64 v48, s[82:83], 0, v42, s[82:83]
	v_sub_u32_e32 v42, 0, v48
	v_ldexp_f32 v41, v41, v42
	v_ldexp_f32 v42, v44, v42
	v_add_f32_e32 v44, -1.0, v41
	v_add_f32_e32 v43, 1.0, v44
	v_sub_f32_e32 v43, v41, v43
	v_add_f32_e32 v45, v42, v43
	v_add_f32_e32 v43, 1.0, v41
	v_add_f32_e32 v46, -1.0, v43
	v_sub_f32_e32 v41, v41, v46
	v_add_f32_e32 v41, v42, v41
	v_add_f32_e32 v56, v43, v41
	v_rcp_f32_e32 v57, v56
	v_sub_f32_e32 v42, v43, v56
	v_add_f32_e32 v43, v44, v45
	v_add_f32_e32 v41, v41, v42
	v_mul_f32_e32 v59, v43, v57
	v_sub_f32_e32 v42, v44, v43
	v_mul_f32_e32 v44, v56, v59
	v_fma_f32 v46, v59, v56, -v44
	v_fmac_f32_e32 v46, v59, v41
	v_add_f32_e32 v58, v45, v42
	v_add_f32_e32 v42, v44, v46
	v_sub_f32_e32 v45, v43, v42
	v_pk_add_f32 v[54:55], v[42:43], v[44:45] neg_lo:[0,1] neg_hi:[0,1]
	v_mov_b32_e32 v47, v42
	v_pk_add_f32 v[42:43], v[54:55], v[46:47] neg_lo:[0,1] neg_hi:[0,1]
	v_cmp_eq_f32_e64 s[82:83], s3, v53
	v_add_f32_e32 v43, v58, v43
	v_add_f32_e32 v42, v42, v43
	;; [unrolled: 1-line block ×3, first 2 shown]
	v_mul_f32_e32 v58, v57, v43
	v_mul_f32_e32 v44, v56, v58
	v_fma_f32 v46, v58, v56, -v44
	v_fmac_f32_e32 v46, v58, v41
	v_sub_f32_e32 v41, v45, v43
	v_add_f32_e32 v41, v42, v41
	v_add_f32_e32 v42, v44, v46
	v_sub_f32_e32 v45, v43, v42
	v_pk_add_f32 v[54:55], v[42:43], v[44:45] neg_lo:[0,1] neg_hi:[0,1]
	v_mov_b32_e32 v47, v42
	v_pk_add_f32 v[42:43], v[54:55], v[46:47] neg_lo:[0,1] neg_hi:[0,1]
	v_cvt_f32_i32_e32 v44, v48
	v_add_f32_e32 v41, v41, v43
	v_add_f32_e32 v41, v42, v41
	;; [unrolled: 1-line block ×4, first 2 shown]
	v_sub_f32_e32 v43, v42, v59
	v_mul_f32_e32 v41, v57, v41
	v_sub_f32_e32 v43, v58, v43
	v_add_f32_e32 v41, v43, v41
	v_add_f32_e32 v45, v42, v41
	v_mul_f32_e32 v46, v45, v45
	v_mov_b32_e32 v43, 0x3ecc95a3
	v_fmac_f32_e32 v43, 0x3e9b6dac, v46
	v_sub_f32_e32 v42, v45, v42
	v_fmaak_f32 v43, v46, v43, 0x3f2aaada
	v_sub_f32_e32 v41, v41, v42
	v_ldexp_f32 v47, v45, 1
	v_mul_f32_e32 v45, v45, v46
	v_mov_b32_e32 v42, 0x3f317218
	v_pk_mul_f32 v[42:43], v[44:45], v[42:43]
	v_ldexp_f32 v41, v41, 1
	v_fma_f32 v45, v44, s2, -v42
	v_fmamk_f32 v46, v44, 0xb102e308, v45
	v_pk_add_f32 v[44:45], v[42:43], v[46:47]
	v_mov_b32_e32 v54, v42
	v_sub_f32_e32 v47, v45, v47
	v_sub_f32_e32 v47, v43, v47
	v_add_f32_e32 v55, v41, v47
	v_pk_add_f32 v[42:43], v[44:45], v[42:43] neg_lo:[0,1] neg_hi:[0,1]
	v_pk_add_f32 v[56:57], v[44:45], v[54:55]
	v_mov_b32_e32 v47, v44
	v_mov_b32_e32 v43, v57
	v_pk_add_f32 v[58:59], v[46:47], v[42:43] neg_lo:[0,1] neg_hi:[0,1]
	v_pk_add_f32 v[42:43], v[46:47], v[42:43]
	v_mov_b32_e32 v54, v55
	v_mov_b32_e32 v46, v43
	v_pk_add_f32 v[60:61], v[46:47], v[44:45] neg_lo:[0,1] neg_hi:[0,1]
	v_mov_b32_e32 v42, v57
	v_mov_b32_e32 v41, v60
	v_pk_add_f32 v[62:63], v[56:57], v[40:41] neg_lo:[0,1] neg_hi:[0,1]
	v_mov_b32_e32 v56, v45
	v_mov_b32_e32 v57, v60
	;; [unrolled: 1-line block ×3, first 2 shown]
	v_pk_add_f32 v[42:43], v[42:43], v[56:57] neg_lo:[0,1] neg_hi:[0,1]
	v_mov_b32_e32 v55, v44
	v_pk_add_f32 v[42:43], v[54:55], v[42:43] neg_lo:[0,1] neg_hi:[0,1]
	v_mov_b32_e32 v62, v58
	v_pk_add_f32 v[44:45], v[62:63], v[42:43]
	s_mov_b32 s2, 0x33800000
	v_mov_b32_e32 v48, v45
	v_pk_add_f32 v[54:55], v[44:45], v[48:49]
	v_cmp_lt_f32_e64 s[86:87], |v53|, s2
	v_pk_add_f32 v[46:47], v[46:47], v[54:55]
	v_mov_b32_e32 v43, v54
	v_mov_b32_e32 v45, v46
	v_pk_add_f32 v[56:57], v[44:45], v[58:59] neg_lo:[0,1] neg_hi:[0,1]
	s_or_b64 s[82:83], s[82:83], s[86:87]
	v_sub_f32_e32 v41, v44, v56
	v_pk_add_f32 v[42:43], v[42:43], v[56:57] neg_lo:[0,1] neg_hi:[0,1]
	v_sub_f32_e32 v41, v58, v41
	v_add_f32_e32 v41, v42, v41
	v_add_f32_e32 v41, v41, v43
	;; [unrolled: 1-line block ×3, first 2 shown]
	v_cndmask_b32_e64 v41, v41, v53, s[82:83]
	v_add_f32_e32 v42, v38, v41
.LBB529_82:
	s_or_b64 exec, exec, s[84:85]
	v_bfe_u32 v38, v42, 16, 1
	s_movk_i32 s88, 0x7fff
	v_add3_u32 v38, v42, v38, s88
	v_and_b32_e32 v38, 0xffff0000, v38
	v_mov_b32_e32 v41, 0x7fc00000
	v_cmp_o_f32_e64 s[82:83], v42, v42
	s_nop 1
	v_cndmask_b32_e64 v44, v41, v38, s[82:83]
	v_lshlrev_b32_e32 v38, 16, v7
	v_max_f32_e32 v43, v44, v44
	v_max_f32_e32 v42, v38, v38
	v_min_f32_e32 v45, v43, v42
	v_cmp_u_f32_e64 s[84:85], v44, v44
	v_max_f32_e32 v43, v43, v42
	v_cmp_u_f32_e64 s[82:83], v38, v38
	v_cndmask_b32_e64 v45, v45, v44, s[84:85]
	v_cndmask_b32_e64 v43, v43, v44, s[84:85]
	;; [unrolled: 1-line block ×4, first 2 shown]
	v_cmp_neq_f32_e64 s[84:85], v45, v43
	v_cmp_class_f32_e64 s[86:87], v45, s33
	s_or_b64 s[84:85], s[84:85], s[86:87]
	s_and_saveexec_b64 s[86:87], s[84:85]
	s_cbranch_execz .LBB529_84
; %bb.83:
	v_sub_f32_e32 v44, v45, v43
	s_mov_b32 s2, 0x3fb8aa3b
	v_mul_f32_e32 v45, 0x3fb8aa3b, v44
	v_fma_f32 v46, v44, s2, -v45
	v_rndne_f32_e32 v47, v45
	v_fmamk_f32 v46, v44, 0x32a5705f, v46
	v_sub_f32_e32 v45, v45, v47
	v_add_f32_e32 v45, v45, v46
	v_exp_f32_e32 v45, v45
	v_cvt_i32_f32_e32 v46, v47
	s_mov_b32 s2, 0xc2ce8ed0
	v_cmp_ngt_f32_e64 s[84:85], s2, v44
	s_mov_b32 s2, 0x42b17218
	v_ldexp_f32 v45, v45, v46
	v_cndmask_b32_e64 v45, 0, v45, s[84:85]
	v_mov_b32_e32 v46, 0x7f800000
	v_cmp_nlt_f32_e64 s[84:85], s2, v44
	s_mov_b32 s2, 0x3f2aaaab
	s_mov_b32 s3, 0x7f800000
	v_cndmask_b32_e64 v64, v46, v45, s[84:85]
	v_add_f32_e32 v46, 1.0, v64
	v_add_f32_e32 v44, -1.0, v46
	v_sub_f32_e32 v45, v44, v46
	v_add_f32_e32 v45, 1.0, v45
	v_sub_f32_e32 v44, v64, v44
	v_add_f32_e32 v47, v44, v45
	v_frexp_mant_f32_e32 v48, v46
	v_cvt_f64_f32_e32 v[44:45], v46
	v_frexp_exp_i32_f64_e32 v44, v[44:45]
	v_cmp_gt_f32_e64 s[84:85], s2, v48
	s_mov_b32 s2, 0x3f317218
	s_nop 0
	v_subbrev_co_u32_e64 v48, s[84:85], 0, v44, s[84:85]
	v_sub_u32_e32 v44, 0, v48
	v_ldexp_f32 v45, v46, v44
	v_add_f32_e32 v46, -1.0, v45
	v_add_f32_e32 v53, 1.0, v45
	v_ldexp_f32 v44, v47, v44
	v_add_f32_e32 v47, 1.0, v46
	v_add_f32_e32 v54, -1.0, v53
	v_sub_f32_e32 v47, v45, v47
	v_sub_f32_e32 v45, v45, v54
	v_add_f32_e32 v47, v44, v47
	v_add_f32_e32 v44, v44, v45
	;; [unrolled: 1-line block ×3, first 2 shown]
	v_rcp_f32_e32 v59, v58
	v_sub_f32_e32 v45, v53, v58
	v_add_f32_e32 v53, v44, v45
	v_add_f32_e32 v45, v46, v47
	v_mul_f32_e32 v61, v45, v59
	v_sub_f32_e32 v44, v46, v45
	v_mul_f32_e32 v46, v58, v61
	v_fma_f32 v54, v61, v58, -v46
	v_fmac_f32_e32 v54, v61, v53
	v_add_f32_e32 v60, v47, v44
	v_add_f32_e32 v44, v46, v54
	v_sub_f32_e32 v47, v45, v44
	v_pk_add_f32 v[56:57], v[44:45], v[46:47] neg_lo:[0,1] neg_hi:[0,1]
	v_mov_b32_e32 v55, v44
	v_pk_add_f32 v[44:45], v[56:57], v[54:55] neg_lo:[0,1] neg_hi:[0,1]
	v_cmp_eq_f32_e64 s[84:85], s3, v64
	v_add_f32_e32 v45, v60, v45
	v_add_f32_e32 v44, v44, v45
	v_add_f32_e32 v45, v47, v44
	v_mul_f32_e32 v60, v59, v45
	v_mul_f32_e32 v46, v58, v60
	v_fma_f32 v54, v60, v58, -v46
	v_fmac_f32_e32 v54, v60, v53
	v_sub_f32_e32 v47, v47, v45
	v_add_f32_e32 v53, v44, v47
	v_add_f32_e32 v44, v46, v54
	v_sub_f32_e32 v47, v45, v44
	v_pk_add_f32 v[56:57], v[44:45], v[46:47] neg_lo:[0,1] neg_hi:[0,1]
	v_mov_b32_e32 v55, v44
	v_pk_add_f32 v[44:45], v[56:57], v[54:55] neg_lo:[0,1] neg_hi:[0,1]
	v_cvt_f32_i32_e32 v46, v48
	v_add_f32_e32 v45, v53, v45
	v_add_f32_e32 v44, v44, v45
	v_add_f32_e32 v44, v47, v44
	v_add_f32_e32 v47, v61, v60
	v_sub_f32_e32 v45, v47, v61
	v_mul_f32_e32 v44, v59, v44
	v_sub_f32_e32 v45, v60, v45
	v_add_f32_e32 v44, v45, v44
	v_add_f32_e32 v53, v47, v44
	v_mul_f32_e32 v54, v53, v53
	v_mov_b32_e32 v45, 0x3ecc95a3
	v_sub_f32_e32 v47, v53, v47
	v_fmac_f32_e32 v45, 0x3e9b6dac, v54
	v_sub_f32_e32 v44, v44, v47
	v_fmaak_f32 v45, v54, v45, 0x3f2aaada
	v_ldexp_f32 v48, v44, 1
	v_mul_f32_e32 v47, v53, v54
	v_mov_b32_e32 v44, 0x3f317218
	v_pk_mul_f32 v[44:45], v[46:47], v[44:45]
	v_ldexp_f32 v55, v53, 1
	v_fma_f32 v47, v46, s2, -v44
	v_fmamk_f32 v54, v46, 0xb102e308, v47
	v_pk_add_f32 v[46:47], v[44:45], v[54:55]
	v_mov_b32_e32 v56, v44
	v_sub_f32_e32 v53, v47, v55
	v_sub_f32_e32 v53, v45, v53
	v_add_f32_e32 v57, v48, v53
	v_pk_add_f32 v[44:45], v[46:47], v[44:45] neg_lo:[0,1] neg_hi:[0,1]
	v_pk_add_f32 v[58:59], v[46:47], v[56:57]
	v_mov_b32_e32 v55, v46
	v_mov_b32_e32 v45, v59
	v_pk_add_f32 v[60:61], v[54:55], v[44:45] neg_lo:[0,1] neg_hi:[0,1]
	v_pk_add_f32 v[44:45], v[54:55], v[44:45]
	s_mov_b32 s2, 0x33800000
	v_mov_b32_e32 v48, v45
	v_pk_add_f32 v[54:55], v[48:49], v[46:47] neg_lo:[0,1] neg_hi:[0,1]
	v_mov_b32_e32 v44, v59
	v_mov_b32_e32 v53, v54
	v_pk_add_f32 v[62:63], v[58:59], v[52:53] neg_lo:[0,1] neg_hi:[0,1]
	v_mov_b32_e32 v58, v47
	v_mov_b32_e32 v59, v54
	;; [unrolled: 1-line block ×3, first 2 shown]
	v_pk_add_f32 v[44:45], v[44:45], v[58:59] neg_lo:[0,1] neg_hi:[0,1]
	v_mov_b32_e32 v54, v57
	v_mov_b32_e32 v55, v46
	v_pk_add_f32 v[44:45], v[54:55], v[44:45] neg_lo:[0,1] neg_hi:[0,1]
	v_mov_b32_e32 v62, v60
	v_pk_add_f32 v[46:47], v[62:63], v[44:45]
	v_cmp_lt_f32_e64 s[90:91], |v64|, s2
	v_mov_b32_e32 v54, v47
	v_pk_add_f32 v[54:55], v[46:47], v[54:55]
	s_or_b64 s[84:85], s[84:85], s[90:91]
	v_pk_add_f32 v[56:57], v[48:49], v[54:55]
	v_mov_b32_e32 v45, v54
	v_mov_b32_e32 v47, v56
	v_pk_add_f32 v[58:59], v[46:47], v[60:61] neg_lo:[0,1] neg_hi:[0,1]
	s_nop 0
	v_sub_f32_e32 v46, v46, v58
	v_pk_add_f32 v[44:45], v[44:45], v[58:59] neg_lo:[0,1] neg_hi:[0,1]
	v_sub_f32_e32 v46, v60, v46
	v_add_f32_e32 v44, v44, v46
	v_add_f32_e32 v44, v44, v45
	;; [unrolled: 1-line block ×3, first 2 shown]
	v_cndmask_b32_e64 v44, v44, v64, s[84:85]
	v_add_f32_e32 v44, v43, v44
.LBB529_84:
	s_or_b64 exec, exec, s[86:87]
	v_bfe_u32 v43, v44, 16, 1
	v_add3_u32 v43, v44, v43, s88
	v_and_b32_e32 v43, 0xffff0000, v43
	v_cmp_o_f32_e64 s[84:85], v44, v44
	v_and_b32_e32 v7, 0xffff0000, v7
	s_nop 0
	v_cndmask_b32_e64 v45, v41, v43, s[84:85]
	v_max_f32_e32 v41, v45, v45
	v_max_f32_e32 v43, v7, v7
	v_min_f32_e32 v44, v41, v43
	v_cmp_u_f32_e64 s[86:87], v45, v45
	v_max_f32_e32 v41, v41, v43
	v_cmp_u_f32_e64 s[84:85], v7, v7
	v_cndmask_b32_e64 v44, v44, v45, s[86:87]
	v_cndmask_b32_e64 v41, v41, v45, s[86:87]
	;; [unrolled: 1-line block ×4, first 2 shown]
	v_cmp_neq_f32_e64 s[86:87], v44, v41
	v_cmp_class_f32_e64 s[88:89], v44, s33
	s_or_b64 s[86:87], s[86:87], s[88:89]
	s_and_saveexec_b64 s[88:89], s[86:87]
	s_cbranch_execz .LBB529_86
; %bb.85:
	v_sub_f32_e32 v44, v44, v41
	s_mov_b32 s2, 0x3fb8aa3b
	v_mul_f32_e32 v45, 0x3fb8aa3b, v44
	v_fma_f32 v46, v44, s2, -v45
	v_rndne_f32_e32 v47, v45
	v_fmamk_f32 v46, v44, 0x32a5705f, v46
	v_sub_f32_e32 v45, v45, v47
	v_add_f32_e32 v45, v45, v46
	v_exp_f32_e32 v45, v45
	v_cvt_i32_f32_e32 v46, v47
	s_mov_b32 s2, 0xc2ce8ed0
	v_cmp_ngt_f32_e64 s[86:87], s2, v44
	s_mov_b32 s2, 0x42b17218
	v_ldexp_f32 v45, v45, v46
	v_cndmask_b32_e64 v45, 0, v45, s[86:87]
	v_mov_b32_e32 v46, 0x7f800000
	v_cmp_nlt_f32_e64 s[86:87], s2, v44
	s_mov_b32 s2, 0x3f2aaaab
	s_mov_b32 s3, 0x7f800000
	v_cndmask_b32_e64 v64, v46, v45, s[86:87]
	v_add_f32_e32 v46, 1.0, v64
	v_add_f32_e32 v44, -1.0, v46
	v_sub_f32_e32 v45, v44, v46
	v_add_f32_e32 v45, 1.0, v45
	v_sub_f32_e32 v44, v64, v44
	v_add_f32_e32 v47, v44, v45
	v_frexp_mant_f32_e32 v48, v46
	v_cvt_f64_f32_e32 v[44:45], v46
	v_frexp_exp_i32_f64_e32 v44, v[44:45]
	v_cmp_gt_f32_e64 s[86:87], s2, v48
	s_mov_b32 s2, 0x3f317218
	s_nop 0
	v_subbrev_co_u32_e64 v48, s[86:87], 0, v44, s[86:87]
	v_sub_u32_e32 v44, 0, v48
	v_ldexp_f32 v45, v46, v44
	v_add_f32_e32 v46, -1.0, v45
	v_add_f32_e32 v53, 1.0, v45
	v_ldexp_f32 v44, v47, v44
	v_add_f32_e32 v47, 1.0, v46
	v_add_f32_e32 v54, -1.0, v53
	v_sub_f32_e32 v47, v45, v47
	v_sub_f32_e32 v45, v45, v54
	v_add_f32_e32 v47, v44, v47
	v_add_f32_e32 v44, v44, v45
	;; [unrolled: 1-line block ×3, first 2 shown]
	v_rcp_f32_e32 v59, v58
	v_sub_f32_e32 v45, v53, v58
	v_add_f32_e32 v53, v44, v45
	v_add_f32_e32 v45, v46, v47
	v_mul_f32_e32 v61, v45, v59
	v_sub_f32_e32 v44, v46, v45
	v_mul_f32_e32 v46, v58, v61
	v_fma_f32 v54, v61, v58, -v46
	v_fmac_f32_e32 v54, v61, v53
	v_add_f32_e32 v60, v47, v44
	v_add_f32_e32 v44, v46, v54
	v_sub_f32_e32 v47, v45, v44
	v_pk_add_f32 v[56:57], v[44:45], v[46:47] neg_lo:[0,1] neg_hi:[0,1]
	v_mov_b32_e32 v55, v44
	v_pk_add_f32 v[44:45], v[56:57], v[54:55] neg_lo:[0,1] neg_hi:[0,1]
	v_cmp_eq_f32_e64 s[86:87], s3, v64
	v_add_f32_e32 v45, v60, v45
	v_add_f32_e32 v44, v44, v45
	;; [unrolled: 1-line block ×3, first 2 shown]
	v_mul_f32_e32 v60, v59, v45
	v_mul_f32_e32 v46, v58, v60
	v_fma_f32 v54, v60, v58, -v46
	v_fmac_f32_e32 v54, v60, v53
	v_sub_f32_e32 v47, v47, v45
	v_add_f32_e32 v53, v44, v47
	v_add_f32_e32 v44, v46, v54
	v_sub_f32_e32 v47, v45, v44
	v_pk_add_f32 v[56:57], v[44:45], v[46:47] neg_lo:[0,1] neg_hi:[0,1]
	v_mov_b32_e32 v55, v44
	v_pk_add_f32 v[44:45], v[56:57], v[54:55] neg_lo:[0,1] neg_hi:[0,1]
	v_cvt_f32_i32_e32 v46, v48
	v_add_f32_e32 v45, v53, v45
	v_add_f32_e32 v44, v44, v45
	;; [unrolled: 1-line block ×4, first 2 shown]
	v_sub_f32_e32 v45, v47, v61
	v_mul_f32_e32 v44, v59, v44
	v_sub_f32_e32 v45, v60, v45
	v_add_f32_e32 v44, v45, v44
	v_add_f32_e32 v53, v47, v44
	v_mul_f32_e32 v54, v53, v53
	v_mov_b32_e32 v45, 0x3ecc95a3
	v_sub_f32_e32 v47, v53, v47
	v_fmac_f32_e32 v45, 0x3e9b6dac, v54
	v_sub_f32_e32 v44, v44, v47
	v_fmaak_f32 v45, v54, v45, 0x3f2aaada
	v_ldexp_f32 v48, v44, 1
	v_mul_f32_e32 v47, v53, v54
	v_mov_b32_e32 v44, 0x3f317218
	v_pk_mul_f32 v[44:45], v[46:47], v[44:45]
	v_ldexp_f32 v55, v53, 1
	v_fma_f32 v47, v46, s2, -v44
	v_fmamk_f32 v54, v46, 0xb102e308, v47
	v_pk_add_f32 v[46:47], v[44:45], v[54:55]
	v_mov_b32_e32 v56, v44
	v_sub_f32_e32 v53, v47, v55
	v_sub_f32_e32 v53, v45, v53
	v_add_f32_e32 v57, v48, v53
	v_pk_add_f32 v[44:45], v[46:47], v[44:45] neg_lo:[0,1] neg_hi:[0,1]
	v_pk_add_f32 v[58:59], v[46:47], v[56:57]
	v_mov_b32_e32 v55, v46
	v_mov_b32_e32 v45, v59
	v_pk_add_f32 v[60:61], v[54:55], v[44:45] neg_lo:[0,1] neg_hi:[0,1]
	v_pk_add_f32 v[44:45], v[54:55], v[44:45]
	s_mov_b32 s2, 0x33800000
	v_mov_b32_e32 v48, v45
	v_pk_add_f32 v[54:55], v[48:49], v[46:47] neg_lo:[0,1] neg_hi:[0,1]
	v_mov_b32_e32 v44, v59
	v_mov_b32_e32 v53, v54
	v_pk_add_f32 v[62:63], v[58:59], v[52:53] neg_lo:[0,1] neg_hi:[0,1]
	v_mov_b32_e32 v58, v47
	v_mov_b32_e32 v59, v54
	;; [unrolled: 1-line block ×3, first 2 shown]
	v_pk_add_f32 v[44:45], v[44:45], v[58:59] neg_lo:[0,1] neg_hi:[0,1]
	v_mov_b32_e32 v54, v57
	v_mov_b32_e32 v55, v46
	v_pk_add_f32 v[44:45], v[54:55], v[44:45] neg_lo:[0,1] neg_hi:[0,1]
	v_mov_b32_e32 v62, v60
	v_pk_add_f32 v[46:47], v[62:63], v[44:45]
	v_cmp_lt_f32_e64 s[90:91], |v64|, s2
	v_mov_b32_e32 v54, v47
	v_pk_add_f32 v[54:55], v[46:47], v[54:55]
	s_or_b64 s[86:87], s[86:87], s[90:91]
	v_pk_add_f32 v[56:57], v[48:49], v[54:55]
	v_mov_b32_e32 v45, v54
	v_mov_b32_e32 v47, v56
	v_pk_add_f32 v[58:59], v[46:47], v[60:61] neg_lo:[0,1] neg_hi:[0,1]
	s_nop 0
	v_sub_f32_e32 v46, v46, v58
	v_pk_add_f32 v[44:45], v[44:45], v[58:59] neg_lo:[0,1] neg_hi:[0,1]
	v_sub_f32_e32 v46, v60, v46
	v_add_f32_e32 v44, v44, v46
	v_add_f32_e32 v44, v44, v45
	;; [unrolled: 1-line block ×3, first 2 shown]
	v_cndmask_b32_e64 v44, v44, v64, s[86:87]
	v_add_f32_e32 v45, v41, v44
.LBB529_86:
	s_or_b64 exec, exec, s[88:89]
	v_bfe_u32 v41, v45, 16, 1
	s_movk_i32 s92, 0x7fff
	v_add3_u32 v41, v45, v41, s92
	v_and_b32_e32 v41, 0xffff0000, v41
	v_mov_b32_e32 v44, 0x7fc00000
	v_cmp_o_f32_e64 s[86:87], v45, v45
	s_nop 1
	v_cndmask_b32_e64 v47, v44, v41, s[86:87]
	v_lshlrev_b32_e32 v41, 16, v8
	v_max_f32_e32 v46, v47, v47
	v_max_f32_e32 v45, v41, v41
	v_min_f32_e32 v48, v46, v45
	v_cmp_u_f32_e64 s[88:89], v47, v47
	v_max_f32_e32 v46, v46, v45
	v_cmp_u_f32_e64 s[86:87], v41, v41
	v_cndmask_b32_e64 v48, v48, v47, s[88:89]
	v_cndmask_b32_e64 v46, v46, v47, s[88:89]
	v_cndmask_b32_e64 v48, v48, v41, s[86:87]
	v_cndmask_b32_e64 v46, v46, v41, s[86:87]
	v_cmp_neq_f32_e64 s[88:89], v48, v46
	v_cmp_class_f32_e64 s[90:91], v48, s33
	s_or_b64 s[88:89], s[88:89], s[90:91]
	s_and_saveexec_b64 s[90:91], s[88:89]
	s_cbranch_execz .LBB529_88
; %bb.87:
	v_sub_f32_e32 v47, v48, v46
	s_mov_b32 s2, 0x3fb8aa3b
	v_mul_f32_e32 v48, 0x3fb8aa3b, v47
	v_fma_f32 v53, v47, s2, -v48
	v_rndne_f32_e32 v54, v48
	v_fmamk_f32 v53, v47, 0x32a5705f, v53
	v_sub_f32_e32 v48, v48, v54
	v_add_f32_e32 v48, v48, v53
	v_exp_f32_e32 v48, v48
	v_cvt_i32_f32_e32 v53, v54
	s_mov_b32 s2, 0xc2ce8ed0
	v_cmp_ngt_f32_e64 s[88:89], s2, v47
	s_mov_b32 s2, 0x42b17218
	v_ldexp_f32 v48, v48, v53
	v_cndmask_b32_e64 v48, 0, v48, s[88:89]
	v_mov_b32_e32 v53, 0x7f800000
	v_cmp_nlt_f32_e64 s[88:89], s2, v47
	s_mov_b32 s2, 0x3f2aaaab
	s_mov_b32 s3, 0x7f800000
	v_cndmask_b32_e64 v53, v53, v48, s[88:89]
	v_add_f32_e32 v47, 1.0, v53
	v_add_f32_e32 v48, -1.0, v47
	v_sub_f32_e32 v54, v48, v47
	v_add_f32_e32 v54, 1.0, v54
	v_sub_f32_e32 v48, v53, v48
	v_add_f32_e32 v48, v48, v54
	v_frexp_mant_f32_e32 v56, v47
	v_cvt_f64_f32_e32 v[54:55], v47
	v_frexp_exp_i32_f64_e32 v54, v[54:55]
	v_cmp_gt_f32_e64 s[88:89], s2, v56
	s_mov_b32 s2, 0x3f317218
	s_nop 0
	v_subbrev_co_u32_e64 v62, s[88:89], 0, v54, s[88:89]
	v_sub_u32_e32 v54, 0, v62
	v_ldexp_f32 v47, v47, v54
	v_ldexp_f32 v48, v48, v54
	v_add_f32_e32 v54, -1.0, v47
	v_add_f32_e32 v55, 1.0, v54
	v_sub_f32_e32 v55, v47, v55
	v_add_f32_e32 v56, v48, v55
	v_add_f32_e32 v55, 1.0, v47
	v_add_f32_e32 v57, -1.0, v55
	v_sub_f32_e32 v47, v47, v57
	v_add_f32_e32 v47, v48, v47
	v_add_f32_e32 v48, v55, v47
	v_rcp_f32_e32 v63, v48
	v_sub_f32_e32 v55, v55, v48
	v_add_f32_e32 v47, v47, v55
	v_add_f32_e32 v55, v54, v56
	v_sub_f32_e32 v54, v54, v55
	v_mul_f32_e32 v65, v55, v63
	v_add_f32_e32 v64, v56, v54
	v_mul_f32_e32 v56, v48, v65
	v_fma_f32 v58, v65, v48, -v56
	v_fmac_f32_e32 v58, v65, v47
	v_add_f32_e32 v54, v56, v58
	v_sub_f32_e32 v57, v55, v54
	v_pk_add_f32 v[60:61], v[54:55], v[56:57] neg_lo:[0,1] neg_hi:[0,1]
	v_mov_b32_e32 v59, v54
	v_pk_add_f32 v[54:55], v[60:61], v[58:59] neg_lo:[0,1] neg_hi:[0,1]
	v_cmp_eq_f32_e64 s[88:89], s3, v53
	v_add_f32_e32 v55, v64, v55
	v_add_f32_e32 v54, v54, v55
	;; [unrolled: 1-line block ×3, first 2 shown]
	v_mul_f32_e32 v64, v63, v55
	v_mul_f32_e32 v56, v48, v64
	v_fma_f32 v58, v64, v48, -v56
	v_fmac_f32_e32 v58, v64, v47
	v_sub_f32_e32 v47, v57, v55
	v_add_f32_e32 v47, v54, v47
	v_add_f32_e32 v54, v56, v58
	v_sub_f32_e32 v57, v55, v54
	v_pk_add_f32 v[60:61], v[54:55], v[56:57] neg_lo:[0,1] neg_hi:[0,1]
	v_mov_b32_e32 v59, v54
	v_pk_add_f32 v[54:55], v[60:61], v[58:59] neg_lo:[0,1] neg_hi:[0,1]
	v_add_f32_e32 v48, v65, v64
	v_add_f32_e32 v47, v47, v55
	;; [unrolled: 1-line block ×4, first 2 shown]
	v_sub_f32_e32 v54, v48, v65
	v_mul_f32_e32 v47, v63, v47
	v_sub_f32_e32 v54, v64, v54
	v_add_f32_e32 v47, v54, v47
	v_add_f32_e32 v54, v48, v47
	v_cvt_f32_i32_e32 v56, v62
	v_mul_f32_e32 v57, v54, v54
	v_mov_b32_e32 v55, 0x3ecc95a3
	v_fmac_f32_e32 v55, 0x3e9b6dac, v57
	v_fmaak_f32 v55, v57, v55, 0x3f2aaada
	v_sub_f32_e32 v48, v54, v48
	v_ldexp_f32 v59, v54, 1
	v_mul_f32_e32 v57, v54, v57
	v_mov_b32_e32 v54, 0x3f317218
	v_pk_mul_f32 v[54:55], v[56:57], v[54:55]
	v_sub_f32_e32 v47, v47, v48
	v_fma_f32 v48, v56, s2, -v54
	v_fmamk_f32 v58, v56, 0xb102e308, v48
	v_pk_add_f32 v[56:57], v[54:55], v[58:59]
	v_ldexp_f32 v47, v47, 1
	v_sub_f32_e32 v48, v57, v59
	v_sub_f32_e32 v48, v55, v48
	v_add_f32_e32 v61, v47, v48
	v_mov_b32_e32 v60, v54
	v_pk_add_f32 v[54:55], v[56:57], v[54:55] neg_lo:[0,1] neg_hi:[0,1]
	v_pk_add_f32 v[62:63], v[56:57], v[60:61]
	v_mov_b32_e32 v59, v56
	v_mov_b32_e32 v55, v63
	v_pk_add_f32 v[64:65], v[58:59], v[54:55] neg_lo:[0,1] neg_hi:[0,1]
	v_pk_add_f32 v[54:55], v[58:59], v[54:55]
	s_mov_b32 s2, 0x33800000
	v_mov_b32_e32 v48, v55
	v_pk_add_f32 v[58:59], v[48:49], v[56:57] neg_lo:[0,1] neg_hi:[0,1]
	v_mov_b32_e32 v54, v63
	v_mov_b32_e32 v47, v58
	v_pk_add_f32 v[66:67], v[62:63], v[46:47] neg_lo:[0,1] neg_hi:[0,1]
	v_mov_b32_e32 v62, v57
	v_mov_b32_e32 v63, v58
	;; [unrolled: 1-line block ×3, first 2 shown]
	v_pk_add_f32 v[54:55], v[54:55], v[62:63] neg_lo:[0,1] neg_hi:[0,1]
	v_mov_b32_e32 v58, v61
	v_mov_b32_e32 v59, v56
	v_pk_add_f32 v[54:55], v[58:59], v[54:55] neg_lo:[0,1] neg_hi:[0,1]
	v_mov_b32_e32 v66, v64
	v_pk_add_f32 v[56:57], v[66:67], v[54:55]
	v_cmp_lt_f32_e64 s[96:97], |v53|, s2
	v_mov_b32_e32 v58, v57
	v_pk_add_f32 v[58:59], v[56:57], v[58:59]
	s_or_b64 s[88:89], s[88:89], s[96:97]
	v_pk_add_f32 v[60:61], v[48:49], v[58:59]
	v_mov_b32_e32 v55, v58
	v_mov_b32_e32 v57, v60
	v_pk_add_f32 v[62:63], v[56:57], v[64:65] neg_lo:[0,1] neg_hi:[0,1]
	s_nop 0
	v_sub_f32_e32 v47, v56, v62
	v_pk_add_f32 v[54:55], v[54:55], v[62:63] neg_lo:[0,1] neg_hi:[0,1]
	v_sub_f32_e32 v47, v64, v47
	v_add_f32_e32 v47, v54, v47
	v_add_f32_e32 v47, v47, v55
	;; [unrolled: 1-line block ×3, first 2 shown]
	v_cndmask_b32_e64 v47, v47, v53, s[88:89]
	v_add_f32_e32 v47, v46, v47
.LBB529_88:
	s_or_b64 exec, exec, s[90:91]
	v_bfe_u32 v46, v47, 16, 1
	v_add3_u32 v46, v47, v46, s92
	v_and_b32_e32 v46, 0xffff0000, v46
	v_cmp_o_f32_e64 s[88:89], v47, v47
	v_and_b32_e32 v8, 0xffff0000, v8
	s_nop 0
	v_cndmask_b32_e64 v47, v44, v46, s[88:89]
	v_max_f32_e32 v44, v47, v47
	v_max_f32_e32 v46, v8, v8
	v_min_f32_e32 v48, v44, v46
	v_cmp_u_f32_e64 s[90:91], v47, v47
	v_max_f32_e32 v44, v44, v46
	v_cmp_u_f32_e64 s[88:89], v8, v8
	v_cndmask_b32_e64 v48, v48, v47, s[90:91]
	v_cndmask_b32_e64 v44, v44, v47, s[90:91]
	;; [unrolled: 1-line block ×4, first 2 shown]
	v_cmp_neq_f32_e64 s[90:91], v48, v44
	v_cmp_class_f32_e64 s[92:93], v48, s33
	s_or_b64 s[90:91], s[90:91], s[92:93]
	s_and_saveexec_b64 s[92:93], s[90:91]
	s_cbranch_execz .LBB529_90
; %bb.89:
	v_sub_f32_e32 v47, v48, v44
	s_mov_b32 s2, 0x3fb8aa3b
	v_mul_f32_e32 v48, 0x3fb8aa3b, v47
	v_fma_f32 v53, v47, s2, -v48
	v_rndne_f32_e32 v54, v48
	v_fmamk_f32 v53, v47, 0x32a5705f, v53
	v_sub_f32_e32 v48, v48, v54
	v_add_f32_e32 v48, v48, v53
	v_exp_f32_e32 v48, v48
	v_cvt_i32_f32_e32 v53, v54
	s_mov_b32 s2, 0xc2ce8ed0
	v_cmp_ngt_f32_e64 s[90:91], s2, v47
	s_mov_b32 s2, 0x42b17218
	v_ldexp_f32 v48, v48, v53
	v_cndmask_b32_e64 v48, 0, v48, s[90:91]
	v_mov_b32_e32 v53, 0x7f800000
	v_cmp_nlt_f32_e64 s[90:91], s2, v47
	s_mov_b32 s2, 0x3f2aaaab
	s_mov_b32 s3, 0x7f800000
	v_cndmask_b32_e64 v53, v53, v48, s[90:91]
	v_add_f32_e32 v47, 1.0, v53
	v_add_f32_e32 v48, -1.0, v47
	v_sub_f32_e32 v54, v48, v47
	v_add_f32_e32 v54, 1.0, v54
	v_sub_f32_e32 v48, v53, v48
	v_add_f32_e32 v48, v48, v54
	v_frexp_mant_f32_e32 v56, v47
	v_cvt_f64_f32_e32 v[54:55], v47
	v_frexp_exp_i32_f64_e32 v54, v[54:55]
	v_cmp_gt_f32_e64 s[90:91], s2, v56
	s_mov_b32 s2, 0x3f317218
	s_nop 0
	v_subbrev_co_u32_e64 v62, s[90:91], 0, v54, s[90:91]
	v_sub_u32_e32 v54, 0, v62
	v_ldexp_f32 v47, v47, v54
	v_ldexp_f32 v48, v48, v54
	v_add_f32_e32 v54, -1.0, v47
	v_add_f32_e32 v55, 1.0, v54
	v_sub_f32_e32 v55, v47, v55
	v_add_f32_e32 v56, v48, v55
	v_add_f32_e32 v55, 1.0, v47
	v_add_f32_e32 v57, -1.0, v55
	v_sub_f32_e32 v47, v47, v57
	v_add_f32_e32 v47, v48, v47
	v_add_f32_e32 v48, v55, v47
	v_rcp_f32_e32 v63, v48
	v_sub_f32_e32 v55, v55, v48
	v_add_f32_e32 v47, v47, v55
	v_add_f32_e32 v55, v54, v56
	v_sub_f32_e32 v54, v54, v55
	v_mul_f32_e32 v65, v55, v63
	v_add_f32_e32 v64, v56, v54
	v_mul_f32_e32 v56, v48, v65
	v_fma_f32 v58, v65, v48, -v56
	v_fmac_f32_e32 v58, v65, v47
	v_add_f32_e32 v54, v56, v58
	v_sub_f32_e32 v57, v55, v54
	v_pk_add_f32 v[60:61], v[54:55], v[56:57] neg_lo:[0,1] neg_hi:[0,1]
	v_mov_b32_e32 v59, v54
	v_pk_add_f32 v[54:55], v[60:61], v[58:59] neg_lo:[0,1] neg_hi:[0,1]
	v_cmp_eq_f32_e64 s[90:91], s3, v53
	v_add_f32_e32 v55, v64, v55
	v_add_f32_e32 v54, v54, v55
	;; [unrolled: 1-line block ×3, first 2 shown]
	v_mul_f32_e32 v64, v63, v55
	v_mul_f32_e32 v56, v48, v64
	v_fma_f32 v58, v64, v48, -v56
	v_fmac_f32_e32 v58, v64, v47
	v_sub_f32_e32 v47, v57, v55
	v_add_f32_e32 v47, v54, v47
	v_add_f32_e32 v54, v56, v58
	v_sub_f32_e32 v57, v55, v54
	v_pk_add_f32 v[60:61], v[54:55], v[56:57] neg_lo:[0,1] neg_hi:[0,1]
	v_mov_b32_e32 v59, v54
	v_pk_add_f32 v[54:55], v[60:61], v[58:59] neg_lo:[0,1] neg_hi:[0,1]
	v_add_f32_e32 v48, v65, v64
	v_add_f32_e32 v47, v47, v55
	;; [unrolled: 1-line block ×4, first 2 shown]
	v_sub_f32_e32 v54, v48, v65
	v_mul_f32_e32 v47, v63, v47
	v_sub_f32_e32 v54, v64, v54
	v_add_f32_e32 v47, v54, v47
	v_add_f32_e32 v54, v48, v47
	v_cvt_f32_i32_e32 v56, v62
	v_mul_f32_e32 v57, v54, v54
	v_mov_b32_e32 v55, 0x3ecc95a3
	v_fmac_f32_e32 v55, 0x3e9b6dac, v57
	v_fmaak_f32 v55, v57, v55, 0x3f2aaada
	v_sub_f32_e32 v48, v54, v48
	v_ldexp_f32 v59, v54, 1
	v_mul_f32_e32 v57, v54, v57
	v_mov_b32_e32 v54, 0x3f317218
	v_pk_mul_f32 v[54:55], v[56:57], v[54:55]
	v_sub_f32_e32 v47, v47, v48
	v_fma_f32 v48, v56, s2, -v54
	v_fmamk_f32 v58, v56, 0xb102e308, v48
	v_pk_add_f32 v[56:57], v[54:55], v[58:59]
	v_ldexp_f32 v47, v47, 1
	v_sub_f32_e32 v48, v57, v59
	v_sub_f32_e32 v48, v55, v48
	v_add_f32_e32 v61, v47, v48
	v_mov_b32_e32 v60, v54
	v_pk_add_f32 v[54:55], v[56:57], v[54:55] neg_lo:[0,1] neg_hi:[0,1]
	v_pk_add_f32 v[62:63], v[56:57], v[60:61]
	v_mov_b32_e32 v59, v56
	v_mov_b32_e32 v55, v63
	v_pk_add_f32 v[64:65], v[58:59], v[54:55] neg_lo:[0,1] neg_hi:[0,1]
	v_pk_add_f32 v[54:55], v[58:59], v[54:55]
	s_mov_b32 s2, 0x33800000
	v_mov_b32_e32 v48, v55
	v_pk_add_f32 v[58:59], v[48:49], v[56:57] neg_lo:[0,1] neg_hi:[0,1]
	v_mov_b32_e32 v54, v63
	v_mov_b32_e32 v47, v58
	v_pk_add_f32 v[66:67], v[62:63], v[46:47] neg_lo:[0,1] neg_hi:[0,1]
	v_mov_b32_e32 v62, v57
	v_mov_b32_e32 v63, v58
	;; [unrolled: 1-line block ×3, first 2 shown]
	v_pk_add_f32 v[54:55], v[54:55], v[62:63] neg_lo:[0,1] neg_hi:[0,1]
	v_mov_b32_e32 v58, v61
	v_mov_b32_e32 v59, v56
	v_pk_add_f32 v[54:55], v[58:59], v[54:55] neg_lo:[0,1] neg_hi:[0,1]
	v_mov_b32_e32 v66, v64
	v_pk_add_f32 v[56:57], v[66:67], v[54:55]
	v_cmp_lt_f32_e64 s[96:97], |v53|, s2
	v_mov_b32_e32 v58, v57
	v_pk_add_f32 v[58:59], v[56:57], v[58:59]
	s_or_b64 s[90:91], s[90:91], s[96:97]
	v_pk_add_f32 v[60:61], v[48:49], v[58:59]
	v_mov_b32_e32 v55, v58
	v_mov_b32_e32 v57, v60
	v_pk_add_f32 v[62:63], v[56:57], v[64:65] neg_lo:[0,1] neg_hi:[0,1]
	s_nop 0
	v_sub_f32_e32 v47, v56, v62
	v_pk_add_f32 v[54:55], v[54:55], v[62:63] neg_lo:[0,1] neg_hi:[0,1]
	v_sub_f32_e32 v47, v64, v47
	v_add_f32_e32 v47, v54, v47
	v_add_f32_e32 v47, v47, v55
	;; [unrolled: 1-line block ×3, first 2 shown]
	v_cndmask_b32_e64 v47, v47, v53, s[90:91]
	v_add_f32_e32 v47, v44, v47
.LBB529_90:
	s_or_b64 exec, exec, s[92:93]
	v_bfe_u32 v44, v47, 16, 1
	s_movk_i32 s98, 0x7fff
	v_add3_u32 v44, v47, v44, s98
	v_and_b32_e32 v44, 0xffff0000, v44
	v_mov_b32_e32 v48, 0x7fc00000
	v_cmp_o_f32_e64 s[90:91], v47, v47
	s_nop 1
	v_cndmask_b32_e64 v54, v48, v44, s[90:91]
	v_lshlrev_b32_e32 v44, 16, v9
	v_max_f32_e32 v53, v54, v54
	v_max_f32_e32 v47, v44, v44
	v_min_f32_e32 v55, v53, v47
	v_cmp_u_f32_e64 s[92:93], v54, v54
	v_max_f32_e32 v53, v53, v47
	v_cmp_u_f32_e64 s[90:91], v44, v44
	v_cndmask_b32_e64 v55, v55, v54, s[92:93]
	v_cndmask_b32_e64 v53, v53, v54, s[92:93]
	v_cndmask_b32_e64 v55, v55, v44, s[90:91]
	v_cndmask_b32_e64 v53, v53, v44, s[90:91]
	v_cmp_neq_f32_e64 s[92:93], v55, v53
	v_cmp_class_f32_e64 s[96:97], v55, s33
	s_or_b64 s[92:93], s[92:93], s[96:97]
	s_and_saveexec_b64 s[96:97], s[92:93]
	s_cbranch_execz .LBB529_92
; %bb.91:
	v_sub_f32_e32 v54, v55, v53
	s_mov_b32 s2, 0x3fb8aa3b
	v_mul_f32_e32 v55, 0x3fb8aa3b, v54
	v_fma_f32 v56, v54, s2, -v55
	v_rndne_f32_e32 v57, v55
	v_fmamk_f32 v56, v54, 0x32a5705f, v56
	v_sub_f32_e32 v55, v55, v57
	v_add_f32_e32 v55, v55, v56
	v_exp_f32_e32 v55, v55
	v_cvt_i32_f32_e32 v56, v57
	s_mov_b32 s2, 0xc2ce8ed0
	v_cmp_ngt_f32_e64 s[92:93], s2, v54
	s_mov_b32 s2, 0x42b17218
	v_ldexp_f32 v55, v55, v56
	v_cndmask_b32_e64 v55, 0, v55, s[92:93]
	v_mov_b32_e32 v56, 0x7f800000
	v_cmp_nlt_f32_e64 s[92:93], s2, v54
	s_mov_b32 s2, 0x3f2aaaab
	s_mov_b32 s3, 0x7f800000
	v_cndmask_b32_e64 v70, v56, v55, s[92:93]
	v_add_f32_e32 v56, 1.0, v70
	v_add_f32_e32 v54, -1.0, v56
	v_sub_f32_e32 v55, v54, v56
	v_add_f32_e32 v55, 1.0, v55
	v_sub_f32_e32 v54, v70, v54
	v_add_f32_e32 v57, v54, v55
	v_frexp_mant_f32_e32 v58, v56
	v_cvt_f64_f32_e32 v[54:55], v56
	v_frexp_exp_i32_f64_e32 v54, v[54:55]
	v_cmp_gt_f32_e64 s[92:93], s2, v58
	s_mov_b32 s2, 0x3f317218
	s_nop 0
	v_subbrev_co_u32_e64 v62, s[92:93], 0, v54, s[92:93]
	v_sub_u32_e32 v54, 0, v62
	v_ldexp_f32 v55, v56, v54
	v_add_f32_e32 v56, -1.0, v55
	v_add_f32_e32 v58, 1.0, v55
	v_ldexp_f32 v54, v57, v54
	v_add_f32_e32 v57, 1.0, v56
	v_add_f32_e32 v59, -1.0, v58
	v_sub_f32_e32 v57, v55, v57
	v_sub_f32_e32 v55, v55, v59
	v_add_f32_e32 v57, v54, v57
	v_add_f32_e32 v54, v54, v55
	;; [unrolled: 1-line block ×3, first 2 shown]
	v_rcp_f32_e32 v65, v63
	v_sub_f32_e32 v55, v58, v63
	v_add_f32_e32 v64, v54, v55
	v_add_f32_e32 v55, v56, v57
	v_mul_f32_e32 v67, v55, v65
	v_sub_f32_e32 v54, v56, v55
	v_mul_f32_e32 v56, v63, v67
	v_fma_f32 v58, v67, v63, -v56
	v_fmac_f32_e32 v58, v67, v64
	v_add_f32_e32 v66, v57, v54
	v_add_f32_e32 v54, v56, v58
	v_sub_f32_e32 v57, v55, v54
	v_pk_add_f32 v[60:61], v[54:55], v[56:57] neg_lo:[0,1] neg_hi:[0,1]
	v_mov_b32_e32 v59, v54
	v_pk_add_f32 v[54:55], v[60:61], v[58:59] neg_lo:[0,1] neg_hi:[0,1]
	v_cmp_eq_f32_e64 s[92:93], s3, v70
	v_add_f32_e32 v55, v66, v55
	v_add_f32_e32 v54, v54, v55
	;; [unrolled: 1-line block ×3, first 2 shown]
	v_mul_f32_e32 v66, v65, v55
	v_mul_f32_e32 v56, v63, v66
	v_fma_f32 v58, v66, v63, -v56
	v_fmac_f32_e32 v58, v66, v64
	v_sub_f32_e32 v57, v57, v55
	v_add_f32_e32 v63, v54, v57
	v_add_f32_e32 v54, v56, v58
	v_sub_f32_e32 v57, v55, v54
	v_pk_add_f32 v[60:61], v[54:55], v[56:57] neg_lo:[0,1] neg_hi:[0,1]
	v_mov_b32_e32 v59, v54
	v_pk_add_f32 v[54:55], v[60:61], v[58:59] neg_lo:[0,1] neg_hi:[0,1]
	v_cvt_f32_i32_e32 v56, v62
	v_add_f32_e32 v55, v63, v55
	v_add_f32_e32 v54, v54, v55
	;; [unrolled: 1-line block ×4, first 2 shown]
	v_sub_f32_e32 v55, v57, v67
	v_mul_f32_e32 v54, v65, v54
	v_sub_f32_e32 v55, v66, v55
	v_add_f32_e32 v54, v55, v54
	v_add_f32_e32 v58, v57, v54
	v_mul_f32_e32 v60, v58, v58
	v_mov_b32_e32 v55, 0x3ecc95a3
	v_sub_f32_e32 v57, v58, v57
	v_fmac_f32_e32 v55, 0x3e9b6dac, v60
	v_sub_f32_e32 v54, v54, v57
	v_fmaak_f32 v55, v60, v55, 0x3f2aaada
	v_ldexp_f32 v61, v54, 1
	v_mul_f32_e32 v57, v58, v60
	v_mov_b32_e32 v54, 0x3f317218
	v_pk_mul_f32 v[54:55], v[56:57], v[54:55]
	v_ldexp_f32 v59, v58, 1
	v_fma_f32 v57, v56, s2, -v54
	v_fmamk_f32 v58, v56, 0xb102e308, v57
	v_pk_add_f32 v[56:57], v[54:55], v[58:59]
	v_mov_b32_e32 v60, v54
	v_sub_f32_e32 v59, v57, v59
	v_sub_f32_e32 v59, v55, v59
	v_add_f32_e32 v61, v61, v59
	v_pk_add_f32 v[54:55], v[56:57], v[54:55] neg_lo:[0,1] neg_hi:[0,1]
	v_pk_add_f32 v[62:63], v[56:57], v[60:61]
	v_mov_b32_e32 v59, v56
	v_mov_b32_e32 v55, v63
	v_pk_add_f32 v[64:65], v[58:59], v[54:55] neg_lo:[0,1] neg_hi:[0,1]
	v_pk_add_f32 v[54:55], v[58:59], v[54:55]
	v_mov_b32_e32 v60, v61
	v_mov_b32_e32 v58, v55
	v_pk_add_f32 v[66:67], v[58:59], v[56:57] neg_lo:[0,1] neg_hi:[0,1]
	v_mov_b32_e32 v54, v63
	v_mov_b32_e32 v59, v66
	v_pk_add_f32 v[68:69], v[62:63], v[58:59] neg_lo:[0,1] neg_hi:[0,1]
	v_mov_b32_e32 v62, v57
	v_mov_b32_e32 v63, v66
	v_mov_b32_e32 v65, v55
	v_pk_add_f32 v[54:55], v[54:55], v[62:63] neg_lo:[0,1] neg_hi:[0,1]
	v_mov_b32_e32 v61, v56
	v_pk_add_f32 v[54:55], v[60:61], v[54:55] neg_lo:[0,1] neg_hi:[0,1]
	v_mov_b32_e32 v68, v64
	v_pk_add_f32 v[56:57], v[68:69], v[54:55]
	s_mov_b32 s2, 0x33800000
	v_mov_b32_e32 v60, v57
	v_pk_add_f32 v[60:61], v[56:57], v[60:61]
	v_cmp_lt_f32_e64 vcc, |v70|, s2
	v_pk_add_f32 v[58:59], v[58:59], v[60:61]
	v_mov_b32_e32 v55, v60
	v_mov_b32_e32 v57, v58
	v_pk_add_f32 v[62:63], v[56:57], v[64:65] neg_lo:[0,1] neg_hi:[0,1]
	s_or_b64 s[92:93], s[92:93], vcc
	v_sub_f32_e32 v56, v56, v62
	v_pk_add_f32 v[54:55], v[54:55], v[62:63] neg_lo:[0,1] neg_hi:[0,1]
	v_sub_f32_e32 v56, v64, v56
	v_add_f32_e32 v54, v54, v56
	v_add_f32_e32 v54, v54, v55
	;; [unrolled: 1-line block ×3, first 2 shown]
	v_cndmask_b32_e64 v54, v54, v70, s[92:93]
	v_add_f32_e32 v54, v53, v54
.LBB529_92:
	s_or_b64 exec, exec, s[96:97]
	v_bfe_u32 v53, v54, 16, 1
	v_add3_u32 v53, v54, v53, s98
	v_and_b32_e32 v53, 0xffff0000, v53
	v_cmp_o_f32_e64 s[92:93], v54, v54
	v_and_b32_e32 v9, 0xffff0000, v9
	s_movk_i32 s2, 0x1f8
	v_cndmask_b32_e64 v54, v48, v53, s[92:93]
	v_max_f32_e32 v53, v54, v54
	v_max_f32_e32 v48, v9, v9
	v_min_f32_e32 v55, v53, v48
	v_cmp_u_f32_e64 s[98:99], v54, v54
	v_max_f32_e32 v53, v53, v48
	v_cmp_u_f32_e64 s[92:93], v9, v9
	v_cndmask_b32_e64 v55, v55, v54, s[98:99]
	v_cndmask_b32_e64 v53, v53, v54, s[98:99]
	;; [unrolled: 1-line block ×4, first 2 shown]
	v_cmp_neq_f32_e64 s[98:99], v55, v53
	v_cmp_class_f32_e64 s[96:97], v55, s2
	s_or_b64 s[98:99], s[98:99], s[96:97]
	s_and_saveexec_b64 s[96:97], s[98:99]
	s_cbranch_execz .LBB529_94
; %bb.93:
	v_sub_f32_e32 v54, v55, v53
	s_mov_b32 s2, 0x3fb8aa3b
	v_mul_f32_e32 v55, 0x3fb8aa3b, v54
	v_fma_f32 v56, v54, s2, -v55
	v_rndne_f32_e32 v57, v55
	v_fmamk_f32 v56, v54, 0x32a5705f, v56
	v_sub_f32_e32 v55, v55, v57
	v_add_f32_e32 v55, v55, v56
	v_exp_f32_e32 v55, v55
	v_cvt_i32_f32_e32 v56, v57
	s_mov_b32 s2, 0xc2ce8ed0
	v_cmp_ngt_f32_e64 s[98:99], s2, v54
	s_mov_b32 s2, 0x42b17218
	v_ldexp_f32 v55, v55, v56
	v_cndmask_b32_e64 v55, 0, v55, s[98:99]
	v_mov_b32_e32 v56, 0x7f800000
	v_cmp_nlt_f32_e64 s[98:99], s2, v54
	s_mov_b32 s2, 0x3f2aaaab
	s_mov_b32 s3, 0x7f800000
	v_cndmask_b32_e64 v70, v56, v55, s[98:99]
	v_add_f32_e32 v56, 1.0, v70
	v_add_f32_e32 v54, -1.0, v56
	v_sub_f32_e32 v55, v54, v56
	v_add_f32_e32 v55, 1.0, v55
	v_sub_f32_e32 v54, v70, v54
	v_add_f32_e32 v57, v54, v55
	v_frexp_mant_f32_e32 v58, v56
	v_cvt_f64_f32_e32 v[54:55], v56
	v_frexp_exp_i32_f64_e32 v54, v[54:55]
	v_cmp_gt_f32_e64 s[98:99], s2, v58
	s_mov_b32 s2, 0x3f317218
	s_nop 0
	v_subbrev_co_u32_e64 v62, s[98:99], 0, v54, s[98:99]
	v_sub_u32_e32 v54, 0, v62
	v_ldexp_f32 v55, v56, v54
	v_add_f32_e32 v56, -1.0, v55
	v_add_f32_e32 v58, 1.0, v55
	v_ldexp_f32 v54, v57, v54
	v_add_f32_e32 v57, 1.0, v56
	v_add_f32_e32 v59, -1.0, v58
	v_sub_f32_e32 v57, v55, v57
	v_sub_f32_e32 v55, v55, v59
	v_add_f32_e32 v57, v54, v57
	v_add_f32_e32 v54, v54, v55
	v_add_f32_e32 v63, v58, v54
	v_rcp_f32_e32 v65, v63
	v_sub_f32_e32 v55, v58, v63
	v_add_f32_e32 v64, v54, v55
	v_add_f32_e32 v55, v56, v57
	v_mul_f32_e32 v67, v55, v65
	v_sub_f32_e32 v54, v56, v55
	v_mul_f32_e32 v56, v63, v67
	v_fma_f32 v58, v67, v63, -v56
	v_fmac_f32_e32 v58, v67, v64
	v_add_f32_e32 v66, v57, v54
	v_add_f32_e32 v54, v56, v58
	v_sub_f32_e32 v57, v55, v54
	v_pk_add_f32 v[60:61], v[54:55], v[56:57] neg_lo:[0,1] neg_hi:[0,1]
	v_mov_b32_e32 v59, v54
	v_pk_add_f32 v[54:55], v[60:61], v[58:59] neg_lo:[0,1] neg_hi:[0,1]
	v_cmp_eq_f32_e64 s[98:99], s3, v70
	v_add_f32_e32 v55, v66, v55
	v_add_f32_e32 v54, v54, v55
	;; [unrolled: 1-line block ×3, first 2 shown]
	v_mul_f32_e32 v66, v65, v55
	v_mul_f32_e32 v56, v63, v66
	v_fma_f32 v58, v66, v63, -v56
	v_fmac_f32_e32 v58, v66, v64
	v_sub_f32_e32 v57, v57, v55
	v_add_f32_e32 v63, v54, v57
	v_add_f32_e32 v54, v56, v58
	v_sub_f32_e32 v57, v55, v54
	v_pk_add_f32 v[60:61], v[54:55], v[56:57] neg_lo:[0,1] neg_hi:[0,1]
	v_mov_b32_e32 v59, v54
	v_pk_add_f32 v[54:55], v[60:61], v[58:59] neg_lo:[0,1] neg_hi:[0,1]
	v_cvt_f32_i32_e32 v56, v62
	v_add_f32_e32 v55, v63, v55
	v_add_f32_e32 v54, v54, v55
	;; [unrolled: 1-line block ×4, first 2 shown]
	v_sub_f32_e32 v55, v57, v67
	v_mul_f32_e32 v54, v65, v54
	v_sub_f32_e32 v55, v66, v55
	v_add_f32_e32 v54, v55, v54
	v_add_f32_e32 v58, v57, v54
	v_mul_f32_e32 v60, v58, v58
	v_mov_b32_e32 v55, 0x3ecc95a3
	v_sub_f32_e32 v57, v58, v57
	v_fmac_f32_e32 v55, 0x3e9b6dac, v60
	v_sub_f32_e32 v54, v54, v57
	v_fmaak_f32 v55, v60, v55, 0x3f2aaada
	v_ldexp_f32 v61, v54, 1
	v_mul_f32_e32 v57, v58, v60
	v_mov_b32_e32 v54, 0x3f317218
	v_pk_mul_f32 v[54:55], v[56:57], v[54:55]
	v_ldexp_f32 v59, v58, 1
	v_fma_f32 v57, v56, s2, -v54
	v_fmamk_f32 v58, v56, 0xb102e308, v57
	v_pk_add_f32 v[56:57], v[54:55], v[58:59]
	v_mov_b32_e32 v60, v54
	v_sub_f32_e32 v59, v57, v59
	v_sub_f32_e32 v59, v55, v59
	v_add_f32_e32 v61, v61, v59
	v_pk_add_f32 v[54:55], v[56:57], v[54:55] neg_lo:[0,1] neg_hi:[0,1]
	v_pk_add_f32 v[62:63], v[56:57], v[60:61]
	v_mov_b32_e32 v59, v56
	v_mov_b32_e32 v55, v63
	v_pk_add_f32 v[64:65], v[58:59], v[54:55] neg_lo:[0,1] neg_hi:[0,1]
	v_pk_add_f32 v[54:55], v[58:59], v[54:55]
	v_mov_b32_e32 v60, v61
	v_mov_b32_e32 v58, v55
	v_pk_add_f32 v[66:67], v[58:59], v[56:57] neg_lo:[0,1] neg_hi:[0,1]
	v_mov_b32_e32 v54, v63
	v_mov_b32_e32 v59, v66
	v_pk_add_f32 v[68:69], v[62:63], v[58:59] neg_lo:[0,1] neg_hi:[0,1]
	v_mov_b32_e32 v62, v57
	v_mov_b32_e32 v63, v66
	;; [unrolled: 1-line block ×3, first 2 shown]
	v_pk_add_f32 v[54:55], v[54:55], v[62:63] neg_lo:[0,1] neg_hi:[0,1]
	v_mov_b32_e32 v61, v56
	v_pk_add_f32 v[54:55], v[60:61], v[54:55] neg_lo:[0,1] neg_hi:[0,1]
	v_mov_b32_e32 v68, v64
	v_pk_add_f32 v[56:57], v[68:69], v[54:55]
	s_mov_b32 s2, 0x33800000
	v_mov_b32_e32 v60, v57
	v_pk_add_f32 v[60:61], v[56:57], v[60:61]
	v_cmp_lt_f32_e64 vcc, |v70|, s2
	v_pk_add_f32 v[58:59], v[58:59], v[60:61]
	v_mov_b32_e32 v55, v60
	v_mov_b32_e32 v57, v58
	v_pk_add_f32 v[62:63], v[56:57], v[64:65] neg_lo:[0,1] neg_hi:[0,1]
	s_or_b64 s[98:99], s[98:99], vcc
	v_sub_f32_e32 v56, v56, v62
	v_pk_add_f32 v[54:55], v[54:55], v[62:63] neg_lo:[0,1] neg_hi:[0,1]
	v_sub_f32_e32 v56, v64, v56
	v_add_f32_e32 v54, v54, v56
	v_add_f32_e32 v54, v54, v55
	;; [unrolled: 1-line block ×3, first 2 shown]
	v_cndmask_b32_e64 v54, v54, v70, s[98:99]
	v_add_f32_e32 v54, v53, v54
.LBB529_94:
	s_or_b64 exec, exec, s[96:97]
	v_bfe_u32 v53, v54, 16, 1
	s_movk_i32 s2, 0x7fff
	v_add3_u32 v53, v54, v53, s2
	v_lshrrev_b32_e32 v53, 16, v53
	v_mov_b32_e32 v55, 0x7fc0
	v_cmp_o_f32_e64 s[98:99], v54, v54
	s_nop 1
	v_cndmask_b32_e64 v56, v55, v53, s[98:99]
	v_mbcnt_lo_u32_b32 v53, -1, 0
	v_mbcnt_hi_u32_b32 v54, -1, v53
	v_and_b32_e32 v55, 15, v54
	v_and_b32_e32 v57, 0xffff, v56
	v_cmp_ne_u32_e64 s[98:99], 0, v55
	s_nop 0
	v_mov_b32_dpp v53, v57 row_shr:1 row_mask:0xf bank_mask:0xf
	s_and_saveexec_b64 s[96:97], s[98:99]
	s_cbranch_execz .LBB529_98
; %bb.95:
	v_lshlrev_b32_e32 v56, 16, v53
	v_lshlrev_b32_e32 v53, 16, v57
	v_max_f32_e32 v58, v53, v53
	v_max_f32_e32 v59, v56, v56
	v_min_f32_e32 v57, v59, v58
	v_cmp_u_f32_e64 s[98:99], v56, v56
	v_max_f32_e32 v58, v59, v58
	v_cmp_u_f32_e32 vcc, v53, v53
	v_cndmask_b32_e64 v57, v57, v56, s[98:99]
	v_cndmask_b32_e64 v58, v58, v56, s[98:99]
	v_cndmask_b32_e32 v57, v57, v53, vcc
	v_cndmask_b32_e32 v53, v58, v53, vcc
	s_movk_i32 s2, 0x1f8
	v_cmp_neq_f32_e32 vcc, v57, v53
	v_cmp_class_f32_e64 s[98:99], v57, s2
	s_or_b64 vcc, vcc, s[98:99]
	s_and_saveexec_b64 s[98:99], vcc
	s_cbranch_execz .LBB529_97
; %bb.96:
	v_sub_f32_e32 v56, v57, v53
	s_mov_b32 s2, 0x3fb8aa3b
	v_mul_f32_e32 v57, 0x3fb8aa3b, v56
	v_fma_f32 v58, v56, s2, -v57
	v_rndne_f32_e32 v59, v57
	v_fmamk_f32 v58, v56, 0x32a5705f, v58
	v_sub_f32_e32 v57, v57, v59
	v_add_f32_e32 v57, v57, v58
	v_exp_f32_e32 v57, v57
	v_cvt_i32_f32_e32 v58, v59
	s_mov_b32 s2, 0xc2ce8ed0
	v_cmp_ngt_f32_e32 vcc, s2, v56
	s_mov_b32 s2, 0x42b17218
	v_ldexp_f32 v57, v57, v58
	v_cndmask_b32_e32 v57, 0, v57, vcc
	v_mov_b32_e32 v58, 0x7f800000
	v_cmp_nlt_f32_e32 vcc, s2, v56
	s_mov_b32 s2, 0x3f2aaaab
	s_mov_b32 s3, 0x7f800000
	v_cndmask_b32_e32 v72, v58, v57, vcc
	v_add_f32_e32 v58, 1.0, v72
	v_add_f32_e32 v56, -1.0, v58
	v_sub_f32_e32 v57, v56, v58
	v_add_f32_e32 v57, 1.0, v57
	v_sub_f32_e32 v56, v72, v56
	v_add_f32_e32 v59, v56, v57
	v_frexp_mant_f32_e32 v60, v58
	v_cvt_f64_f32_e32 v[56:57], v58
	v_frexp_exp_i32_f64_e32 v56, v[56:57]
	v_cmp_gt_f32_e32 vcc, s2, v60
	s_mov_b32 s2, 0x3f317218
	s_nop 0
	v_subbrev_co_u32_e32 v64, vcc, 0, v56, vcc
	v_sub_u32_e32 v56, 0, v64
	v_ldexp_f32 v57, v58, v56
	v_add_f32_e32 v58, -1.0, v57
	v_add_f32_e32 v60, 1.0, v57
	v_ldexp_f32 v56, v59, v56
	v_add_f32_e32 v59, 1.0, v58
	v_add_f32_e32 v61, -1.0, v60
	v_sub_f32_e32 v59, v57, v59
	v_sub_f32_e32 v57, v57, v61
	v_add_f32_e32 v59, v56, v59
	v_add_f32_e32 v56, v56, v57
	;; [unrolled: 1-line block ×3, first 2 shown]
	v_rcp_f32_e32 v67, v65
	v_sub_f32_e32 v57, v60, v65
	v_add_f32_e32 v66, v56, v57
	v_add_f32_e32 v57, v58, v59
	v_mul_f32_e32 v69, v57, v67
	v_sub_f32_e32 v56, v58, v57
	v_mul_f32_e32 v58, v65, v69
	v_fma_f32 v60, v69, v65, -v58
	v_fmac_f32_e32 v60, v69, v66
	v_add_f32_e32 v68, v59, v56
	v_add_f32_e32 v56, v58, v60
	v_sub_f32_e32 v59, v57, v56
	v_pk_add_f32 v[62:63], v[56:57], v[58:59] neg_lo:[0,1] neg_hi:[0,1]
	v_mov_b32_e32 v61, v56
	v_pk_add_f32 v[56:57], v[62:63], v[60:61] neg_lo:[0,1] neg_hi:[0,1]
	v_cmp_eq_f32_e32 vcc, s3, v72
	v_add_f32_e32 v57, v68, v57
	v_add_f32_e32 v56, v56, v57
	;; [unrolled: 1-line block ×3, first 2 shown]
	v_mul_f32_e32 v68, v67, v57
	v_mul_f32_e32 v58, v65, v68
	v_fma_f32 v60, v68, v65, -v58
	v_fmac_f32_e32 v60, v68, v66
	v_sub_f32_e32 v59, v59, v57
	v_add_f32_e32 v65, v56, v59
	v_add_f32_e32 v56, v58, v60
	v_sub_f32_e32 v59, v57, v56
	v_pk_add_f32 v[62:63], v[56:57], v[58:59] neg_lo:[0,1] neg_hi:[0,1]
	v_mov_b32_e32 v61, v56
	v_pk_add_f32 v[56:57], v[62:63], v[60:61] neg_lo:[0,1] neg_hi:[0,1]
	v_cvt_f32_i32_e32 v58, v64
	v_add_f32_e32 v57, v65, v57
	v_add_f32_e32 v56, v56, v57
	;; [unrolled: 1-line block ×4, first 2 shown]
	v_sub_f32_e32 v57, v59, v69
	v_mul_f32_e32 v56, v67, v56
	v_sub_f32_e32 v57, v68, v57
	v_add_f32_e32 v56, v57, v56
	v_add_f32_e32 v60, v59, v56
	v_mul_f32_e32 v62, v60, v60
	v_mov_b32_e32 v57, 0x3ecc95a3
	v_sub_f32_e32 v59, v60, v59
	v_fmac_f32_e32 v57, 0x3e9b6dac, v62
	v_sub_f32_e32 v56, v56, v59
	v_fmaak_f32 v57, v62, v57, 0x3f2aaada
	v_ldexp_f32 v63, v56, 1
	v_mul_f32_e32 v59, v60, v62
	v_mov_b32_e32 v56, 0x3f317218
	v_pk_mul_f32 v[56:57], v[58:59], v[56:57]
	v_ldexp_f32 v61, v60, 1
	v_fma_f32 v59, v58, s2, -v56
	v_fmamk_f32 v60, v58, 0xb102e308, v59
	v_pk_add_f32 v[58:59], v[56:57], v[60:61]
	v_mov_b32_e32 v62, v56
	v_sub_f32_e32 v61, v59, v61
	v_sub_f32_e32 v61, v57, v61
	v_add_f32_e32 v63, v63, v61
	v_pk_add_f32 v[56:57], v[58:59], v[56:57] neg_lo:[0,1] neg_hi:[0,1]
	v_pk_add_f32 v[64:65], v[58:59], v[62:63]
	v_mov_b32_e32 v61, v58
	v_mov_b32_e32 v57, v65
	v_pk_add_f32 v[66:67], v[60:61], v[56:57] neg_lo:[0,1] neg_hi:[0,1]
	v_pk_add_f32 v[56:57], v[60:61], v[56:57]
	v_mov_b32_e32 v62, v63
	v_mov_b32_e32 v60, v57
	v_pk_add_f32 v[68:69], v[60:61], v[58:59] neg_lo:[0,1] neg_hi:[0,1]
	v_mov_b32_e32 v56, v65
	v_mov_b32_e32 v61, v68
	v_pk_add_f32 v[70:71], v[64:65], v[60:61] neg_lo:[0,1] neg_hi:[0,1]
	v_mov_b32_e32 v64, v59
	v_mov_b32_e32 v65, v68
	;; [unrolled: 1-line block ×3, first 2 shown]
	v_pk_add_f32 v[56:57], v[56:57], v[64:65] neg_lo:[0,1] neg_hi:[0,1]
	v_mov_b32_e32 v63, v58
	v_pk_add_f32 v[56:57], v[62:63], v[56:57] neg_lo:[0,1] neg_hi:[0,1]
	v_mov_b32_e32 v70, v66
	v_pk_add_f32 v[58:59], v[70:71], v[56:57]
	s_mov_b32 s2, 0x33800000
	v_mov_b32_e32 v62, v59
	v_pk_add_f32 v[62:63], v[58:59], v[62:63]
	v_cmp_lt_f32_e64 s[2:3], |v72|, s2
	v_pk_add_f32 v[60:61], v[60:61], v[62:63]
	v_mov_b32_e32 v57, v62
	v_mov_b32_e32 v59, v60
	v_pk_add_f32 v[64:65], v[58:59], v[66:67] neg_lo:[0,1] neg_hi:[0,1]
	s_or_b64 vcc, vcc, s[2:3]
	v_sub_f32_e32 v58, v58, v64
	v_pk_add_f32 v[56:57], v[56:57], v[64:65] neg_lo:[0,1] neg_hi:[0,1]
	v_sub_f32_e32 v58, v66, v58
	v_add_f32_e32 v56, v56, v58
	v_add_f32_e32 v56, v56, v57
	;; [unrolled: 1-line block ×3, first 2 shown]
	v_cndmask_b32_e32 v56, v56, v72, vcc
	v_add_f32_e32 v56, v53, v56
.LBB529_97:
	s_or_b64 exec, exec, s[98:99]
	v_bfe_u32 v53, v56, 16, 1
	s_movk_i32 s2, 0x7fff
	v_add3_u32 v53, v56, v53, s2
	v_lshrrev_b32_e32 v53, 16, v53
	v_mov_b32_e32 v57, 0x7fc0
	v_cmp_o_f32_e32 vcc, v56, v56
	s_nop 1
	v_cndmask_b32_e32 v56, v57, v53, vcc
	v_and_b32_e32 v57, 0xffff, v56
.LBB529_98:
	s_or_b64 exec, exec, s[96:97]
	s_load_dwordx2 s[0:1], s[0:1], 0x18
	v_mul_u32_u24_e32 v53, 46, v0
	v_mov_b32_dpp v58, v57 row_shr:2 row_mask:0xf bank_mask:0xf
	v_cmp_lt_u32_e32 vcc, 1, v55
	s_waitcnt lgkmcnt(0)
	v_writelane_b32 v77, s0, 6
	s_nop 1
	v_writelane_b32 v77, s1, 7
	s_and_saveexec_b64 s[96:97], vcc
	s_cbranch_execz .LBB529_102
; %bb.99:
	v_lshlrev_b32_e32 v58, 16, v58
	v_lshlrev_b32_e32 v56, 16, v57
	v_max_f32_e32 v59, v56, v56
	v_max_f32_e32 v60, v58, v58
	v_min_f32_e32 v57, v60, v59
	v_cmp_u_f32_e32 vcc, v58, v58
	v_max_f32_e32 v59, v60, v59
	v_cmp_u_f32_e64 s[0:1], v56, v56
	v_cndmask_b32_e32 v57, v57, v58, vcc
	v_cndmask_b32_e32 v59, v59, v58, vcc
	v_cndmask_b32_e64 v57, v57, v56, s[0:1]
	v_cndmask_b32_e64 v56, v59, v56, s[0:1]
	s_movk_i32 s0, 0x1f8
	v_cmp_neq_f32_e32 vcc, v57, v56
	v_cmp_class_f32_e64 s[0:1], v57, s0
	s_or_b64 s[2:3], vcc, s[0:1]
	s_and_saveexec_b64 s[0:1], s[2:3]
	s_cbranch_execz .LBB529_101
; %bb.100:
	v_sub_f32_e32 v57, v57, v56
	s_mov_b32 s2, 0x3fb8aa3b
	v_mul_f32_e32 v58, 0x3fb8aa3b, v57
	v_fma_f32 v59, v57, s2, -v58
	v_rndne_f32_e32 v60, v58
	v_fmamk_f32 v59, v57, 0x32a5705f, v59
	v_sub_f32_e32 v58, v58, v60
	v_add_f32_e32 v58, v58, v59
	v_exp_f32_e32 v58, v58
	v_cvt_i32_f32_e32 v59, v60
	s_mov_b32 s2, 0xc2ce8ed0
	v_cmp_ngt_f32_e32 vcc, s2, v57
	s_mov_b32 s2, 0x42b17218
	v_ldexp_f32 v58, v58, v59
	v_cndmask_b32_e32 v58, 0, v58, vcc
	v_mov_b32_e32 v59, 0x7f800000
	v_cmp_nlt_f32_e32 vcc, s2, v57
	s_mov_b32 s2, 0x3f2aaaab
	s_mov_b32 s3, 0x7f800000
	v_cndmask_b32_e32 v74, v59, v58, vcc
	v_add_f32_e32 v57, 1.0, v74
	v_add_f32_e32 v58, -1.0, v57
	v_sub_f32_e32 v59, v58, v57
	v_add_f32_e32 v59, 1.0, v59
	v_sub_f32_e32 v58, v74, v58
	v_add_f32_e32 v60, v58, v59
	v_frexp_mant_f32_e32 v61, v57
	v_cvt_f64_f32_e32 v[58:59], v57
	v_frexp_exp_i32_f64_e32 v58, v[58:59]
	v_cmp_gt_f32_e32 vcc, s2, v61
	s_mov_b32 s2, 0x3f317218
	s_nop 0
	v_subbrev_co_u32_e32 v66, vcc, 0, v58, vcc
	v_sub_u32_e32 v58, 0, v66
	v_ldexp_f32 v57, v57, v58
	v_ldexp_f32 v58, v60, v58
	v_add_f32_e32 v60, -1.0, v57
	v_add_f32_e32 v59, 1.0, v60
	v_sub_f32_e32 v59, v57, v59
	v_add_f32_e32 v61, v58, v59
	v_add_f32_e32 v59, 1.0, v57
	v_add_f32_e32 v62, -1.0, v59
	v_sub_f32_e32 v57, v57, v62
	v_add_f32_e32 v57, v58, v57
	v_add_f32_e32 v67, v59, v57
	v_rcp_f32_e32 v68, v67
	v_sub_f32_e32 v58, v59, v67
	v_add_f32_e32 v59, v60, v61
	v_add_f32_e32 v57, v57, v58
	v_mul_f32_e32 v70, v59, v68
	v_sub_f32_e32 v58, v60, v59
	v_mul_f32_e32 v60, v67, v70
	v_fma_f32 v62, v70, v67, -v60
	v_fmac_f32_e32 v62, v70, v57
	v_add_f32_e32 v69, v61, v58
	v_add_f32_e32 v58, v60, v62
	v_sub_f32_e32 v61, v59, v58
	v_pk_add_f32 v[64:65], v[58:59], v[60:61] neg_lo:[0,1] neg_hi:[0,1]
	v_mov_b32_e32 v63, v58
	v_pk_add_f32 v[58:59], v[64:65], v[62:63] neg_lo:[0,1] neg_hi:[0,1]
	v_cmp_eq_f32_e32 vcc, s3, v74
	v_add_f32_e32 v59, v69, v59
	v_add_f32_e32 v58, v58, v59
	;; [unrolled: 1-line block ×3, first 2 shown]
	v_mul_f32_e32 v69, v68, v59
	v_mul_f32_e32 v60, v67, v69
	v_fma_f32 v62, v69, v67, -v60
	v_fmac_f32_e32 v62, v69, v57
	v_sub_f32_e32 v57, v61, v59
	v_add_f32_e32 v57, v58, v57
	v_add_f32_e32 v58, v60, v62
	v_sub_f32_e32 v61, v59, v58
	v_pk_add_f32 v[64:65], v[58:59], v[60:61] neg_lo:[0,1] neg_hi:[0,1]
	v_mov_b32_e32 v63, v58
	v_pk_add_f32 v[58:59], v[64:65], v[62:63] neg_lo:[0,1] neg_hi:[0,1]
	v_cvt_f32_i32_e32 v60, v66
	v_add_f32_e32 v57, v57, v59
	v_add_f32_e32 v57, v58, v57
	;; [unrolled: 1-line block ×4, first 2 shown]
	v_sub_f32_e32 v59, v58, v70
	v_mul_f32_e32 v57, v68, v57
	v_sub_f32_e32 v59, v69, v59
	v_add_f32_e32 v57, v59, v57
	v_add_f32_e32 v61, v58, v57
	v_mul_f32_e32 v62, v61, v61
	v_mov_b32_e32 v59, 0x3ecc95a3
	v_fmac_f32_e32 v59, 0x3e9b6dac, v62
	v_sub_f32_e32 v58, v61, v58
	v_fmaak_f32 v59, v62, v59, 0x3f2aaada
	v_sub_f32_e32 v57, v57, v58
	v_ldexp_f32 v63, v61, 1
	v_mul_f32_e32 v61, v61, v62
	v_mov_b32_e32 v58, 0x3f317218
	v_pk_mul_f32 v[58:59], v[60:61], v[58:59]
	v_ldexp_f32 v57, v57, 1
	v_fma_f32 v61, v60, s2, -v58
	v_fmamk_f32 v62, v60, 0xb102e308, v61
	v_pk_add_f32 v[60:61], v[58:59], v[62:63]
	v_mov_b32_e32 v64, v58
	v_sub_f32_e32 v63, v61, v63
	v_sub_f32_e32 v63, v59, v63
	v_add_f32_e32 v65, v57, v63
	v_pk_add_f32 v[58:59], v[60:61], v[58:59] neg_lo:[0,1] neg_hi:[0,1]
	v_pk_add_f32 v[66:67], v[60:61], v[64:65]
	v_mov_b32_e32 v63, v60
	v_mov_b32_e32 v59, v67
	v_pk_add_f32 v[68:69], v[62:63], v[58:59] neg_lo:[0,1] neg_hi:[0,1]
	v_pk_add_f32 v[58:59], v[62:63], v[58:59]
	v_mov_b32_e32 v64, v65
	v_mov_b32_e32 v62, v59
	v_pk_add_f32 v[70:71], v[62:63], v[60:61] neg_lo:[0,1] neg_hi:[0,1]
	v_mov_b32_e32 v58, v67
	v_mov_b32_e32 v57, v70
	v_pk_add_f32 v[72:73], v[66:67], v[56:57] neg_lo:[0,1] neg_hi:[0,1]
	v_mov_b32_e32 v66, v61
	v_mov_b32_e32 v67, v70
	;; [unrolled: 1-line block ×3, first 2 shown]
	v_pk_add_f32 v[58:59], v[58:59], v[66:67] neg_lo:[0,1] neg_hi:[0,1]
	v_mov_b32_e32 v65, v60
	v_pk_add_f32 v[58:59], v[64:65], v[58:59] neg_lo:[0,1] neg_hi:[0,1]
	v_mov_b32_e32 v72, v68
	v_pk_add_f32 v[60:61], v[72:73], v[58:59]
	s_mov_b32 s2, 0x33800000
	v_mov_b32_e32 v64, v61
	v_pk_add_f32 v[64:65], v[60:61], v[64:65]
	v_cmp_lt_f32_e64 s[2:3], |v74|, s2
	v_pk_add_f32 v[62:63], v[62:63], v[64:65]
	v_mov_b32_e32 v59, v64
	v_mov_b32_e32 v61, v62
	v_pk_add_f32 v[66:67], v[60:61], v[68:69] neg_lo:[0,1] neg_hi:[0,1]
	s_or_b64 vcc, vcc, s[2:3]
	v_sub_f32_e32 v57, v60, v66
	v_pk_add_f32 v[58:59], v[58:59], v[66:67] neg_lo:[0,1] neg_hi:[0,1]
	v_sub_f32_e32 v57, v68, v57
	v_add_f32_e32 v57, v58, v57
	v_add_f32_e32 v57, v57, v59
	;; [unrolled: 1-line block ×3, first 2 shown]
	v_cndmask_b32_e32 v57, v57, v74, vcc
	v_add_f32_e32 v58, v56, v57
.LBB529_101:
	s_or_b64 exec, exec, s[0:1]
	v_bfe_u32 v56, v58, 16, 1
	s_movk_i32 s0, 0x7fff
	v_add3_u32 v56, v58, v56, s0
	v_lshrrev_b32_e32 v56, 16, v56
	v_mov_b32_e32 v57, 0x7fc0
	v_cmp_o_f32_e32 vcc, v58, v58
	s_nop 1
	v_cndmask_b32_e32 v56, v57, v56, vcc
	v_and_b32_e32 v57, 0xffff, v56
.LBB529_102:
	s_or_b64 exec, exec, s[96:97]
	s_nop 0
	v_mov_b32_dpp v58, v57 row_shr:4 row_mask:0xf bank_mask:0xf
	v_cmp_lt_u32_e32 vcc, 3, v55
	s_and_saveexec_b64 s[96:97], vcc
	s_cbranch_execz .LBB529_106
; %bb.103:
	v_lshlrev_b32_e32 v58, 16, v58
	v_lshlrev_b32_e32 v56, 16, v57
	v_max_f32_e32 v59, v56, v56
	v_max_f32_e32 v60, v58, v58
	v_min_f32_e32 v57, v60, v59
	v_cmp_u_f32_e32 vcc, v58, v58
	v_max_f32_e32 v59, v60, v59
	v_cmp_u_f32_e64 s[0:1], v56, v56
	v_cndmask_b32_e32 v57, v57, v58, vcc
	v_cndmask_b32_e32 v59, v59, v58, vcc
	v_cndmask_b32_e64 v57, v57, v56, s[0:1]
	v_cndmask_b32_e64 v56, v59, v56, s[0:1]
	s_movk_i32 s0, 0x1f8
	v_cmp_neq_f32_e32 vcc, v57, v56
	v_cmp_class_f32_e64 s[0:1], v57, s0
	s_or_b64 s[2:3], vcc, s[0:1]
	s_and_saveexec_b64 s[0:1], s[2:3]
	s_cbranch_execz .LBB529_105
; %bb.104:
	v_sub_f32_e32 v57, v57, v56
	s_mov_b32 s2, 0x3fb8aa3b
	v_mul_f32_e32 v58, 0x3fb8aa3b, v57
	v_fma_f32 v59, v57, s2, -v58
	v_rndne_f32_e32 v60, v58
	v_fmamk_f32 v59, v57, 0x32a5705f, v59
	v_sub_f32_e32 v58, v58, v60
	v_add_f32_e32 v58, v58, v59
	v_exp_f32_e32 v58, v58
	v_cvt_i32_f32_e32 v59, v60
	s_mov_b32 s2, 0xc2ce8ed0
	v_cmp_ngt_f32_e32 vcc, s2, v57
	s_mov_b32 s2, 0x42b17218
	v_ldexp_f32 v58, v58, v59
	v_cndmask_b32_e32 v58, 0, v58, vcc
	v_mov_b32_e32 v59, 0x7f800000
	v_cmp_nlt_f32_e32 vcc, s2, v57
	s_mov_b32 s2, 0x3f2aaaab
	s_mov_b32 s3, 0x7f800000
	v_cndmask_b32_e32 v74, v59, v58, vcc
	v_add_f32_e32 v57, 1.0, v74
	v_add_f32_e32 v58, -1.0, v57
	v_sub_f32_e32 v59, v58, v57
	v_add_f32_e32 v59, 1.0, v59
	v_sub_f32_e32 v58, v74, v58
	v_add_f32_e32 v60, v58, v59
	v_frexp_mant_f32_e32 v61, v57
	v_cvt_f64_f32_e32 v[58:59], v57
	v_frexp_exp_i32_f64_e32 v58, v[58:59]
	v_cmp_gt_f32_e32 vcc, s2, v61
	s_mov_b32 s2, 0x3f317218
	s_nop 0
	v_subbrev_co_u32_e32 v66, vcc, 0, v58, vcc
	v_sub_u32_e32 v58, 0, v66
	v_ldexp_f32 v57, v57, v58
	v_ldexp_f32 v58, v60, v58
	v_add_f32_e32 v60, -1.0, v57
	v_add_f32_e32 v59, 1.0, v60
	v_sub_f32_e32 v59, v57, v59
	v_add_f32_e32 v61, v58, v59
	v_add_f32_e32 v59, 1.0, v57
	v_add_f32_e32 v62, -1.0, v59
	v_sub_f32_e32 v57, v57, v62
	v_add_f32_e32 v57, v58, v57
	v_add_f32_e32 v67, v59, v57
	v_rcp_f32_e32 v68, v67
	v_sub_f32_e32 v58, v59, v67
	v_add_f32_e32 v59, v60, v61
	v_add_f32_e32 v57, v57, v58
	v_mul_f32_e32 v70, v59, v68
	v_sub_f32_e32 v58, v60, v59
	v_mul_f32_e32 v60, v67, v70
	v_fma_f32 v62, v70, v67, -v60
	v_fmac_f32_e32 v62, v70, v57
	v_add_f32_e32 v69, v61, v58
	v_add_f32_e32 v58, v60, v62
	v_sub_f32_e32 v61, v59, v58
	v_pk_add_f32 v[64:65], v[58:59], v[60:61] neg_lo:[0,1] neg_hi:[0,1]
	v_mov_b32_e32 v63, v58
	v_pk_add_f32 v[58:59], v[64:65], v[62:63] neg_lo:[0,1] neg_hi:[0,1]
	v_cmp_eq_f32_e32 vcc, s3, v74
	v_add_f32_e32 v59, v69, v59
	v_add_f32_e32 v58, v58, v59
	v_add_f32_e32 v59, v61, v58
	v_mul_f32_e32 v69, v68, v59
	v_mul_f32_e32 v60, v67, v69
	v_fma_f32 v62, v69, v67, -v60
	v_fmac_f32_e32 v62, v69, v57
	v_sub_f32_e32 v57, v61, v59
	v_add_f32_e32 v57, v58, v57
	v_add_f32_e32 v58, v60, v62
	v_sub_f32_e32 v61, v59, v58
	v_pk_add_f32 v[64:65], v[58:59], v[60:61] neg_lo:[0,1] neg_hi:[0,1]
	v_mov_b32_e32 v63, v58
	v_pk_add_f32 v[58:59], v[64:65], v[62:63] neg_lo:[0,1] neg_hi:[0,1]
	v_cvt_f32_i32_e32 v60, v66
	v_add_f32_e32 v57, v57, v59
	v_add_f32_e32 v57, v58, v57
	;; [unrolled: 1-line block ×4, first 2 shown]
	v_sub_f32_e32 v59, v58, v70
	v_mul_f32_e32 v57, v68, v57
	v_sub_f32_e32 v59, v69, v59
	v_add_f32_e32 v57, v59, v57
	v_add_f32_e32 v61, v58, v57
	v_mul_f32_e32 v62, v61, v61
	v_mov_b32_e32 v59, 0x3ecc95a3
	v_fmac_f32_e32 v59, 0x3e9b6dac, v62
	v_sub_f32_e32 v58, v61, v58
	v_fmaak_f32 v59, v62, v59, 0x3f2aaada
	v_sub_f32_e32 v57, v57, v58
	v_ldexp_f32 v63, v61, 1
	v_mul_f32_e32 v61, v61, v62
	v_mov_b32_e32 v58, 0x3f317218
	v_pk_mul_f32 v[58:59], v[60:61], v[58:59]
	v_ldexp_f32 v57, v57, 1
	v_fma_f32 v61, v60, s2, -v58
	v_fmamk_f32 v62, v60, 0xb102e308, v61
	v_pk_add_f32 v[60:61], v[58:59], v[62:63]
	v_mov_b32_e32 v64, v58
	v_sub_f32_e32 v63, v61, v63
	v_sub_f32_e32 v63, v59, v63
	v_add_f32_e32 v65, v57, v63
	v_pk_add_f32 v[58:59], v[60:61], v[58:59] neg_lo:[0,1] neg_hi:[0,1]
	v_pk_add_f32 v[66:67], v[60:61], v[64:65]
	v_mov_b32_e32 v63, v60
	v_mov_b32_e32 v59, v67
	v_pk_add_f32 v[68:69], v[62:63], v[58:59] neg_lo:[0,1] neg_hi:[0,1]
	v_pk_add_f32 v[58:59], v[62:63], v[58:59]
	v_mov_b32_e32 v64, v65
	v_mov_b32_e32 v62, v59
	v_pk_add_f32 v[70:71], v[62:63], v[60:61] neg_lo:[0,1] neg_hi:[0,1]
	v_mov_b32_e32 v58, v67
	v_mov_b32_e32 v57, v70
	v_pk_add_f32 v[72:73], v[66:67], v[56:57] neg_lo:[0,1] neg_hi:[0,1]
	v_mov_b32_e32 v66, v61
	v_mov_b32_e32 v67, v70
	;; [unrolled: 1-line block ×3, first 2 shown]
	v_pk_add_f32 v[58:59], v[58:59], v[66:67] neg_lo:[0,1] neg_hi:[0,1]
	v_mov_b32_e32 v65, v60
	v_pk_add_f32 v[58:59], v[64:65], v[58:59] neg_lo:[0,1] neg_hi:[0,1]
	v_mov_b32_e32 v72, v68
	v_pk_add_f32 v[60:61], v[72:73], v[58:59]
	s_mov_b32 s2, 0x33800000
	v_mov_b32_e32 v64, v61
	v_pk_add_f32 v[64:65], v[60:61], v[64:65]
	v_cmp_lt_f32_e64 s[2:3], |v74|, s2
	v_pk_add_f32 v[62:63], v[62:63], v[64:65]
	v_mov_b32_e32 v59, v64
	v_mov_b32_e32 v61, v62
	v_pk_add_f32 v[66:67], v[60:61], v[68:69] neg_lo:[0,1] neg_hi:[0,1]
	s_or_b64 vcc, vcc, s[2:3]
	v_sub_f32_e32 v57, v60, v66
	v_pk_add_f32 v[58:59], v[58:59], v[66:67] neg_lo:[0,1] neg_hi:[0,1]
	v_sub_f32_e32 v57, v68, v57
	v_add_f32_e32 v57, v58, v57
	v_add_f32_e32 v57, v57, v59
	;; [unrolled: 1-line block ×3, first 2 shown]
	v_cndmask_b32_e32 v57, v57, v74, vcc
	v_add_f32_e32 v58, v56, v57
.LBB529_105:
	s_or_b64 exec, exec, s[0:1]
	v_bfe_u32 v56, v58, 16, 1
	s_movk_i32 s0, 0x7fff
	v_add3_u32 v56, v58, v56, s0
	v_lshrrev_b32_e32 v56, 16, v56
	v_mov_b32_e32 v57, 0x7fc0
	v_cmp_o_f32_e32 vcc, v58, v58
	s_nop 1
	v_cndmask_b32_e32 v56, v57, v56, vcc
	v_and_b32_e32 v57, 0xffff, v56
.LBB529_106:
	s_or_b64 exec, exec, s[96:97]
	s_nop 0
	v_mov_b32_dpp v58, v57 row_shr:8 row_mask:0xf bank_mask:0xf
	v_cmp_lt_u32_e32 vcc, 7, v55
	s_and_saveexec_b64 s[96:97], vcc
	s_cbranch_execz .LBB529_110
; %bb.107:
	v_lshlrev_b32_e32 v56, 16, v58
	v_lshlrev_b32_e32 v55, 16, v57
	v_max_f32_e32 v58, v55, v55
	v_max_f32_e32 v59, v56, v56
	v_min_f32_e32 v57, v59, v58
	v_cmp_u_f32_e32 vcc, v56, v56
	v_max_f32_e32 v58, v59, v58
	v_cmp_u_f32_e64 s[0:1], v55, v55
	v_cndmask_b32_e32 v57, v57, v56, vcc
	v_cndmask_b32_e32 v58, v58, v56, vcc
	v_cndmask_b32_e64 v57, v57, v55, s[0:1]
	v_cndmask_b32_e64 v55, v58, v55, s[0:1]
	s_movk_i32 s0, 0x1f8
	v_cmp_neq_f32_e32 vcc, v57, v55
	v_cmp_class_f32_e64 s[0:1], v57, s0
	s_or_b64 s[2:3], vcc, s[0:1]
	s_and_saveexec_b64 s[0:1], s[2:3]
	s_cbranch_execz .LBB529_109
; %bb.108:
	v_sub_f32_e32 v56, v57, v55
	s_mov_b32 s2, 0x3fb8aa3b
	v_mul_f32_e32 v57, 0x3fb8aa3b, v56
	v_fma_f32 v58, v56, s2, -v57
	v_rndne_f32_e32 v59, v57
	v_fmamk_f32 v58, v56, 0x32a5705f, v58
	v_sub_f32_e32 v57, v57, v59
	v_add_f32_e32 v57, v57, v58
	v_exp_f32_e32 v57, v57
	v_cvt_i32_f32_e32 v58, v59
	s_mov_b32 s2, 0xc2ce8ed0
	v_cmp_ngt_f32_e32 vcc, s2, v56
	s_mov_b32 s2, 0x42b17218
	v_ldexp_f32 v57, v57, v58
	v_cndmask_b32_e32 v57, 0, v57, vcc
	v_mov_b32_e32 v58, 0x7f800000
	v_cmp_nlt_f32_e32 vcc, s2, v56
	s_mov_b32 s2, 0x3f2aaaab
	s_mov_b32 s3, 0x7f800000
	v_cndmask_b32_e32 v72, v58, v57, vcc
	v_add_f32_e32 v58, 1.0, v72
	v_add_f32_e32 v56, -1.0, v58
	v_sub_f32_e32 v57, v56, v58
	v_add_f32_e32 v57, 1.0, v57
	v_sub_f32_e32 v56, v72, v56
	v_add_f32_e32 v59, v56, v57
	v_frexp_mant_f32_e32 v60, v58
	v_cvt_f64_f32_e32 v[56:57], v58
	v_frexp_exp_i32_f64_e32 v56, v[56:57]
	v_cmp_gt_f32_e32 vcc, s2, v60
	s_mov_b32 s2, 0x3f317218
	s_nop 0
	v_subbrev_co_u32_e32 v64, vcc, 0, v56, vcc
	v_sub_u32_e32 v56, 0, v64
	v_ldexp_f32 v57, v58, v56
	v_add_f32_e32 v58, -1.0, v57
	v_add_f32_e32 v60, 1.0, v57
	v_ldexp_f32 v56, v59, v56
	v_add_f32_e32 v59, 1.0, v58
	v_add_f32_e32 v61, -1.0, v60
	v_sub_f32_e32 v59, v57, v59
	v_sub_f32_e32 v57, v57, v61
	v_add_f32_e32 v59, v56, v59
	v_add_f32_e32 v56, v56, v57
	;; [unrolled: 1-line block ×3, first 2 shown]
	v_rcp_f32_e32 v67, v65
	v_sub_f32_e32 v57, v60, v65
	v_add_f32_e32 v66, v56, v57
	v_add_f32_e32 v57, v58, v59
	v_mul_f32_e32 v69, v57, v67
	v_sub_f32_e32 v56, v58, v57
	v_mul_f32_e32 v58, v65, v69
	v_fma_f32 v60, v69, v65, -v58
	v_fmac_f32_e32 v60, v69, v66
	v_add_f32_e32 v68, v59, v56
	v_add_f32_e32 v56, v58, v60
	v_sub_f32_e32 v59, v57, v56
	v_pk_add_f32 v[62:63], v[56:57], v[58:59] neg_lo:[0,1] neg_hi:[0,1]
	v_mov_b32_e32 v61, v56
	v_pk_add_f32 v[56:57], v[62:63], v[60:61] neg_lo:[0,1] neg_hi:[0,1]
	v_cmp_eq_f32_e32 vcc, s3, v72
	v_add_f32_e32 v57, v68, v57
	v_add_f32_e32 v56, v56, v57
	;; [unrolled: 1-line block ×3, first 2 shown]
	v_mul_f32_e32 v68, v67, v57
	v_mul_f32_e32 v58, v65, v68
	v_fma_f32 v60, v68, v65, -v58
	v_fmac_f32_e32 v60, v68, v66
	v_sub_f32_e32 v59, v59, v57
	v_add_f32_e32 v65, v56, v59
	v_add_f32_e32 v56, v58, v60
	v_sub_f32_e32 v59, v57, v56
	v_pk_add_f32 v[62:63], v[56:57], v[58:59] neg_lo:[0,1] neg_hi:[0,1]
	v_mov_b32_e32 v61, v56
	v_pk_add_f32 v[56:57], v[62:63], v[60:61] neg_lo:[0,1] neg_hi:[0,1]
	v_cvt_f32_i32_e32 v58, v64
	v_add_f32_e32 v57, v65, v57
	v_add_f32_e32 v56, v56, v57
	;; [unrolled: 1-line block ×4, first 2 shown]
	v_sub_f32_e32 v57, v59, v69
	v_mul_f32_e32 v56, v67, v56
	v_sub_f32_e32 v57, v68, v57
	v_add_f32_e32 v56, v57, v56
	v_add_f32_e32 v60, v59, v56
	v_mul_f32_e32 v62, v60, v60
	v_mov_b32_e32 v57, 0x3ecc95a3
	v_sub_f32_e32 v59, v60, v59
	v_fmac_f32_e32 v57, 0x3e9b6dac, v62
	v_sub_f32_e32 v56, v56, v59
	v_fmaak_f32 v57, v62, v57, 0x3f2aaada
	v_ldexp_f32 v63, v56, 1
	v_mul_f32_e32 v59, v60, v62
	v_mov_b32_e32 v56, 0x3f317218
	v_pk_mul_f32 v[56:57], v[58:59], v[56:57]
	v_ldexp_f32 v61, v60, 1
	v_fma_f32 v59, v58, s2, -v56
	v_fmamk_f32 v60, v58, 0xb102e308, v59
	v_pk_add_f32 v[58:59], v[56:57], v[60:61]
	v_mov_b32_e32 v62, v56
	v_sub_f32_e32 v61, v59, v61
	v_sub_f32_e32 v61, v57, v61
	v_add_f32_e32 v63, v63, v61
	v_pk_add_f32 v[56:57], v[58:59], v[56:57] neg_lo:[0,1] neg_hi:[0,1]
	v_pk_add_f32 v[64:65], v[58:59], v[62:63]
	v_mov_b32_e32 v61, v58
	v_mov_b32_e32 v57, v65
	v_pk_add_f32 v[66:67], v[60:61], v[56:57] neg_lo:[0,1] neg_hi:[0,1]
	v_pk_add_f32 v[56:57], v[60:61], v[56:57]
	v_mov_b32_e32 v62, v63
	v_mov_b32_e32 v60, v57
	v_pk_add_f32 v[68:69], v[60:61], v[58:59] neg_lo:[0,1] neg_hi:[0,1]
	v_mov_b32_e32 v56, v65
	v_mov_b32_e32 v61, v68
	v_pk_add_f32 v[70:71], v[64:65], v[60:61] neg_lo:[0,1] neg_hi:[0,1]
	v_mov_b32_e32 v64, v59
	v_mov_b32_e32 v65, v68
	;; [unrolled: 1-line block ×3, first 2 shown]
	v_pk_add_f32 v[56:57], v[56:57], v[64:65] neg_lo:[0,1] neg_hi:[0,1]
	v_mov_b32_e32 v63, v58
	v_pk_add_f32 v[56:57], v[62:63], v[56:57] neg_lo:[0,1] neg_hi:[0,1]
	v_mov_b32_e32 v70, v66
	v_pk_add_f32 v[58:59], v[70:71], v[56:57]
	s_mov_b32 s2, 0x33800000
	v_mov_b32_e32 v62, v59
	v_pk_add_f32 v[62:63], v[58:59], v[62:63]
	v_cmp_lt_f32_e64 s[2:3], |v72|, s2
	v_pk_add_f32 v[60:61], v[60:61], v[62:63]
	v_mov_b32_e32 v57, v62
	v_mov_b32_e32 v59, v60
	v_pk_add_f32 v[64:65], v[58:59], v[66:67] neg_lo:[0,1] neg_hi:[0,1]
	s_or_b64 vcc, vcc, s[2:3]
	v_sub_f32_e32 v58, v58, v64
	v_pk_add_f32 v[56:57], v[56:57], v[64:65] neg_lo:[0,1] neg_hi:[0,1]
	v_sub_f32_e32 v58, v66, v58
	v_add_f32_e32 v56, v56, v58
	v_add_f32_e32 v56, v56, v57
	;; [unrolled: 1-line block ×3, first 2 shown]
	v_cndmask_b32_e32 v56, v56, v72, vcc
	v_add_f32_e32 v56, v55, v56
.LBB529_109:
	s_or_b64 exec, exec, s[0:1]
	v_bfe_u32 v55, v56, 16, 1
	s_movk_i32 s0, 0x7fff
	v_add3_u32 v55, v56, v55, s0
	v_lshrrev_b32_e32 v55, 16, v55
	v_mov_b32_e32 v57, 0x7fc0
	v_cmp_o_f32_e32 vcc, v56, v56
	s_nop 1
	v_cndmask_b32_e32 v56, v57, v55, vcc
	v_and_b32_e32 v57, 0xffff, v56
.LBB529_110:
	s_or_b64 exec, exec, s[96:97]
	v_and_b32_e32 v58, 16, v54
	v_mov_b32_dpp v55, v57 row_bcast:15 row_mask:0xf bank_mask:0xf
	v_cmp_ne_u32_e32 vcc, 0, v58
	s_and_saveexec_b64 s[96:97], vcc
	s_cbranch_execz .LBB529_114
; %bb.111:
	v_lshlrev_b32_e32 v56, 16, v55
	v_lshlrev_b32_e32 v55, 16, v57
	v_max_f32_e32 v58, v55, v55
	v_max_f32_e32 v59, v56, v56
	v_min_f32_e32 v57, v59, v58
	v_cmp_u_f32_e32 vcc, v56, v56
	v_max_f32_e32 v58, v59, v58
	v_cmp_u_f32_e64 s[0:1], v55, v55
	v_cndmask_b32_e32 v57, v57, v56, vcc
	v_cndmask_b32_e32 v58, v58, v56, vcc
	v_cndmask_b32_e64 v57, v57, v55, s[0:1]
	v_cndmask_b32_e64 v55, v58, v55, s[0:1]
	s_movk_i32 s0, 0x1f8
	v_cmp_neq_f32_e32 vcc, v57, v55
	v_cmp_class_f32_e64 s[0:1], v57, s0
	s_or_b64 s[2:3], vcc, s[0:1]
	s_and_saveexec_b64 s[0:1], s[2:3]
	s_cbranch_execz .LBB529_113
; %bb.112:
	v_sub_f32_e32 v56, v57, v55
	s_mov_b32 s2, 0x3fb8aa3b
	v_mul_f32_e32 v57, 0x3fb8aa3b, v56
	v_fma_f32 v58, v56, s2, -v57
	v_rndne_f32_e32 v59, v57
	v_fmamk_f32 v58, v56, 0x32a5705f, v58
	v_sub_f32_e32 v57, v57, v59
	v_add_f32_e32 v57, v57, v58
	v_exp_f32_e32 v57, v57
	v_cvt_i32_f32_e32 v58, v59
	s_mov_b32 s2, 0xc2ce8ed0
	v_cmp_ngt_f32_e32 vcc, s2, v56
	s_mov_b32 s2, 0x42b17218
	v_ldexp_f32 v57, v57, v58
	v_cndmask_b32_e32 v57, 0, v57, vcc
	v_mov_b32_e32 v58, 0x7f800000
	v_cmp_nlt_f32_e32 vcc, s2, v56
	s_mov_b32 s2, 0x3f2aaaab
	s_mov_b32 s3, 0x7f800000
	v_cndmask_b32_e32 v72, v58, v57, vcc
	v_add_f32_e32 v58, 1.0, v72
	v_add_f32_e32 v56, -1.0, v58
	v_sub_f32_e32 v57, v56, v58
	v_add_f32_e32 v57, 1.0, v57
	v_sub_f32_e32 v56, v72, v56
	v_add_f32_e32 v59, v56, v57
	v_frexp_mant_f32_e32 v60, v58
	v_cvt_f64_f32_e32 v[56:57], v58
	v_frexp_exp_i32_f64_e32 v56, v[56:57]
	v_cmp_gt_f32_e32 vcc, s2, v60
	s_mov_b32 s2, 0x3f317218
	s_nop 0
	v_subbrev_co_u32_e32 v64, vcc, 0, v56, vcc
	v_sub_u32_e32 v56, 0, v64
	v_ldexp_f32 v57, v58, v56
	v_add_f32_e32 v58, -1.0, v57
	v_add_f32_e32 v60, 1.0, v57
	v_ldexp_f32 v56, v59, v56
	v_add_f32_e32 v59, 1.0, v58
	v_add_f32_e32 v61, -1.0, v60
	v_sub_f32_e32 v59, v57, v59
	v_sub_f32_e32 v57, v57, v61
	v_add_f32_e32 v59, v56, v59
	v_add_f32_e32 v56, v56, v57
	;; [unrolled: 1-line block ×3, first 2 shown]
	v_rcp_f32_e32 v67, v65
	v_sub_f32_e32 v57, v60, v65
	v_add_f32_e32 v66, v56, v57
	v_add_f32_e32 v57, v58, v59
	v_mul_f32_e32 v69, v57, v67
	v_sub_f32_e32 v56, v58, v57
	v_mul_f32_e32 v58, v65, v69
	v_fma_f32 v60, v69, v65, -v58
	v_fmac_f32_e32 v60, v69, v66
	v_add_f32_e32 v68, v59, v56
	v_add_f32_e32 v56, v58, v60
	v_sub_f32_e32 v59, v57, v56
	v_pk_add_f32 v[62:63], v[56:57], v[58:59] neg_lo:[0,1] neg_hi:[0,1]
	v_mov_b32_e32 v61, v56
	v_pk_add_f32 v[56:57], v[62:63], v[60:61] neg_lo:[0,1] neg_hi:[0,1]
	v_cmp_eq_f32_e32 vcc, s3, v72
	v_add_f32_e32 v57, v68, v57
	v_add_f32_e32 v56, v56, v57
	;; [unrolled: 1-line block ×3, first 2 shown]
	v_mul_f32_e32 v68, v67, v57
	v_mul_f32_e32 v58, v65, v68
	v_fma_f32 v60, v68, v65, -v58
	v_fmac_f32_e32 v60, v68, v66
	v_sub_f32_e32 v59, v59, v57
	v_add_f32_e32 v65, v56, v59
	v_add_f32_e32 v56, v58, v60
	v_sub_f32_e32 v59, v57, v56
	v_pk_add_f32 v[62:63], v[56:57], v[58:59] neg_lo:[0,1] neg_hi:[0,1]
	v_mov_b32_e32 v61, v56
	v_pk_add_f32 v[56:57], v[62:63], v[60:61] neg_lo:[0,1] neg_hi:[0,1]
	v_cvt_f32_i32_e32 v58, v64
	v_add_f32_e32 v57, v65, v57
	v_add_f32_e32 v56, v56, v57
	;; [unrolled: 1-line block ×4, first 2 shown]
	v_sub_f32_e32 v57, v59, v69
	v_mul_f32_e32 v56, v67, v56
	v_sub_f32_e32 v57, v68, v57
	v_add_f32_e32 v56, v57, v56
	v_add_f32_e32 v60, v59, v56
	v_mul_f32_e32 v62, v60, v60
	v_mov_b32_e32 v57, 0x3ecc95a3
	v_sub_f32_e32 v59, v60, v59
	v_fmac_f32_e32 v57, 0x3e9b6dac, v62
	v_sub_f32_e32 v56, v56, v59
	v_fmaak_f32 v57, v62, v57, 0x3f2aaada
	v_ldexp_f32 v63, v56, 1
	v_mul_f32_e32 v59, v60, v62
	v_mov_b32_e32 v56, 0x3f317218
	v_pk_mul_f32 v[56:57], v[58:59], v[56:57]
	v_ldexp_f32 v61, v60, 1
	v_fma_f32 v59, v58, s2, -v56
	v_fmamk_f32 v60, v58, 0xb102e308, v59
	v_pk_add_f32 v[58:59], v[56:57], v[60:61]
	v_mov_b32_e32 v62, v56
	v_sub_f32_e32 v61, v59, v61
	v_sub_f32_e32 v61, v57, v61
	v_add_f32_e32 v63, v63, v61
	v_pk_add_f32 v[56:57], v[58:59], v[56:57] neg_lo:[0,1] neg_hi:[0,1]
	v_pk_add_f32 v[64:65], v[58:59], v[62:63]
	v_mov_b32_e32 v61, v58
	v_mov_b32_e32 v57, v65
	v_pk_add_f32 v[66:67], v[60:61], v[56:57] neg_lo:[0,1] neg_hi:[0,1]
	v_pk_add_f32 v[56:57], v[60:61], v[56:57]
	v_mov_b32_e32 v62, v63
	v_mov_b32_e32 v60, v57
	v_pk_add_f32 v[68:69], v[60:61], v[58:59] neg_lo:[0,1] neg_hi:[0,1]
	v_mov_b32_e32 v56, v65
	v_mov_b32_e32 v61, v68
	v_pk_add_f32 v[70:71], v[64:65], v[60:61] neg_lo:[0,1] neg_hi:[0,1]
	v_mov_b32_e32 v64, v59
	v_mov_b32_e32 v65, v68
	;; [unrolled: 1-line block ×3, first 2 shown]
	v_pk_add_f32 v[56:57], v[56:57], v[64:65] neg_lo:[0,1] neg_hi:[0,1]
	v_mov_b32_e32 v63, v58
	v_pk_add_f32 v[56:57], v[62:63], v[56:57] neg_lo:[0,1] neg_hi:[0,1]
	v_mov_b32_e32 v70, v66
	v_pk_add_f32 v[58:59], v[70:71], v[56:57]
	s_mov_b32 s2, 0x33800000
	v_mov_b32_e32 v62, v59
	v_pk_add_f32 v[62:63], v[58:59], v[62:63]
	v_cmp_lt_f32_e64 s[2:3], |v72|, s2
	v_pk_add_f32 v[60:61], v[60:61], v[62:63]
	v_mov_b32_e32 v57, v62
	v_mov_b32_e32 v59, v60
	v_pk_add_f32 v[64:65], v[58:59], v[66:67] neg_lo:[0,1] neg_hi:[0,1]
	s_or_b64 vcc, vcc, s[2:3]
	v_sub_f32_e32 v58, v58, v64
	v_pk_add_f32 v[56:57], v[56:57], v[64:65] neg_lo:[0,1] neg_hi:[0,1]
	v_sub_f32_e32 v58, v66, v58
	v_add_f32_e32 v56, v56, v58
	v_add_f32_e32 v56, v56, v57
	;; [unrolled: 1-line block ×3, first 2 shown]
	v_cndmask_b32_e32 v56, v56, v72, vcc
	v_add_f32_e32 v56, v55, v56
.LBB529_113:
	s_or_b64 exec, exec, s[0:1]
	v_bfe_u32 v55, v56, 16, 1
	s_movk_i32 s0, 0x7fff
	v_add3_u32 v55, v56, v55, s0
	v_lshrrev_b32_e32 v55, 16, v55
	v_mov_b32_e32 v57, 0x7fc0
	v_cmp_o_f32_e32 vcc, v56, v56
	s_nop 1
	v_cndmask_b32_e32 v56, v57, v55, vcc
	v_and_b32_e32 v57, 0xffff, v56
.LBB529_114:
	s_or_b64 exec, exec, s[96:97]
	s_nop 0
	v_mov_b32_dpp v55, v57 row_bcast:31 row_mask:0xf bank_mask:0xf
	v_cmp_lt_u32_e32 vcc, 31, v54
	s_and_saveexec_b64 s[96:97], vcc
	s_cbranch_execz .LBB529_118
; %bb.115:
	v_lshlrev_b32_e32 v56, 16, v55
	v_lshlrev_b32_e32 v55, 16, v57
	v_max_f32_e32 v58, v55, v55
	v_max_f32_e32 v59, v56, v56
	v_min_f32_e32 v57, v59, v58
	v_cmp_u_f32_e32 vcc, v56, v56
	v_max_f32_e32 v58, v59, v58
	v_cmp_u_f32_e64 s[0:1], v55, v55
	v_cndmask_b32_e32 v57, v57, v56, vcc
	v_cndmask_b32_e32 v58, v58, v56, vcc
	v_cndmask_b32_e64 v57, v57, v55, s[0:1]
	v_cndmask_b32_e64 v55, v58, v55, s[0:1]
	s_movk_i32 s0, 0x1f8
	v_cmp_neq_f32_e32 vcc, v57, v55
	v_cmp_class_f32_e64 s[0:1], v57, s0
	s_or_b64 s[2:3], vcc, s[0:1]
	s_and_saveexec_b64 s[0:1], s[2:3]
	s_cbranch_execz .LBB529_117
; %bb.116:
	v_sub_f32_e32 v56, v57, v55
	s_mov_b32 s2, 0x3fb8aa3b
	v_mul_f32_e32 v57, 0x3fb8aa3b, v56
	v_fma_f32 v58, v56, s2, -v57
	v_rndne_f32_e32 v59, v57
	v_fmamk_f32 v58, v56, 0x32a5705f, v58
	v_sub_f32_e32 v57, v57, v59
	v_add_f32_e32 v57, v57, v58
	v_exp_f32_e32 v57, v57
	v_cvt_i32_f32_e32 v58, v59
	s_mov_b32 s2, 0xc2ce8ed0
	v_cmp_ngt_f32_e32 vcc, s2, v56
	s_mov_b32 s2, 0x42b17218
	v_ldexp_f32 v57, v57, v58
	v_cndmask_b32_e32 v57, 0, v57, vcc
	v_mov_b32_e32 v58, 0x7f800000
	v_cmp_nlt_f32_e32 vcc, s2, v56
	s_mov_b32 s2, 0x3f2aaaab
	s_mov_b32 s3, 0x7f800000
	v_cndmask_b32_e32 v72, v58, v57, vcc
	v_add_f32_e32 v58, 1.0, v72
	v_add_f32_e32 v56, -1.0, v58
	v_sub_f32_e32 v57, v56, v58
	v_add_f32_e32 v57, 1.0, v57
	v_sub_f32_e32 v56, v72, v56
	v_add_f32_e32 v59, v56, v57
	v_frexp_mant_f32_e32 v60, v58
	v_cvt_f64_f32_e32 v[56:57], v58
	v_frexp_exp_i32_f64_e32 v56, v[56:57]
	v_cmp_gt_f32_e32 vcc, s2, v60
	s_mov_b32 s2, 0x3f317218
	s_nop 0
	v_subbrev_co_u32_e32 v64, vcc, 0, v56, vcc
	v_sub_u32_e32 v56, 0, v64
	v_ldexp_f32 v57, v58, v56
	v_add_f32_e32 v58, -1.0, v57
	v_add_f32_e32 v60, 1.0, v57
	v_ldexp_f32 v56, v59, v56
	v_add_f32_e32 v59, 1.0, v58
	v_add_f32_e32 v61, -1.0, v60
	v_sub_f32_e32 v59, v57, v59
	v_sub_f32_e32 v57, v57, v61
	v_add_f32_e32 v59, v56, v59
	v_add_f32_e32 v56, v56, v57
	;; [unrolled: 1-line block ×3, first 2 shown]
	v_rcp_f32_e32 v67, v65
	v_sub_f32_e32 v57, v60, v65
	v_add_f32_e32 v66, v56, v57
	v_add_f32_e32 v57, v58, v59
	v_mul_f32_e32 v69, v57, v67
	v_sub_f32_e32 v56, v58, v57
	v_mul_f32_e32 v58, v65, v69
	v_fma_f32 v60, v69, v65, -v58
	v_fmac_f32_e32 v60, v69, v66
	v_add_f32_e32 v68, v59, v56
	v_add_f32_e32 v56, v58, v60
	v_sub_f32_e32 v59, v57, v56
	v_pk_add_f32 v[62:63], v[56:57], v[58:59] neg_lo:[0,1] neg_hi:[0,1]
	v_mov_b32_e32 v61, v56
	v_pk_add_f32 v[56:57], v[62:63], v[60:61] neg_lo:[0,1] neg_hi:[0,1]
	v_cmp_eq_f32_e32 vcc, s3, v72
	v_add_f32_e32 v57, v68, v57
	v_add_f32_e32 v56, v56, v57
	;; [unrolled: 1-line block ×3, first 2 shown]
	v_mul_f32_e32 v68, v67, v57
	v_mul_f32_e32 v58, v65, v68
	v_fma_f32 v60, v68, v65, -v58
	v_fmac_f32_e32 v60, v68, v66
	v_sub_f32_e32 v59, v59, v57
	v_add_f32_e32 v65, v56, v59
	v_add_f32_e32 v56, v58, v60
	v_sub_f32_e32 v59, v57, v56
	v_pk_add_f32 v[62:63], v[56:57], v[58:59] neg_lo:[0,1] neg_hi:[0,1]
	v_mov_b32_e32 v61, v56
	v_pk_add_f32 v[56:57], v[62:63], v[60:61] neg_lo:[0,1] neg_hi:[0,1]
	v_cvt_f32_i32_e32 v58, v64
	v_add_f32_e32 v57, v65, v57
	v_add_f32_e32 v56, v56, v57
	;; [unrolled: 1-line block ×4, first 2 shown]
	v_sub_f32_e32 v57, v59, v69
	v_mul_f32_e32 v56, v67, v56
	v_sub_f32_e32 v57, v68, v57
	v_add_f32_e32 v56, v57, v56
	v_add_f32_e32 v60, v59, v56
	v_mul_f32_e32 v62, v60, v60
	v_mov_b32_e32 v57, 0x3ecc95a3
	v_sub_f32_e32 v59, v60, v59
	v_fmac_f32_e32 v57, 0x3e9b6dac, v62
	v_sub_f32_e32 v56, v56, v59
	v_fmaak_f32 v57, v62, v57, 0x3f2aaada
	v_ldexp_f32 v63, v56, 1
	v_mul_f32_e32 v59, v60, v62
	v_mov_b32_e32 v56, 0x3f317218
	v_pk_mul_f32 v[56:57], v[58:59], v[56:57]
	v_ldexp_f32 v61, v60, 1
	v_fma_f32 v59, v58, s2, -v56
	v_fmamk_f32 v60, v58, 0xb102e308, v59
	v_pk_add_f32 v[58:59], v[56:57], v[60:61]
	v_mov_b32_e32 v62, v56
	v_sub_f32_e32 v61, v59, v61
	v_sub_f32_e32 v61, v57, v61
	v_add_f32_e32 v63, v63, v61
	v_pk_add_f32 v[56:57], v[58:59], v[56:57] neg_lo:[0,1] neg_hi:[0,1]
	v_pk_add_f32 v[64:65], v[58:59], v[62:63]
	v_mov_b32_e32 v61, v58
	v_mov_b32_e32 v57, v65
	v_pk_add_f32 v[66:67], v[60:61], v[56:57] neg_lo:[0,1] neg_hi:[0,1]
	v_pk_add_f32 v[56:57], v[60:61], v[56:57]
	v_mov_b32_e32 v62, v63
	v_mov_b32_e32 v60, v57
	v_pk_add_f32 v[68:69], v[60:61], v[58:59] neg_lo:[0,1] neg_hi:[0,1]
	v_mov_b32_e32 v56, v65
	v_mov_b32_e32 v61, v68
	v_pk_add_f32 v[70:71], v[64:65], v[60:61] neg_lo:[0,1] neg_hi:[0,1]
	v_mov_b32_e32 v64, v59
	v_mov_b32_e32 v65, v68
	;; [unrolled: 1-line block ×3, first 2 shown]
	v_pk_add_f32 v[56:57], v[56:57], v[64:65] neg_lo:[0,1] neg_hi:[0,1]
	v_mov_b32_e32 v63, v58
	v_pk_add_f32 v[56:57], v[62:63], v[56:57] neg_lo:[0,1] neg_hi:[0,1]
	v_mov_b32_e32 v70, v66
	v_pk_add_f32 v[58:59], v[70:71], v[56:57]
	s_mov_b32 s2, 0x33800000
	v_mov_b32_e32 v62, v59
	v_pk_add_f32 v[62:63], v[58:59], v[62:63]
	v_cmp_lt_f32_e64 s[2:3], |v72|, s2
	v_pk_add_f32 v[60:61], v[60:61], v[62:63]
	v_mov_b32_e32 v57, v62
	v_mov_b32_e32 v59, v60
	v_pk_add_f32 v[64:65], v[58:59], v[66:67] neg_lo:[0,1] neg_hi:[0,1]
	s_or_b64 vcc, vcc, s[2:3]
	v_sub_f32_e32 v58, v58, v64
	v_pk_add_f32 v[56:57], v[56:57], v[64:65] neg_lo:[0,1] neg_hi:[0,1]
	v_sub_f32_e32 v58, v66, v58
	v_add_f32_e32 v56, v56, v58
	v_add_f32_e32 v56, v56, v57
	;; [unrolled: 1-line block ×3, first 2 shown]
	v_cndmask_b32_e32 v56, v56, v72, vcc
	v_add_f32_e32 v56, v55, v56
.LBB529_117:
	s_or_b64 exec, exec, s[0:1]
	v_bfe_u32 v55, v56, 16, 1
	s_movk_i32 s0, 0x7fff
	v_add3_u32 v55, v56, v55, s0
	v_lshrrev_b32_e32 v55, 16, v55
	v_mov_b32_e32 v57, 0x7fc0
	v_cmp_o_f32_e32 vcc, v56, v56
	s_nop 1
	v_cndmask_b32_e32 v56, v57, v55, vcc
.LBB529_118:
	s_or_b64 exec, exec, s[96:97]
	v_or_b32_e32 v57, 63, v0
	v_lshrrev_b32_e32 v55, 6, v0
	v_cmp_eq_u32_e32 vcc, v57, v0
	s_and_saveexec_b64 s[0:1], vcc
	s_cbranch_execz .LBB529_120
; %bb.119:
	v_lshlrev_b32_e32 v57, 1, v55
	ds_write_b16 v57, v56
.LBB529_120:
	s_or_b64 exec, exec, s[0:1]
	v_cmp_gt_u32_e32 vcc, 4, v0
	s_waitcnt lgkmcnt(0)
	s_barrier
	s_and_saveexec_b64 s[98:99], vcc
	s_cbranch_execz .LBB529_130
; %bb.121:
	ds_read_u16 v58, v14
	v_and_b32_e32 v57, 3, v54
	v_cmp_ne_u32_e32 vcc, 0, v57
	s_waitcnt lgkmcnt(0)
	v_and_b32_e32 v60, 0xffff, v58
	s_nop 1
	v_mov_b32_dpp v59, v60 row_shr:1 row_mask:0xf bank_mask:0xf
	s_and_saveexec_b64 s[96:97], vcc
	s_cbranch_execz .LBB529_125
; %bb.122:
	v_lshlrev_b32_e32 v59, 16, v59
	v_lshlrev_b32_e32 v58, 16, v60
	v_max_f32_e32 v61, v58, v58
	v_max_f32_e32 v62, v59, v59
	v_min_f32_e32 v60, v62, v61
	v_cmp_u_f32_e32 vcc, v59, v59
	v_max_f32_e32 v61, v62, v61
	v_cmp_u_f32_e64 s[0:1], v58, v58
	v_cndmask_b32_e32 v60, v60, v59, vcc
	v_cndmask_b32_e32 v61, v61, v59, vcc
	v_cndmask_b32_e64 v60, v60, v58, s[0:1]
	v_cndmask_b32_e64 v58, v61, v58, s[0:1]
	s_movk_i32 s0, 0x1f8
	v_cmp_neq_f32_e32 vcc, v60, v58
	v_cmp_class_f32_e64 s[0:1], v60, s0
	s_or_b64 s[2:3], vcc, s[0:1]
	s_and_saveexec_b64 s[0:1], s[2:3]
	s_cbranch_execz .LBB529_124
; %bb.123:
	v_sub_f32_e32 v59, v60, v58
	s_mov_b32 s2, 0x3fb8aa3b
	v_mul_f32_e32 v60, 0x3fb8aa3b, v59
	v_fma_f32 v61, v59, s2, -v60
	v_rndne_f32_e32 v62, v60
	v_fmamk_f32 v61, v59, 0x32a5705f, v61
	v_sub_f32_e32 v60, v60, v62
	v_add_f32_e32 v60, v60, v61
	v_exp_f32_e32 v60, v60
	v_cvt_i32_f32_e32 v61, v62
	s_mov_b32 s2, 0xc2ce8ed0
	v_cmp_ngt_f32_e32 vcc, s2, v59
	s_mov_b32 s2, 0x42b17218
	v_ldexp_f32 v60, v60, v61
	v_cndmask_b32_e32 v60, 0, v60, vcc
	v_mov_b32_e32 v61, 0x7f800000
	v_cmp_nlt_f32_e32 vcc, s2, v59
	s_mov_b32 s2, 0x3f2aaaab
	s_mov_b32 s3, 0x7f800000
	v_cndmask_b32_e32 v76, v61, v60, vcc
	v_add_f32_e32 v59, 1.0, v76
	v_add_f32_e32 v60, -1.0, v59
	v_sub_f32_e32 v61, v60, v59
	v_add_f32_e32 v61, 1.0, v61
	v_sub_f32_e32 v60, v76, v60
	v_add_f32_e32 v62, v60, v61
	v_frexp_mant_f32_e32 v63, v59
	v_cvt_f64_f32_e32 v[60:61], v59
	v_frexp_exp_i32_f64_e32 v60, v[60:61]
	v_cmp_gt_f32_e32 vcc, s2, v63
	s_mov_b32 s2, 0x3f317218
	s_nop 0
	v_subbrev_co_u32_e32 v68, vcc, 0, v60, vcc
	v_sub_u32_e32 v60, 0, v68
	v_ldexp_f32 v59, v59, v60
	v_ldexp_f32 v60, v62, v60
	v_add_f32_e32 v62, -1.0, v59
	v_add_f32_e32 v61, 1.0, v62
	v_sub_f32_e32 v61, v59, v61
	v_add_f32_e32 v63, v60, v61
	v_add_f32_e32 v61, 1.0, v59
	v_add_f32_e32 v64, -1.0, v61
	v_sub_f32_e32 v59, v59, v64
	v_add_f32_e32 v59, v60, v59
	v_add_f32_e32 v69, v61, v59
	v_rcp_f32_e32 v70, v69
	v_sub_f32_e32 v60, v61, v69
	v_add_f32_e32 v61, v62, v63
	v_add_f32_e32 v59, v59, v60
	v_mul_f32_e32 v72, v61, v70
	v_sub_f32_e32 v60, v62, v61
	v_mul_f32_e32 v62, v69, v72
	v_fma_f32 v64, v72, v69, -v62
	v_fmac_f32_e32 v64, v72, v59
	v_add_f32_e32 v71, v63, v60
	v_add_f32_e32 v60, v62, v64
	v_sub_f32_e32 v63, v61, v60
	v_pk_add_f32 v[66:67], v[60:61], v[62:63] neg_lo:[0,1] neg_hi:[0,1]
	v_mov_b32_e32 v65, v60
	v_pk_add_f32 v[60:61], v[66:67], v[64:65] neg_lo:[0,1] neg_hi:[0,1]
	v_cmp_eq_f32_e32 vcc, s3, v76
	v_add_f32_e32 v61, v71, v61
	v_add_f32_e32 v60, v60, v61
	;; [unrolled: 1-line block ×3, first 2 shown]
	v_mul_f32_e32 v71, v70, v61
	v_mul_f32_e32 v62, v69, v71
	v_fma_f32 v64, v71, v69, -v62
	v_fmac_f32_e32 v64, v71, v59
	v_sub_f32_e32 v59, v63, v61
	v_add_f32_e32 v59, v60, v59
	v_add_f32_e32 v60, v62, v64
	v_sub_f32_e32 v63, v61, v60
	v_pk_add_f32 v[66:67], v[60:61], v[62:63] neg_lo:[0,1] neg_hi:[0,1]
	v_mov_b32_e32 v65, v60
	v_pk_add_f32 v[60:61], v[66:67], v[64:65] neg_lo:[0,1] neg_hi:[0,1]
	v_cvt_f32_i32_e32 v62, v68
	v_add_f32_e32 v59, v59, v61
	v_add_f32_e32 v59, v60, v59
	;; [unrolled: 1-line block ×4, first 2 shown]
	v_sub_f32_e32 v61, v60, v72
	v_mul_f32_e32 v59, v70, v59
	v_sub_f32_e32 v61, v71, v61
	v_add_f32_e32 v59, v61, v59
	v_add_f32_e32 v63, v60, v59
	v_mul_f32_e32 v64, v63, v63
	v_mov_b32_e32 v61, 0x3ecc95a3
	v_fmac_f32_e32 v61, 0x3e9b6dac, v64
	v_sub_f32_e32 v60, v63, v60
	v_fmaak_f32 v61, v64, v61, 0x3f2aaada
	v_sub_f32_e32 v59, v59, v60
	v_ldexp_f32 v65, v63, 1
	v_mul_f32_e32 v63, v63, v64
	v_mov_b32_e32 v60, 0x3f317218
	v_pk_mul_f32 v[60:61], v[62:63], v[60:61]
	v_ldexp_f32 v59, v59, 1
	v_fma_f32 v63, v62, s2, -v60
	v_fmamk_f32 v64, v62, 0xb102e308, v63
	v_pk_add_f32 v[62:63], v[60:61], v[64:65]
	v_mov_b32_e32 v66, v60
	v_sub_f32_e32 v65, v63, v65
	v_sub_f32_e32 v65, v61, v65
	v_add_f32_e32 v67, v59, v65
	v_pk_add_f32 v[60:61], v[62:63], v[60:61] neg_lo:[0,1] neg_hi:[0,1]
	v_pk_add_f32 v[68:69], v[62:63], v[66:67]
	v_mov_b32_e32 v65, v62
	v_mov_b32_e32 v61, v69
	v_pk_add_f32 v[70:71], v[64:65], v[60:61] neg_lo:[0,1] neg_hi:[0,1]
	v_pk_add_f32 v[60:61], v[64:65], v[60:61]
	v_mov_b32_e32 v66, v67
	v_mov_b32_e32 v64, v61
	v_pk_add_f32 v[72:73], v[64:65], v[62:63] neg_lo:[0,1] neg_hi:[0,1]
	v_mov_b32_e32 v60, v69
	v_mov_b32_e32 v59, v72
	v_pk_add_f32 v[74:75], v[68:69], v[58:59] neg_lo:[0,1] neg_hi:[0,1]
	v_mov_b32_e32 v68, v63
	v_mov_b32_e32 v69, v72
	;; [unrolled: 1-line block ×3, first 2 shown]
	v_pk_add_f32 v[60:61], v[60:61], v[68:69] neg_lo:[0,1] neg_hi:[0,1]
	v_mov_b32_e32 v67, v62
	v_pk_add_f32 v[60:61], v[66:67], v[60:61] neg_lo:[0,1] neg_hi:[0,1]
	v_mov_b32_e32 v74, v70
	v_pk_add_f32 v[62:63], v[74:75], v[60:61]
	s_mov_b32 s2, 0x33800000
	v_mov_b32_e32 v66, v63
	v_pk_add_f32 v[66:67], v[62:63], v[66:67]
	v_cmp_lt_f32_e64 s[2:3], |v76|, s2
	v_pk_add_f32 v[64:65], v[64:65], v[66:67]
	v_mov_b32_e32 v61, v66
	v_mov_b32_e32 v63, v64
	v_pk_add_f32 v[68:69], v[62:63], v[70:71] neg_lo:[0,1] neg_hi:[0,1]
	s_or_b64 vcc, vcc, s[2:3]
	v_sub_f32_e32 v59, v62, v68
	v_pk_add_f32 v[60:61], v[60:61], v[68:69] neg_lo:[0,1] neg_hi:[0,1]
	v_sub_f32_e32 v59, v70, v59
	v_add_f32_e32 v59, v60, v59
	v_add_f32_e32 v59, v59, v61
	;; [unrolled: 1-line block ×3, first 2 shown]
	v_cndmask_b32_e32 v59, v59, v76, vcc
	v_add_f32_e32 v59, v58, v59
.LBB529_124:
	s_or_b64 exec, exec, s[0:1]
	v_bfe_u32 v58, v59, 16, 1
	s_movk_i32 s0, 0x7fff
	v_add3_u32 v58, v59, v58, s0
	v_lshrrev_b32_e32 v58, 16, v58
	v_mov_b32_e32 v60, 0x7fc0
	v_cmp_o_f32_e32 vcc, v59, v59
	s_nop 1
	v_cndmask_b32_e32 v58, v60, v58, vcc
	v_and_b32_e32 v60, 0xffff, v58
.LBB529_125:
	s_or_b64 exec, exec, s[96:97]
	s_nop 0
	v_mov_b32_dpp v59, v60 row_shr:2 row_mask:0xf bank_mask:0xf
	v_cmp_lt_u32_e32 vcc, 1, v57
	s_and_saveexec_b64 s[96:97], vcc
	s_cbranch_execz .LBB529_129
; %bb.126:
	v_lshlrev_b32_e32 v58, 16, v59
	v_lshlrev_b32_e32 v57, 16, v60
	v_max_f32_e32 v60, v57, v57
	v_max_f32_e32 v61, v58, v58
	v_min_f32_e32 v59, v61, v60
	v_cmp_u_f32_e32 vcc, v58, v58
	v_max_f32_e32 v60, v61, v60
	v_cmp_u_f32_e64 s[0:1], v57, v57
	v_cndmask_b32_e32 v59, v59, v58, vcc
	v_cndmask_b32_e32 v60, v60, v58, vcc
	v_cndmask_b32_e64 v59, v59, v57, s[0:1]
	v_cndmask_b32_e64 v57, v60, v57, s[0:1]
	s_movk_i32 s0, 0x1f8
	v_cmp_neq_f32_e32 vcc, v59, v57
	v_cmp_class_f32_e64 s[0:1], v59, s0
	s_or_b64 s[2:3], vcc, s[0:1]
	s_and_saveexec_b64 s[0:1], s[2:3]
	s_cbranch_execz .LBB529_128
; %bb.127:
	v_sub_f32_e32 v58, v59, v57
	s_mov_b32 s2, 0x3fb8aa3b
	v_mul_f32_e32 v59, 0x3fb8aa3b, v58
	v_fma_f32 v60, v58, s2, -v59
	v_rndne_f32_e32 v61, v59
	v_fmamk_f32 v60, v58, 0x32a5705f, v60
	v_sub_f32_e32 v59, v59, v61
	v_add_f32_e32 v59, v59, v60
	v_exp_f32_e32 v59, v59
	v_cvt_i32_f32_e32 v60, v61
	s_mov_b32 s2, 0xc2ce8ed0
	v_cmp_ngt_f32_e32 vcc, s2, v58
	s_mov_b32 s2, 0x42b17218
	v_ldexp_f32 v59, v59, v60
	v_cndmask_b32_e32 v59, 0, v59, vcc
	v_mov_b32_e32 v60, 0x7f800000
	v_cmp_nlt_f32_e32 vcc, s2, v58
	s_mov_b32 s2, 0x3f2aaaab
	s_mov_b32 s3, 0x7f800000
	v_cndmask_b32_e32 v74, v60, v59, vcc
	v_add_f32_e32 v60, 1.0, v74
	v_add_f32_e32 v58, -1.0, v60
	v_sub_f32_e32 v59, v58, v60
	v_add_f32_e32 v59, 1.0, v59
	v_sub_f32_e32 v58, v74, v58
	v_add_f32_e32 v61, v58, v59
	v_frexp_mant_f32_e32 v62, v60
	v_cvt_f64_f32_e32 v[58:59], v60
	v_frexp_exp_i32_f64_e32 v58, v[58:59]
	v_cmp_gt_f32_e32 vcc, s2, v62
	s_mov_b32 s2, 0x3f317218
	s_nop 0
	v_subbrev_co_u32_e32 v66, vcc, 0, v58, vcc
	v_sub_u32_e32 v58, 0, v66
	v_ldexp_f32 v59, v60, v58
	v_add_f32_e32 v60, -1.0, v59
	v_add_f32_e32 v62, 1.0, v59
	v_ldexp_f32 v58, v61, v58
	v_add_f32_e32 v61, 1.0, v60
	v_add_f32_e32 v63, -1.0, v62
	v_sub_f32_e32 v61, v59, v61
	v_sub_f32_e32 v59, v59, v63
	v_add_f32_e32 v61, v58, v61
	v_add_f32_e32 v58, v58, v59
	v_add_f32_e32 v67, v62, v58
	v_rcp_f32_e32 v69, v67
	v_sub_f32_e32 v59, v62, v67
	v_add_f32_e32 v68, v58, v59
	v_add_f32_e32 v59, v60, v61
	v_mul_f32_e32 v71, v59, v69
	v_sub_f32_e32 v58, v60, v59
	v_mul_f32_e32 v60, v67, v71
	v_fma_f32 v62, v71, v67, -v60
	v_fmac_f32_e32 v62, v71, v68
	v_add_f32_e32 v70, v61, v58
	v_add_f32_e32 v58, v60, v62
	v_sub_f32_e32 v61, v59, v58
	v_pk_add_f32 v[64:65], v[58:59], v[60:61] neg_lo:[0,1] neg_hi:[0,1]
	v_mov_b32_e32 v63, v58
	v_pk_add_f32 v[58:59], v[64:65], v[62:63] neg_lo:[0,1] neg_hi:[0,1]
	v_cmp_eq_f32_e32 vcc, s3, v74
	v_add_f32_e32 v59, v70, v59
	v_add_f32_e32 v58, v58, v59
	;; [unrolled: 1-line block ×3, first 2 shown]
	v_mul_f32_e32 v70, v69, v59
	v_mul_f32_e32 v60, v67, v70
	v_fma_f32 v62, v70, v67, -v60
	v_fmac_f32_e32 v62, v70, v68
	v_sub_f32_e32 v61, v61, v59
	v_add_f32_e32 v67, v58, v61
	v_add_f32_e32 v58, v60, v62
	v_sub_f32_e32 v61, v59, v58
	v_pk_add_f32 v[64:65], v[58:59], v[60:61] neg_lo:[0,1] neg_hi:[0,1]
	v_mov_b32_e32 v63, v58
	v_pk_add_f32 v[58:59], v[64:65], v[62:63] neg_lo:[0,1] neg_hi:[0,1]
	v_cvt_f32_i32_e32 v60, v66
	v_add_f32_e32 v59, v67, v59
	v_add_f32_e32 v58, v58, v59
	;; [unrolled: 1-line block ×4, first 2 shown]
	v_sub_f32_e32 v59, v61, v71
	v_mul_f32_e32 v58, v69, v58
	v_sub_f32_e32 v59, v70, v59
	v_add_f32_e32 v58, v59, v58
	v_add_f32_e32 v62, v61, v58
	v_mul_f32_e32 v64, v62, v62
	v_mov_b32_e32 v59, 0x3ecc95a3
	v_sub_f32_e32 v61, v62, v61
	v_fmac_f32_e32 v59, 0x3e9b6dac, v64
	v_sub_f32_e32 v58, v58, v61
	v_fmaak_f32 v59, v64, v59, 0x3f2aaada
	v_ldexp_f32 v65, v58, 1
	v_mul_f32_e32 v61, v62, v64
	v_mov_b32_e32 v58, 0x3f317218
	v_pk_mul_f32 v[58:59], v[60:61], v[58:59]
	v_ldexp_f32 v63, v62, 1
	v_fma_f32 v61, v60, s2, -v58
	v_fmamk_f32 v62, v60, 0xb102e308, v61
	v_pk_add_f32 v[60:61], v[58:59], v[62:63]
	v_mov_b32_e32 v64, v58
	v_sub_f32_e32 v63, v61, v63
	v_sub_f32_e32 v63, v59, v63
	v_add_f32_e32 v65, v65, v63
	v_pk_add_f32 v[58:59], v[60:61], v[58:59] neg_lo:[0,1] neg_hi:[0,1]
	v_pk_add_f32 v[66:67], v[60:61], v[64:65]
	v_mov_b32_e32 v63, v60
	v_mov_b32_e32 v59, v67
	v_pk_add_f32 v[68:69], v[62:63], v[58:59] neg_lo:[0,1] neg_hi:[0,1]
	v_pk_add_f32 v[58:59], v[62:63], v[58:59]
	v_mov_b32_e32 v64, v65
	v_mov_b32_e32 v62, v59
	v_pk_add_f32 v[70:71], v[62:63], v[60:61] neg_lo:[0,1] neg_hi:[0,1]
	v_mov_b32_e32 v58, v67
	v_mov_b32_e32 v63, v70
	v_pk_add_f32 v[72:73], v[66:67], v[62:63] neg_lo:[0,1] neg_hi:[0,1]
	v_mov_b32_e32 v66, v61
	v_mov_b32_e32 v67, v70
	v_mov_b32_e32 v69, v59
	v_pk_add_f32 v[58:59], v[58:59], v[66:67] neg_lo:[0,1] neg_hi:[0,1]
	v_mov_b32_e32 v65, v60
	v_pk_add_f32 v[58:59], v[64:65], v[58:59] neg_lo:[0,1] neg_hi:[0,1]
	v_mov_b32_e32 v72, v68
	v_pk_add_f32 v[60:61], v[72:73], v[58:59]
	s_mov_b32 s2, 0x33800000
	v_mov_b32_e32 v64, v61
	v_pk_add_f32 v[64:65], v[60:61], v[64:65]
	v_cmp_lt_f32_e64 s[2:3], |v74|, s2
	v_pk_add_f32 v[62:63], v[62:63], v[64:65]
	v_mov_b32_e32 v59, v64
	v_mov_b32_e32 v61, v62
	v_pk_add_f32 v[66:67], v[60:61], v[68:69] neg_lo:[0,1] neg_hi:[0,1]
	s_or_b64 vcc, vcc, s[2:3]
	v_sub_f32_e32 v60, v60, v66
	v_pk_add_f32 v[58:59], v[58:59], v[66:67] neg_lo:[0,1] neg_hi:[0,1]
	v_sub_f32_e32 v60, v68, v60
	v_add_f32_e32 v58, v58, v60
	v_add_f32_e32 v58, v58, v59
	;; [unrolled: 1-line block ×3, first 2 shown]
	v_cndmask_b32_e32 v58, v58, v74, vcc
	v_add_f32_e32 v58, v57, v58
.LBB529_128:
	s_or_b64 exec, exec, s[0:1]
	v_bfe_u32 v57, v58, 16, 1
	s_movk_i32 s0, 0x7fff
	v_add3_u32 v57, v58, v57, s0
	v_lshrrev_b32_e32 v57, 16, v57
	v_mov_b32_e32 v59, 0x7fc0
	v_cmp_o_f32_e32 vcc, v58, v58
	s_nop 1
	v_cndmask_b32_e32 v58, v59, v57, vcc
.LBB529_129:
	s_or_b64 exec, exec, s[96:97]
	ds_write_b16 v14, v58
.LBB529_130:
	s_or_b64 exec, exec, s[98:99]
	v_cmp_lt_u32_e32 vcc, 63, v0
	s_waitcnt lgkmcnt(0)
	s_barrier
	s_waitcnt lgkmcnt(0)
                                        ; implicit-def: $vgpr57
	s_and_saveexec_b64 s[98:99], vcc
	s_cbranch_execz .LBB529_134
; %bb.131:
	v_lshl_add_u32 v55, v55, 1, -2
	ds_read_u16 v57, v55
	v_lshlrev_b32_e32 v55, 16, v56
	v_max_f32_e32 v59, v55, v55
	v_cmp_u_f32_e32 vcc, v55, v55
	s_waitcnt lgkmcnt(0)
	v_lshlrev_b32_e32 v56, 16, v57
	v_max_f32_e32 v60, v56, v56
	v_cmp_u_f32_e64 s[0:1], v56, v56
	v_min_f32_e32 v58, v60, v59
	v_max_f32_e32 v59, v60, v59
	v_cndmask_b32_e64 v58, v58, v56, s[0:1]
	v_cndmask_b32_e64 v59, v59, v56, s[0:1]
	v_cndmask_b32_e32 v58, v58, v55, vcc
	v_cndmask_b32_e32 v55, v59, v55, vcc
	s_movk_i32 s0, 0x1f8
	v_cmp_neq_f32_e32 vcc, v58, v55
	v_cmp_class_f32_e64 s[0:1], v58, s0
	s_or_b64 s[2:3], vcc, s[0:1]
	s_and_saveexec_b64 s[0:1], s[2:3]
	s_cbranch_execz .LBB529_133
; %bb.132:
	v_sub_f32_e32 v56, v58, v55
	s_mov_b32 s2, 0x3fb8aa3b
	v_mul_f32_e32 v58, 0x3fb8aa3b, v56
	v_fma_f32 v59, v56, s2, -v58
	v_rndne_f32_e32 v60, v58
	v_fmamk_f32 v59, v56, 0x32a5705f, v59
	v_sub_f32_e32 v58, v58, v60
	v_add_f32_e32 v58, v58, v59
	v_exp_f32_e32 v58, v58
	v_cvt_i32_f32_e32 v59, v60
	s_mov_b32 s2, 0xc2ce8ed0
	v_cmp_ngt_f32_e32 vcc, s2, v56
	s_mov_b32 s2, 0x42b17218
	v_ldexp_f32 v58, v58, v59
	v_cndmask_b32_e32 v58, 0, v58, vcc
	v_mov_b32_e32 v59, 0x7f800000
	v_cmp_nlt_f32_e32 vcc, s2, v56
	s_mov_b32 s2, 0x3f2aaaab
	s_mov_b32 s3, 0x7f800000
	v_cndmask_b32_e32 v72, v59, v58, vcc
	v_add_f32_e32 v56, 1.0, v72
	v_add_f32_e32 v58, -1.0, v56
	v_sub_f32_e32 v59, v58, v56
	v_add_f32_e32 v59, 1.0, v59
	v_sub_f32_e32 v58, v72, v58
	v_add_f32_e32 v60, v58, v59
	v_frexp_mant_f32_e32 v61, v56
	v_cvt_f64_f32_e32 v[58:59], v56
	v_frexp_exp_i32_f64_e32 v58, v[58:59]
	v_cmp_gt_f32_e32 vcc, s2, v61
	s_mov_b32 s2, 0x3f317218
	s_nop 0
	v_subbrev_co_u32_e32 v66, vcc, 0, v58, vcc
	v_sub_u32_e32 v58, 0, v66
	v_ldexp_f32 v56, v56, v58
	v_ldexp_f32 v58, v60, v58
	v_add_f32_e32 v60, -1.0, v56
	v_add_f32_e32 v59, 1.0, v60
	v_sub_f32_e32 v59, v56, v59
	v_add_f32_e32 v61, v58, v59
	v_add_f32_e32 v59, 1.0, v56
	v_add_f32_e32 v62, -1.0, v59
	v_sub_f32_e32 v56, v56, v62
	v_add_f32_e32 v56, v58, v56
	v_add_f32_e32 v67, v59, v56
	v_rcp_f32_e32 v68, v67
	v_sub_f32_e32 v58, v59, v67
	v_add_f32_e32 v59, v60, v61
	v_add_f32_e32 v56, v56, v58
	v_mul_f32_e32 v70, v59, v68
	v_sub_f32_e32 v58, v60, v59
	v_mul_f32_e32 v60, v67, v70
	v_fma_f32 v62, v70, v67, -v60
	v_fmac_f32_e32 v62, v70, v56
	v_add_f32_e32 v69, v61, v58
	v_add_f32_e32 v58, v60, v62
	v_sub_f32_e32 v61, v59, v58
	v_pk_add_f32 v[64:65], v[58:59], v[60:61] neg_lo:[0,1] neg_hi:[0,1]
	v_mov_b32_e32 v63, v58
	v_pk_add_f32 v[58:59], v[64:65], v[62:63] neg_lo:[0,1] neg_hi:[0,1]
	v_cmp_eq_f32_e32 vcc, s3, v72
	v_add_f32_e32 v59, v69, v59
	v_add_f32_e32 v58, v58, v59
	;; [unrolled: 1-line block ×3, first 2 shown]
	v_mul_f32_e32 v69, v68, v59
	v_mul_f32_e32 v60, v67, v69
	v_fma_f32 v62, v69, v67, -v60
	v_fmac_f32_e32 v62, v69, v56
	v_sub_f32_e32 v56, v61, v59
	v_add_f32_e32 v56, v58, v56
	v_add_f32_e32 v58, v60, v62
	v_sub_f32_e32 v61, v59, v58
	v_pk_add_f32 v[64:65], v[58:59], v[60:61] neg_lo:[0,1] neg_hi:[0,1]
	v_mov_b32_e32 v63, v58
	v_pk_add_f32 v[58:59], v[64:65], v[62:63] neg_lo:[0,1] neg_hi:[0,1]
	v_cvt_f32_i32_e32 v60, v66
	v_add_f32_e32 v56, v56, v59
	v_add_f32_e32 v56, v58, v56
	;; [unrolled: 1-line block ×4, first 2 shown]
	v_sub_f32_e32 v59, v58, v70
	v_mul_f32_e32 v56, v68, v56
	v_sub_f32_e32 v59, v69, v59
	v_add_f32_e32 v56, v59, v56
	v_add_f32_e32 v61, v58, v56
	v_mul_f32_e32 v62, v61, v61
	v_mov_b32_e32 v59, 0x3ecc95a3
	v_fmac_f32_e32 v59, 0x3e9b6dac, v62
	v_sub_f32_e32 v58, v61, v58
	v_fmaak_f32 v59, v62, v59, 0x3f2aaada
	v_sub_f32_e32 v56, v56, v58
	v_ldexp_f32 v63, v61, 1
	v_mul_f32_e32 v61, v61, v62
	v_mov_b32_e32 v58, 0x3f317218
	v_pk_mul_f32 v[58:59], v[60:61], v[58:59]
	v_ldexp_f32 v56, v56, 1
	v_fma_f32 v61, v60, s2, -v58
	v_fmamk_f32 v62, v60, 0xb102e308, v61
	v_pk_add_f32 v[60:61], v[58:59], v[62:63]
	v_mov_b32_e32 v64, v58
	v_sub_f32_e32 v63, v61, v63
	v_sub_f32_e32 v63, v59, v63
	v_add_f32_e32 v65, v56, v63
	v_pk_add_f32 v[58:59], v[60:61], v[58:59] neg_lo:[0,1] neg_hi:[0,1]
	v_pk_add_f32 v[66:67], v[60:61], v[64:65]
	v_mov_b32_e32 v63, v60
	v_mov_b32_e32 v59, v67
	v_pk_add_f32 v[68:69], v[62:63], v[58:59] neg_lo:[0,1] neg_hi:[0,1]
	v_pk_add_f32 v[58:59], v[62:63], v[58:59]
	s_mov_b32 s2, 0x33800000
	v_mov_b32_e32 v56, v59
	v_pk_add_f32 v[62:63], v[56:57], v[60:61] neg_lo:[0,1] neg_hi:[0,1]
	v_mov_b32_e32 v58, v67
	v_mov_b32_e32 v63, v62
	v_pk_add_f32 v[70:71], v[66:67], v[62:63] neg_lo:[0,1] neg_hi:[0,1]
	v_mov_b32_e32 v66, v61
	v_mov_b32_e32 v67, v62
	;; [unrolled: 1-line block ×3, first 2 shown]
	v_pk_add_f32 v[58:59], v[58:59], v[66:67] neg_lo:[0,1] neg_hi:[0,1]
	v_mov_b32_e32 v62, v65
	v_mov_b32_e32 v63, v60
	v_pk_add_f32 v[58:59], v[62:63], v[58:59] neg_lo:[0,1] neg_hi:[0,1]
	v_mov_b32_e32 v70, v68
	v_pk_add_f32 v[60:61], v[70:71], v[58:59]
	v_cmp_lt_f32_e64 s[2:3], |v72|, s2
	v_mov_b32_e32 v62, v61
	v_pk_add_f32 v[62:63], v[60:61], v[62:63]
	s_or_b64 vcc, vcc, s[2:3]
	v_pk_add_f32 v[64:65], v[56:57], v[62:63]
	v_mov_b32_e32 v59, v62
	v_mov_b32_e32 v61, v64
	v_pk_add_f32 v[66:67], v[60:61], v[68:69] neg_lo:[0,1] neg_hi:[0,1]
	s_nop 0
	v_sub_f32_e32 v56, v60, v66
	v_pk_add_f32 v[58:59], v[58:59], v[66:67] neg_lo:[0,1] neg_hi:[0,1]
	v_sub_f32_e32 v56, v68, v56
	v_add_f32_e32 v56, v58, v56
	v_add_f32_e32 v56, v56, v59
	;; [unrolled: 1-line block ×3, first 2 shown]
	v_cndmask_b32_e32 v56, v56, v72, vcc
	v_add_f32_e32 v56, v55, v56
.LBB529_133:
	s_or_b64 exec, exec, s[0:1]
	v_bfe_u32 v55, v56, 16, 1
	s_movk_i32 s0, 0x7fff
	v_add3_u32 v55, v56, v55, s0
	v_lshrrev_b32_e32 v55, 16, v55
	v_mov_b32_e32 v58, 0x7fc0
	v_cmp_o_f32_e32 vcc, v56, v56
	s_nop 1
	v_cndmask_b32_e32 v56, v58, v55, vcc
.LBB529_134:
	s_or_b64 exec, exec, s[98:99]
	v_and_b32_e32 v55, 0xffff, v56
	v_add_u32_e32 v56, -1, v54
	v_and_b32_e32 v58, 64, v54
	v_cmp_lt_i32_e32 vcc, v56, v58
	s_nop 1
	v_cndmask_b32_e32 v56, v56, v54, vcc
	v_lshlrev_b32_e32 v56, 2, v56
	ds_bpermute_b32 v55, v56, v55
	v_cmp_ne_u32_e32 vcc, 0, v0
	s_and_saveexec_b64 s[0:1], vcc
	s_cbranch_execz .LBB529_138
; %bb.135:
	v_cmp_eq_u32_e32 vcc, 0, v54
	s_movk_i32 s2, 0x1f8
	s_waitcnt lgkmcnt(0)
	v_cndmask_b32_e32 v0, v55, v57, vcc
	v_lshlrev_b32_e32 v2, 16, v0
	v_max_f32_e32 v0, v2, v2
	v_min_f32_e32 v50, v0, v51
	v_cmp_u_f32_e32 vcc, v2, v2
	v_max_f32_e32 v0, v0, v51
	s_nop 0
	v_cndmask_b32_e32 v50, v50, v2, vcc
	v_cndmask_b32_e32 v0, v0, v2, vcc
	v_cndmask_b32_e64 v50, v50, v49, s[94:95]
	v_cndmask_b32_e64 v0, v0, v49, s[94:95]
	v_cmp_neq_f32_e32 vcc, v50, v0
	v_cmp_class_f32_e64 s[2:3], v50, s2
	s_or_b64 s[2:3], vcc, s[2:3]
	s_and_saveexec_b64 s[94:95], s[2:3]
	s_cbranch_execz .LBB529_137
; %bb.136:
	v_sub_f32_e32 v2, v50, v0
	s_mov_b32 s2, 0x3fb8aa3b
	v_mul_f32_e32 v49, 0x3fb8aa3b, v2
	v_fma_f32 v50, v2, s2, -v49
	v_rndne_f32_e32 v51, v49
	v_fmamk_f32 v50, v2, 0x32a5705f, v50
	v_sub_f32_e32 v49, v49, v51
	v_add_f32_e32 v49, v49, v50
	v_exp_f32_e32 v49, v49
	v_cvt_i32_f32_e32 v50, v51
	s_mov_b32 s2, 0xc2ce8ed0
	v_cmp_ngt_f32_e32 vcc, s2, v2
	s_mov_b32 s2, 0x42b17218
	v_ldexp_f32 v49, v49, v50
	v_cndmask_b32_e32 v49, 0, v49, vcc
	v_mov_b32_e32 v50, 0x7f800000
	v_cmp_nlt_f32_e32 vcc, s2, v2
	s_mov_b32 s2, 0x3f2aaaab
	s_mov_b32 s3, 0x7f800000
	v_cndmask_b32_e32 v66, v50, v49, vcc
	v_add_f32_e32 v2, 1.0, v66
	v_add_f32_e32 v49, -1.0, v2
	v_sub_f32_e32 v50, v49, v2
	v_add_f32_e32 v50, 1.0, v50
	v_sub_f32_e32 v49, v66, v49
	v_add_f32_e32 v49, v49, v50
	v_frexp_mant_f32_e32 v52, v2
	v_cvt_f64_f32_e32 v[50:51], v2
	v_frexp_exp_i32_f64_e32 v50, v[50:51]
	v_cmp_gt_f32_e32 vcc, s2, v52
	s_mov_b32 s2, 0x3f317218
	s_nop 0
	v_subbrev_co_u32_e32 v52, vcc, 0, v50, vcc
	v_sub_u32_e32 v50, 0, v52
	v_ldexp_f32 v2, v2, v50
	v_ldexp_f32 v49, v49, v50
	v_add_f32_e32 v50, -1.0, v2
	v_add_f32_e32 v51, 1.0, v50
	v_sub_f32_e32 v51, v2, v51
	v_add_f32_e32 v54, v49, v51
	v_add_f32_e32 v51, 1.0, v2
	v_add_f32_e32 v55, -1.0, v51
	v_sub_f32_e32 v2, v2, v55
	v_add_f32_e32 v2, v49, v2
	v_add_f32_e32 v49, v51, v2
	v_rcp_f32_e32 v60, v49
	v_sub_f32_e32 v51, v51, v49
	v_add_f32_e32 v2, v2, v51
	v_add_f32_e32 v51, v50, v54
	v_sub_f32_e32 v50, v50, v51
	v_mul_f32_e32 v62, v51, v60
	v_add_f32_e32 v61, v54, v50
	v_mul_f32_e32 v54, v49, v62
	v_fma_f32 v56, v62, v49, -v54
	v_fmac_f32_e32 v56, v62, v2
	v_add_f32_e32 v50, v54, v56
	v_sub_f32_e32 v55, v51, v50
	v_pk_add_f32 v[58:59], v[50:51], v[54:55] neg_lo:[0,1] neg_hi:[0,1]
	v_mov_b32_e32 v57, v50
	v_pk_add_f32 v[50:51], v[58:59], v[56:57] neg_lo:[0,1] neg_hi:[0,1]
	v_cmp_eq_f32_e32 vcc, s3, v66
	v_add_f32_e32 v51, v61, v51
	v_add_f32_e32 v50, v50, v51
	;; [unrolled: 1-line block ×3, first 2 shown]
	v_mul_f32_e32 v61, v60, v51
	v_mul_f32_e32 v54, v49, v61
	v_fma_f32 v56, v61, v49, -v54
	v_fmac_f32_e32 v56, v61, v2
	v_sub_f32_e32 v2, v55, v51
	v_add_f32_e32 v2, v50, v2
	v_add_f32_e32 v50, v54, v56
	v_sub_f32_e32 v55, v51, v50
	v_pk_add_f32 v[58:59], v[50:51], v[54:55] neg_lo:[0,1] neg_hi:[0,1]
	v_mov_b32_e32 v57, v50
	v_pk_add_f32 v[50:51], v[58:59], v[56:57] neg_lo:[0,1] neg_hi:[0,1]
	v_add_f32_e32 v49, v62, v61
	v_add_f32_e32 v2, v2, v51
	;; [unrolled: 1-line block ×4, first 2 shown]
	v_sub_f32_e32 v50, v49, v62
	v_mul_f32_e32 v2, v60, v2
	v_sub_f32_e32 v50, v61, v50
	v_add_f32_e32 v2, v50, v2
	v_add_f32_e32 v50, v49, v2
	v_cvt_f32_i32_e32 v54, v52
	v_mul_f32_e32 v55, v50, v50
	v_mov_b32_e32 v51, 0x3ecc95a3
	v_fmac_f32_e32 v51, 0x3e9b6dac, v55
	v_fmaak_f32 v51, v55, v51, 0x3f2aaada
	v_sub_f32_e32 v49, v50, v49
	v_ldexp_f32 v57, v50, 1
	v_mul_f32_e32 v55, v50, v55
	v_mov_b32_e32 v50, 0x3f317218
	v_pk_mul_f32 v[50:51], v[54:55], v[50:51]
	v_sub_f32_e32 v2, v2, v49
	v_fma_f32 v49, v54, s2, -v50
	v_fmamk_f32 v56, v54, 0xb102e308, v49
	v_pk_add_f32 v[54:55], v[50:51], v[56:57]
	v_ldexp_f32 v2, v2, 1
	v_sub_f32_e32 v49, v55, v57
	v_sub_f32_e32 v49, v51, v49
	v_add_f32_e32 v59, v2, v49
	v_mov_b32_e32 v58, v50
	v_pk_add_f32 v[50:51], v[54:55], v[50:51] neg_lo:[0,1] neg_hi:[0,1]
	v_pk_add_f32 v[60:61], v[54:55], v[58:59]
	v_mov_b32_e32 v57, v54
	v_mov_b32_e32 v51, v61
	v_pk_add_f32 v[62:63], v[56:57], v[50:51] neg_lo:[0,1] neg_hi:[0,1]
	v_pk_add_f32 v[50:51], v[56:57], v[50:51]
	s_mov_b32 s2, 0x33800000
	v_mov_b32_e32 v2, v51
	v_pk_add_f32 v[56:57], v[2:3], v[54:55] neg_lo:[0,1] neg_hi:[0,1]
	v_mov_b32_e32 v50, v61
	v_mov_b32_e32 v49, v56
	v_pk_add_f32 v[64:65], v[60:61], v[48:49] neg_lo:[0,1] neg_hi:[0,1]
	v_mov_b32_e32 v60, v55
	v_mov_b32_e32 v61, v56
	;; [unrolled: 1-line block ×3, first 2 shown]
	v_pk_add_f32 v[50:51], v[50:51], v[60:61] neg_lo:[0,1] neg_hi:[0,1]
	v_mov_b32_e32 v56, v59
	v_mov_b32_e32 v57, v54
	v_pk_add_f32 v[50:51], v[56:57], v[50:51] neg_lo:[0,1] neg_hi:[0,1]
	v_mov_b32_e32 v64, v62
	v_pk_add_f32 v[54:55], v[64:65], v[50:51]
	v_cmp_lt_f32_e64 s[2:3], |v66|, s2
	v_mov_b32_e32 v52, v55
	v_pk_add_f32 v[56:57], v[54:55], v[52:53]
	s_or_b64 vcc, vcc, s[2:3]
	v_pk_add_f32 v[58:59], v[2:3], v[56:57]
	v_mov_b32_e32 v51, v56
	v_mov_b32_e32 v55, v58
	v_pk_add_f32 v[60:61], v[54:55], v[62:63] neg_lo:[0,1] neg_hi:[0,1]
	s_nop 0
	v_sub_f32_e32 v2, v54, v60
	v_pk_add_f32 v[50:51], v[50:51], v[60:61] neg_lo:[0,1] neg_hi:[0,1]
	v_sub_f32_e32 v2, v62, v2
	v_add_f32_e32 v2, v50, v2
	v_add_f32_e32 v2, v2, v51
	;; [unrolled: 1-line block ×3, first 2 shown]
	v_cndmask_b32_e32 v2, v2, v66, vcc
	v_add_f32_e32 v2, v0, v2
.LBB529_137:
	s_or_b64 exec, exec, s[94:95]
	v_bfe_u32 v0, v2, 16, 1
	s_movk_i32 s2, 0x7fff
	v_add3_u32 v0, v2, v0, s2
	v_lshrrev_b32_e32 v0, 16, v0
	v_mov_b32_e32 v49, 0x7fc0
	v_cmp_o_f32_e32 vcc, v2, v2
	;;#ASMSTART
	;;#ASMEND
	s_nop 1
	v_cndmask_b32_e32 v2, v49, v0, vcc
	v_lshlrev_b32_e32 v49, 16, v2
	v_max_f32_e32 v0, v49, v49
	v_min_f32_e32 v50, v0, v24
	v_max_f32_e32 v52, v0, v24
.LBB529_138:
	s_or_b64 exec, exec, s[0:1]
	v_cmp_u_f32_e32 vcc, v49, v49
	s_nop 1
	v_cndmask_b32_e32 v0, v50, v49, vcc
	v_cndmask_b32_e64 v24, v0, v1, s[48:49]
	v_cndmask_b32_e32 v0, v52, v49, vcc
	v_cndmask_b32_e64 v0, v0, v1, s[48:49]
	v_cmp_neq_f32_e32 vcc, v24, v0
	v_cmp_class_f32_e64 s[0:1], v24, s33
	s_or_b64 s[2:3], vcc, s[0:1]
	s_and_saveexec_b64 s[0:1], s[2:3]
	s_cbranch_execz .LBB529_140
; %bb.139:
	v_sub_f32_e32 v1, v24, v0
	s_mov_b32 s2, 0x3fb8aa3b
	v_mul_f32_e32 v24, 0x3fb8aa3b, v1
	v_fma_f32 v49, v1, s2, -v24
	v_rndne_f32_e32 v50, v24
	v_fmamk_f32 v49, v1, 0x32a5705f, v49
	v_sub_f32_e32 v24, v24, v50
	v_add_f32_e32 v24, v24, v49
	v_exp_f32_e32 v24, v24
	v_cvt_i32_f32_e32 v49, v50
	s_mov_b32 s2, 0xc2ce8ed0
	v_cmp_ngt_f32_e32 vcc, s2, v1
	s_mov_b32 s2, 0x42b17218
	v_ldexp_f32 v24, v24, v49
	v_cndmask_b32_e32 v24, 0, v24, vcc
	v_mov_b32_e32 v49, 0x7f800000
	v_cmp_nlt_f32_e32 vcc, s2, v1
	s_mov_b32 s2, 0x3f2aaaab
	s_mov_b32 s3, 0x7f800000
	v_cndmask_b32_e32 v49, v49, v24, vcc
	v_add_f32_e32 v1, 1.0, v49
	v_add_f32_e32 v24, -1.0, v1
	v_sub_f32_e32 v50, v24, v1
	v_add_f32_e32 v50, 1.0, v50
	v_sub_f32_e32 v24, v49, v24
	v_add_f32_e32 v24, v24, v50
	v_frexp_mant_f32_e32 v52, v1
	v_cvt_f64_f32_e32 v[50:51], v1
	v_frexp_exp_i32_f64_e32 v50, v[50:51]
	v_cmp_gt_f32_e32 vcc, s2, v52
	s_mov_b32 s2, 0x3f317218
	s_nop 0
	v_subbrev_co_u32_e32 v52, vcc, 0, v50, vcc
	v_sub_u32_e32 v50, 0, v52
	v_ldexp_f32 v1, v1, v50
	v_ldexp_f32 v24, v24, v50
	v_add_f32_e32 v50, -1.0, v1
	v_add_f32_e32 v51, 1.0, v50
	v_sub_f32_e32 v51, v1, v51
	v_add_f32_e32 v54, v24, v51
	v_add_f32_e32 v51, 1.0, v1
	s_waitcnt lgkmcnt(0)
	v_add_f32_e32 v55, -1.0, v51
	v_sub_f32_e32 v1, v1, v55
	v_add_f32_e32 v1, v24, v1
	v_add_f32_e32 v24, v51, v1
	v_rcp_f32_e32 v60, v24
	v_sub_f32_e32 v51, v51, v24
	v_add_f32_e32 v1, v1, v51
	v_add_f32_e32 v51, v50, v54
	v_sub_f32_e32 v50, v50, v51
	v_mul_f32_e32 v62, v51, v60
	v_add_f32_e32 v61, v54, v50
	v_mul_f32_e32 v54, v24, v62
	v_fma_f32 v56, v62, v24, -v54
	v_fmac_f32_e32 v56, v62, v1
	v_add_f32_e32 v50, v54, v56
	v_sub_f32_e32 v55, v51, v50
	v_pk_add_f32 v[58:59], v[50:51], v[54:55] neg_lo:[0,1] neg_hi:[0,1]
	v_mov_b32_e32 v57, v50
	v_pk_add_f32 v[50:51], v[58:59], v[56:57] neg_lo:[0,1] neg_hi:[0,1]
	v_cmp_eq_f32_e32 vcc, s3, v49
	v_add_f32_e32 v51, v61, v51
	v_add_f32_e32 v50, v50, v51
	;; [unrolled: 1-line block ×3, first 2 shown]
	v_mul_f32_e32 v61, v60, v51
	v_mul_f32_e32 v54, v24, v61
	v_fma_f32 v56, v61, v24, -v54
	v_fmac_f32_e32 v56, v61, v1
	v_sub_f32_e32 v1, v55, v51
	v_add_f32_e32 v1, v50, v1
	v_add_f32_e32 v50, v54, v56
	v_sub_f32_e32 v55, v51, v50
	v_pk_add_f32 v[58:59], v[50:51], v[54:55] neg_lo:[0,1] neg_hi:[0,1]
	v_mov_b32_e32 v57, v50
	v_pk_add_f32 v[50:51], v[58:59], v[56:57] neg_lo:[0,1] neg_hi:[0,1]
	v_add_f32_e32 v24, v62, v61
	v_add_f32_e32 v1, v1, v51
	;; [unrolled: 1-line block ×4, first 2 shown]
	v_sub_f32_e32 v50, v24, v62
	v_mul_f32_e32 v1, v60, v1
	v_sub_f32_e32 v50, v61, v50
	v_add_f32_e32 v1, v50, v1
	v_add_f32_e32 v50, v24, v1
	v_cvt_f32_i32_e32 v54, v52
	v_mul_f32_e32 v55, v50, v50
	v_mov_b32_e32 v51, 0x3ecc95a3
	v_fmac_f32_e32 v51, 0x3e9b6dac, v55
	v_fmaak_f32 v51, v55, v51, 0x3f2aaada
	v_sub_f32_e32 v24, v50, v24
	v_ldexp_f32 v57, v50, 1
	v_mul_f32_e32 v55, v50, v55
	v_mov_b32_e32 v50, 0x3f317218
	v_pk_mul_f32 v[50:51], v[54:55], v[50:51]
	v_sub_f32_e32 v1, v1, v24
	v_fma_f32 v24, v54, s2, -v50
	v_fmamk_f32 v56, v54, 0xb102e308, v24
	v_pk_add_f32 v[54:55], v[50:51], v[56:57]
	v_ldexp_f32 v1, v1, 1
	v_sub_f32_e32 v24, v55, v57
	v_sub_f32_e32 v24, v51, v24
	v_add_f32_e32 v59, v1, v24
	v_mov_b32_e32 v58, v50
	v_pk_add_f32 v[50:51], v[54:55], v[50:51] neg_lo:[0,1] neg_hi:[0,1]
	v_pk_add_f32 v[60:61], v[54:55], v[58:59]
	v_mov_b32_e32 v57, v54
	v_mov_b32_e32 v51, v61
	v_pk_add_f32 v[62:63], v[56:57], v[50:51] neg_lo:[0,1] neg_hi:[0,1]
	v_pk_add_f32 v[50:51], v[56:57], v[50:51]
	s_mov_b32 s2, 0x33800000
	v_mov_b32_e32 v24, v51
	v_pk_add_f32 v[56:57], v[24:25], v[54:55] neg_lo:[0,1] neg_hi:[0,1]
	v_mov_b32_e32 v50, v61
	v_mov_b32_e32 v1, v56
	v_pk_add_f32 v[64:65], v[60:61], v[0:1] neg_lo:[0,1] neg_hi:[0,1]
	v_mov_b32_e32 v60, v55
	v_mov_b32_e32 v61, v56
	;; [unrolled: 1-line block ×3, first 2 shown]
	v_pk_add_f32 v[50:51], v[50:51], v[60:61] neg_lo:[0,1] neg_hi:[0,1]
	v_mov_b32_e32 v56, v59
	v_mov_b32_e32 v57, v54
	v_pk_add_f32 v[50:51], v[56:57], v[50:51] neg_lo:[0,1] neg_hi:[0,1]
	v_mov_b32_e32 v64, v62
	v_pk_add_f32 v[54:55], v[64:65], v[50:51]
	v_cmp_lt_f32_e64 s[2:3], |v49|, s2
	v_mov_b32_e32 v52, v55
	v_pk_add_f32 v[56:57], v[54:55], v[52:53]
	s_or_b64 vcc, vcc, s[2:3]
	v_pk_add_f32 v[58:59], v[24:25], v[56:57]
	v_mov_b32_e32 v51, v56
	v_mov_b32_e32 v55, v58
	v_pk_add_f32 v[60:61], v[54:55], v[62:63] neg_lo:[0,1] neg_hi:[0,1]
	s_nop 0
	v_sub_f32_e32 v1, v54, v60
	v_pk_add_f32 v[50:51], v[50:51], v[60:61] neg_lo:[0,1] neg_hi:[0,1]
	v_sub_f32_e32 v1, v62, v1
	v_add_f32_e32 v1, v50, v1
	v_add_f32_e32 v1, v1, v51
	;; [unrolled: 1-line block ×3, first 2 shown]
	v_cndmask_b32_e32 v1, v1, v49, vcc
	v_add_f32_e32 v49, v0, v1
.LBB529_140:
	s_or_b64 exec, exec, s[0:1]
	v_bfe_u32 v0, v49, 16, 1
	s_movk_i32 s48, 0x7fff
	v_add3_u32 v0, v49, v0, s48
	v_lshrrev_b32_e32 v0, 16, v0
	v_mov_b32_e32 v1, 0x7fc0
	v_cmp_o_f32_e32 vcc, v49, v49
	s_nop 1
	v_cndmask_b32_e32 v0, v1, v0, vcc
	v_lshlrev_b32_e32 v24, 16, v0
	v_max_f32_e32 v50, v24, v24
	v_min_f32_e32 v49, v50, v17
	v_cmp_u_f32_e32 vcc, v24, v24
	v_max_f32_e32 v17, v50, v17
	s_nop 0
	v_cndmask_b32_e32 v49, v49, v24, vcc
	v_cndmask_b32_e32 v17, v17, v24, vcc
	v_cndmask_b32_e64 v49, v49, v15, s[50:51]
	v_cndmask_b32_e64 v15, v17, v15, s[50:51]
	v_cmp_neq_f32_e32 vcc, v49, v15
	v_cmp_class_f32_e64 s[0:1], v49, s33
	s_or_b64 s[2:3], vcc, s[0:1]
	s_and_saveexec_b64 s[0:1], s[2:3]
	s_cbranch_execz .LBB529_142
; %bb.141:
	v_sub_f32_e32 v17, v49, v15
	s_mov_b32 s2, 0x3fb8aa3b
	v_mul_f32_e32 v24, 0x3fb8aa3b, v17
	v_fma_f32 v49, v17, s2, -v24
	v_rndne_f32_e32 v50, v24
	v_fmamk_f32 v49, v17, 0x32a5705f, v49
	v_sub_f32_e32 v24, v24, v50
	v_add_f32_e32 v24, v24, v49
	v_exp_f32_e32 v24, v24
	v_cvt_i32_f32_e32 v49, v50
	s_mov_b32 s2, 0xc2ce8ed0
	v_cmp_ngt_f32_e32 vcc, s2, v17
	s_mov_b32 s2, 0x42b17218
	v_ldexp_f32 v24, v24, v49
	v_cndmask_b32_e32 v24, 0, v24, vcc
	v_mov_b32_e32 v49, 0x7f800000
	v_cmp_nlt_f32_e32 vcc, s2, v17
	s_mov_b32 s2, 0x3f2aaaab
	s_mov_b32 s3, 0x7f800000
	v_cndmask_b32_e32 v49, v49, v24, vcc
	v_add_f32_e32 v17, 1.0, v49
	v_add_f32_e32 v24, -1.0, v17
	v_sub_f32_e32 v50, v24, v17
	v_add_f32_e32 v50, 1.0, v50
	v_sub_f32_e32 v24, v49, v24
	v_add_f32_e32 v24, v24, v50
	v_frexp_mant_f32_e32 v52, v17
	v_cvt_f64_f32_e32 v[50:51], v17
	v_frexp_exp_i32_f64_e32 v50, v[50:51]
	v_cmp_gt_f32_e32 vcc, s2, v52
	s_mov_b32 s2, 0x3f317218
	s_nop 0
	v_subbrev_co_u32_e32 v52, vcc, 0, v50, vcc
	v_sub_u32_e32 v50, 0, v52
	v_ldexp_f32 v17, v17, v50
	v_ldexp_f32 v24, v24, v50
	v_add_f32_e32 v50, -1.0, v17
	v_add_f32_e32 v51, 1.0, v50
	v_sub_f32_e32 v51, v17, v51
	v_add_f32_e32 v54, v24, v51
	v_add_f32_e32 v51, 1.0, v17
	s_waitcnt lgkmcnt(0)
	v_add_f32_e32 v55, -1.0, v51
	v_sub_f32_e32 v17, v17, v55
	v_add_f32_e32 v17, v24, v17
	v_add_f32_e32 v24, v51, v17
	v_rcp_f32_e32 v60, v24
	v_sub_f32_e32 v51, v51, v24
	v_add_f32_e32 v17, v17, v51
	v_add_f32_e32 v51, v50, v54
	v_sub_f32_e32 v50, v50, v51
	v_mul_f32_e32 v62, v51, v60
	v_add_f32_e32 v61, v54, v50
	v_mul_f32_e32 v54, v24, v62
	v_fma_f32 v56, v62, v24, -v54
	v_fmac_f32_e32 v56, v62, v17
	v_add_f32_e32 v50, v54, v56
	v_sub_f32_e32 v55, v51, v50
	v_pk_add_f32 v[58:59], v[50:51], v[54:55] neg_lo:[0,1] neg_hi:[0,1]
	v_mov_b32_e32 v57, v50
	v_pk_add_f32 v[50:51], v[58:59], v[56:57] neg_lo:[0,1] neg_hi:[0,1]
	v_cmp_eq_f32_e32 vcc, s3, v49
	v_add_f32_e32 v51, v61, v51
	v_add_f32_e32 v50, v50, v51
	;; [unrolled: 1-line block ×3, first 2 shown]
	v_mul_f32_e32 v61, v60, v51
	v_mul_f32_e32 v54, v24, v61
	v_fma_f32 v56, v61, v24, -v54
	v_fmac_f32_e32 v56, v61, v17
	v_sub_f32_e32 v17, v55, v51
	v_add_f32_e32 v17, v50, v17
	v_add_f32_e32 v50, v54, v56
	v_sub_f32_e32 v55, v51, v50
	v_pk_add_f32 v[58:59], v[50:51], v[54:55] neg_lo:[0,1] neg_hi:[0,1]
	v_mov_b32_e32 v57, v50
	v_pk_add_f32 v[50:51], v[58:59], v[56:57] neg_lo:[0,1] neg_hi:[0,1]
	v_add_f32_e32 v24, v62, v61
	v_add_f32_e32 v17, v17, v51
	;; [unrolled: 1-line block ×4, first 2 shown]
	v_sub_f32_e32 v50, v24, v62
	v_mul_f32_e32 v17, v60, v17
	v_sub_f32_e32 v50, v61, v50
	v_add_f32_e32 v17, v50, v17
	v_add_f32_e32 v50, v24, v17
	v_cvt_f32_i32_e32 v54, v52
	v_mul_f32_e32 v55, v50, v50
	v_mov_b32_e32 v51, 0x3ecc95a3
	v_fmac_f32_e32 v51, 0x3e9b6dac, v55
	v_fmaak_f32 v51, v55, v51, 0x3f2aaada
	v_sub_f32_e32 v24, v50, v24
	v_ldexp_f32 v57, v50, 1
	v_mul_f32_e32 v55, v50, v55
	v_mov_b32_e32 v50, 0x3f317218
	v_pk_mul_f32 v[50:51], v[54:55], v[50:51]
	v_sub_f32_e32 v17, v17, v24
	v_fma_f32 v24, v54, s2, -v50
	v_fmamk_f32 v56, v54, 0xb102e308, v24
	v_pk_add_f32 v[54:55], v[50:51], v[56:57]
	v_ldexp_f32 v17, v17, 1
	v_sub_f32_e32 v24, v55, v57
	v_sub_f32_e32 v24, v51, v24
	v_add_f32_e32 v59, v17, v24
	v_mov_b32_e32 v58, v50
	v_pk_add_f32 v[50:51], v[54:55], v[50:51] neg_lo:[0,1] neg_hi:[0,1]
	v_pk_add_f32 v[60:61], v[54:55], v[58:59]
	v_mov_b32_e32 v57, v54
	v_mov_b32_e32 v51, v61
	v_pk_add_f32 v[62:63], v[56:57], v[50:51] neg_lo:[0,1] neg_hi:[0,1]
	v_pk_add_f32 v[50:51], v[56:57], v[50:51]
	s_mov_b32 s2, 0x33800000
	v_mov_b32_e32 v24, v51
	v_pk_add_f32 v[56:57], v[24:25], v[54:55] neg_lo:[0,1] neg_hi:[0,1]
	v_mov_b32_e32 v50, v61
	v_mov_b32_e32 v17, v56
	v_pk_add_f32 v[64:65], v[60:61], v[16:17] neg_lo:[0,1] neg_hi:[0,1]
	v_mov_b32_e32 v60, v55
	v_mov_b32_e32 v61, v56
	;; [unrolled: 1-line block ×3, first 2 shown]
	v_pk_add_f32 v[50:51], v[50:51], v[60:61] neg_lo:[0,1] neg_hi:[0,1]
	v_mov_b32_e32 v56, v59
	v_mov_b32_e32 v57, v54
	v_pk_add_f32 v[50:51], v[56:57], v[50:51] neg_lo:[0,1] neg_hi:[0,1]
	v_mov_b32_e32 v64, v62
	v_pk_add_f32 v[54:55], v[64:65], v[50:51]
	v_cmp_lt_f32_e64 s[2:3], |v49|, s2
	v_mov_b32_e32 v52, v55
	v_pk_add_f32 v[56:57], v[54:55], v[52:53]
	s_or_b64 vcc, vcc, s[2:3]
	v_pk_add_f32 v[58:59], v[24:25], v[56:57]
	v_mov_b32_e32 v51, v56
	v_mov_b32_e32 v55, v58
	v_pk_add_f32 v[60:61], v[54:55], v[62:63] neg_lo:[0,1] neg_hi:[0,1]
	s_nop 0
	v_sub_f32_e32 v17, v54, v60
	v_pk_add_f32 v[50:51], v[50:51], v[60:61] neg_lo:[0,1] neg_hi:[0,1]
	v_sub_f32_e32 v17, v62, v17
	v_add_f32_e32 v17, v50, v17
	v_add_f32_e32 v17, v17, v51
	;; [unrolled: 1-line block ×3, first 2 shown]
	v_cndmask_b32_e32 v17, v17, v49, vcc
	v_add_f32_e32 v24, v15, v17
.LBB529_142:
	s_or_b64 exec, exec, s[0:1]
	v_bfe_u32 v15, v24, 16, 1
	v_add3_u32 v15, v24, v15, s48
	v_lshrrev_b32_e32 v15, 16, v15
	v_cmp_o_f32_e32 vcc, v24, v24
	s_nop 1
	v_cndmask_b32_e32 v1, v1, v15, vcc
	v_lshlrev_b32_e32 v17, 16, v1
	v_max_f32_e32 v24, v17, v17
	v_min_f32_e32 v15, v24, v18
	v_cmp_u_f32_e32 vcc, v17, v17
	v_max_f32_e32 v18, v24, v18
	s_nop 0
	v_cndmask_b32_e32 v15, v15, v17, vcc
	v_cndmask_b32_e32 v18, v18, v17, vcc
	v_cndmask_b32_e64 v15, v15, v3, s[52:53]
	v_cndmask_b32_e64 v3, v18, v3, s[52:53]
	v_cmp_neq_f32_e32 vcc, v15, v3
	v_cmp_class_f32_e64 s[0:1], v15, s33
	s_or_b64 s[2:3], vcc, s[0:1]
	s_and_saveexec_b64 s[0:1], s[2:3]
	s_cbranch_execz .LBB529_144
; %bb.143:
	v_sub_f32_e32 v15, v15, v3
	s_mov_b32 s2, 0x3fb8aa3b
	v_mul_f32_e32 v17, 0x3fb8aa3b, v15
	v_fma_f32 v18, v15, s2, -v17
	v_rndne_f32_e32 v24, v17
	v_fmamk_f32 v18, v15, 0x32a5705f, v18
	v_sub_f32_e32 v17, v17, v24
	v_add_f32_e32 v17, v17, v18
	v_exp_f32_e32 v17, v17
	v_cvt_i32_f32_e32 v18, v24
	s_mov_b32 s2, 0xc2ce8ed0
	v_cmp_ngt_f32_e32 vcc, s2, v15
	s_mov_b32 s2, 0x42b17218
	v_ldexp_f32 v17, v17, v18
	v_cndmask_b32_e32 v17, 0, v17, vcc
	v_mov_b32_e32 v18, 0x7f800000
	v_cmp_nlt_f32_e32 vcc, s2, v15
	s_mov_b32 s2, 0x3f2aaaab
	s_mov_b32 s3, 0x7f800000
	v_cndmask_b32_e32 v17, v18, v17, vcc
	v_add_f32_e32 v15, 1.0, v17
	v_add_f32_e32 v18, -1.0, v15
	v_sub_f32_e32 v24, v18, v15
	v_add_f32_e32 v24, 1.0, v24
	v_sub_f32_e32 v18, v17, v18
	v_add_f32_e32 v18, v18, v24
	v_frexp_mant_f32_e32 v24, v15
	v_cvt_f64_f32_e32 v[50:51], v15
	v_frexp_exp_i32_f64_e32 v49, v[50:51]
	v_cmp_gt_f32_e32 vcc, s2, v24
	s_mov_b32 s2, 0x3f317218
	s_nop 0
	v_subbrev_co_u32_e32 v24, vcc, 0, v49, vcc
	v_sub_u32_e32 v49, 0, v24
	v_ldexp_f32 v15, v15, v49
	v_ldexp_f32 v18, v18, v49
	v_add_f32_e32 v49, -1.0, v15
	v_add_f32_e32 v51, 1.0, v15
	v_add_f32_e32 v50, 1.0, v49
	v_add_f32_e32 v52, -1.0, v51
	v_sub_f32_e32 v50, v15, v50
	v_sub_f32_e32 v15, v15, v52
	v_add_f32_e32 v15, v18, v15
	v_add_f32_e32 v50, v18, v50
	;; [unrolled: 1-line block ×3, first 2 shown]
	v_rcp_f32_e32 v52, v18
	v_sub_f32_e32 v51, v51, v18
	v_add_f32_e32 v15, v15, v51
	v_add_f32_e32 v51, v49, v50
	v_mul_f32_e32 v60, v51, v52
	v_mul_f32_e32 v54, v18, v60
	v_fma_f32 v56, v60, v18, -v54
	v_sub_f32_e32 v49, v49, v51
	v_fmac_f32_e32 v56, v60, v15
	v_add_f32_e32 v49, v50, v49
	v_add_f32_e32 v50, v54, v56
	s_waitcnt lgkmcnt(0)
	v_sub_f32_e32 v55, v51, v50
	v_pk_add_f32 v[58:59], v[50:51], v[54:55] neg_lo:[0,1] neg_hi:[0,1]
	v_mov_b32_e32 v57, v50
	v_pk_add_f32 v[50:51], v[58:59], v[56:57] neg_lo:[0,1] neg_hi:[0,1]
	v_cmp_eq_f32_e32 vcc, s3, v17
	v_add_f32_e32 v49, v49, v51
	v_add_f32_e32 v49, v50, v49
	;; [unrolled: 1-line block ×3, first 2 shown]
	v_mul_f32_e32 v61, v52, v51
	v_mul_f32_e32 v54, v18, v61
	v_fma_f32 v56, v61, v18, -v54
	v_fmac_f32_e32 v56, v61, v15
	v_add_f32_e32 v50, v54, v56
	v_sub_f32_e32 v15, v55, v51
	v_sub_f32_e32 v55, v51, v50
	v_pk_add_f32 v[58:59], v[50:51], v[54:55] neg_lo:[0,1] neg_hi:[0,1]
	v_mov_b32_e32 v57, v50
	v_add_f32_e32 v15, v49, v15
	v_pk_add_f32 v[50:51], v[58:59], v[56:57] neg_lo:[0,1] neg_hi:[0,1]
	v_add_f32_e32 v18, v60, v61
	v_add_f32_e32 v15, v15, v51
	;; [unrolled: 1-line block ×4, first 2 shown]
	v_sub_f32_e32 v49, v18, v60
	v_mul_f32_e32 v15, v52, v15
	v_sub_f32_e32 v49, v61, v49
	v_add_f32_e32 v15, v49, v15
	v_add_f32_e32 v49, v18, v15
	v_cvt_f32_i32_e32 v54, v24
	v_mul_f32_e32 v50, v49, v49
	v_mov_b32_e32 v51, 0x3ecc95a3
	v_fmac_f32_e32 v51, 0x3e9b6dac, v50
	v_fmaak_f32 v51, v50, v51, 0x3f2aaada
	v_mul_f32_e32 v55, v49, v50
	v_mov_b32_e32 v50, 0x3f317218
	v_sub_f32_e32 v18, v49, v18
	v_pk_mul_f32 v[50:51], v[54:55], v[50:51]
	v_sub_f32_e32 v15, v15, v18
	v_fma_f32 v18, v54, s2, -v50
	v_ldexp_f32 v57, v49, 1
	v_fmamk_f32 v56, v54, 0xb102e308, v18
	v_pk_add_f32 v[54:55], v[50:51], v[56:57]
	v_ldexp_f32 v15, v15, 1
	v_sub_f32_e32 v18, v55, v57
	v_sub_f32_e32 v18, v51, v18
	v_add_f32_e32 v59, v15, v18
	v_mov_b32_e32 v58, v50
	v_pk_add_f32 v[50:51], v[54:55], v[50:51] neg_lo:[0,1] neg_hi:[0,1]
	v_pk_add_f32 v[60:61], v[54:55], v[58:59]
	v_mov_b32_e32 v57, v54
	v_mov_b32_e32 v51, v61
	v_pk_add_f32 v[62:63], v[56:57], v[50:51] neg_lo:[0,1] neg_hi:[0,1]
	v_pk_add_f32 v[50:51], v[56:57], v[50:51]
	s_mov_b32 s2, 0x33800000
	v_mov_b32_e32 v18, v51
	v_pk_add_f32 v[56:57], v[18:19], v[54:55] neg_lo:[0,1] neg_hi:[0,1]
	v_mov_b32_e32 v50, v61
	v_mov_b32_e32 v15, v56
	v_pk_add_f32 v[64:65], v[60:61], v[14:15] neg_lo:[0,1] neg_hi:[0,1]
	v_mov_b32_e32 v60, v55
	v_mov_b32_e32 v61, v56
	;; [unrolled: 1-line block ×3, first 2 shown]
	v_pk_add_f32 v[50:51], v[50:51], v[60:61] neg_lo:[0,1] neg_hi:[0,1]
	v_mov_b32_e32 v56, v59
	v_mov_b32_e32 v57, v54
	v_pk_add_f32 v[50:51], v[56:57], v[50:51] neg_lo:[0,1] neg_hi:[0,1]
	v_mov_b32_e32 v64, v62
	v_pk_add_f32 v[54:55], v[64:65], v[50:51]
	v_cmp_lt_f32_e64 s[2:3], |v17|, s2
	v_mov_b32_e32 v24, v55
	v_pk_add_f32 v[56:57], v[54:55], v[24:25]
	s_or_b64 vcc, vcc, s[2:3]
	v_pk_add_f32 v[58:59], v[18:19], v[56:57]
	v_mov_b32_e32 v51, v56
	v_mov_b32_e32 v55, v58
	v_pk_add_f32 v[60:61], v[54:55], v[62:63] neg_lo:[0,1] neg_hi:[0,1]
	s_nop 0
	v_sub_f32_e32 v15, v54, v60
	v_pk_add_f32 v[50:51], v[50:51], v[60:61] neg_lo:[0,1] neg_hi:[0,1]
	v_sub_f32_e32 v15, v62, v15
	v_add_f32_e32 v15, v50, v15
	v_add_f32_e32 v15, v15, v51
	v_add_f32_e32 v15, v58, v15
	v_cndmask_b32_e32 v15, v15, v17, vcc
	v_add_f32_e32 v17, v3, v15
.LBB529_144:
	s_or_b64 exec, exec, s[0:1]
	v_bfe_u32 v3, v17, 16, 1
	v_add3_u32 v3, v17, v3, s48
	v_lshrrev_b32_e32 v3, 16, v3
	v_mov_b32_e32 v15, 0x7fc0
	v_cmp_o_f32_e32 vcc, v17, v17
	s_nop 1
	v_cndmask_b32_e32 v3, v15, v3, vcc
	v_lshlrev_b32_e32 v17, 16, v3
	v_max_f32_e32 v24, v17, v17
	v_min_f32_e32 v18, v24, v20
	v_cmp_u_f32_e32 vcc, v17, v17
	v_max_f32_e32 v20, v24, v20
	s_nop 0
	v_cndmask_b32_e32 v18, v18, v17, vcc
	v_cndmask_b32_e32 v20, v20, v17, vcc
	v_cndmask_b32_e64 v18, v18, v16, s[54:55]
	v_cndmask_b32_e64 v16, v20, v16, s[54:55]
	v_cmp_neq_f32_e32 vcc, v18, v16
	v_cmp_class_f32_e64 s[0:1], v18, s33
	s_or_b64 s[2:3], vcc, s[0:1]
	s_and_saveexec_b64 s[0:1], s[2:3]
	s_cbranch_execz .LBB529_146
; %bb.145:
	v_sub_f32_e32 v17, v18, v16
	s_mov_b32 s2, 0x3fb8aa3b
	v_mul_f32_e32 v18, 0x3fb8aa3b, v17
	v_fma_f32 v20, v17, s2, -v18
	v_rndne_f32_e32 v24, v18
	v_fmamk_f32 v20, v17, 0x32a5705f, v20
	v_sub_f32_e32 v18, v18, v24
	v_add_f32_e32 v18, v18, v20
	v_exp_f32_e32 v18, v18
	v_cvt_i32_f32_e32 v20, v24
	s_mov_b32 s2, 0xc2ce8ed0
	v_cmp_ngt_f32_e32 vcc, s2, v17
	s_mov_b32 s2, 0x42b17218
	v_ldexp_f32 v18, v18, v20
	v_cndmask_b32_e32 v18, 0, v18, vcc
	v_mov_b32_e32 v20, 0x7f800000
	v_cmp_nlt_f32_e32 vcc, s2, v17
	s_mov_b32 s2, 0x3f2aaaab
	s_mov_b32 s3, 0x7f800000
	v_cndmask_b32_e32 v24, v20, v18, vcc
	v_add_f32_e32 v17, 1.0, v24
	v_add_f32_e32 v18, -1.0, v17
	v_sub_f32_e32 v20, v18, v17
	v_add_f32_e32 v20, 1.0, v20
	v_sub_f32_e32 v18, v24, v18
	v_add_f32_e32 v18, v18, v20
	v_frexp_mant_f32_e32 v20, v17
	v_cvt_f64_f32_e32 v[50:51], v17
	v_frexp_exp_i32_f64_e32 v49, v[50:51]
	v_cmp_gt_f32_e32 vcc, s2, v20
	s_mov_b32 s2, 0x3f317218
	s_nop 0
	v_subbrev_co_u32_e32 v20, vcc, 0, v49, vcc
	v_sub_u32_e32 v49, 0, v20
	v_ldexp_f32 v17, v17, v49
	v_ldexp_f32 v18, v18, v49
	v_add_f32_e32 v49, -1.0, v17
	v_add_f32_e32 v51, 1.0, v17
	v_add_f32_e32 v50, 1.0, v49
	v_add_f32_e32 v52, -1.0, v51
	v_sub_f32_e32 v50, v17, v50
	v_sub_f32_e32 v17, v17, v52
	v_add_f32_e32 v17, v18, v17
	v_add_f32_e32 v50, v18, v50
	v_add_f32_e32 v18, v51, v17
	v_rcp_f32_e32 v52, v18
	v_sub_f32_e32 v51, v51, v18
	v_add_f32_e32 v17, v17, v51
	v_add_f32_e32 v51, v49, v50
	v_mul_f32_e32 v60, v51, v52
	v_mul_f32_e32 v54, v18, v60
	v_fma_f32 v56, v60, v18, -v54
	v_sub_f32_e32 v49, v49, v51
	v_fmac_f32_e32 v56, v60, v17
	v_add_f32_e32 v49, v50, v49
	v_add_f32_e32 v50, v54, v56
	s_waitcnt lgkmcnt(0)
	v_sub_f32_e32 v55, v51, v50
	v_pk_add_f32 v[58:59], v[50:51], v[54:55] neg_lo:[0,1] neg_hi:[0,1]
	v_mov_b32_e32 v57, v50
	v_pk_add_f32 v[50:51], v[58:59], v[56:57] neg_lo:[0,1] neg_hi:[0,1]
	v_cmp_eq_f32_e32 vcc, s3, v24
	v_add_f32_e32 v49, v49, v51
	v_add_f32_e32 v49, v50, v49
	;; [unrolled: 1-line block ×3, first 2 shown]
	v_mul_f32_e32 v61, v52, v51
	v_mul_f32_e32 v54, v18, v61
	v_fma_f32 v56, v61, v18, -v54
	v_fmac_f32_e32 v56, v61, v17
	v_add_f32_e32 v50, v54, v56
	v_sub_f32_e32 v17, v55, v51
	v_sub_f32_e32 v55, v51, v50
	v_pk_add_f32 v[58:59], v[50:51], v[54:55] neg_lo:[0,1] neg_hi:[0,1]
	v_mov_b32_e32 v57, v50
	v_add_f32_e32 v17, v49, v17
	v_pk_add_f32 v[50:51], v[58:59], v[56:57] neg_lo:[0,1] neg_hi:[0,1]
	v_add_f32_e32 v18, v60, v61
	v_add_f32_e32 v17, v17, v51
	;; [unrolled: 1-line block ×4, first 2 shown]
	v_sub_f32_e32 v49, v18, v60
	v_mul_f32_e32 v17, v52, v17
	v_sub_f32_e32 v49, v61, v49
	v_add_f32_e32 v17, v49, v17
	v_add_f32_e32 v49, v18, v17
	v_cvt_f32_i32_e32 v54, v20
	v_mul_f32_e32 v50, v49, v49
	v_mov_b32_e32 v51, 0x3ecc95a3
	v_fmac_f32_e32 v51, 0x3e9b6dac, v50
	v_fmaak_f32 v51, v50, v51, 0x3f2aaada
	v_mul_f32_e32 v55, v49, v50
	v_mov_b32_e32 v50, 0x3f317218
	v_sub_f32_e32 v18, v49, v18
	v_pk_mul_f32 v[50:51], v[54:55], v[50:51]
	v_sub_f32_e32 v17, v17, v18
	v_fma_f32 v18, v54, s2, -v50
	v_ldexp_f32 v57, v49, 1
	v_fmamk_f32 v56, v54, 0xb102e308, v18
	v_pk_add_f32 v[54:55], v[50:51], v[56:57]
	v_ldexp_f32 v17, v17, 1
	v_sub_f32_e32 v18, v55, v57
	v_sub_f32_e32 v18, v51, v18
	v_add_f32_e32 v59, v17, v18
	v_mov_b32_e32 v58, v50
	v_pk_add_f32 v[50:51], v[54:55], v[50:51] neg_lo:[0,1] neg_hi:[0,1]
	v_pk_add_f32 v[60:61], v[54:55], v[58:59]
	v_mov_b32_e32 v57, v54
	v_mov_b32_e32 v51, v61
	v_pk_add_f32 v[62:63], v[56:57], v[50:51] neg_lo:[0,1] neg_hi:[0,1]
	v_pk_add_f32 v[50:51], v[56:57], v[50:51]
	s_mov_b32 s2, 0x33800000
	v_mov_b32_e32 v18, v51
	v_pk_add_f32 v[56:57], v[18:19], v[54:55] neg_lo:[0,1] neg_hi:[0,1]
	v_mov_b32_e32 v50, v61
	v_mov_b32_e32 v17, v56
	v_pk_add_f32 v[64:65], v[60:61], v[16:17] neg_lo:[0,1] neg_hi:[0,1]
	v_mov_b32_e32 v60, v55
	v_mov_b32_e32 v61, v56
	;; [unrolled: 1-line block ×3, first 2 shown]
	v_pk_add_f32 v[50:51], v[50:51], v[60:61] neg_lo:[0,1] neg_hi:[0,1]
	v_mov_b32_e32 v56, v59
	v_mov_b32_e32 v57, v54
	v_pk_add_f32 v[50:51], v[56:57], v[50:51] neg_lo:[0,1] neg_hi:[0,1]
	v_mov_b32_e32 v64, v62
	v_pk_add_f32 v[54:55], v[64:65], v[50:51]
	v_cmp_lt_f32_e64 s[2:3], |v24|, s2
	v_mov_b32_e32 v20, v55
	v_pk_add_f32 v[56:57], v[54:55], v[20:21]
	s_or_b64 vcc, vcc, s[2:3]
	v_pk_add_f32 v[58:59], v[18:19], v[56:57]
	v_mov_b32_e32 v51, v56
	v_mov_b32_e32 v55, v58
	v_pk_add_f32 v[60:61], v[54:55], v[62:63] neg_lo:[0,1] neg_hi:[0,1]
	s_nop 0
	v_sub_f32_e32 v17, v54, v60
	v_pk_add_f32 v[50:51], v[50:51], v[60:61] neg_lo:[0,1] neg_hi:[0,1]
	v_sub_f32_e32 v17, v62, v17
	v_add_f32_e32 v17, v50, v17
	v_add_f32_e32 v17, v17, v51
	v_add_f32_e32 v17, v58, v17
	v_cndmask_b32_e32 v17, v17, v24, vcc
	v_add_f32_e32 v17, v16, v17
.LBB529_146:
	s_or_b64 exec, exec, s[0:1]
	v_bfe_u32 v16, v17, 16, 1
	v_add3_u32 v16, v17, v16, s48
	v_lshrrev_b32_e32 v16, 16, v16
	v_cmp_o_f32_e32 vcc, v17, v17
	s_nop 1
	v_cndmask_b32_e32 v15, v15, v16, vcc
	v_lshlrev_b32_e32 v17, 16, v15
	v_max_f32_e32 v18, v17, v17
	v_min_f32_e32 v16, v18, v21
	v_cmp_u_f32_e32 vcc, v17, v17
	v_max_f32_e32 v18, v18, v21
	s_nop 0
	v_cndmask_b32_e32 v16, v16, v17, vcc
	v_cndmask_b32_e32 v18, v18, v17, vcc
	v_cndmask_b32_e64 v16, v16, v4, s[56:57]
	v_cndmask_b32_e64 v4, v18, v4, s[56:57]
	v_cmp_neq_f32_e32 vcc, v16, v4
	v_cmp_class_f32_e64 s[0:1], v16, s33
	s_or_b64 s[2:3], vcc, s[0:1]
	s_and_saveexec_b64 s[0:1], s[2:3]
	s_cbranch_execz .LBB529_148
; %bb.147:
	v_sub_f32_e32 v16, v16, v4
	s_mov_b32 s2, 0x3fb8aa3b
	v_mul_f32_e32 v17, 0x3fb8aa3b, v16
	v_fma_f32 v18, v16, s2, -v17
	v_rndne_f32_e32 v20, v17
	v_fmamk_f32 v18, v16, 0x32a5705f, v18
	v_sub_f32_e32 v17, v17, v20
	v_add_f32_e32 v17, v17, v18
	v_exp_f32_e32 v17, v17
	v_cvt_i32_f32_e32 v18, v20
	s_mov_b32 s2, 0xc2ce8ed0
	v_cmp_ngt_f32_e32 vcc, s2, v16
	s_mov_b32 s2, 0x42b17218
	v_ldexp_f32 v17, v17, v18
	v_cndmask_b32_e32 v17, 0, v17, vcc
	v_mov_b32_e32 v18, 0x7f800000
	v_cmp_nlt_f32_e32 vcc, s2, v16
	s_mov_b32 s2, 0x3f2aaaab
	s_mov_b32 s3, 0x7f800000
	v_cndmask_b32_e32 v52, v18, v17, vcc
	v_add_f32_e32 v18, 1.0, v52
	v_add_f32_e32 v16, -1.0, v18
	v_sub_f32_e32 v17, v16, v18
	v_add_f32_e32 v17, 1.0, v17
	v_sub_f32_e32 v16, v52, v16
	v_add_f32_e32 v20, v16, v17
	v_frexp_mant_f32_e32 v21, v18
	v_cvt_f64_f32_e32 v[16:17], v18
	v_frexp_exp_i32_f64_e32 v16, v[16:17]
	v_cmp_gt_f32_e32 vcc, s2, v21
	s_mov_b32 s2, 0x3f317218
	s_nop 0
	v_subbrev_co_u32_e32 v24, vcc, 0, v16, vcc
	v_sub_u32_e32 v16, 0, v24
	v_ldexp_f32 v17, v18, v16
	v_add_f32_e32 v18, -1.0, v17
	v_add_f32_e32 v21, 1.0, v17
	v_ldexp_f32 v16, v20, v16
	v_add_f32_e32 v20, 1.0, v18
	v_add_f32_e32 v49, -1.0, v21
	v_sub_f32_e32 v20, v17, v20
	v_sub_f32_e32 v17, v17, v49
	v_add_f32_e32 v20, v16, v20
	v_add_f32_e32 v16, v16, v17
	;; [unrolled: 1-line block ×3, first 2 shown]
	v_rcp_f32_e32 v57, v49
	v_sub_f32_e32 v17, v21, v49
	v_add_f32_e32 v56, v16, v17
	v_add_f32_e32 v17, v18, v20
	v_sub_f32_e32 v16, v18, v17
	v_mul_f32_e32 v58, v17, v57
	v_add_f32_e32 v18, v20, v16
	v_mul_f32_e32 v20, v49, v58
	v_fma_f32 v50, v58, v49, -v20
	v_fmac_f32_e32 v50, v58, v56
	v_add_f32_e32 v16, v20, v50
	v_sub_f32_e32 v21, v17, v16
	s_waitcnt lgkmcnt(0)
	v_pk_add_f32 v[54:55], v[16:17], v[20:21] neg_lo:[0,1] neg_hi:[0,1]
	v_mov_b32_e32 v51, v16
	v_pk_add_f32 v[16:17], v[54:55], v[50:51] neg_lo:[0,1] neg_hi:[0,1]
	v_cmp_eq_f32_e32 vcc, s3, v52
	v_add_f32_e32 v17, v18, v17
	v_add_f32_e32 v16, v16, v17
	;; [unrolled: 1-line block ×3, first 2 shown]
	v_mul_f32_e32 v18, v57, v17
	v_mul_f32_e32 v20, v49, v18
	v_fma_f32 v50, v18, v49, -v20
	v_fmac_f32_e32 v50, v18, v56
	v_sub_f32_e32 v21, v21, v17
	v_add_f32_e32 v49, v16, v21
	v_add_f32_e32 v16, v20, v50
	v_sub_f32_e32 v21, v17, v16
	v_pk_add_f32 v[54:55], v[16:17], v[20:21] neg_lo:[0,1] neg_hi:[0,1]
	v_mov_b32_e32 v51, v16
	v_pk_add_f32 v[16:17], v[54:55], v[50:51] neg_lo:[0,1] neg_hi:[0,1]
	v_cvt_f32_i32_e32 v20, v24
	v_add_f32_e32 v17, v49, v17
	v_add_f32_e32 v16, v16, v17
	;; [unrolled: 1-line block ×4, first 2 shown]
	v_sub_f32_e32 v17, v21, v58
	v_mul_f32_e32 v16, v57, v16
	v_sub_f32_e32 v17, v18, v17
	v_add_f32_e32 v16, v17, v16
	v_add_f32_e32 v18, v21, v16
	v_mul_f32_e32 v49, v18, v18
	v_mov_b32_e32 v17, 0x3ecc95a3
	v_sub_f32_e32 v21, v18, v21
	v_fmac_f32_e32 v17, 0x3e9b6dac, v49
	v_sub_f32_e32 v16, v16, v21
	v_fmaak_f32 v17, v49, v17, 0x3f2aaada
	v_ldexp_f32 v24, v16, 1
	v_mul_f32_e32 v21, v18, v49
	v_mov_b32_e32 v16, 0x3f317218
	v_pk_mul_f32 v[16:17], v[20:21], v[16:17]
	v_ldexp_f32 v51, v18, 1
	v_fma_f32 v18, v20, s2, -v16
	v_fmamk_f32 v50, v20, 0xb102e308, v18
	v_pk_add_f32 v[20:21], v[16:17], v[50:51]
	v_mov_b32_e32 v54, v16
	v_sub_f32_e32 v18, v21, v51
	v_sub_f32_e32 v18, v17, v18
	v_add_f32_e32 v55, v24, v18
	v_pk_add_f32 v[16:17], v[20:21], v[16:17] neg_lo:[0,1] neg_hi:[0,1]
	v_pk_add_f32 v[56:57], v[20:21], v[54:55]
	v_mov_b32_e32 v51, v20
	v_mov_b32_e32 v17, v57
	v_pk_add_f32 v[58:59], v[50:51], v[16:17] neg_lo:[0,1] neg_hi:[0,1]
	v_pk_add_f32 v[16:17], v[50:51], v[16:17]
	s_mov_b32 s2, 0x33800000
	v_mov_b32_e32 v18, v17
	v_pk_add_f32 v[50:51], v[18:19], v[20:21] neg_lo:[0,1] neg_hi:[0,1]
	v_mov_b32_e32 v16, v57
	v_mov_b32_e32 v49, v50
	v_pk_add_f32 v[60:61], v[56:57], v[48:49] neg_lo:[0,1] neg_hi:[0,1]
	v_mov_b32_e32 v56, v21
	v_mov_b32_e32 v57, v50
	;; [unrolled: 1-line block ×3, first 2 shown]
	v_pk_add_f32 v[16:17], v[16:17], v[56:57] neg_lo:[0,1] neg_hi:[0,1]
	v_mov_b32_e32 v50, v55
	v_mov_b32_e32 v51, v20
	v_pk_add_f32 v[16:17], v[50:51], v[16:17] neg_lo:[0,1] neg_hi:[0,1]
	v_mov_b32_e32 v60, v58
	v_pk_add_f32 v[20:21], v[60:61], v[16:17]
	v_cmp_lt_f32_e64 s[2:3], |v52|, s2
	v_mov_b32_e32 v24, v21
	v_pk_add_f32 v[50:51], v[20:21], v[24:25]
	s_or_b64 vcc, vcc, s[2:3]
	v_pk_add_f32 v[54:55], v[18:19], v[50:51]
	v_mov_b32_e32 v17, v50
	v_mov_b32_e32 v21, v54
	v_pk_add_f32 v[56:57], v[20:21], v[58:59] neg_lo:[0,1] neg_hi:[0,1]
	s_nop 0
	v_sub_f32_e32 v18, v20, v56
	v_pk_add_f32 v[16:17], v[16:17], v[56:57] neg_lo:[0,1] neg_hi:[0,1]
	v_sub_f32_e32 v18, v58, v18
	v_add_f32_e32 v16, v16, v18
	v_add_f32_e32 v16, v16, v17
	;; [unrolled: 1-line block ×3, first 2 shown]
	v_cndmask_b32_e32 v16, v16, v52, vcc
	v_add_f32_e32 v17, v4, v16
.LBB529_148:
	s_or_b64 exec, exec, s[0:1]
	v_bfe_u32 v4, v17, 16, 1
	v_add3_u32 v4, v17, v4, s48
	v_lshrrev_b32_e32 v4, 16, v4
	v_mov_b32_e32 v16, 0x7fc0
	v_cmp_o_f32_e32 vcc, v17, v17
	s_nop 1
	v_cndmask_b32_e32 v4, v16, v4, vcc
	v_lshlrev_b32_e32 v18, 16, v4
	v_max_f32_e32 v17, v18, v18
	v_min_f32_e32 v20, v17, v23
	v_cmp_u_f32_e32 vcc, v18, v18
	v_max_f32_e32 v17, v17, v23
	s_nop 0
	v_cndmask_b32_e32 v20, v20, v18, vcc
	v_cndmask_b32_e32 v17, v17, v18, vcc
	v_cndmask_b32_e64 v20, v20, v19, s[58:59]
	v_cndmask_b32_e64 v17, v17, v19, s[58:59]
	v_cmp_neq_f32_e32 vcc, v20, v17
	v_cmp_class_f32_e64 s[0:1], v20, s33
	s_or_b64 s[2:3], vcc, s[0:1]
	s_and_saveexec_b64 s[0:1], s[2:3]
	s_cbranch_execz .LBB529_150
; %bb.149:
	v_sub_f32_e32 v18, v20, v17
	s_mov_b32 s2, 0x3fb8aa3b
	v_mul_f32_e32 v19, 0x3fb8aa3b, v18
	v_fma_f32 v20, v18, s2, -v19
	v_rndne_f32_e32 v21, v19
	v_fmamk_f32 v20, v18, 0x32a5705f, v20
	v_sub_f32_e32 v19, v19, v21
	v_add_f32_e32 v19, v19, v20
	v_exp_f32_e32 v19, v19
	v_cvt_i32_f32_e32 v20, v21
	s_mov_b32 s2, 0xc2ce8ed0
	v_cmp_ngt_f32_e32 vcc, s2, v18
	s_mov_b32 s2, 0x42b17218
	v_ldexp_f32 v19, v19, v20
	v_cndmask_b32_e32 v19, 0, v19, vcc
	v_mov_b32_e32 v20, 0x7f800000
	v_cmp_nlt_f32_e32 vcc, s2, v18
	s_mov_b32 s2, 0x3f2aaaab
	s_mov_b32 s3, 0x7f800000
	v_cndmask_b32_e32 v49, v20, v19, vcc
	v_add_f32_e32 v20, 1.0, v49
	v_add_f32_e32 v18, -1.0, v20
	v_sub_f32_e32 v19, v18, v20
	v_add_f32_e32 v19, 1.0, v19
	v_sub_f32_e32 v18, v49, v18
	v_add_f32_e32 v21, v18, v19
	v_frexp_mant_f32_e32 v23, v20
	v_cvt_f64_f32_e32 v[18:19], v20
	v_frexp_exp_i32_f64_e32 v18, v[18:19]
	v_cmp_gt_f32_e32 vcc, s2, v23
	s_mov_b32 s2, 0x3f317218
	s_nop 0
	v_subbrev_co_u32_e32 v23, vcc, 0, v18, vcc
	v_sub_u32_e32 v18, 0, v23
	v_ldexp_f32 v19, v20, v18
	v_add_f32_e32 v20, -1.0, v19
	v_add_f32_e32 v24, 1.0, v19
	v_ldexp_f32 v18, v21, v18
	v_add_f32_e32 v21, 1.0, v20
	v_add_f32_e32 v50, -1.0, v24
	v_sub_f32_e32 v21, v19, v21
	v_sub_f32_e32 v19, v19, v50
	v_add_f32_e32 v21, v18, v21
	v_add_f32_e32 v18, v18, v19
	;; [unrolled: 1-line block ×3, first 2 shown]
	v_rcp_f32_e32 v56, v52
	v_sub_f32_e32 v19, v24, v52
	v_add_f32_e32 v24, v18, v19
	v_add_f32_e32 v19, v20, v21
	v_mul_f32_e32 v58, v19, v56
	v_sub_f32_e32 v18, v20, v19
	v_mul_f32_e32 v20, v52, v58
	v_fma_f32 v50, v58, v52, -v20
	v_fmac_f32_e32 v50, v58, v24
	v_add_f32_e32 v57, v21, v18
	v_add_f32_e32 v18, v20, v50
	v_sub_f32_e32 v21, v19, v18
	s_waitcnt lgkmcnt(0)
	v_pk_add_f32 v[54:55], v[18:19], v[20:21] neg_lo:[0,1] neg_hi:[0,1]
	v_mov_b32_e32 v51, v18
	v_pk_add_f32 v[18:19], v[54:55], v[50:51] neg_lo:[0,1] neg_hi:[0,1]
	v_cmp_eq_f32_e32 vcc, s3, v49
	v_add_f32_e32 v19, v57, v19
	v_add_f32_e32 v18, v18, v19
	;; [unrolled: 1-line block ×3, first 2 shown]
	v_mul_f32_e32 v57, v56, v19
	v_mul_f32_e32 v20, v52, v57
	v_fma_f32 v50, v57, v52, -v20
	v_fmac_f32_e32 v50, v57, v24
	v_sub_f32_e32 v21, v21, v19
	v_add_f32_e32 v24, v18, v21
	v_add_f32_e32 v18, v20, v50
	v_sub_f32_e32 v21, v19, v18
	v_pk_add_f32 v[54:55], v[18:19], v[20:21] neg_lo:[0,1] neg_hi:[0,1]
	v_mov_b32_e32 v51, v18
	v_pk_add_f32 v[18:19], v[54:55], v[50:51] neg_lo:[0,1] neg_hi:[0,1]
	v_cvt_f32_i32_e32 v20, v23
	v_add_f32_e32 v19, v24, v19
	v_add_f32_e32 v18, v18, v19
	;; [unrolled: 1-line block ×4, first 2 shown]
	v_sub_f32_e32 v19, v21, v58
	v_mul_f32_e32 v18, v56, v18
	v_sub_f32_e32 v19, v57, v19
	v_add_f32_e32 v18, v19, v18
	v_add_f32_e32 v24, v21, v18
	v_mul_f32_e32 v50, v24, v24
	v_mov_b32_e32 v19, 0x3ecc95a3
	v_sub_f32_e32 v21, v24, v21
	v_fmac_f32_e32 v19, 0x3e9b6dac, v50
	v_sub_f32_e32 v18, v18, v21
	v_fmaak_f32 v19, v50, v19, 0x3f2aaada
	v_ldexp_f32 v23, v18, 1
	v_mul_f32_e32 v21, v24, v50
	v_mov_b32_e32 v18, 0x3f317218
	v_pk_mul_f32 v[18:19], v[20:21], v[18:19]
	v_ldexp_f32 v51, v24, 1
	v_fma_f32 v21, v20, s2, -v18
	v_fmamk_f32 v50, v20, 0xb102e308, v21
	v_pk_add_f32 v[20:21], v[18:19], v[50:51]
	v_mov_b32_e32 v54, v18
	v_sub_f32_e32 v24, v21, v51
	v_sub_f32_e32 v24, v19, v24
	v_add_f32_e32 v55, v23, v24
	v_pk_add_f32 v[18:19], v[20:21], v[18:19] neg_lo:[0,1] neg_hi:[0,1]
	v_pk_add_f32 v[56:57], v[20:21], v[54:55]
	v_mov_b32_e32 v51, v20
	v_mov_b32_e32 v19, v57
	v_pk_add_f32 v[58:59], v[50:51], v[18:19] neg_lo:[0,1] neg_hi:[0,1]
	v_pk_add_f32 v[18:19], v[50:51], v[18:19]
	s_mov_b32 s2, 0x33800000
	v_mov_b32_e32 v24, v19
	v_pk_add_f32 v[50:51], v[24:25], v[20:21] neg_lo:[0,1] neg_hi:[0,1]
	v_mov_b32_e32 v18, v57
	v_mov_b32_e32 v23, v50
	v_pk_add_f32 v[60:61], v[56:57], v[22:23] neg_lo:[0,1] neg_hi:[0,1]
	v_mov_b32_e32 v56, v21
	v_mov_b32_e32 v57, v50
	;; [unrolled: 1-line block ×3, first 2 shown]
	v_pk_add_f32 v[18:19], v[18:19], v[56:57] neg_lo:[0,1] neg_hi:[0,1]
	v_mov_b32_e32 v50, v55
	v_mov_b32_e32 v51, v20
	v_pk_add_f32 v[18:19], v[50:51], v[18:19] neg_lo:[0,1] neg_hi:[0,1]
	v_mov_b32_e32 v60, v58
	v_pk_add_f32 v[20:21], v[60:61], v[18:19]
	v_cmp_lt_f32_e64 s[2:3], |v49|, s2
	v_mov_b32_e32 v50, v21
	v_pk_add_f32 v[50:51], v[20:21], v[50:51]
	s_or_b64 vcc, vcc, s[2:3]
	v_pk_add_f32 v[54:55], v[24:25], v[50:51]
	v_mov_b32_e32 v19, v50
	v_mov_b32_e32 v21, v54
	v_pk_add_f32 v[56:57], v[20:21], v[58:59] neg_lo:[0,1] neg_hi:[0,1]
	s_nop 0
	v_sub_f32_e32 v20, v20, v56
	v_pk_add_f32 v[18:19], v[18:19], v[56:57] neg_lo:[0,1] neg_hi:[0,1]
	v_sub_f32_e32 v20, v58, v20
	v_add_f32_e32 v18, v18, v20
	v_add_f32_e32 v18, v18, v19
	v_add_f32_e32 v18, v54, v18
	v_cndmask_b32_e32 v18, v18, v49, vcc
	v_add_f32_e32 v18, v17, v18
.LBB529_150:
	s_or_b64 exec, exec, s[0:1]
	v_bfe_u32 v17, v18, 16, 1
	v_add3_u32 v17, v18, v17, s48
	v_lshrrev_b32_e32 v17, 16, v17
	v_cmp_o_f32_e32 vcc, v18, v18
	s_nop 1
	v_cndmask_b32_e32 v16, v16, v17, vcc
	v_lshlrev_b32_e32 v18, 16, v16
	v_max_f32_e32 v19, v18, v18
	v_min_f32_e32 v17, v19, v25
	v_cmp_u_f32_e32 vcc, v18, v18
	v_max_f32_e32 v19, v19, v25
	s_nop 0
	v_cndmask_b32_e32 v17, v17, v18, vcc
	v_cndmask_b32_e32 v19, v19, v18, vcc
	v_cndmask_b32_e64 v17, v17, v5, s[60:61]
	v_cndmask_b32_e64 v5, v19, v5, s[60:61]
	v_cmp_neq_f32_e32 vcc, v17, v5
	v_cmp_class_f32_e64 s[0:1], v17, s33
	s_or_b64 s[2:3], vcc, s[0:1]
	s_and_saveexec_b64 s[0:1], s[2:3]
	s_cbranch_execz .LBB529_152
; %bb.151:
	v_sub_f32_e32 v17, v17, v5
	s_mov_b32 s2, 0x3fb8aa3b
	v_mul_f32_e32 v18, 0x3fb8aa3b, v17
	v_fma_f32 v19, v17, s2, -v18
	v_rndne_f32_e32 v20, v18
	v_fmamk_f32 v19, v17, 0x32a5705f, v19
	v_sub_f32_e32 v18, v18, v20
	v_add_f32_e32 v18, v18, v19
	v_exp_f32_e32 v18, v18
	v_cvt_i32_f32_e32 v19, v20
	s_mov_b32 s2, 0xc2ce8ed0
	v_cmp_ngt_f32_e32 vcc, s2, v17
	s_mov_b32 s2, 0x42b17218
	v_ldexp_f32 v18, v18, v19
	v_cndmask_b32_e32 v18, 0, v18, vcc
	v_mov_b32_e32 v19, 0x7f800000
	v_cmp_nlt_f32_e32 vcc, s2, v17
	s_mov_b32 s2, 0x3f2aaaab
	s_mov_b32 s3, 0x7f800000
	v_cndmask_b32_e32 v23, v19, v18, vcc
	v_add_f32_e32 v17, 1.0, v23
	v_add_f32_e32 v18, -1.0, v17
	v_sub_f32_e32 v19, v18, v17
	v_add_f32_e32 v19, 1.0, v19
	v_sub_f32_e32 v18, v23, v18
	v_add_f32_e32 v20, v18, v19
	v_frexp_mant_f32_e32 v21, v17
	v_cvt_f64_f32_e32 v[18:19], v17
	v_frexp_exp_i32_f64_e32 v18, v[18:19]
	v_cmp_gt_f32_e32 vcc, s2, v21
	s_mov_b32 s2, 0x3f317218
	s_nop 0
	v_subbrev_co_u32_e32 v49, vcc, 0, v18, vcc
	v_sub_u32_e32 v18, 0, v49
	v_ldexp_f32 v17, v17, v18
	v_ldexp_f32 v18, v20, v18
	v_add_f32_e32 v20, -1.0, v17
	v_add_f32_e32 v19, 1.0, v20
	v_sub_f32_e32 v19, v17, v19
	v_add_f32_e32 v21, v18, v19
	v_add_f32_e32 v19, 1.0, v17
	v_add_f32_e32 v24, -1.0, v19
	v_sub_f32_e32 v17, v17, v24
	v_add_f32_e32 v17, v18, v17
	v_add_f32_e32 v52, v19, v17
	v_rcp_f32_e32 v54, v52
	v_sub_f32_e32 v18, v19, v52
	v_add_f32_e32 v19, v20, v21
	v_add_f32_e32 v17, v17, v18
	v_mul_f32_e32 v56, v19, v54
	v_sub_f32_e32 v18, v20, v19
	v_mul_f32_e32 v20, v52, v56
	v_fma_f32 v24, v56, v52, -v20
	v_fmac_f32_e32 v24, v56, v17
	s_waitcnt lgkmcnt(0)
	v_add_f32_e32 v55, v21, v18
	v_add_f32_e32 v18, v20, v24
	v_sub_f32_e32 v21, v19, v18
	v_pk_add_f32 v[50:51], v[18:19], v[20:21] neg_lo:[0,1] neg_hi:[0,1]
	v_mov_b32_e32 v25, v18
	v_pk_add_f32 v[18:19], v[50:51], v[24:25] neg_lo:[0,1] neg_hi:[0,1]
	v_cmp_eq_f32_e32 vcc, s3, v23
	v_add_f32_e32 v19, v55, v19
	v_add_f32_e32 v18, v18, v19
	v_add_f32_e32 v19, v21, v18
	v_mul_f32_e32 v55, v54, v19
	v_mul_f32_e32 v20, v52, v55
	v_fma_f32 v24, v55, v52, -v20
	v_fmac_f32_e32 v24, v55, v17
	v_sub_f32_e32 v17, v21, v19
	v_add_f32_e32 v17, v18, v17
	v_add_f32_e32 v18, v20, v24
	v_sub_f32_e32 v21, v19, v18
	v_pk_add_f32 v[50:51], v[18:19], v[20:21] neg_lo:[0,1] neg_hi:[0,1]
	v_mov_b32_e32 v25, v18
	v_pk_add_f32 v[18:19], v[50:51], v[24:25] neg_lo:[0,1] neg_hi:[0,1]
	v_cvt_f32_i32_e32 v20, v49
	v_add_f32_e32 v17, v17, v19
	v_add_f32_e32 v17, v18, v17
	;; [unrolled: 1-line block ×4, first 2 shown]
	v_sub_f32_e32 v19, v18, v56
	v_mul_f32_e32 v17, v54, v17
	v_sub_f32_e32 v19, v55, v19
	v_add_f32_e32 v17, v19, v17
	v_add_f32_e32 v21, v18, v17
	v_mul_f32_e32 v24, v21, v21
	v_mov_b32_e32 v19, 0x3ecc95a3
	v_fmac_f32_e32 v19, 0x3e9b6dac, v24
	v_sub_f32_e32 v18, v21, v18
	v_fmaak_f32 v19, v24, v19, 0x3f2aaada
	v_sub_f32_e32 v17, v17, v18
	v_ldexp_f32 v25, v21, 1
	v_mul_f32_e32 v21, v21, v24
	v_mov_b32_e32 v18, 0x3f317218
	v_pk_mul_f32 v[18:19], v[20:21], v[18:19]
	v_ldexp_f32 v17, v17, 1
	v_fma_f32 v21, v20, s2, -v18
	v_fmamk_f32 v24, v20, 0xb102e308, v21
	v_pk_add_f32 v[20:21], v[18:19], v[24:25]
	v_mov_b32_e32 v50, v18
	v_sub_f32_e32 v25, v21, v25
	v_sub_f32_e32 v25, v19, v25
	v_add_f32_e32 v51, v17, v25
	v_pk_add_f32 v[18:19], v[20:21], v[18:19] neg_lo:[0,1] neg_hi:[0,1]
	v_pk_add_f32 v[54:55], v[20:21], v[50:51]
	v_mov_b32_e32 v25, v20
	v_mov_b32_e32 v19, v55
	v_pk_add_f32 v[56:57], v[24:25], v[18:19] neg_lo:[0,1] neg_hi:[0,1]
	v_pk_add_f32 v[18:19], v[24:25], v[18:19]
	v_mov_b32_e32 v50, v51
	v_mov_b32_e32 v24, v19
	v_pk_add_f32 v[58:59], v[24:25], v[20:21] neg_lo:[0,1] neg_hi:[0,1]
	v_mov_b32_e32 v18, v55
	v_mov_b32_e32 v17, v58
	v_pk_add_f32 v[60:61], v[54:55], v[16:17] neg_lo:[0,1] neg_hi:[0,1]
	v_mov_b32_e32 v54, v21
	v_mov_b32_e32 v55, v58
	;; [unrolled: 1-line block ×3, first 2 shown]
	v_pk_add_f32 v[18:19], v[18:19], v[54:55] neg_lo:[0,1] neg_hi:[0,1]
	v_mov_b32_e32 v51, v20
	v_pk_add_f32 v[18:19], v[50:51], v[18:19] neg_lo:[0,1] neg_hi:[0,1]
	v_mov_b32_e32 v60, v56
	v_pk_add_f32 v[20:21], v[60:61], v[18:19]
	s_mov_b32 s2, 0x33800000
	v_mov_b32_e32 v50, v21
	v_pk_add_f32 v[50:51], v[20:21], v[50:51]
	v_cmp_lt_f32_e64 s[2:3], |v23|, s2
	v_pk_add_f32 v[24:25], v[24:25], v[50:51]
	v_mov_b32_e32 v19, v50
	v_mov_b32_e32 v21, v24
	v_pk_add_f32 v[54:55], v[20:21], v[56:57] neg_lo:[0,1] neg_hi:[0,1]
	s_or_b64 vcc, vcc, s[2:3]
	v_sub_f32_e32 v17, v20, v54
	v_pk_add_f32 v[18:19], v[18:19], v[54:55] neg_lo:[0,1] neg_hi:[0,1]
	v_sub_f32_e32 v17, v56, v17
	v_add_f32_e32 v17, v18, v17
	v_add_f32_e32 v17, v17, v19
	;; [unrolled: 1-line block ×3, first 2 shown]
	v_cndmask_b32_e32 v17, v17, v23, vcc
	v_add_f32_e32 v18, v5, v17
.LBB529_152:
	s_or_b64 exec, exec, s[0:1]
	v_bfe_u32 v5, v18, 16, 1
	v_add3_u32 v5, v18, v5, s48
	v_lshrrev_b32_e32 v5, 16, v5
	v_mov_b32_e32 v17, 0x7fc0
	v_cmp_o_f32_e32 vcc, v18, v18
	s_nop 1
	v_cndmask_b32_e32 v5, v17, v5, vcc
	v_lshlrev_b32_e32 v19, 16, v5
	v_max_f32_e32 v18, v19, v19
	v_min_f32_e32 v20, v18, v27
	v_cmp_u_f32_e32 vcc, v19, v19
	v_max_f32_e32 v18, v18, v27
	s_nop 0
	v_cndmask_b32_e32 v20, v20, v19, vcc
	v_cndmask_b32_e32 v18, v18, v19, vcc
	v_cndmask_b32_e64 v20, v20, v22, s[62:63]
	v_cndmask_b32_e64 v18, v18, v22, s[62:63]
	v_cmp_neq_f32_e32 vcc, v20, v18
	v_cmp_class_f32_e64 s[0:1], v20, s33
	s_or_b64 s[2:3], vcc, s[0:1]
	s_and_saveexec_b64 s[0:1], s[2:3]
	s_cbranch_execz .LBB529_154
; %bb.153:
	v_sub_f32_e32 v19, v20, v18
	s_mov_b32 s2, 0x3fb8aa3b
	v_mul_f32_e32 v20, 0x3fb8aa3b, v19
	v_fma_f32 v21, v19, s2, -v20
	v_rndne_f32_e32 v22, v20
	v_fmamk_f32 v21, v19, 0x32a5705f, v21
	v_sub_f32_e32 v20, v20, v22
	v_add_f32_e32 v20, v20, v21
	v_exp_f32_e32 v20, v20
	v_cvt_i32_f32_e32 v21, v22
	s_mov_b32 s2, 0xc2ce8ed0
	v_cmp_ngt_f32_e32 vcc, s2, v19
	s_mov_b32 s2, 0x42b17218
	v_ldexp_f32 v20, v20, v21
	v_cndmask_b32_e32 v20, 0, v20, vcc
	v_mov_b32_e32 v21, 0x7f800000
	v_cmp_nlt_f32_e32 vcc, s2, v19
	s_mov_b32 s2, 0x3f2aaaab
	s_mov_b32 s3, 0x7f800000
	v_cndmask_b32_e32 v27, v21, v20, vcc
	v_add_f32_e32 v19, 1.0, v27
	v_add_f32_e32 v20, -1.0, v19
	v_sub_f32_e32 v21, v20, v19
	v_add_f32_e32 v21, 1.0, v21
	v_sub_f32_e32 v20, v27, v20
	v_add_f32_e32 v22, v20, v21
	v_frexp_mant_f32_e32 v23, v19
	v_cvt_f64_f32_e32 v[20:21], v19
	v_frexp_exp_i32_f64_e32 v20, v[20:21]
	v_cmp_gt_f32_e32 vcc, s2, v23
	s_mov_b32 s2, 0x3f317218
	s_nop 0
	v_subbrev_co_u32_e32 v49, vcc, 0, v20, vcc
	v_sub_u32_e32 v20, 0, v49
	v_ldexp_f32 v19, v19, v20
	v_ldexp_f32 v20, v22, v20
	v_add_f32_e32 v22, -1.0, v19
	v_add_f32_e32 v21, 1.0, v22
	v_sub_f32_e32 v21, v19, v21
	v_add_f32_e32 v23, v20, v21
	v_add_f32_e32 v21, 1.0, v19
	v_add_f32_e32 v24, -1.0, v21
	v_sub_f32_e32 v19, v19, v24
	v_add_f32_e32 v19, v20, v19
	v_add_f32_e32 v52, v21, v19
	v_rcp_f32_e32 v54, v52
	v_sub_f32_e32 v20, v21, v52
	v_add_f32_e32 v21, v22, v23
	v_add_f32_e32 v19, v19, v20
	v_mul_f32_e32 v56, v21, v54
	v_sub_f32_e32 v20, v22, v21
	v_mul_f32_e32 v22, v52, v56
	v_fma_f32 v24, v56, v52, -v22
	v_fmac_f32_e32 v24, v56, v19
	s_waitcnt lgkmcnt(0)
	v_add_f32_e32 v55, v23, v20
	v_add_f32_e32 v20, v22, v24
	v_sub_f32_e32 v23, v21, v20
	v_pk_add_f32 v[50:51], v[20:21], v[22:23] neg_lo:[0,1] neg_hi:[0,1]
	v_mov_b32_e32 v25, v20
	v_pk_add_f32 v[20:21], v[50:51], v[24:25] neg_lo:[0,1] neg_hi:[0,1]
	v_cmp_eq_f32_e32 vcc, s3, v27
	v_add_f32_e32 v21, v55, v21
	v_add_f32_e32 v20, v20, v21
	;; [unrolled: 1-line block ×3, first 2 shown]
	v_mul_f32_e32 v55, v54, v21
	v_mul_f32_e32 v22, v52, v55
	v_fma_f32 v24, v55, v52, -v22
	v_fmac_f32_e32 v24, v55, v19
	v_sub_f32_e32 v19, v23, v21
	v_add_f32_e32 v19, v20, v19
	v_add_f32_e32 v20, v22, v24
	v_sub_f32_e32 v23, v21, v20
	v_pk_add_f32 v[50:51], v[20:21], v[22:23] neg_lo:[0,1] neg_hi:[0,1]
	v_mov_b32_e32 v25, v20
	v_pk_add_f32 v[20:21], v[50:51], v[24:25] neg_lo:[0,1] neg_hi:[0,1]
	v_cvt_f32_i32_e32 v22, v49
	v_add_f32_e32 v19, v19, v21
	v_add_f32_e32 v19, v20, v19
	;; [unrolled: 1-line block ×4, first 2 shown]
	v_sub_f32_e32 v21, v20, v56
	v_mul_f32_e32 v19, v54, v19
	v_sub_f32_e32 v21, v55, v21
	v_add_f32_e32 v19, v21, v19
	v_add_f32_e32 v23, v20, v19
	v_mul_f32_e32 v24, v23, v23
	v_mov_b32_e32 v21, 0x3ecc95a3
	v_fmac_f32_e32 v21, 0x3e9b6dac, v24
	v_sub_f32_e32 v20, v23, v20
	v_fmaak_f32 v21, v24, v21, 0x3f2aaada
	v_sub_f32_e32 v19, v19, v20
	v_ldexp_f32 v25, v23, 1
	v_mul_f32_e32 v23, v23, v24
	v_mov_b32_e32 v20, 0x3f317218
	v_pk_mul_f32 v[20:21], v[22:23], v[20:21]
	v_ldexp_f32 v19, v19, 1
	v_fma_f32 v23, v22, s2, -v20
	v_fmamk_f32 v24, v22, 0xb102e308, v23
	v_pk_add_f32 v[22:23], v[20:21], v[24:25]
	v_mov_b32_e32 v50, v20
	v_sub_f32_e32 v25, v23, v25
	v_sub_f32_e32 v25, v21, v25
	v_add_f32_e32 v51, v19, v25
	v_pk_add_f32 v[20:21], v[22:23], v[20:21] neg_lo:[0,1] neg_hi:[0,1]
	v_pk_add_f32 v[54:55], v[22:23], v[50:51]
	v_mov_b32_e32 v25, v22
	v_mov_b32_e32 v21, v55
	v_pk_add_f32 v[56:57], v[24:25], v[20:21] neg_lo:[0,1] neg_hi:[0,1]
	v_pk_add_f32 v[20:21], v[24:25], v[20:21]
	v_mov_b32_e32 v50, v51
	v_mov_b32_e32 v24, v21
	v_pk_add_f32 v[58:59], v[24:25], v[22:23] neg_lo:[0,1] neg_hi:[0,1]
	v_mov_b32_e32 v20, v55
	v_mov_b32_e32 v19, v58
	v_pk_add_f32 v[60:61], v[54:55], v[18:19] neg_lo:[0,1] neg_hi:[0,1]
	v_mov_b32_e32 v54, v23
	v_mov_b32_e32 v55, v58
	;; [unrolled: 1-line block ×3, first 2 shown]
	v_pk_add_f32 v[20:21], v[20:21], v[54:55] neg_lo:[0,1] neg_hi:[0,1]
	v_mov_b32_e32 v51, v22
	v_pk_add_f32 v[20:21], v[50:51], v[20:21] neg_lo:[0,1] neg_hi:[0,1]
	v_mov_b32_e32 v60, v56
	v_pk_add_f32 v[22:23], v[60:61], v[20:21]
	s_mov_b32 s2, 0x33800000
	v_mov_b32_e32 v50, v23
	v_pk_add_f32 v[50:51], v[22:23], v[50:51]
	v_cmp_lt_f32_e64 s[2:3], |v27|, s2
	v_pk_add_f32 v[24:25], v[24:25], v[50:51]
	v_mov_b32_e32 v21, v50
	v_mov_b32_e32 v23, v24
	v_pk_add_f32 v[54:55], v[22:23], v[56:57] neg_lo:[0,1] neg_hi:[0,1]
	s_or_b64 vcc, vcc, s[2:3]
	v_sub_f32_e32 v19, v22, v54
	v_pk_add_f32 v[20:21], v[20:21], v[54:55] neg_lo:[0,1] neg_hi:[0,1]
	v_sub_f32_e32 v19, v56, v19
	v_add_f32_e32 v19, v20, v19
	v_add_f32_e32 v19, v19, v21
	;; [unrolled: 1-line block ×3, first 2 shown]
	v_cndmask_b32_e32 v19, v19, v27, vcc
	v_add_f32_e32 v19, v18, v19
.LBB529_154:
	s_or_b64 exec, exec, s[0:1]
	v_bfe_u32 v18, v19, 16, 1
	v_add3_u32 v18, v19, v18, s48
	v_lshrrev_b32_e32 v18, 16, v18
	v_cmp_o_f32_e32 vcc, v19, v19
	s_nop 1
	v_cndmask_b32_e32 v17, v17, v18, vcc
	v_lshlrev_b32_e32 v19, 16, v17
	v_max_f32_e32 v20, v19, v19
	v_min_f32_e32 v18, v20, v28
	v_cmp_u_f32_e32 vcc, v19, v19
	v_max_f32_e32 v20, v20, v28
	s_nop 0
	v_cndmask_b32_e32 v18, v18, v19, vcc
	v_cndmask_b32_e32 v20, v20, v19, vcc
	v_cndmask_b32_e64 v18, v18, v10, s[64:65]
	v_cndmask_b32_e64 v10, v20, v10, s[64:65]
	v_cmp_neq_f32_e32 vcc, v18, v10
	v_cmp_class_f32_e64 s[0:1], v18, s33
	s_or_b64 s[2:3], vcc, s[0:1]
	s_and_saveexec_b64 s[0:1], s[2:3]
	s_cbranch_execz .LBB529_156
; %bb.155:
	v_sub_f32_e32 v18, v18, v10
	s_mov_b32 s2, 0x3fb8aa3b
	v_mul_f32_e32 v19, 0x3fb8aa3b, v18
	v_fma_f32 v20, v18, s2, -v19
	v_rndne_f32_e32 v21, v19
	v_fmamk_f32 v20, v18, 0x32a5705f, v20
	v_sub_f32_e32 v19, v19, v21
	v_add_f32_e32 v19, v19, v20
	v_exp_f32_e32 v19, v19
	v_cvt_i32_f32_e32 v20, v21
	s_mov_b32 s2, 0xc2ce8ed0
	v_cmp_ngt_f32_e32 vcc, s2, v18
	s_mov_b32 s2, 0x42b17218
	v_ldexp_f32 v19, v19, v20
	v_cndmask_b32_e32 v19, 0, v19, vcc
	v_mov_b32_e32 v20, 0x7f800000
	v_cmp_nlt_f32_e32 vcc, s2, v18
	s_mov_b32 s2, 0x3f2aaaab
	s_mov_b32 s3, 0x7f800000
	v_cndmask_b32_e32 v27, v20, v19, vcc
	v_add_f32_e32 v20, 1.0, v27
	v_add_f32_e32 v18, -1.0, v20
	v_sub_f32_e32 v19, v18, v20
	v_add_f32_e32 v19, 1.0, v19
	v_sub_f32_e32 v18, v27, v18
	v_add_f32_e32 v21, v18, v19
	v_frexp_mant_f32_e32 v22, v20
	v_cvt_f64_f32_e32 v[18:19], v20
	v_frexp_exp_i32_f64_e32 v18, v[18:19]
	v_cmp_gt_f32_e32 vcc, s2, v22
	s_mov_b32 s2, 0x3f317218
	s_nop 0
	v_subbrev_co_u32_e32 v28, vcc, 0, v18, vcc
	v_sub_u32_e32 v18, 0, v28
	v_ldexp_f32 v19, v20, v18
	v_add_f32_e32 v20, -1.0, v19
	v_add_f32_e32 v22, 1.0, v19
	v_ldexp_f32 v18, v21, v18
	v_add_f32_e32 v21, 1.0, v20
	v_add_f32_e32 v23, -1.0, v22
	v_sub_f32_e32 v21, v19, v21
	v_sub_f32_e32 v19, v19, v23
	v_add_f32_e32 v21, v18, v21
	v_add_f32_e32 v18, v18, v19
	;; [unrolled: 1-line block ×3, first 2 shown]
	v_rcp_f32_e32 v51, v49
	v_sub_f32_e32 v19, v22, v49
	v_add_f32_e32 v50, v18, v19
	v_add_f32_e32 v19, v20, v21
	v_mul_f32_e32 v54, v19, v51
	v_sub_f32_e32 v18, v20, v19
	v_mul_f32_e32 v20, v49, v54
	v_fma_f32 v22, v54, v49, -v20
	v_fmac_f32_e32 v22, v54, v50
	v_add_f32_e32 v52, v21, v18
	v_add_f32_e32 v18, v20, v22
	v_sub_f32_e32 v21, v19, v18
	v_pk_add_f32 v[24:25], v[18:19], v[20:21] neg_lo:[0,1] neg_hi:[0,1]
	v_mov_b32_e32 v23, v18
	v_pk_add_f32 v[18:19], v[24:25], v[22:23] neg_lo:[0,1] neg_hi:[0,1]
	v_cmp_eq_f32_e32 vcc, s3, v27
	v_add_f32_e32 v19, v52, v19
	v_add_f32_e32 v18, v18, v19
	;; [unrolled: 1-line block ×3, first 2 shown]
	v_mul_f32_e32 v52, v51, v19
	v_mul_f32_e32 v20, v49, v52
	v_fma_f32 v22, v52, v49, -v20
	v_fmac_f32_e32 v22, v52, v50
	v_sub_f32_e32 v21, v21, v19
	v_add_f32_e32 v49, v18, v21
	v_add_f32_e32 v18, v20, v22
	v_sub_f32_e32 v21, v19, v18
	v_pk_add_f32 v[24:25], v[18:19], v[20:21] neg_lo:[0,1] neg_hi:[0,1]
	v_mov_b32_e32 v23, v18
	v_pk_add_f32 v[18:19], v[24:25], v[22:23] neg_lo:[0,1] neg_hi:[0,1]
	v_cvt_f32_i32_e32 v20, v28
	v_add_f32_e32 v19, v49, v19
	v_add_f32_e32 v18, v18, v19
	;; [unrolled: 1-line block ×4, first 2 shown]
	v_sub_f32_e32 v19, v21, v54
	v_mul_f32_e32 v18, v51, v18
	v_sub_f32_e32 v19, v52, v19
	v_add_f32_e32 v18, v19, v18
	v_add_f32_e32 v22, v21, v18
	v_mul_f32_e32 v24, v22, v22
	v_mov_b32_e32 v19, 0x3ecc95a3
	v_sub_f32_e32 v21, v22, v21
	v_fmac_f32_e32 v19, 0x3e9b6dac, v24
	v_sub_f32_e32 v18, v18, v21
	v_fmaak_f32 v19, v24, v19, 0x3f2aaada
	v_ldexp_f32 v25, v18, 1
	v_mul_f32_e32 v21, v22, v24
	v_mov_b32_e32 v18, 0x3f317218
	v_pk_mul_f32 v[18:19], v[20:21], v[18:19]
	v_ldexp_f32 v23, v22, 1
	v_fma_f32 v21, v20, s2, -v18
	v_fmamk_f32 v22, v20, 0xb102e308, v21
	v_pk_add_f32 v[20:21], v[18:19], v[22:23]
	v_mov_b32_e32 v24, v18
	v_sub_f32_e32 v23, v21, v23
	v_sub_f32_e32 v23, v19, v23
	v_add_f32_e32 v25, v25, v23
	v_pk_add_f32 v[18:19], v[20:21], v[18:19] neg_lo:[0,1] neg_hi:[0,1]
	v_pk_add_f32 v[50:51], v[20:21], v[24:25]
	v_mov_b32_e32 v23, v20
	v_mov_b32_e32 v19, v51
	s_waitcnt lgkmcnt(0)
	v_pk_add_f32 v[54:55], v[22:23], v[18:19] neg_lo:[0,1] neg_hi:[0,1]
	v_pk_add_f32 v[18:19], v[22:23], v[18:19]
	v_mov_b32_e32 v24, v25
	v_mov_b32_e32 v22, v19
	v_pk_add_f32 v[56:57], v[22:23], v[20:21] neg_lo:[0,1] neg_hi:[0,1]
	v_mov_b32_e32 v18, v51
	v_mov_b32_e32 v23, v56
	v_pk_add_f32 v[58:59], v[50:51], v[22:23] neg_lo:[0,1] neg_hi:[0,1]
	v_mov_b32_e32 v50, v21
	v_mov_b32_e32 v51, v56
	;; [unrolled: 1-line block ×3, first 2 shown]
	v_pk_add_f32 v[18:19], v[18:19], v[50:51] neg_lo:[0,1] neg_hi:[0,1]
	v_mov_b32_e32 v25, v20
	v_pk_add_f32 v[18:19], v[24:25], v[18:19] neg_lo:[0,1] neg_hi:[0,1]
	v_mov_b32_e32 v58, v54
	v_pk_add_f32 v[20:21], v[58:59], v[18:19]
	s_mov_b32 s2, 0x33800000
	v_mov_b32_e32 v24, v21
	v_pk_add_f32 v[24:25], v[20:21], v[24:25]
	v_cmp_lt_f32_e64 s[2:3], |v27|, s2
	v_pk_add_f32 v[22:23], v[22:23], v[24:25]
	v_mov_b32_e32 v19, v24
	v_mov_b32_e32 v21, v22
	v_pk_add_f32 v[50:51], v[20:21], v[54:55] neg_lo:[0,1] neg_hi:[0,1]
	s_or_b64 vcc, vcc, s[2:3]
	v_sub_f32_e32 v20, v20, v50
	v_pk_add_f32 v[18:19], v[18:19], v[50:51] neg_lo:[0,1] neg_hi:[0,1]
	v_sub_f32_e32 v20, v54, v20
	v_add_f32_e32 v18, v18, v20
	v_add_f32_e32 v18, v18, v19
	;; [unrolled: 1-line block ×3, first 2 shown]
	v_cndmask_b32_e32 v18, v18, v27, vcc
	v_add_f32_e32 v19, v10, v18
.LBB529_156:
	s_or_b64 exec, exec, s[0:1]
	v_bfe_u32 v10, v19, 16, 1
	v_add3_u32 v10, v19, v10, s48
	v_lshrrev_b32_e32 v10, 16, v10
	v_mov_b32_e32 v18, 0x7fc0
	v_cmp_o_f32_e32 vcc, v19, v19
	s_nop 1
	v_cndmask_b32_e32 v10, v18, v10, vcc
	v_lshlrev_b32_e32 v20, 16, v10
	v_max_f32_e32 v19, v20, v20
	v_min_f32_e32 v21, v19, v30
	v_cmp_u_f32_e32 vcc, v20, v20
	v_max_f32_e32 v19, v19, v30
	s_nop 0
	v_cndmask_b32_e32 v21, v21, v20, vcc
	v_cndmask_b32_e32 v19, v19, v20, vcc
	v_cndmask_b32_e64 v21, v21, v26, s[66:67]
	v_cndmask_b32_e64 v19, v19, v26, s[66:67]
	v_cmp_neq_f32_e32 vcc, v21, v19
	v_cmp_class_f32_e64 s[0:1], v21, s33
	s_or_b64 s[2:3], vcc, s[0:1]
	s_and_saveexec_b64 s[0:1], s[2:3]
	s_cbranch_execz .LBB529_158
; %bb.157:
	v_sub_f32_e32 v20, v21, v19
	s_mov_b32 s2, 0x3fb8aa3b
	v_mul_f32_e32 v21, 0x3fb8aa3b, v20
	v_fma_f32 v22, v20, s2, -v21
	v_rndne_f32_e32 v23, v21
	v_fmamk_f32 v22, v20, 0x32a5705f, v22
	v_sub_f32_e32 v21, v21, v23
	v_add_f32_e32 v21, v21, v22
	v_exp_f32_e32 v21, v21
	v_cvt_i32_f32_e32 v22, v23
	s_mov_b32 s2, 0xc2ce8ed0
	v_cmp_ngt_f32_e32 vcc, s2, v20
	s_mov_b32 s2, 0x42b17218
	v_ldexp_f32 v21, v21, v22
	v_cndmask_b32_e32 v21, 0, v21, vcc
	v_mov_b32_e32 v22, 0x7f800000
	v_cmp_nlt_f32_e32 vcc, s2, v20
	s_mov_b32 s2, 0x3f2aaaab
	s_mov_b32 s3, 0x7f800000
	v_cndmask_b32_e32 v28, v22, v21, vcc
	v_add_f32_e32 v22, 1.0, v28
	v_add_f32_e32 v20, -1.0, v22
	v_sub_f32_e32 v21, v20, v22
	v_add_f32_e32 v21, 1.0, v21
	v_sub_f32_e32 v20, v28, v20
	v_add_f32_e32 v23, v20, v21
	v_frexp_mant_f32_e32 v24, v22
	v_cvt_f64_f32_e32 v[20:21], v22
	v_frexp_exp_i32_f64_e32 v20, v[20:21]
	v_cmp_gt_f32_e32 vcc, s2, v24
	s_mov_b32 s2, 0x3f317218
	s_nop 0
	v_subbrev_co_u32_e32 v30, vcc, 0, v20, vcc
	v_sub_u32_e32 v20, 0, v30
	v_ldexp_f32 v21, v22, v20
	v_add_f32_e32 v22, -1.0, v21
	v_add_f32_e32 v24, 1.0, v21
	v_ldexp_f32 v20, v23, v20
	v_add_f32_e32 v23, 1.0, v22
	v_add_f32_e32 v25, -1.0, v24
	v_sub_f32_e32 v23, v21, v23
	v_sub_f32_e32 v21, v21, v25
	v_add_f32_e32 v23, v20, v23
	v_add_f32_e32 v20, v20, v21
	;; [unrolled: 1-line block ×3, first 2 shown]
	v_rcp_f32_e32 v51, v49
	v_sub_f32_e32 v21, v24, v49
	v_add_f32_e32 v50, v20, v21
	v_add_f32_e32 v21, v22, v23
	v_mul_f32_e32 v54, v21, v51
	v_sub_f32_e32 v20, v22, v21
	v_mul_f32_e32 v22, v49, v54
	v_fma_f32 v24, v54, v49, -v22
	v_fmac_f32_e32 v24, v54, v50
	v_add_f32_e32 v52, v23, v20
	v_add_f32_e32 v20, v22, v24
	v_sub_f32_e32 v23, v21, v20
	v_pk_add_f32 v[26:27], v[20:21], v[22:23] neg_lo:[0,1] neg_hi:[0,1]
	v_mov_b32_e32 v25, v20
	v_pk_add_f32 v[20:21], v[26:27], v[24:25] neg_lo:[0,1] neg_hi:[0,1]
	v_cmp_eq_f32_e32 vcc, s3, v28
	v_add_f32_e32 v21, v52, v21
	v_add_f32_e32 v20, v20, v21
	;; [unrolled: 1-line block ×3, first 2 shown]
	v_mul_f32_e32 v52, v51, v21
	v_mul_f32_e32 v22, v49, v52
	v_fma_f32 v24, v52, v49, -v22
	v_fmac_f32_e32 v24, v52, v50
	v_sub_f32_e32 v23, v23, v21
	v_add_f32_e32 v49, v20, v23
	v_add_f32_e32 v20, v22, v24
	v_sub_f32_e32 v23, v21, v20
	v_pk_add_f32 v[26:27], v[20:21], v[22:23] neg_lo:[0,1] neg_hi:[0,1]
	v_mov_b32_e32 v25, v20
	v_pk_add_f32 v[20:21], v[26:27], v[24:25] neg_lo:[0,1] neg_hi:[0,1]
	v_cvt_f32_i32_e32 v22, v30
	v_add_f32_e32 v21, v49, v21
	v_add_f32_e32 v20, v20, v21
	;; [unrolled: 1-line block ×4, first 2 shown]
	v_sub_f32_e32 v21, v23, v54
	v_mul_f32_e32 v20, v51, v20
	v_sub_f32_e32 v21, v52, v21
	v_add_f32_e32 v20, v21, v20
	v_add_f32_e32 v24, v23, v20
	v_mul_f32_e32 v26, v24, v24
	v_mov_b32_e32 v21, 0x3ecc95a3
	v_sub_f32_e32 v23, v24, v23
	v_fmac_f32_e32 v21, 0x3e9b6dac, v26
	v_sub_f32_e32 v20, v20, v23
	v_fmaak_f32 v21, v26, v21, 0x3f2aaada
	v_ldexp_f32 v27, v20, 1
	v_mul_f32_e32 v23, v24, v26
	v_mov_b32_e32 v20, 0x3f317218
	v_pk_mul_f32 v[20:21], v[22:23], v[20:21]
	v_ldexp_f32 v25, v24, 1
	v_fma_f32 v23, v22, s2, -v20
	v_fmamk_f32 v24, v22, 0xb102e308, v23
	v_pk_add_f32 v[22:23], v[20:21], v[24:25]
	v_mov_b32_e32 v26, v20
	v_sub_f32_e32 v25, v23, v25
	v_sub_f32_e32 v25, v21, v25
	v_add_f32_e32 v27, v27, v25
	v_pk_add_f32 v[20:21], v[22:23], v[20:21] neg_lo:[0,1] neg_hi:[0,1]
	v_pk_add_f32 v[50:51], v[22:23], v[26:27]
	v_mov_b32_e32 v25, v22
	v_mov_b32_e32 v21, v51
	s_waitcnt lgkmcnt(0)
	v_pk_add_f32 v[54:55], v[24:25], v[20:21] neg_lo:[0,1] neg_hi:[0,1]
	v_pk_add_f32 v[20:21], v[24:25], v[20:21]
	v_mov_b32_e32 v26, v27
	v_mov_b32_e32 v24, v21
	v_pk_add_f32 v[56:57], v[24:25], v[22:23] neg_lo:[0,1] neg_hi:[0,1]
	v_mov_b32_e32 v20, v51
	v_mov_b32_e32 v25, v56
	v_pk_add_f32 v[58:59], v[50:51], v[24:25] neg_lo:[0,1] neg_hi:[0,1]
	v_mov_b32_e32 v50, v23
	v_mov_b32_e32 v51, v56
	;; [unrolled: 1-line block ×3, first 2 shown]
	v_pk_add_f32 v[20:21], v[20:21], v[50:51] neg_lo:[0,1] neg_hi:[0,1]
	v_mov_b32_e32 v27, v22
	v_pk_add_f32 v[20:21], v[26:27], v[20:21] neg_lo:[0,1] neg_hi:[0,1]
	v_mov_b32_e32 v58, v54
	v_pk_add_f32 v[22:23], v[58:59], v[20:21]
	s_mov_b32 s2, 0x33800000
	v_mov_b32_e32 v26, v23
	v_pk_add_f32 v[26:27], v[22:23], v[26:27]
	v_cmp_lt_f32_e64 s[2:3], |v28|, s2
	v_pk_add_f32 v[24:25], v[24:25], v[26:27]
	v_mov_b32_e32 v21, v26
	v_mov_b32_e32 v23, v24
	v_pk_add_f32 v[50:51], v[22:23], v[54:55] neg_lo:[0,1] neg_hi:[0,1]
	s_or_b64 vcc, vcc, s[2:3]
	v_sub_f32_e32 v22, v22, v50
	v_pk_add_f32 v[20:21], v[20:21], v[50:51] neg_lo:[0,1] neg_hi:[0,1]
	v_sub_f32_e32 v22, v54, v22
	v_add_f32_e32 v20, v20, v22
	v_add_f32_e32 v20, v20, v21
	;; [unrolled: 1-line block ×3, first 2 shown]
	v_cndmask_b32_e32 v20, v20, v28, vcc
	v_add_f32_e32 v20, v19, v20
.LBB529_158:
	s_or_b64 exec, exec, s[0:1]
	v_bfe_u32 v19, v20, 16, 1
	v_add3_u32 v19, v20, v19, s48
	v_lshrrev_b32_e32 v19, 16, v19
	v_cmp_o_f32_e32 vcc, v20, v20
	s_nop 1
	v_cndmask_b32_e32 v18, v18, v19, vcc
	v_lshlrev_b32_e32 v20, 16, v18
	v_max_f32_e32 v21, v20, v20
	v_min_f32_e32 v19, v21, v31
	v_cmp_u_f32_e32 vcc, v20, v20
	v_max_f32_e32 v21, v21, v31
	s_nop 0
	v_cndmask_b32_e32 v19, v19, v20, vcc
	v_cndmask_b32_e32 v21, v21, v20, vcc
	v_cndmask_b32_e64 v19, v19, v11, s[68:69]
	v_cndmask_b32_e64 v11, v21, v11, s[68:69]
	v_cmp_neq_f32_e32 vcc, v19, v11
	v_cmp_class_f32_e64 s[0:1], v19, s33
	s_or_b64 s[2:3], vcc, s[0:1]
	s_and_saveexec_b64 s[0:1], s[2:3]
	s_cbranch_execz .LBB529_160
; %bb.159:
	v_sub_f32_e32 v19, v19, v11
	s_mov_b32 s2, 0x3fb8aa3b
	v_mul_f32_e32 v20, 0x3fb8aa3b, v19
	v_fma_f32 v21, v19, s2, -v20
	v_rndne_f32_e32 v22, v20
	v_fmamk_f32 v21, v19, 0x32a5705f, v21
	v_sub_f32_e32 v20, v20, v22
	v_add_f32_e32 v20, v20, v21
	v_exp_f32_e32 v20, v20
	v_cvt_i32_f32_e32 v21, v22
	s_mov_b32 s2, 0xc2ce8ed0
	v_cmp_ngt_f32_e32 vcc, s2, v19
	s_mov_b32 s2, 0x42b17218
	v_ldexp_f32 v20, v20, v21
	v_cndmask_b32_e32 v20, 0, v20, vcc
	v_mov_b32_e32 v21, 0x7f800000
	v_cmp_nlt_f32_e32 vcc, s2, v19
	s_mov_b32 s2, 0x3f2aaaab
	s_mov_b32 s3, 0x7f800000
	v_cndmask_b32_e32 v28, v21, v20, vcc
	v_add_f32_e32 v19, 1.0, v28
	v_add_f32_e32 v20, -1.0, v19
	v_sub_f32_e32 v21, v20, v19
	v_add_f32_e32 v21, 1.0, v21
	v_sub_f32_e32 v20, v28, v20
	v_add_f32_e32 v22, v20, v21
	v_frexp_mant_f32_e32 v23, v19
	v_cvt_f64_f32_e32 v[20:21], v19
	v_frexp_exp_i32_f64_e32 v20, v[20:21]
	v_cmp_gt_f32_e32 vcc, s2, v23
	s_mov_b32 s2, 0x3f317218
	s_nop 0
	v_subbrev_co_u32_e32 v30, vcc, 0, v20, vcc
	v_sub_u32_e32 v20, 0, v30
	v_ldexp_f32 v19, v19, v20
	v_ldexp_f32 v20, v22, v20
	v_add_f32_e32 v22, -1.0, v19
	v_add_f32_e32 v21, 1.0, v22
	v_sub_f32_e32 v21, v19, v21
	v_add_f32_e32 v23, v20, v21
	v_add_f32_e32 v21, 1.0, v19
	v_add_f32_e32 v24, -1.0, v21
	v_sub_f32_e32 v19, v19, v24
	v_add_f32_e32 v19, v20, v19
	v_add_f32_e32 v31, v21, v19
	v_rcp_f32_e32 v49, v31
	v_sub_f32_e32 v20, v21, v31
	v_add_f32_e32 v21, v22, v23
	v_add_f32_e32 v19, v19, v20
	v_mul_f32_e32 v51, v21, v49
	v_sub_f32_e32 v20, v22, v21
	v_mul_f32_e32 v22, v31, v51
	v_fma_f32 v24, v51, v31, -v22
	v_fmac_f32_e32 v24, v51, v19
	v_add_f32_e32 v50, v23, v20
	v_add_f32_e32 v20, v22, v24
	v_sub_f32_e32 v23, v21, v20
	v_pk_add_f32 v[26:27], v[20:21], v[22:23] neg_lo:[0,1] neg_hi:[0,1]
	v_mov_b32_e32 v25, v20
	v_pk_add_f32 v[20:21], v[26:27], v[24:25] neg_lo:[0,1] neg_hi:[0,1]
	v_cmp_eq_f32_e32 vcc, s3, v28
	v_add_f32_e32 v21, v50, v21
	v_add_f32_e32 v20, v20, v21
	;; [unrolled: 1-line block ×3, first 2 shown]
	v_mul_f32_e32 v50, v49, v21
	v_mul_f32_e32 v22, v31, v50
	v_fma_f32 v24, v50, v31, -v22
	v_fmac_f32_e32 v24, v50, v19
	v_sub_f32_e32 v19, v23, v21
	v_add_f32_e32 v19, v20, v19
	v_add_f32_e32 v20, v22, v24
	v_sub_f32_e32 v23, v21, v20
	v_pk_add_f32 v[26:27], v[20:21], v[22:23] neg_lo:[0,1] neg_hi:[0,1]
	v_mov_b32_e32 v25, v20
	v_pk_add_f32 v[20:21], v[26:27], v[24:25] neg_lo:[0,1] neg_hi:[0,1]
	v_cvt_f32_i32_e32 v22, v30
	v_add_f32_e32 v19, v19, v21
	v_add_f32_e32 v19, v20, v19
	;; [unrolled: 1-line block ×4, first 2 shown]
	v_sub_f32_e32 v21, v20, v51
	v_mul_f32_e32 v19, v49, v19
	v_sub_f32_e32 v21, v50, v21
	v_add_f32_e32 v19, v21, v19
	v_add_f32_e32 v23, v20, v19
	v_mul_f32_e32 v24, v23, v23
	v_mov_b32_e32 v21, 0x3ecc95a3
	v_fmac_f32_e32 v21, 0x3e9b6dac, v24
	v_sub_f32_e32 v20, v23, v20
	v_fmaak_f32 v21, v24, v21, 0x3f2aaada
	v_sub_f32_e32 v19, v19, v20
	v_ldexp_f32 v25, v23, 1
	v_mul_f32_e32 v23, v23, v24
	v_mov_b32_e32 v20, 0x3f317218
	v_pk_mul_f32 v[20:21], v[22:23], v[20:21]
	v_ldexp_f32 v19, v19, 1
	v_fma_f32 v23, v22, s2, -v20
	v_fmamk_f32 v24, v22, 0xb102e308, v23
	v_pk_add_f32 v[22:23], v[20:21], v[24:25]
	v_mov_b32_e32 v26, v20
	v_sub_f32_e32 v25, v23, v25
	v_sub_f32_e32 v25, v21, v25
	v_add_f32_e32 v27, v19, v25
	v_pk_add_f32 v[20:21], v[22:23], v[20:21] neg_lo:[0,1] neg_hi:[0,1]
	v_pk_add_f32 v[30:31], v[22:23], v[26:27]
	v_mov_b32_e32 v25, v22
	v_mov_b32_e32 v21, v31
	v_pk_add_f32 v[50:51], v[24:25], v[20:21] neg_lo:[0,1] neg_hi:[0,1]
	v_pk_add_f32 v[20:21], v[24:25], v[20:21]
	v_mov_b32_e32 v26, v27
	v_mov_b32_e32 v24, v21
	s_waitcnt lgkmcnt(0)
	v_pk_add_f32 v[54:55], v[24:25], v[22:23] neg_lo:[0,1] neg_hi:[0,1]
	v_mov_b32_e32 v20, v31
	v_mov_b32_e32 v19, v54
	v_pk_add_f32 v[56:57], v[30:31], v[18:19] neg_lo:[0,1] neg_hi:[0,1]
	v_mov_b32_e32 v30, v23
	v_mov_b32_e32 v31, v54
	;; [unrolled: 1-line block ×3, first 2 shown]
	v_pk_add_f32 v[20:21], v[20:21], v[30:31] neg_lo:[0,1] neg_hi:[0,1]
	v_mov_b32_e32 v27, v22
	v_pk_add_f32 v[20:21], v[26:27], v[20:21] neg_lo:[0,1] neg_hi:[0,1]
	v_mov_b32_e32 v56, v50
	v_pk_add_f32 v[22:23], v[56:57], v[20:21]
	s_mov_b32 s2, 0x33800000
	v_mov_b32_e32 v26, v23
	v_pk_add_f32 v[26:27], v[22:23], v[26:27]
	v_cmp_lt_f32_e64 s[2:3], |v28|, s2
	v_pk_add_f32 v[24:25], v[24:25], v[26:27]
	v_mov_b32_e32 v21, v26
	v_mov_b32_e32 v23, v24
	v_pk_add_f32 v[30:31], v[22:23], v[50:51] neg_lo:[0,1] neg_hi:[0,1]
	s_or_b64 vcc, vcc, s[2:3]
	v_sub_f32_e32 v19, v22, v30
	v_pk_add_f32 v[20:21], v[20:21], v[30:31] neg_lo:[0,1] neg_hi:[0,1]
	v_sub_f32_e32 v19, v50, v19
	v_add_f32_e32 v19, v20, v19
	v_add_f32_e32 v19, v19, v21
	;; [unrolled: 1-line block ×3, first 2 shown]
	v_cndmask_b32_e32 v19, v19, v28, vcc
	v_add_f32_e32 v20, v11, v19
.LBB529_160:
	s_or_b64 exec, exec, s[0:1]
	v_bfe_u32 v11, v20, 16, 1
	v_add3_u32 v11, v20, v11, s48
	v_lshrrev_b32_e32 v11, 16, v11
	v_mov_b32_e32 v19, 0x7fc0
	v_cmp_o_f32_e32 vcc, v20, v20
	s_nop 1
	v_cndmask_b32_e32 v11, v19, v11, vcc
	v_lshlrev_b32_e32 v21, 16, v11
	v_max_f32_e32 v20, v21, v21
	v_min_f32_e32 v22, v20, v33
	v_cmp_u_f32_e32 vcc, v21, v21
	v_max_f32_e32 v20, v20, v33
	s_nop 0
	v_cndmask_b32_e32 v22, v22, v21, vcc
	v_cndmask_b32_e32 v20, v20, v21, vcc
	v_cndmask_b32_e64 v22, v22, v29, s[70:71]
	v_cndmask_b32_e64 v20, v20, v29, s[70:71]
	v_cmp_neq_f32_e32 vcc, v22, v20
	v_cmp_class_f32_e64 s[0:1], v22, s33
	s_or_b64 s[2:3], vcc, s[0:1]
	s_and_saveexec_b64 s[0:1], s[2:3]
	s_cbranch_execz .LBB529_162
; %bb.161:
	v_sub_f32_e32 v21, v22, v20
	s_mov_b32 s2, 0x3fb8aa3b
	v_mul_f32_e32 v22, 0x3fb8aa3b, v21
	v_fma_f32 v23, v21, s2, -v22
	v_rndne_f32_e32 v24, v22
	v_fmamk_f32 v23, v21, 0x32a5705f, v23
	v_sub_f32_e32 v22, v22, v24
	v_add_f32_e32 v22, v22, v23
	v_exp_f32_e32 v22, v22
	v_cvt_i32_f32_e32 v23, v24
	s_mov_b32 s2, 0xc2ce8ed0
	v_cmp_ngt_f32_e32 vcc, s2, v21
	s_mov_b32 s2, 0x42b17218
	v_ldexp_f32 v22, v22, v23
	v_cndmask_b32_e32 v22, 0, v22, vcc
	v_mov_b32_e32 v23, 0x7f800000
	v_cmp_nlt_f32_e32 vcc, s2, v21
	s_mov_b32 s2, 0x3f2aaaab
	s_mov_b32 s3, 0x7f800000
	v_cndmask_b32_e32 v33, v23, v22, vcc
	v_add_f32_e32 v21, 1.0, v33
	v_add_f32_e32 v22, -1.0, v21
	v_sub_f32_e32 v23, v22, v21
	v_add_f32_e32 v23, 1.0, v23
	v_sub_f32_e32 v22, v33, v22
	v_add_f32_e32 v24, v22, v23
	v_frexp_mant_f32_e32 v25, v21
	v_cvt_f64_f32_e32 v[22:23], v21
	v_frexp_exp_i32_f64_e32 v22, v[22:23]
	v_cmp_gt_f32_e32 vcc, s2, v25
	s_mov_b32 s2, 0x3f317218
	s_nop 0
	v_subbrev_co_u32_e32 v30, vcc, 0, v22, vcc
	v_sub_u32_e32 v22, 0, v30
	v_ldexp_f32 v21, v21, v22
	v_ldexp_f32 v22, v24, v22
	v_add_f32_e32 v24, -1.0, v21
	v_add_f32_e32 v23, 1.0, v24
	v_sub_f32_e32 v23, v21, v23
	v_add_f32_e32 v25, v22, v23
	v_add_f32_e32 v23, 1.0, v21
	v_add_f32_e32 v26, -1.0, v23
	v_sub_f32_e32 v21, v21, v26
	v_add_f32_e32 v21, v22, v21
	v_add_f32_e32 v31, v23, v21
	v_rcp_f32_e32 v49, v31
	v_sub_f32_e32 v22, v23, v31
	v_add_f32_e32 v23, v24, v25
	v_add_f32_e32 v21, v21, v22
	v_mul_f32_e32 v51, v23, v49
	v_sub_f32_e32 v22, v24, v23
	v_mul_f32_e32 v24, v31, v51
	v_fma_f32 v26, v51, v31, -v24
	v_fmac_f32_e32 v26, v51, v21
	v_add_f32_e32 v50, v25, v22
	v_add_f32_e32 v22, v24, v26
	v_sub_f32_e32 v25, v23, v22
	v_pk_add_f32 v[28:29], v[22:23], v[24:25] neg_lo:[0,1] neg_hi:[0,1]
	v_mov_b32_e32 v27, v22
	v_pk_add_f32 v[22:23], v[28:29], v[26:27] neg_lo:[0,1] neg_hi:[0,1]
	v_cmp_eq_f32_e32 vcc, s3, v33
	v_add_f32_e32 v23, v50, v23
	v_add_f32_e32 v22, v22, v23
	;; [unrolled: 1-line block ×3, first 2 shown]
	v_mul_f32_e32 v50, v49, v23
	v_mul_f32_e32 v24, v31, v50
	v_fma_f32 v26, v50, v31, -v24
	v_fmac_f32_e32 v26, v50, v21
	v_sub_f32_e32 v21, v25, v23
	v_add_f32_e32 v21, v22, v21
	v_add_f32_e32 v22, v24, v26
	v_sub_f32_e32 v25, v23, v22
	v_pk_add_f32 v[28:29], v[22:23], v[24:25] neg_lo:[0,1] neg_hi:[0,1]
	v_mov_b32_e32 v27, v22
	v_pk_add_f32 v[22:23], v[28:29], v[26:27] neg_lo:[0,1] neg_hi:[0,1]
	v_cvt_f32_i32_e32 v24, v30
	v_add_f32_e32 v21, v21, v23
	v_add_f32_e32 v21, v22, v21
	;; [unrolled: 1-line block ×4, first 2 shown]
	v_sub_f32_e32 v23, v22, v51
	v_mul_f32_e32 v21, v49, v21
	v_sub_f32_e32 v23, v50, v23
	v_add_f32_e32 v21, v23, v21
	v_add_f32_e32 v25, v22, v21
	v_mul_f32_e32 v26, v25, v25
	v_mov_b32_e32 v23, 0x3ecc95a3
	v_fmac_f32_e32 v23, 0x3e9b6dac, v26
	v_sub_f32_e32 v22, v25, v22
	v_fmaak_f32 v23, v26, v23, 0x3f2aaada
	v_sub_f32_e32 v21, v21, v22
	v_ldexp_f32 v27, v25, 1
	v_mul_f32_e32 v25, v25, v26
	v_mov_b32_e32 v22, 0x3f317218
	v_pk_mul_f32 v[22:23], v[24:25], v[22:23]
	v_ldexp_f32 v21, v21, 1
	v_fma_f32 v25, v24, s2, -v22
	v_fmamk_f32 v26, v24, 0xb102e308, v25
	v_pk_add_f32 v[24:25], v[22:23], v[26:27]
	v_mov_b32_e32 v28, v22
	v_sub_f32_e32 v27, v25, v27
	v_sub_f32_e32 v27, v23, v27
	v_add_f32_e32 v29, v21, v27
	v_pk_add_f32 v[22:23], v[24:25], v[22:23] neg_lo:[0,1] neg_hi:[0,1]
	v_pk_add_f32 v[30:31], v[24:25], v[28:29]
	v_mov_b32_e32 v27, v24
	v_mov_b32_e32 v23, v31
	v_pk_add_f32 v[50:51], v[26:27], v[22:23] neg_lo:[0,1] neg_hi:[0,1]
	v_pk_add_f32 v[22:23], v[26:27], v[22:23]
	v_mov_b32_e32 v28, v29
	v_mov_b32_e32 v26, v23
	s_waitcnt lgkmcnt(0)
	v_pk_add_f32 v[54:55], v[26:27], v[24:25] neg_lo:[0,1] neg_hi:[0,1]
	v_mov_b32_e32 v22, v31
	v_mov_b32_e32 v21, v54
	v_pk_add_f32 v[56:57], v[30:31], v[20:21] neg_lo:[0,1] neg_hi:[0,1]
	v_mov_b32_e32 v30, v25
	v_mov_b32_e32 v31, v54
	;; [unrolled: 1-line block ×3, first 2 shown]
	v_pk_add_f32 v[22:23], v[22:23], v[30:31] neg_lo:[0,1] neg_hi:[0,1]
	v_mov_b32_e32 v29, v24
	v_pk_add_f32 v[22:23], v[28:29], v[22:23] neg_lo:[0,1] neg_hi:[0,1]
	v_mov_b32_e32 v56, v50
	v_pk_add_f32 v[24:25], v[56:57], v[22:23]
	s_mov_b32 s2, 0x33800000
	v_mov_b32_e32 v28, v25
	v_pk_add_f32 v[28:29], v[24:25], v[28:29]
	v_cmp_lt_f32_e64 s[2:3], |v33|, s2
	v_pk_add_f32 v[26:27], v[26:27], v[28:29]
	v_mov_b32_e32 v23, v28
	v_mov_b32_e32 v25, v26
	v_pk_add_f32 v[30:31], v[24:25], v[50:51] neg_lo:[0,1] neg_hi:[0,1]
	s_or_b64 vcc, vcc, s[2:3]
	v_sub_f32_e32 v21, v24, v30
	v_pk_add_f32 v[22:23], v[22:23], v[30:31] neg_lo:[0,1] neg_hi:[0,1]
	v_sub_f32_e32 v21, v50, v21
	v_add_f32_e32 v21, v22, v21
	v_add_f32_e32 v21, v21, v23
	;; [unrolled: 1-line block ×3, first 2 shown]
	v_cndmask_b32_e32 v21, v21, v33, vcc
	v_add_f32_e32 v21, v20, v21
.LBB529_162:
	s_or_b64 exec, exec, s[0:1]
	v_bfe_u32 v20, v21, 16, 1
	v_add3_u32 v20, v21, v20, s48
	v_lshrrev_b32_e32 v20, 16, v20
	v_cmp_o_f32_e32 vcc, v21, v21
	s_nop 1
	v_cndmask_b32_e32 v19, v19, v20, vcc
	v_lshlrev_b32_e32 v21, 16, v19
	v_max_f32_e32 v22, v21, v21
	v_min_f32_e32 v20, v22, v34
	v_cmp_u_f32_e32 vcc, v21, v21
	v_max_f32_e32 v22, v22, v34
	s_nop 0
	v_cndmask_b32_e32 v20, v20, v21, vcc
	v_cndmask_b32_e32 v22, v22, v21, vcc
	v_cndmask_b32_e64 v20, v20, v12, s[72:73]
	v_cndmask_b32_e64 v12, v22, v12, s[72:73]
	v_cmp_neq_f32_e32 vcc, v20, v12
	v_cmp_class_f32_e64 s[0:1], v20, s33
	s_or_b64 s[2:3], vcc, s[0:1]
	s_and_saveexec_b64 s[0:1], s[2:3]
	s_cbranch_execz .LBB529_164
; %bb.163:
	v_sub_f32_e32 v20, v20, v12
	s_mov_b32 s2, 0x3fb8aa3b
	v_mul_f32_e32 v21, 0x3fb8aa3b, v20
	v_fma_f32 v22, v20, s2, -v21
	v_rndne_f32_e32 v23, v21
	v_fmamk_f32 v22, v20, 0x32a5705f, v22
	v_sub_f32_e32 v21, v21, v23
	v_add_f32_e32 v21, v21, v22
	v_exp_f32_e32 v21, v21
	v_cvt_i32_f32_e32 v22, v23
	s_mov_b32 s2, 0xc2ce8ed0
	v_cmp_ngt_f32_e32 vcc, s2, v20
	s_mov_b32 s2, 0x42b17218
	v_ldexp_f32 v21, v21, v22
	v_cndmask_b32_e32 v21, 0, v21, vcc
	v_mov_b32_e32 v22, 0x7f800000
	v_cmp_nlt_f32_e32 vcc, s2, v20
	s_mov_b32 s2, 0x3f2aaaab
	s_mov_b32 s3, 0x7f800000
	v_cndmask_b32_e32 v33, v22, v21, vcc
	v_add_f32_e32 v22, 1.0, v33
	v_add_f32_e32 v20, -1.0, v22
	v_sub_f32_e32 v21, v20, v22
	v_add_f32_e32 v21, 1.0, v21
	v_sub_f32_e32 v20, v33, v20
	v_add_f32_e32 v23, v20, v21
	v_frexp_mant_f32_e32 v24, v22
	v_cvt_f64_f32_e32 v[20:21], v22
	v_frexp_exp_i32_f64_e32 v20, v[20:21]
	v_cmp_gt_f32_e32 vcc, s2, v24
	s_mov_b32 s2, 0x3f317218
	s_nop 0
	v_subbrev_co_u32_e32 v28, vcc, 0, v20, vcc
	v_sub_u32_e32 v20, 0, v28
	v_ldexp_f32 v21, v22, v20
	v_add_f32_e32 v22, -1.0, v21
	v_add_f32_e32 v24, 1.0, v21
	v_ldexp_f32 v20, v23, v20
	v_add_f32_e32 v23, 1.0, v22
	v_add_f32_e32 v25, -1.0, v24
	v_sub_f32_e32 v23, v21, v23
	v_sub_f32_e32 v21, v21, v25
	v_add_f32_e32 v23, v20, v23
	v_add_f32_e32 v20, v20, v21
	;; [unrolled: 1-line block ×3, first 2 shown]
	v_rcp_f32_e32 v31, v29
	v_sub_f32_e32 v21, v24, v29
	v_add_f32_e32 v30, v20, v21
	v_add_f32_e32 v21, v22, v23
	v_mul_f32_e32 v49, v21, v31
	v_sub_f32_e32 v20, v22, v21
	v_mul_f32_e32 v22, v29, v49
	v_fma_f32 v24, v49, v29, -v22
	v_fmac_f32_e32 v24, v49, v30
	v_add_f32_e32 v34, v23, v20
	v_add_f32_e32 v20, v22, v24
	v_sub_f32_e32 v23, v21, v20
	v_pk_add_f32 v[26:27], v[20:21], v[22:23] neg_lo:[0,1] neg_hi:[0,1]
	v_mov_b32_e32 v25, v20
	v_pk_add_f32 v[20:21], v[26:27], v[24:25] neg_lo:[0,1] neg_hi:[0,1]
	v_cmp_eq_f32_e32 vcc, s3, v33
	v_add_f32_e32 v21, v34, v21
	v_add_f32_e32 v20, v20, v21
	;; [unrolled: 1-line block ×3, first 2 shown]
	v_mul_f32_e32 v34, v31, v21
	v_mul_f32_e32 v22, v29, v34
	v_fma_f32 v24, v34, v29, -v22
	v_fmac_f32_e32 v24, v34, v30
	v_sub_f32_e32 v23, v23, v21
	v_add_f32_e32 v29, v20, v23
	v_add_f32_e32 v20, v22, v24
	v_sub_f32_e32 v23, v21, v20
	v_pk_add_f32 v[26:27], v[20:21], v[22:23] neg_lo:[0,1] neg_hi:[0,1]
	v_mov_b32_e32 v25, v20
	v_pk_add_f32 v[20:21], v[26:27], v[24:25] neg_lo:[0,1] neg_hi:[0,1]
	v_cvt_f32_i32_e32 v22, v28
	v_add_f32_e32 v21, v29, v21
	v_add_f32_e32 v20, v20, v21
	;; [unrolled: 1-line block ×4, first 2 shown]
	v_sub_f32_e32 v21, v23, v49
	v_mul_f32_e32 v20, v31, v20
	v_sub_f32_e32 v21, v34, v21
	v_add_f32_e32 v20, v21, v20
	v_add_f32_e32 v24, v23, v20
	v_mul_f32_e32 v26, v24, v24
	v_mov_b32_e32 v21, 0x3ecc95a3
	v_sub_f32_e32 v23, v24, v23
	v_fmac_f32_e32 v21, 0x3e9b6dac, v26
	v_sub_f32_e32 v20, v20, v23
	v_fmaak_f32 v21, v26, v21, 0x3f2aaada
	v_ldexp_f32 v27, v20, 1
	v_mul_f32_e32 v23, v24, v26
	v_mov_b32_e32 v20, 0x3f317218
	v_pk_mul_f32 v[20:21], v[22:23], v[20:21]
	v_ldexp_f32 v25, v24, 1
	v_fma_f32 v23, v22, s2, -v20
	v_fmamk_f32 v24, v22, 0xb102e308, v23
	v_pk_add_f32 v[22:23], v[20:21], v[24:25]
	v_mov_b32_e32 v26, v20
	v_sub_f32_e32 v25, v23, v25
	v_sub_f32_e32 v25, v21, v25
	v_add_f32_e32 v27, v27, v25
	v_pk_add_f32 v[20:21], v[22:23], v[20:21] neg_lo:[0,1] neg_hi:[0,1]
	v_pk_add_f32 v[28:29], v[22:23], v[26:27]
	v_mov_b32_e32 v25, v22
	v_mov_b32_e32 v21, v29
	v_pk_add_f32 v[30:31], v[24:25], v[20:21] neg_lo:[0,1] neg_hi:[0,1]
	v_pk_add_f32 v[20:21], v[24:25], v[20:21]
	v_mov_b32_e32 v26, v27
	v_mov_b32_e32 v24, v21
	v_pk_add_f32 v[50:51], v[24:25], v[22:23] neg_lo:[0,1] neg_hi:[0,1]
	v_mov_b32_e32 v20, v29
	v_mov_b32_e32 v25, v50
	s_waitcnt lgkmcnt(0)
	v_pk_add_f32 v[54:55], v[28:29], v[24:25] neg_lo:[0,1] neg_hi:[0,1]
	v_mov_b32_e32 v28, v23
	v_mov_b32_e32 v29, v50
	;; [unrolled: 1-line block ×3, first 2 shown]
	v_pk_add_f32 v[20:21], v[20:21], v[28:29] neg_lo:[0,1] neg_hi:[0,1]
	v_mov_b32_e32 v27, v22
	v_pk_add_f32 v[20:21], v[26:27], v[20:21] neg_lo:[0,1] neg_hi:[0,1]
	v_mov_b32_e32 v54, v30
	v_pk_add_f32 v[22:23], v[54:55], v[20:21]
	s_mov_b32 s2, 0x33800000
	v_mov_b32_e32 v26, v23
	v_pk_add_f32 v[26:27], v[22:23], v[26:27]
	v_cmp_lt_f32_e64 s[2:3], |v33|, s2
	v_pk_add_f32 v[24:25], v[24:25], v[26:27]
	v_mov_b32_e32 v21, v26
	v_mov_b32_e32 v23, v24
	v_pk_add_f32 v[28:29], v[22:23], v[30:31] neg_lo:[0,1] neg_hi:[0,1]
	s_or_b64 vcc, vcc, s[2:3]
	v_sub_f32_e32 v22, v22, v28
	v_pk_add_f32 v[20:21], v[20:21], v[28:29] neg_lo:[0,1] neg_hi:[0,1]
	v_sub_f32_e32 v22, v30, v22
	v_add_f32_e32 v20, v20, v22
	v_add_f32_e32 v20, v20, v21
	v_add_f32_e32 v20, v24, v20
	v_cndmask_b32_e32 v20, v20, v33, vcc
	v_add_f32_e32 v21, v12, v20
.LBB529_164:
	s_or_b64 exec, exec, s[0:1]
	v_bfe_u32 v12, v21, 16, 1
	v_add3_u32 v12, v21, v12, s48
	v_lshrrev_b32_e32 v12, 16, v12
	v_mov_b32_e32 v20, 0x7fc0
	v_cmp_o_f32_e32 vcc, v21, v21
	s_nop 1
	v_cndmask_b32_e32 v12, v20, v12, vcc
	v_lshlrev_b32_e32 v22, 16, v12
	v_max_f32_e32 v21, v22, v22
	v_min_f32_e32 v23, v21, v36
	v_cmp_u_f32_e32 vcc, v22, v22
	v_max_f32_e32 v21, v21, v36
	s_nop 0
	v_cndmask_b32_e32 v23, v23, v22, vcc
	v_cndmask_b32_e32 v21, v21, v22, vcc
	v_cndmask_b32_e64 v23, v23, v32, s[74:75]
	v_cndmask_b32_e64 v21, v21, v32, s[74:75]
	v_cmp_neq_f32_e32 vcc, v23, v21
	v_cmp_class_f32_e64 s[0:1], v23, s33
	s_or_b64 s[2:3], vcc, s[0:1]
	s_and_saveexec_b64 s[0:1], s[2:3]
	s_cbranch_execz .LBB529_166
; %bb.165:
	v_sub_f32_e32 v22, v23, v21
	s_mov_b32 s2, 0x3fb8aa3b
	v_mul_f32_e32 v23, 0x3fb8aa3b, v22
	v_fma_f32 v24, v22, s2, -v23
	v_rndne_f32_e32 v25, v23
	v_fmamk_f32 v24, v22, 0x32a5705f, v24
	v_sub_f32_e32 v23, v23, v25
	v_add_f32_e32 v23, v23, v24
	v_exp_f32_e32 v23, v23
	v_cvt_i32_f32_e32 v24, v25
	s_mov_b32 s2, 0xc2ce8ed0
	v_cmp_ngt_f32_e32 vcc, s2, v22
	s_mov_b32 s2, 0x42b17218
	v_ldexp_f32 v23, v23, v24
	v_cndmask_b32_e32 v23, 0, v23, vcc
	v_mov_b32_e32 v24, 0x7f800000
	v_cmp_nlt_f32_e32 vcc, s2, v22
	s_mov_b32 s2, 0x3f2aaaab
	s_mov_b32 s3, 0x7f800000
	v_cndmask_b32_e32 v34, v24, v23, vcc
	v_add_f32_e32 v24, 1.0, v34
	v_add_f32_e32 v22, -1.0, v24
	v_sub_f32_e32 v23, v22, v24
	v_add_f32_e32 v23, 1.0, v23
	v_sub_f32_e32 v22, v34, v22
	v_add_f32_e32 v25, v22, v23
	v_frexp_mant_f32_e32 v26, v24
	v_cvt_f64_f32_e32 v[22:23], v24
	v_frexp_exp_i32_f64_e32 v22, v[22:23]
	v_cmp_gt_f32_e32 vcc, s2, v26
	s_mov_b32 s2, 0x3f317218
	s_nop 0
	v_subbrev_co_u32_e32 v30, vcc, 0, v22, vcc
	v_sub_u32_e32 v22, 0, v30
	v_ldexp_f32 v23, v24, v22
	v_add_f32_e32 v24, -1.0, v23
	v_add_f32_e32 v26, 1.0, v23
	v_ldexp_f32 v22, v25, v22
	v_add_f32_e32 v25, 1.0, v24
	v_add_f32_e32 v27, -1.0, v26
	v_sub_f32_e32 v25, v23, v25
	v_sub_f32_e32 v23, v23, v27
	v_add_f32_e32 v25, v22, v25
	v_add_f32_e32 v22, v22, v23
	v_add_f32_e32 v31, v26, v22
	v_rcp_f32_e32 v33, v31
	v_sub_f32_e32 v23, v26, v31
	v_add_f32_e32 v32, v22, v23
	v_add_f32_e32 v23, v24, v25
	v_mul_f32_e32 v49, v23, v33
	v_sub_f32_e32 v22, v24, v23
	v_mul_f32_e32 v24, v31, v49
	v_fma_f32 v26, v49, v31, -v24
	v_fmac_f32_e32 v26, v49, v32
	v_add_f32_e32 v36, v25, v22
	v_add_f32_e32 v22, v24, v26
	v_sub_f32_e32 v25, v23, v22
	v_pk_add_f32 v[28:29], v[22:23], v[24:25] neg_lo:[0,1] neg_hi:[0,1]
	v_mov_b32_e32 v27, v22
	v_pk_add_f32 v[22:23], v[28:29], v[26:27] neg_lo:[0,1] neg_hi:[0,1]
	v_cmp_eq_f32_e32 vcc, s3, v34
	v_add_f32_e32 v23, v36, v23
	v_add_f32_e32 v22, v22, v23
	;; [unrolled: 1-line block ×3, first 2 shown]
	v_mul_f32_e32 v36, v33, v23
	v_mul_f32_e32 v24, v31, v36
	v_fma_f32 v26, v36, v31, -v24
	v_fmac_f32_e32 v26, v36, v32
	v_sub_f32_e32 v25, v25, v23
	v_add_f32_e32 v31, v22, v25
	v_add_f32_e32 v22, v24, v26
	v_sub_f32_e32 v25, v23, v22
	v_pk_add_f32 v[28:29], v[22:23], v[24:25] neg_lo:[0,1] neg_hi:[0,1]
	v_mov_b32_e32 v27, v22
	v_pk_add_f32 v[22:23], v[28:29], v[26:27] neg_lo:[0,1] neg_hi:[0,1]
	v_cvt_f32_i32_e32 v24, v30
	v_add_f32_e32 v23, v31, v23
	v_add_f32_e32 v22, v22, v23
	;; [unrolled: 1-line block ×4, first 2 shown]
	v_sub_f32_e32 v23, v25, v49
	v_mul_f32_e32 v22, v33, v22
	v_sub_f32_e32 v23, v36, v23
	v_add_f32_e32 v22, v23, v22
	v_add_f32_e32 v26, v25, v22
	v_mul_f32_e32 v28, v26, v26
	v_mov_b32_e32 v23, 0x3ecc95a3
	v_sub_f32_e32 v25, v26, v25
	v_fmac_f32_e32 v23, 0x3e9b6dac, v28
	v_sub_f32_e32 v22, v22, v25
	v_fmaak_f32 v23, v28, v23, 0x3f2aaada
	v_ldexp_f32 v29, v22, 1
	v_mul_f32_e32 v25, v26, v28
	v_mov_b32_e32 v22, 0x3f317218
	v_pk_mul_f32 v[22:23], v[24:25], v[22:23]
	v_ldexp_f32 v27, v26, 1
	v_fma_f32 v25, v24, s2, -v22
	v_fmamk_f32 v26, v24, 0xb102e308, v25
	v_pk_add_f32 v[24:25], v[22:23], v[26:27]
	v_mov_b32_e32 v28, v22
	v_sub_f32_e32 v27, v25, v27
	v_sub_f32_e32 v27, v23, v27
	v_add_f32_e32 v29, v29, v27
	v_pk_add_f32 v[22:23], v[24:25], v[22:23] neg_lo:[0,1] neg_hi:[0,1]
	v_pk_add_f32 v[30:31], v[24:25], v[28:29]
	v_mov_b32_e32 v27, v24
	v_mov_b32_e32 v23, v31
	v_pk_add_f32 v[32:33], v[26:27], v[22:23] neg_lo:[0,1] neg_hi:[0,1]
	v_pk_add_f32 v[22:23], v[26:27], v[22:23]
	v_mov_b32_e32 v28, v29
	v_mov_b32_e32 v26, v23
	v_pk_add_f32 v[50:51], v[26:27], v[24:25] neg_lo:[0,1] neg_hi:[0,1]
	v_mov_b32_e32 v22, v31
	v_mov_b32_e32 v27, v50
	s_waitcnt lgkmcnt(0)
	v_pk_add_f32 v[54:55], v[30:31], v[26:27] neg_lo:[0,1] neg_hi:[0,1]
	v_mov_b32_e32 v30, v25
	v_mov_b32_e32 v31, v50
	;; [unrolled: 1-line block ×3, first 2 shown]
	v_pk_add_f32 v[22:23], v[22:23], v[30:31] neg_lo:[0,1] neg_hi:[0,1]
	v_mov_b32_e32 v29, v24
	v_pk_add_f32 v[22:23], v[28:29], v[22:23] neg_lo:[0,1] neg_hi:[0,1]
	v_mov_b32_e32 v54, v32
	v_pk_add_f32 v[24:25], v[54:55], v[22:23]
	s_mov_b32 s2, 0x33800000
	v_mov_b32_e32 v28, v25
	v_pk_add_f32 v[28:29], v[24:25], v[28:29]
	v_cmp_lt_f32_e64 s[2:3], |v34|, s2
	v_pk_add_f32 v[26:27], v[26:27], v[28:29]
	v_mov_b32_e32 v23, v28
	v_mov_b32_e32 v25, v26
	v_pk_add_f32 v[30:31], v[24:25], v[32:33] neg_lo:[0,1] neg_hi:[0,1]
	s_or_b64 vcc, vcc, s[2:3]
	v_sub_f32_e32 v24, v24, v30
	v_pk_add_f32 v[22:23], v[22:23], v[30:31] neg_lo:[0,1] neg_hi:[0,1]
	v_sub_f32_e32 v24, v32, v24
	v_add_f32_e32 v22, v22, v24
	v_add_f32_e32 v22, v22, v23
	;; [unrolled: 1-line block ×3, first 2 shown]
	v_cndmask_b32_e32 v22, v22, v34, vcc
	v_add_f32_e32 v22, v21, v22
.LBB529_166:
	s_or_b64 exec, exec, s[0:1]
	v_bfe_u32 v21, v22, 16, 1
	v_add3_u32 v21, v22, v21, s48
	v_lshrrev_b32_e32 v21, 16, v21
	v_cmp_o_f32_e32 vcc, v22, v22
	s_nop 1
	v_cndmask_b32_e32 v20, v20, v21, vcc
	v_lshlrev_b32_e32 v22, 16, v20
	v_max_f32_e32 v23, v22, v22
	v_min_f32_e32 v21, v23, v37
	v_cmp_u_f32_e32 vcc, v22, v22
	v_max_f32_e32 v23, v23, v37
	s_nop 0
	v_cndmask_b32_e32 v21, v21, v22, vcc
	v_cndmask_b32_e32 v23, v23, v22, vcc
	v_cndmask_b32_e64 v21, v21, v13, s[76:77]
	v_cndmask_b32_e64 v13, v23, v13, s[76:77]
	v_cmp_neq_f32_e32 vcc, v21, v13
	v_cmp_class_f32_e64 s[0:1], v21, s33
	s_or_b64 s[2:3], vcc, s[0:1]
	s_and_saveexec_b64 s[0:1], s[2:3]
	s_cbranch_execz .LBB529_168
; %bb.167:
	v_sub_f32_e32 v21, v21, v13
	s_mov_b32 s2, 0x3fb8aa3b
	v_mul_f32_e32 v22, 0x3fb8aa3b, v21
	v_fma_f32 v23, v21, s2, -v22
	v_rndne_f32_e32 v24, v22
	v_fmamk_f32 v23, v21, 0x32a5705f, v23
	v_sub_f32_e32 v22, v22, v24
	v_add_f32_e32 v22, v22, v23
	v_exp_f32_e32 v22, v22
	v_cvt_i32_f32_e32 v23, v24
	s_mov_b32 s2, 0xc2ce8ed0
	v_cmp_ngt_f32_e32 vcc, s2, v21
	s_mov_b32 s2, 0x42b17218
	v_ldexp_f32 v22, v22, v23
	v_cndmask_b32_e32 v22, 0, v22, vcc
	v_mov_b32_e32 v23, 0x7f800000
	v_cmp_nlt_f32_e32 vcc, s2, v21
	s_mov_b32 s2, 0x3f2aaaab
	s_mov_b32 s3, 0x7f800000
	v_cndmask_b32_e32 v34, v23, v22, vcc
	v_add_f32_e32 v21, 1.0, v34
	v_add_f32_e32 v22, -1.0, v21
	v_sub_f32_e32 v23, v22, v21
	v_add_f32_e32 v23, 1.0, v23
	v_sub_f32_e32 v22, v34, v22
	v_add_f32_e32 v24, v22, v23
	v_frexp_mant_f32_e32 v25, v21
	v_cvt_f64_f32_e32 v[22:23], v21
	v_frexp_exp_i32_f64_e32 v22, v[22:23]
	v_cmp_gt_f32_e32 vcc, s2, v25
	s_mov_b32 s2, 0x3f317218
	s_nop 0
	v_subbrev_co_u32_e32 v30, vcc, 0, v22, vcc
	v_sub_u32_e32 v22, 0, v30
	v_ldexp_f32 v21, v21, v22
	v_ldexp_f32 v22, v24, v22
	v_add_f32_e32 v24, -1.0, v21
	v_add_f32_e32 v23, 1.0, v24
	v_sub_f32_e32 v23, v21, v23
	v_add_f32_e32 v25, v22, v23
	v_add_f32_e32 v23, 1.0, v21
	v_add_f32_e32 v26, -1.0, v23
	v_sub_f32_e32 v21, v21, v26
	v_add_f32_e32 v21, v22, v21
	v_add_f32_e32 v31, v23, v21
	v_rcp_f32_e32 v32, v31
	v_sub_f32_e32 v22, v23, v31
	v_add_f32_e32 v23, v24, v25
	v_add_f32_e32 v21, v21, v22
	v_mul_f32_e32 v36, v23, v32
	v_sub_f32_e32 v22, v24, v23
	v_mul_f32_e32 v24, v31, v36
	v_fma_f32 v26, v36, v31, -v24
	v_fmac_f32_e32 v26, v36, v21
	v_add_f32_e32 v33, v25, v22
	v_add_f32_e32 v22, v24, v26
	v_sub_f32_e32 v25, v23, v22
	v_pk_add_f32 v[28:29], v[22:23], v[24:25] neg_lo:[0,1] neg_hi:[0,1]
	v_mov_b32_e32 v27, v22
	v_pk_add_f32 v[22:23], v[28:29], v[26:27] neg_lo:[0,1] neg_hi:[0,1]
	v_cmp_eq_f32_e32 vcc, s3, v34
	v_add_f32_e32 v23, v33, v23
	v_add_f32_e32 v22, v22, v23
	;; [unrolled: 1-line block ×3, first 2 shown]
	v_mul_f32_e32 v33, v32, v23
	v_mul_f32_e32 v24, v31, v33
	v_fma_f32 v26, v33, v31, -v24
	v_fmac_f32_e32 v26, v33, v21
	v_sub_f32_e32 v21, v25, v23
	v_add_f32_e32 v21, v22, v21
	v_add_f32_e32 v22, v24, v26
	v_sub_f32_e32 v25, v23, v22
	v_pk_add_f32 v[28:29], v[22:23], v[24:25] neg_lo:[0,1] neg_hi:[0,1]
	v_mov_b32_e32 v27, v22
	v_pk_add_f32 v[22:23], v[28:29], v[26:27] neg_lo:[0,1] neg_hi:[0,1]
	v_cvt_f32_i32_e32 v24, v30
	v_add_f32_e32 v21, v21, v23
	v_add_f32_e32 v21, v22, v21
	;; [unrolled: 1-line block ×4, first 2 shown]
	v_sub_f32_e32 v23, v22, v36
	v_mul_f32_e32 v21, v32, v21
	v_sub_f32_e32 v23, v33, v23
	v_add_f32_e32 v21, v23, v21
	v_add_f32_e32 v25, v22, v21
	v_mul_f32_e32 v26, v25, v25
	v_mov_b32_e32 v23, 0x3ecc95a3
	v_fmac_f32_e32 v23, 0x3e9b6dac, v26
	v_sub_f32_e32 v22, v25, v22
	v_fmaak_f32 v23, v26, v23, 0x3f2aaada
	v_sub_f32_e32 v21, v21, v22
	v_ldexp_f32 v27, v25, 1
	v_mul_f32_e32 v25, v25, v26
	v_mov_b32_e32 v22, 0x3f317218
	v_pk_mul_f32 v[22:23], v[24:25], v[22:23]
	v_ldexp_f32 v21, v21, 1
	v_fma_f32 v25, v24, s2, -v22
	v_fmamk_f32 v26, v24, 0xb102e308, v25
	v_pk_add_f32 v[24:25], v[22:23], v[26:27]
	v_mov_b32_e32 v28, v22
	v_sub_f32_e32 v27, v25, v27
	v_sub_f32_e32 v27, v23, v27
	v_add_f32_e32 v29, v21, v27
	v_pk_add_f32 v[22:23], v[24:25], v[22:23] neg_lo:[0,1] neg_hi:[0,1]
	v_pk_add_f32 v[30:31], v[24:25], v[28:29]
	v_mov_b32_e32 v27, v24
	v_mov_b32_e32 v23, v31
	v_pk_add_f32 v[32:33], v[26:27], v[22:23] neg_lo:[0,1] neg_hi:[0,1]
	v_pk_add_f32 v[22:23], v[26:27], v[22:23]
	v_mov_b32_e32 v28, v29
	v_mov_b32_e32 v26, v23
	v_pk_add_f32 v[36:37], v[26:27], v[24:25] neg_lo:[0,1] neg_hi:[0,1]
	v_mov_b32_e32 v22, v31
	v_mov_b32_e32 v21, v36
	v_pk_add_f32 v[50:51], v[30:31], v[20:21] neg_lo:[0,1] neg_hi:[0,1]
	v_mov_b32_e32 v30, v25
	v_mov_b32_e32 v31, v36
	;; [unrolled: 1-line block ×3, first 2 shown]
	v_pk_add_f32 v[22:23], v[22:23], v[30:31] neg_lo:[0,1] neg_hi:[0,1]
	v_mov_b32_e32 v29, v24
	v_pk_add_f32 v[22:23], v[28:29], v[22:23] neg_lo:[0,1] neg_hi:[0,1]
	v_mov_b32_e32 v50, v32
	v_pk_add_f32 v[24:25], v[50:51], v[22:23]
	s_mov_b32 s2, 0x33800000
	v_mov_b32_e32 v28, v25
	v_pk_add_f32 v[28:29], v[24:25], v[28:29]
	v_cmp_lt_f32_e64 s[2:3], |v34|, s2
	v_pk_add_f32 v[26:27], v[26:27], v[28:29]
	v_mov_b32_e32 v23, v28
	v_mov_b32_e32 v25, v26
	v_pk_add_f32 v[30:31], v[24:25], v[32:33] neg_lo:[0,1] neg_hi:[0,1]
	s_or_b64 vcc, vcc, s[2:3]
	v_sub_f32_e32 v21, v24, v30
	v_pk_add_f32 v[22:23], v[22:23], v[30:31] neg_lo:[0,1] neg_hi:[0,1]
	v_sub_f32_e32 v21, v32, v21
	v_add_f32_e32 v21, v22, v21
	v_add_f32_e32 v21, v21, v23
	;; [unrolled: 1-line block ×3, first 2 shown]
	v_cndmask_b32_e32 v21, v21, v34, vcc
	v_add_f32_e32 v22, v13, v21
.LBB529_168:
	s_or_b64 exec, exec, s[0:1]
	v_bfe_u32 v13, v22, 16, 1
	v_add3_u32 v13, v22, v13, s48
	v_lshrrev_b32_e32 v13, 16, v13
	v_mov_b32_e32 v21, 0x7fc0
	v_cmp_o_f32_e32 vcc, v22, v22
	s_nop 1
	v_cndmask_b32_e32 v13, v21, v13, vcc
	v_lshlrev_b32_e32 v23, 16, v13
	v_max_f32_e32 v22, v23, v23
	v_min_f32_e32 v24, v22, v39
	v_cmp_u_f32_e32 vcc, v23, v23
	v_max_f32_e32 v22, v22, v39
	s_nop 0
	v_cndmask_b32_e32 v24, v24, v23, vcc
	v_cndmask_b32_e32 v22, v22, v23, vcc
	v_cndmask_b32_e64 v24, v24, v35, s[78:79]
	v_cndmask_b32_e64 v22, v22, v35, s[78:79]
	v_cmp_neq_f32_e32 vcc, v24, v22
	v_cmp_class_f32_e64 s[0:1], v24, s33
	s_or_b64 s[2:3], vcc, s[0:1]
	s_and_saveexec_b64 s[0:1], s[2:3]
	s_cbranch_execz .LBB529_170
; %bb.169:
	v_sub_f32_e32 v23, v24, v22
	s_mov_b32 s2, 0x3fb8aa3b
	v_mul_f32_e32 v24, 0x3fb8aa3b, v23
	v_fma_f32 v25, v23, s2, -v24
	v_rndne_f32_e32 v26, v24
	v_fmamk_f32 v25, v23, 0x32a5705f, v25
	v_sub_f32_e32 v24, v24, v26
	v_add_f32_e32 v24, v24, v25
	v_exp_f32_e32 v24, v24
	v_cvt_i32_f32_e32 v25, v26
	s_mov_b32 s2, 0xc2ce8ed0
	v_cmp_ngt_f32_e32 vcc, s2, v23
	s_mov_b32 s2, 0x42b17218
	v_ldexp_f32 v24, v24, v25
	v_cndmask_b32_e32 v24, 0, v24, vcc
	v_mov_b32_e32 v25, 0x7f800000
	v_cmp_nlt_f32_e32 vcc, s2, v23
	s_mov_b32 s2, 0x3f2aaaab
	s_mov_b32 s3, 0x7f800000
	v_cndmask_b32_e32 v39, v25, v24, vcc
	v_add_f32_e32 v23, 1.0, v39
	v_add_f32_e32 v24, -1.0, v23
	v_sub_f32_e32 v25, v24, v23
	v_add_f32_e32 v25, 1.0, v25
	v_sub_f32_e32 v24, v39, v24
	v_add_f32_e32 v26, v24, v25
	v_frexp_mant_f32_e32 v27, v23
	v_cvt_f64_f32_e32 v[24:25], v23
	v_frexp_exp_i32_f64_e32 v24, v[24:25]
	v_cmp_gt_f32_e32 vcc, s2, v27
	s_mov_b32 s2, 0x3f317218
	s_nop 0
	v_subbrev_co_u32_e32 v32, vcc, 0, v24, vcc
	v_sub_u32_e32 v24, 0, v32
	v_ldexp_f32 v23, v23, v24
	v_ldexp_f32 v24, v26, v24
	v_add_f32_e32 v26, -1.0, v23
	v_add_f32_e32 v25, 1.0, v26
	v_sub_f32_e32 v25, v23, v25
	v_add_f32_e32 v27, v24, v25
	v_add_f32_e32 v25, 1.0, v23
	v_add_f32_e32 v28, -1.0, v25
	v_sub_f32_e32 v23, v23, v28
	v_add_f32_e32 v23, v24, v23
	v_add_f32_e32 v33, v25, v23
	v_rcp_f32_e32 v34, v33
	v_sub_f32_e32 v24, v25, v33
	v_add_f32_e32 v25, v26, v27
	v_add_f32_e32 v23, v23, v24
	v_mul_f32_e32 v36, v25, v34
	v_sub_f32_e32 v24, v26, v25
	v_mul_f32_e32 v26, v33, v36
	v_fma_f32 v28, v36, v33, -v26
	v_fmac_f32_e32 v28, v36, v23
	v_add_f32_e32 v35, v27, v24
	v_add_f32_e32 v24, v26, v28
	v_sub_f32_e32 v27, v25, v24
	v_pk_add_f32 v[30:31], v[24:25], v[26:27] neg_lo:[0,1] neg_hi:[0,1]
	v_mov_b32_e32 v29, v24
	v_pk_add_f32 v[24:25], v[30:31], v[28:29] neg_lo:[0,1] neg_hi:[0,1]
	v_cmp_eq_f32_e32 vcc, s3, v39
	v_add_f32_e32 v25, v35, v25
	v_add_f32_e32 v24, v24, v25
	v_add_f32_e32 v25, v27, v24
	v_mul_f32_e32 v35, v34, v25
	v_mul_f32_e32 v26, v33, v35
	v_fma_f32 v28, v35, v33, -v26
	v_fmac_f32_e32 v28, v35, v23
	v_sub_f32_e32 v23, v27, v25
	v_add_f32_e32 v23, v24, v23
	v_add_f32_e32 v24, v26, v28
	v_sub_f32_e32 v27, v25, v24
	v_pk_add_f32 v[30:31], v[24:25], v[26:27] neg_lo:[0,1] neg_hi:[0,1]
	v_mov_b32_e32 v29, v24
	v_pk_add_f32 v[24:25], v[30:31], v[28:29] neg_lo:[0,1] neg_hi:[0,1]
	v_cvt_f32_i32_e32 v26, v32
	v_add_f32_e32 v23, v23, v25
	v_add_f32_e32 v23, v24, v23
	v_add_f32_e32 v24, v36, v35
	v_add_f32_e32 v23, v27, v23
	v_sub_f32_e32 v25, v24, v36
	v_mul_f32_e32 v23, v34, v23
	v_sub_f32_e32 v25, v35, v25
	v_add_f32_e32 v23, v25, v23
	v_add_f32_e32 v27, v24, v23
	v_mul_f32_e32 v28, v27, v27
	v_mov_b32_e32 v25, 0x3ecc95a3
	v_fmac_f32_e32 v25, 0x3e9b6dac, v28
	v_sub_f32_e32 v24, v27, v24
	v_fmaak_f32 v25, v28, v25, 0x3f2aaada
	v_sub_f32_e32 v23, v23, v24
	v_ldexp_f32 v29, v27, 1
	v_mul_f32_e32 v27, v27, v28
	v_mov_b32_e32 v24, 0x3f317218
	v_pk_mul_f32 v[24:25], v[26:27], v[24:25]
	v_ldexp_f32 v23, v23, 1
	v_fma_f32 v27, v26, s2, -v24
	v_fmamk_f32 v28, v26, 0xb102e308, v27
	v_pk_add_f32 v[26:27], v[24:25], v[28:29]
	v_mov_b32_e32 v30, v24
	v_sub_f32_e32 v29, v27, v29
	v_sub_f32_e32 v29, v25, v29
	v_add_f32_e32 v31, v23, v29
	v_pk_add_f32 v[24:25], v[26:27], v[24:25] neg_lo:[0,1] neg_hi:[0,1]
	v_pk_add_f32 v[32:33], v[26:27], v[30:31]
	v_mov_b32_e32 v29, v26
	v_mov_b32_e32 v25, v33
	v_pk_add_f32 v[34:35], v[28:29], v[24:25] neg_lo:[0,1] neg_hi:[0,1]
	v_pk_add_f32 v[24:25], v[28:29], v[24:25]
	v_mov_b32_e32 v30, v31
	v_mov_b32_e32 v28, v25
	v_pk_add_f32 v[36:37], v[28:29], v[26:27] neg_lo:[0,1] neg_hi:[0,1]
	v_mov_b32_e32 v24, v33
	v_mov_b32_e32 v23, v36
	v_pk_add_f32 v[50:51], v[32:33], v[22:23] neg_lo:[0,1] neg_hi:[0,1]
	v_mov_b32_e32 v32, v27
	v_mov_b32_e32 v33, v36
	;; [unrolled: 1-line block ×3, first 2 shown]
	v_pk_add_f32 v[24:25], v[24:25], v[32:33] neg_lo:[0,1] neg_hi:[0,1]
	v_mov_b32_e32 v31, v26
	v_pk_add_f32 v[24:25], v[30:31], v[24:25] neg_lo:[0,1] neg_hi:[0,1]
	v_mov_b32_e32 v50, v34
	v_pk_add_f32 v[26:27], v[50:51], v[24:25]
	s_mov_b32 s2, 0x33800000
	v_mov_b32_e32 v30, v27
	v_pk_add_f32 v[30:31], v[26:27], v[30:31]
	v_cmp_lt_f32_e64 s[2:3], |v39|, s2
	v_pk_add_f32 v[28:29], v[28:29], v[30:31]
	v_mov_b32_e32 v25, v30
	v_mov_b32_e32 v27, v28
	v_pk_add_f32 v[32:33], v[26:27], v[34:35] neg_lo:[0,1] neg_hi:[0,1]
	s_or_b64 vcc, vcc, s[2:3]
	v_sub_f32_e32 v23, v26, v32
	v_pk_add_f32 v[24:25], v[24:25], v[32:33] neg_lo:[0,1] neg_hi:[0,1]
	v_sub_f32_e32 v23, v34, v23
	v_add_f32_e32 v23, v24, v23
	v_add_f32_e32 v23, v23, v25
	;; [unrolled: 1-line block ×3, first 2 shown]
	v_cndmask_b32_e32 v23, v23, v39, vcc
	v_add_f32_e32 v23, v22, v23
.LBB529_170:
	s_or_b64 exec, exec, s[0:1]
	v_bfe_u32 v22, v23, 16, 1
	v_add3_u32 v22, v23, v22, s48
	v_lshrrev_b32_e32 v22, 16, v22
	v_cmp_o_f32_e32 vcc, v23, v23
	s_nop 1
	v_cndmask_b32_e32 v21, v21, v22, vcc
	v_lshlrev_b32_e32 v23, 16, v21
	v_max_f32_e32 v24, v23, v23
	v_min_f32_e32 v22, v24, v40
	v_cmp_u_f32_e32 vcc, v23, v23
	v_max_f32_e32 v24, v24, v40
	s_nop 0
	v_cndmask_b32_e32 v22, v22, v23, vcc
	v_cndmask_b32_e32 v24, v24, v23, vcc
	v_cndmask_b32_e64 v22, v22, v6, s[80:81]
	v_cndmask_b32_e64 v6, v24, v6, s[80:81]
	v_cmp_neq_f32_e32 vcc, v22, v6
	v_cmp_class_f32_e64 s[0:1], v22, s33
	s_or_b64 s[2:3], vcc, s[0:1]
	s_and_saveexec_b64 s[0:1], s[2:3]
	s_cbranch_execz .LBB529_172
; %bb.171:
	v_sub_f32_e32 v22, v22, v6
	s_mov_b32 s2, 0x3fb8aa3b
	v_mul_f32_e32 v23, 0x3fb8aa3b, v22
	v_fma_f32 v24, v22, s2, -v23
	v_rndne_f32_e32 v25, v23
	v_fmamk_f32 v24, v22, 0x32a5705f, v24
	v_sub_f32_e32 v23, v23, v25
	v_add_f32_e32 v23, v23, v24
	v_exp_f32_e32 v23, v23
	v_cvt_i32_f32_e32 v24, v25
	s_mov_b32 s2, 0xc2ce8ed0
	v_cmp_ngt_f32_e32 vcc, s2, v22
	s_mov_b32 s2, 0x42b17218
	v_ldexp_f32 v23, v23, v24
	v_cndmask_b32_e32 v23, 0, v23, vcc
	v_mov_b32_e32 v24, 0x7f800000
	v_cmp_nlt_f32_e32 vcc, s2, v22
	s_mov_b32 s2, 0x3f2aaaab
	s_mov_b32 s3, 0x7f800000
	v_cndmask_b32_e32 v39, v24, v23, vcc
	v_add_f32_e32 v24, 1.0, v39
	v_add_f32_e32 v22, -1.0, v24
	v_sub_f32_e32 v23, v22, v24
	v_add_f32_e32 v23, 1.0, v23
	v_sub_f32_e32 v22, v39, v22
	v_add_f32_e32 v25, v22, v23
	v_frexp_mant_f32_e32 v26, v24
	v_cvt_f64_f32_e32 v[22:23], v24
	v_frexp_exp_i32_f64_e32 v22, v[22:23]
	v_cmp_gt_f32_e32 vcc, s2, v26
	s_mov_b32 s2, 0x3f317218
	s_nop 0
	v_subbrev_co_u32_e32 v30, vcc, 0, v22, vcc
	v_sub_u32_e32 v22, 0, v30
	v_ldexp_f32 v23, v24, v22
	v_add_f32_e32 v24, -1.0, v23
	v_add_f32_e32 v26, 1.0, v23
	v_ldexp_f32 v22, v25, v22
	v_add_f32_e32 v25, 1.0, v24
	v_add_f32_e32 v27, -1.0, v26
	v_sub_f32_e32 v25, v23, v25
	v_sub_f32_e32 v23, v23, v27
	v_add_f32_e32 v25, v22, v25
	v_add_f32_e32 v22, v22, v23
	;; [unrolled: 1-line block ×3, first 2 shown]
	v_rcp_f32_e32 v33, v31
	v_sub_f32_e32 v23, v26, v31
	v_add_f32_e32 v32, v22, v23
	v_add_f32_e32 v23, v24, v25
	v_mul_f32_e32 v35, v23, v33
	v_sub_f32_e32 v22, v24, v23
	v_mul_f32_e32 v24, v31, v35
	v_fma_f32 v26, v35, v31, -v24
	v_fmac_f32_e32 v26, v35, v32
	v_add_f32_e32 v34, v25, v22
	v_add_f32_e32 v22, v24, v26
	v_sub_f32_e32 v25, v23, v22
	v_pk_add_f32 v[28:29], v[22:23], v[24:25] neg_lo:[0,1] neg_hi:[0,1]
	v_mov_b32_e32 v27, v22
	v_pk_add_f32 v[22:23], v[28:29], v[26:27] neg_lo:[0,1] neg_hi:[0,1]
	v_cmp_eq_f32_e32 vcc, s3, v39
	v_add_f32_e32 v23, v34, v23
	v_add_f32_e32 v22, v22, v23
	;; [unrolled: 1-line block ×3, first 2 shown]
	v_mul_f32_e32 v34, v33, v23
	v_mul_f32_e32 v24, v31, v34
	v_fma_f32 v26, v34, v31, -v24
	v_fmac_f32_e32 v26, v34, v32
	v_sub_f32_e32 v25, v25, v23
	v_add_f32_e32 v31, v22, v25
	v_add_f32_e32 v22, v24, v26
	v_sub_f32_e32 v25, v23, v22
	v_pk_add_f32 v[28:29], v[22:23], v[24:25] neg_lo:[0,1] neg_hi:[0,1]
	v_mov_b32_e32 v27, v22
	v_pk_add_f32 v[22:23], v[28:29], v[26:27] neg_lo:[0,1] neg_hi:[0,1]
	v_cvt_f32_i32_e32 v24, v30
	v_add_f32_e32 v23, v31, v23
	v_add_f32_e32 v22, v22, v23
	;; [unrolled: 1-line block ×4, first 2 shown]
	v_sub_f32_e32 v23, v25, v35
	v_mul_f32_e32 v22, v33, v22
	v_sub_f32_e32 v23, v34, v23
	v_add_f32_e32 v22, v23, v22
	v_add_f32_e32 v26, v25, v22
	v_mul_f32_e32 v28, v26, v26
	v_mov_b32_e32 v23, 0x3ecc95a3
	v_sub_f32_e32 v25, v26, v25
	v_fmac_f32_e32 v23, 0x3e9b6dac, v28
	v_sub_f32_e32 v22, v22, v25
	v_fmaak_f32 v23, v28, v23, 0x3f2aaada
	v_ldexp_f32 v29, v22, 1
	v_mul_f32_e32 v25, v26, v28
	v_mov_b32_e32 v22, 0x3f317218
	v_pk_mul_f32 v[22:23], v[24:25], v[22:23]
	v_ldexp_f32 v27, v26, 1
	v_fma_f32 v25, v24, s2, -v22
	v_fmamk_f32 v26, v24, 0xb102e308, v25
	v_pk_add_f32 v[24:25], v[22:23], v[26:27]
	v_mov_b32_e32 v28, v22
	v_sub_f32_e32 v27, v25, v27
	v_sub_f32_e32 v27, v23, v27
	v_add_f32_e32 v29, v29, v27
	v_pk_add_f32 v[22:23], v[24:25], v[22:23] neg_lo:[0,1] neg_hi:[0,1]
	v_pk_add_f32 v[30:31], v[24:25], v[28:29]
	v_mov_b32_e32 v27, v24
	v_mov_b32_e32 v23, v31
	v_pk_add_f32 v[32:33], v[26:27], v[22:23] neg_lo:[0,1] neg_hi:[0,1]
	v_pk_add_f32 v[22:23], v[26:27], v[22:23]
	v_mov_b32_e32 v28, v29
	v_mov_b32_e32 v26, v23
	v_pk_add_f32 v[34:35], v[26:27], v[24:25] neg_lo:[0,1] neg_hi:[0,1]
	v_mov_b32_e32 v22, v31
	v_mov_b32_e32 v27, v34
	v_pk_add_f32 v[36:37], v[30:31], v[26:27] neg_lo:[0,1] neg_hi:[0,1]
	v_mov_b32_e32 v30, v25
	v_mov_b32_e32 v31, v34
	;; [unrolled: 1-line block ×3, first 2 shown]
	v_pk_add_f32 v[22:23], v[22:23], v[30:31] neg_lo:[0,1] neg_hi:[0,1]
	v_mov_b32_e32 v29, v24
	v_pk_add_f32 v[22:23], v[28:29], v[22:23] neg_lo:[0,1] neg_hi:[0,1]
	v_mov_b32_e32 v36, v32
	v_pk_add_f32 v[24:25], v[36:37], v[22:23]
	s_mov_b32 s2, 0x33800000
	v_mov_b32_e32 v28, v25
	v_pk_add_f32 v[28:29], v[24:25], v[28:29]
	v_cmp_lt_f32_e64 s[2:3], |v39|, s2
	v_pk_add_f32 v[26:27], v[26:27], v[28:29]
	v_mov_b32_e32 v23, v28
	v_mov_b32_e32 v25, v26
	v_pk_add_f32 v[30:31], v[24:25], v[32:33] neg_lo:[0,1] neg_hi:[0,1]
	s_or_b64 vcc, vcc, s[2:3]
	v_sub_f32_e32 v24, v24, v30
	v_pk_add_f32 v[22:23], v[22:23], v[30:31] neg_lo:[0,1] neg_hi:[0,1]
	v_sub_f32_e32 v24, v32, v24
	v_add_f32_e32 v22, v22, v24
	v_add_f32_e32 v22, v22, v23
	;; [unrolled: 1-line block ×3, first 2 shown]
	v_cndmask_b32_e32 v22, v22, v39, vcc
	v_add_f32_e32 v23, v6, v22
.LBB529_172:
	s_or_b64 exec, exec, s[0:1]
	v_bfe_u32 v6, v23, 16, 1
	v_add3_u32 v6, v23, v6, s48
	v_lshrrev_b32_e32 v6, 16, v6
	v_mov_b32_e32 v22, 0x7fc0
	v_cmp_o_f32_e32 vcc, v23, v23
	s_nop 1
	v_cndmask_b32_e32 v6, v22, v6, vcc
	v_lshlrev_b32_e32 v24, 16, v6
	v_max_f32_e32 v23, v24, v24
	v_min_f32_e32 v25, v23, v42
	v_cmp_u_f32_e32 vcc, v24, v24
	v_max_f32_e32 v23, v23, v42
	s_nop 0
	v_cndmask_b32_e32 v25, v25, v24, vcc
	v_cndmask_b32_e32 v23, v23, v24, vcc
	v_cndmask_b32_e64 v25, v25, v38, s[82:83]
	v_cndmask_b32_e64 v23, v23, v38, s[82:83]
	v_cmp_neq_f32_e32 vcc, v25, v23
	v_cmp_class_f32_e64 s[0:1], v25, s33
	s_or_b64 s[2:3], vcc, s[0:1]
	s_and_saveexec_b64 s[0:1], s[2:3]
	s_cbranch_execz .LBB529_174
; %bb.173:
	v_sub_f32_e32 v24, v25, v23
	s_mov_b32 s2, 0x3fb8aa3b
	v_mul_f32_e32 v25, 0x3fb8aa3b, v24
	v_fma_f32 v26, v24, s2, -v25
	v_rndne_f32_e32 v27, v25
	v_fmamk_f32 v26, v24, 0x32a5705f, v26
	v_sub_f32_e32 v25, v25, v27
	v_add_f32_e32 v25, v25, v26
	v_exp_f32_e32 v25, v25
	v_cvt_i32_f32_e32 v26, v27
	s_mov_b32 s2, 0xc2ce8ed0
	v_cmp_ngt_f32_e32 vcc, s2, v24
	s_mov_b32 s2, 0x42b17218
	v_ldexp_f32 v25, v25, v26
	v_cndmask_b32_e32 v25, 0, v25, vcc
	v_mov_b32_e32 v26, 0x7f800000
	v_cmp_nlt_f32_e32 vcc, s2, v24
	s_mov_b32 s2, 0x3f2aaaab
	s_mov_b32 s3, 0x7f800000
	v_cndmask_b32_e32 v40, v26, v25, vcc
	v_add_f32_e32 v26, 1.0, v40
	v_add_f32_e32 v24, -1.0, v26
	v_sub_f32_e32 v25, v24, v26
	v_add_f32_e32 v25, 1.0, v25
	v_sub_f32_e32 v24, v40, v24
	v_add_f32_e32 v27, v24, v25
	v_frexp_mant_f32_e32 v28, v26
	v_cvt_f64_f32_e32 v[24:25], v26
	v_frexp_exp_i32_f64_e32 v24, v[24:25]
	v_cmp_gt_f32_e32 vcc, s2, v28
	s_mov_b32 s2, 0x3f317218
	s_nop 0
	v_subbrev_co_u32_e32 v32, vcc, 0, v24, vcc
	v_sub_u32_e32 v24, 0, v32
	v_ldexp_f32 v25, v26, v24
	v_add_f32_e32 v26, -1.0, v25
	v_add_f32_e32 v28, 1.0, v25
	v_ldexp_f32 v24, v27, v24
	v_add_f32_e32 v27, 1.0, v26
	v_add_f32_e32 v29, -1.0, v28
	v_sub_f32_e32 v27, v25, v27
	v_sub_f32_e32 v25, v25, v29
	v_add_f32_e32 v27, v24, v27
	v_add_f32_e32 v24, v24, v25
	;; [unrolled: 1-line block ×3, first 2 shown]
	v_rcp_f32_e32 v35, v33
	v_sub_f32_e32 v25, v28, v33
	v_add_f32_e32 v34, v24, v25
	v_add_f32_e32 v25, v26, v27
	v_mul_f32_e32 v37, v25, v35
	v_sub_f32_e32 v24, v26, v25
	v_mul_f32_e32 v26, v33, v37
	v_fma_f32 v28, v37, v33, -v26
	v_fmac_f32_e32 v28, v37, v34
	v_add_f32_e32 v36, v27, v24
	v_add_f32_e32 v24, v26, v28
	v_sub_f32_e32 v27, v25, v24
	v_pk_add_f32 v[30:31], v[24:25], v[26:27] neg_lo:[0,1] neg_hi:[0,1]
	v_mov_b32_e32 v29, v24
	v_pk_add_f32 v[24:25], v[30:31], v[28:29] neg_lo:[0,1] neg_hi:[0,1]
	v_cmp_eq_f32_e32 vcc, s3, v40
	v_add_f32_e32 v25, v36, v25
	v_add_f32_e32 v24, v24, v25
	v_add_f32_e32 v25, v27, v24
	v_mul_f32_e32 v36, v35, v25
	v_mul_f32_e32 v26, v33, v36
	v_fma_f32 v28, v36, v33, -v26
	v_fmac_f32_e32 v28, v36, v34
	v_sub_f32_e32 v27, v27, v25
	v_add_f32_e32 v33, v24, v27
	v_add_f32_e32 v24, v26, v28
	v_sub_f32_e32 v27, v25, v24
	v_pk_add_f32 v[30:31], v[24:25], v[26:27] neg_lo:[0,1] neg_hi:[0,1]
	v_mov_b32_e32 v29, v24
	v_pk_add_f32 v[24:25], v[30:31], v[28:29] neg_lo:[0,1] neg_hi:[0,1]
	v_cvt_f32_i32_e32 v26, v32
	v_add_f32_e32 v25, v33, v25
	v_add_f32_e32 v24, v24, v25
	;; [unrolled: 1-line block ×4, first 2 shown]
	v_sub_f32_e32 v25, v27, v37
	v_mul_f32_e32 v24, v35, v24
	v_sub_f32_e32 v25, v36, v25
	v_add_f32_e32 v24, v25, v24
	v_add_f32_e32 v28, v27, v24
	v_mul_f32_e32 v30, v28, v28
	v_mov_b32_e32 v25, 0x3ecc95a3
	v_sub_f32_e32 v27, v28, v27
	v_fmac_f32_e32 v25, 0x3e9b6dac, v30
	v_sub_f32_e32 v24, v24, v27
	v_fmaak_f32 v25, v30, v25, 0x3f2aaada
	v_ldexp_f32 v31, v24, 1
	v_mul_f32_e32 v27, v28, v30
	v_mov_b32_e32 v24, 0x3f317218
	v_pk_mul_f32 v[24:25], v[26:27], v[24:25]
	v_ldexp_f32 v29, v28, 1
	v_fma_f32 v27, v26, s2, -v24
	v_fmamk_f32 v28, v26, 0xb102e308, v27
	v_pk_add_f32 v[26:27], v[24:25], v[28:29]
	v_mov_b32_e32 v30, v24
	v_sub_f32_e32 v29, v27, v29
	v_sub_f32_e32 v29, v25, v29
	v_add_f32_e32 v31, v31, v29
	v_pk_add_f32 v[24:25], v[26:27], v[24:25] neg_lo:[0,1] neg_hi:[0,1]
	v_pk_add_f32 v[32:33], v[26:27], v[30:31]
	v_mov_b32_e32 v29, v26
	v_mov_b32_e32 v25, v33
	v_pk_add_f32 v[34:35], v[28:29], v[24:25] neg_lo:[0,1] neg_hi:[0,1]
	v_pk_add_f32 v[24:25], v[28:29], v[24:25]
	v_mov_b32_e32 v30, v31
	v_mov_b32_e32 v28, v25
	v_pk_add_f32 v[36:37], v[28:29], v[26:27] neg_lo:[0,1] neg_hi:[0,1]
	v_mov_b32_e32 v24, v33
	v_mov_b32_e32 v29, v36
	v_pk_add_f32 v[38:39], v[32:33], v[28:29] neg_lo:[0,1] neg_hi:[0,1]
	v_mov_b32_e32 v32, v27
	v_mov_b32_e32 v33, v36
	;; [unrolled: 1-line block ×3, first 2 shown]
	v_pk_add_f32 v[24:25], v[24:25], v[32:33] neg_lo:[0,1] neg_hi:[0,1]
	v_mov_b32_e32 v31, v26
	v_pk_add_f32 v[24:25], v[30:31], v[24:25] neg_lo:[0,1] neg_hi:[0,1]
	v_mov_b32_e32 v38, v34
	v_pk_add_f32 v[26:27], v[38:39], v[24:25]
	s_mov_b32 s2, 0x33800000
	v_mov_b32_e32 v30, v27
	v_pk_add_f32 v[30:31], v[26:27], v[30:31]
	v_cmp_lt_f32_e64 s[2:3], |v40|, s2
	v_pk_add_f32 v[28:29], v[28:29], v[30:31]
	v_mov_b32_e32 v25, v30
	v_mov_b32_e32 v27, v28
	v_pk_add_f32 v[32:33], v[26:27], v[34:35] neg_lo:[0,1] neg_hi:[0,1]
	s_or_b64 vcc, vcc, s[2:3]
	v_sub_f32_e32 v26, v26, v32
	v_pk_add_f32 v[24:25], v[24:25], v[32:33] neg_lo:[0,1] neg_hi:[0,1]
	v_sub_f32_e32 v26, v34, v26
	v_add_f32_e32 v24, v24, v26
	v_add_f32_e32 v24, v24, v25
	;; [unrolled: 1-line block ×3, first 2 shown]
	v_cndmask_b32_e32 v24, v24, v40, vcc
	v_add_f32_e32 v24, v23, v24
.LBB529_174:
	s_or_b64 exec, exec, s[0:1]
	v_bfe_u32 v23, v24, 16, 1
	v_add3_u32 v23, v24, v23, s48
	v_lshrrev_b32_e32 v23, 16, v23
	v_cmp_o_f32_e32 vcc, v24, v24
	s_nop 1
	v_cndmask_b32_e32 v22, v22, v23, vcc
	v_lshlrev_b32_e32 v24, 16, v22
	v_max_f32_e32 v25, v24, v24
	v_min_f32_e32 v23, v25, v43
	v_cmp_u_f32_e32 vcc, v24, v24
	v_max_f32_e32 v25, v25, v43
	s_nop 0
	v_cndmask_b32_e32 v23, v23, v24, vcc
	v_cndmask_b32_e32 v25, v25, v24, vcc
	v_cndmask_b32_e64 v23, v23, v7, s[84:85]
	v_cndmask_b32_e64 v7, v25, v7, s[84:85]
	v_cmp_neq_f32_e32 vcc, v23, v7
	v_cmp_class_f32_e64 s[0:1], v23, s33
	s_or_b64 s[2:3], vcc, s[0:1]
	s_and_saveexec_b64 s[0:1], s[2:3]
	s_cbranch_execz .LBB529_176
; %bb.175:
	v_sub_f32_e32 v23, v23, v7
	s_mov_b32 s2, 0x3fb8aa3b
	v_mul_f32_e32 v24, 0x3fb8aa3b, v23
	v_fma_f32 v25, v23, s2, -v24
	v_rndne_f32_e32 v26, v24
	v_fmamk_f32 v25, v23, 0x32a5705f, v25
	v_sub_f32_e32 v24, v24, v26
	v_add_f32_e32 v24, v24, v25
	v_exp_f32_e32 v24, v24
	v_cvt_i32_f32_e32 v25, v26
	s_mov_b32 s2, 0xc2ce8ed0
	v_cmp_ngt_f32_e32 vcc, s2, v23
	s_mov_b32 s2, 0x42b17218
	v_ldexp_f32 v24, v24, v25
	v_cndmask_b32_e32 v24, 0, v24, vcc
	v_mov_b32_e32 v25, 0x7f800000
	v_cmp_nlt_f32_e32 vcc, s2, v23
	s_mov_b32 s2, 0x3f2aaaab
	s_mov_b32 s3, 0x7f800000
	v_cndmask_b32_e32 v40, v25, v24, vcc
	v_add_f32_e32 v23, 1.0, v40
	v_add_f32_e32 v24, -1.0, v23
	v_sub_f32_e32 v25, v24, v23
	v_add_f32_e32 v25, 1.0, v25
	v_sub_f32_e32 v24, v40, v24
	v_add_f32_e32 v26, v24, v25
	v_frexp_mant_f32_e32 v27, v23
	v_cvt_f64_f32_e32 v[24:25], v23
	v_frexp_exp_i32_f64_e32 v24, v[24:25]
	v_cmp_gt_f32_e32 vcc, s2, v27
	s_mov_b32 s2, 0x3f317218
	s_nop 0
	v_subbrev_co_u32_e32 v32, vcc, 0, v24, vcc
	v_sub_u32_e32 v24, 0, v32
	v_ldexp_f32 v23, v23, v24
	v_ldexp_f32 v24, v26, v24
	v_add_f32_e32 v26, -1.0, v23
	v_add_f32_e32 v25, 1.0, v26
	v_sub_f32_e32 v25, v23, v25
	v_add_f32_e32 v27, v24, v25
	v_add_f32_e32 v25, 1.0, v23
	v_add_f32_e32 v28, -1.0, v25
	v_sub_f32_e32 v23, v23, v28
	v_add_f32_e32 v23, v24, v23
	v_add_f32_e32 v33, v25, v23
	v_rcp_f32_e32 v34, v33
	v_sub_f32_e32 v24, v25, v33
	v_add_f32_e32 v25, v26, v27
	v_add_f32_e32 v23, v23, v24
	v_mul_f32_e32 v36, v25, v34
	v_sub_f32_e32 v24, v26, v25
	v_mul_f32_e32 v26, v33, v36
	v_fma_f32 v28, v36, v33, -v26
	v_fmac_f32_e32 v28, v36, v23
	v_add_f32_e32 v35, v27, v24
	v_add_f32_e32 v24, v26, v28
	v_sub_f32_e32 v27, v25, v24
	v_pk_add_f32 v[30:31], v[24:25], v[26:27] neg_lo:[0,1] neg_hi:[0,1]
	v_mov_b32_e32 v29, v24
	v_pk_add_f32 v[24:25], v[30:31], v[28:29] neg_lo:[0,1] neg_hi:[0,1]
	v_cmp_eq_f32_e32 vcc, s3, v40
	v_add_f32_e32 v25, v35, v25
	v_add_f32_e32 v24, v24, v25
	;; [unrolled: 1-line block ×3, first 2 shown]
	v_mul_f32_e32 v35, v34, v25
	v_mul_f32_e32 v26, v33, v35
	v_fma_f32 v28, v35, v33, -v26
	v_fmac_f32_e32 v28, v35, v23
	v_sub_f32_e32 v23, v27, v25
	v_add_f32_e32 v23, v24, v23
	v_add_f32_e32 v24, v26, v28
	v_sub_f32_e32 v27, v25, v24
	v_pk_add_f32 v[30:31], v[24:25], v[26:27] neg_lo:[0,1] neg_hi:[0,1]
	v_mov_b32_e32 v29, v24
	v_pk_add_f32 v[24:25], v[30:31], v[28:29] neg_lo:[0,1] neg_hi:[0,1]
	v_cvt_f32_i32_e32 v26, v32
	v_add_f32_e32 v23, v23, v25
	v_add_f32_e32 v23, v24, v23
	;; [unrolled: 1-line block ×4, first 2 shown]
	v_sub_f32_e32 v25, v24, v36
	v_mul_f32_e32 v23, v34, v23
	v_sub_f32_e32 v25, v35, v25
	v_add_f32_e32 v23, v25, v23
	v_add_f32_e32 v27, v24, v23
	v_mul_f32_e32 v28, v27, v27
	v_mov_b32_e32 v25, 0x3ecc95a3
	v_fmac_f32_e32 v25, 0x3e9b6dac, v28
	v_sub_f32_e32 v24, v27, v24
	v_fmaak_f32 v25, v28, v25, 0x3f2aaada
	v_sub_f32_e32 v23, v23, v24
	v_ldexp_f32 v29, v27, 1
	v_mul_f32_e32 v27, v27, v28
	v_mov_b32_e32 v24, 0x3f317218
	v_pk_mul_f32 v[24:25], v[26:27], v[24:25]
	v_ldexp_f32 v23, v23, 1
	v_fma_f32 v27, v26, s2, -v24
	v_fmamk_f32 v28, v26, 0xb102e308, v27
	v_pk_add_f32 v[26:27], v[24:25], v[28:29]
	v_mov_b32_e32 v30, v24
	v_sub_f32_e32 v29, v27, v29
	v_sub_f32_e32 v29, v25, v29
	v_add_f32_e32 v31, v23, v29
	v_pk_add_f32 v[24:25], v[26:27], v[24:25] neg_lo:[0,1] neg_hi:[0,1]
	v_pk_add_f32 v[32:33], v[26:27], v[30:31]
	v_mov_b32_e32 v29, v26
	v_mov_b32_e32 v25, v33
	v_pk_add_f32 v[34:35], v[28:29], v[24:25] neg_lo:[0,1] neg_hi:[0,1]
	v_pk_add_f32 v[24:25], v[28:29], v[24:25]
	v_mov_b32_e32 v30, v31
	v_mov_b32_e32 v28, v25
	v_pk_add_f32 v[36:37], v[28:29], v[26:27] neg_lo:[0,1] neg_hi:[0,1]
	v_mov_b32_e32 v24, v33
	v_mov_b32_e32 v23, v36
	v_pk_add_f32 v[38:39], v[32:33], v[22:23] neg_lo:[0,1] neg_hi:[0,1]
	v_mov_b32_e32 v32, v27
	v_mov_b32_e32 v33, v36
	;; [unrolled: 1-line block ×3, first 2 shown]
	v_pk_add_f32 v[24:25], v[24:25], v[32:33] neg_lo:[0,1] neg_hi:[0,1]
	v_mov_b32_e32 v31, v26
	v_pk_add_f32 v[24:25], v[30:31], v[24:25] neg_lo:[0,1] neg_hi:[0,1]
	v_mov_b32_e32 v38, v34
	v_pk_add_f32 v[26:27], v[38:39], v[24:25]
	s_mov_b32 s2, 0x33800000
	v_mov_b32_e32 v30, v27
	v_pk_add_f32 v[30:31], v[26:27], v[30:31]
	v_cmp_lt_f32_e64 s[2:3], |v40|, s2
	v_pk_add_f32 v[28:29], v[28:29], v[30:31]
	v_mov_b32_e32 v25, v30
	v_mov_b32_e32 v27, v28
	v_pk_add_f32 v[32:33], v[26:27], v[34:35] neg_lo:[0,1] neg_hi:[0,1]
	s_or_b64 vcc, vcc, s[2:3]
	v_sub_f32_e32 v23, v26, v32
	v_pk_add_f32 v[24:25], v[24:25], v[32:33] neg_lo:[0,1] neg_hi:[0,1]
	v_sub_f32_e32 v23, v34, v23
	v_add_f32_e32 v23, v24, v23
	v_add_f32_e32 v23, v23, v25
	;; [unrolled: 1-line block ×3, first 2 shown]
	v_cndmask_b32_e32 v23, v23, v40, vcc
	v_add_f32_e32 v24, v7, v23
.LBB529_176:
	s_or_b64 exec, exec, s[0:1]
	v_bfe_u32 v7, v24, 16, 1
	v_add3_u32 v7, v24, v7, s48
	v_lshrrev_b32_e32 v7, 16, v7
	v_mov_b32_e32 v23, 0x7fc0
	v_cmp_o_f32_e32 vcc, v24, v24
	s_nop 1
	v_cndmask_b32_e32 v7, v23, v7, vcc
	v_lshlrev_b32_e32 v25, 16, v7
	v_max_f32_e32 v24, v25, v25
	v_min_f32_e32 v26, v24, v45
	v_cmp_u_f32_e32 vcc, v25, v25
	v_max_f32_e32 v24, v24, v45
	s_nop 0
	v_cndmask_b32_e32 v26, v26, v25, vcc
	v_cndmask_b32_e32 v24, v24, v25, vcc
	v_cndmask_b32_e64 v26, v26, v41, s[86:87]
	v_cndmask_b32_e64 v24, v24, v41, s[86:87]
	v_cmp_neq_f32_e32 vcc, v26, v24
	v_cmp_class_f32_e64 s[0:1], v26, s33
	s_or_b64 s[2:3], vcc, s[0:1]
	s_and_saveexec_b64 s[0:1], s[2:3]
	s_cbranch_execz .LBB529_178
; %bb.177:
	v_sub_f32_e32 v25, v26, v24
	s_mov_b32 s2, 0x3fb8aa3b
	v_mul_f32_e32 v26, 0x3fb8aa3b, v25
	v_fma_f32 v27, v25, s2, -v26
	v_rndne_f32_e32 v28, v26
	v_fmamk_f32 v27, v25, 0x32a5705f, v27
	v_sub_f32_e32 v26, v26, v28
	v_add_f32_e32 v26, v26, v27
	v_exp_f32_e32 v26, v26
	v_cvt_i32_f32_e32 v27, v28
	s_mov_b32 s2, 0xc2ce8ed0
	v_cmp_ngt_f32_e32 vcc, s2, v25
	s_mov_b32 s2, 0x42b17218
	v_ldexp_f32 v26, v26, v27
	v_cndmask_b32_e32 v26, 0, v26, vcc
	v_mov_b32_e32 v27, 0x7f800000
	v_cmp_nlt_f32_e32 vcc, s2, v25
	s_mov_b32 s2, 0x3f2aaaab
	s_mov_b32 s3, 0x7f800000
	v_cndmask_b32_e32 v42, v27, v26, vcc
	v_add_f32_e32 v25, 1.0, v42
	v_add_f32_e32 v26, -1.0, v25
	v_sub_f32_e32 v27, v26, v25
	v_add_f32_e32 v27, 1.0, v27
	v_sub_f32_e32 v26, v42, v26
	v_add_f32_e32 v28, v26, v27
	v_frexp_mant_f32_e32 v29, v25
	v_cvt_f64_f32_e32 v[26:27], v25
	v_frexp_exp_i32_f64_e32 v26, v[26:27]
	v_cmp_gt_f32_e32 vcc, s2, v29
	s_mov_b32 s2, 0x3f317218
	s_nop 0
	v_subbrev_co_u32_e32 v34, vcc, 0, v26, vcc
	v_sub_u32_e32 v26, 0, v34
	v_ldexp_f32 v25, v25, v26
	v_ldexp_f32 v26, v28, v26
	v_add_f32_e32 v28, -1.0, v25
	v_add_f32_e32 v27, 1.0, v28
	v_sub_f32_e32 v27, v25, v27
	v_add_f32_e32 v29, v26, v27
	v_add_f32_e32 v27, 1.0, v25
	v_add_f32_e32 v30, -1.0, v27
	v_sub_f32_e32 v25, v25, v30
	v_add_f32_e32 v25, v26, v25
	v_add_f32_e32 v35, v27, v25
	v_rcp_f32_e32 v36, v35
	v_sub_f32_e32 v26, v27, v35
	v_add_f32_e32 v27, v28, v29
	v_add_f32_e32 v25, v25, v26
	v_mul_f32_e32 v38, v27, v36
	v_sub_f32_e32 v26, v28, v27
	v_mul_f32_e32 v28, v35, v38
	v_fma_f32 v30, v38, v35, -v28
	v_fmac_f32_e32 v30, v38, v25
	v_add_f32_e32 v37, v29, v26
	v_add_f32_e32 v26, v28, v30
	v_sub_f32_e32 v29, v27, v26
	v_pk_add_f32 v[32:33], v[26:27], v[28:29] neg_lo:[0,1] neg_hi:[0,1]
	v_mov_b32_e32 v31, v26
	v_pk_add_f32 v[26:27], v[32:33], v[30:31] neg_lo:[0,1] neg_hi:[0,1]
	v_cmp_eq_f32_e32 vcc, s3, v42
	v_add_f32_e32 v27, v37, v27
	v_add_f32_e32 v26, v26, v27
	v_add_f32_e32 v27, v29, v26
	v_mul_f32_e32 v37, v36, v27
	v_mul_f32_e32 v28, v35, v37
	v_fma_f32 v30, v37, v35, -v28
	v_fmac_f32_e32 v30, v37, v25
	v_sub_f32_e32 v25, v29, v27
	v_add_f32_e32 v25, v26, v25
	v_add_f32_e32 v26, v28, v30
	v_sub_f32_e32 v29, v27, v26
	v_pk_add_f32 v[32:33], v[26:27], v[28:29] neg_lo:[0,1] neg_hi:[0,1]
	v_mov_b32_e32 v31, v26
	v_pk_add_f32 v[26:27], v[32:33], v[30:31] neg_lo:[0,1] neg_hi:[0,1]
	v_cvt_f32_i32_e32 v28, v34
	v_add_f32_e32 v25, v25, v27
	v_add_f32_e32 v25, v26, v25
	;; [unrolled: 1-line block ×4, first 2 shown]
	v_sub_f32_e32 v27, v26, v38
	v_mul_f32_e32 v25, v36, v25
	v_sub_f32_e32 v27, v37, v27
	v_add_f32_e32 v25, v27, v25
	v_add_f32_e32 v29, v26, v25
	v_mul_f32_e32 v30, v29, v29
	v_mov_b32_e32 v27, 0x3ecc95a3
	v_fmac_f32_e32 v27, 0x3e9b6dac, v30
	v_sub_f32_e32 v26, v29, v26
	v_fmaak_f32 v27, v30, v27, 0x3f2aaada
	v_sub_f32_e32 v25, v25, v26
	v_ldexp_f32 v31, v29, 1
	v_mul_f32_e32 v29, v29, v30
	v_mov_b32_e32 v26, 0x3f317218
	v_pk_mul_f32 v[26:27], v[28:29], v[26:27]
	v_ldexp_f32 v25, v25, 1
	v_fma_f32 v29, v28, s2, -v26
	v_fmamk_f32 v30, v28, 0xb102e308, v29
	v_pk_add_f32 v[28:29], v[26:27], v[30:31]
	v_mov_b32_e32 v32, v26
	v_sub_f32_e32 v31, v29, v31
	v_sub_f32_e32 v31, v27, v31
	v_add_f32_e32 v33, v25, v31
	v_pk_add_f32 v[26:27], v[28:29], v[26:27] neg_lo:[0,1] neg_hi:[0,1]
	v_pk_add_f32 v[34:35], v[28:29], v[32:33]
	v_mov_b32_e32 v31, v28
	v_mov_b32_e32 v27, v35
	v_pk_add_f32 v[36:37], v[30:31], v[26:27] neg_lo:[0,1] neg_hi:[0,1]
	v_pk_add_f32 v[26:27], v[30:31], v[26:27]
	v_mov_b32_e32 v32, v33
	v_mov_b32_e32 v30, v27
	v_pk_add_f32 v[38:39], v[30:31], v[28:29] neg_lo:[0,1] neg_hi:[0,1]
	v_mov_b32_e32 v26, v35
	v_mov_b32_e32 v25, v38
	v_pk_add_f32 v[40:41], v[34:35], v[24:25] neg_lo:[0,1] neg_hi:[0,1]
	v_mov_b32_e32 v34, v29
	v_mov_b32_e32 v35, v38
	;; [unrolled: 1-line block ×3, first 2 shown]
	v_pk_add_f32 v[26:27], v[26:27], v[34:35] neg_lo:[0,1] neg_hi:[0,1]
	v_mov_b32_e32 v33, v28
	v_pk_add_f32 v[26:27], v[32:33], v[26:27] neg_lo:[0,1] neg_hi:[0,1]
	v_mov_b32_e32 v40, v36
	v_pk_add_f32 v[28:29], v[40:41], v[26:27]
	s_mov_b32 s2, 0x33800000
	v_mov_b32_e32 v32, v29
	v_pk_add_f32 v[32:33], v[28:29], v[32:33]
	v_cmp_lt_f32_e64 s[2:3], |v42|, s2
	v_pk_add_f32 v[30:31], v[30:31], v[32:33]
	v_mov_b32_e32 v27, v32
	v_mov_b32_e32 v29, v30
	v_pk_add_f32 v[34:35], v[28:29], v[36:37] neg_lo:[0,1] neg_hi:[0,1]
	s_or_b64 vcc, vcc, s[2:3]
	v_sub_f32_e32 v25, v28, v34
	v_pk_add_f32 v[26:27], v[26:27], v[34:35] neg_lo:[0,1] neg_hi:[0,1]
	v_sub_f32_e32 v25, v36, v25
	v_add_f32_e32 v25, v26, v25
	v_add_f32_e32 v25, v25, v27
	;; [unrolled: 1-line block ×3, first 2 shown]
	v_cndmask_b32_e32 v25, v25, v42, vcc
	v_add_f32_e32 v25, v24, v25
.LBB529_178:
	s_or_b64 exec, exec, s[0:1]
	v_bfe_u32 v24, v25, 16, 1
	v_add3_u32 v24, v25, v24, s48
	v_lshrrev_b32_e32 v24, 16, v24
	v_cmp_o_f32_e32 vcc, v25, v25
	s_nop 1
	v_cndmask_b32_e32 v23, v23, v24, vcc
	v_lshlrev_b32_e32 v25, 16, v23
	v_max_f32_e32 v26, v25, v25
	v_min_f32_e32 v24, v26, v46
	v_cmp_u_f32_e32 vcc, v25, v25
	v_max_f32_e32 v26, v26, v46
	s_nop 0
	v_cndmask_b32_e32 v24, v24, v25, vcc
	v_cndmask_b32_e32 v26, v26, v25, vcc
	v_cndmask_b32_e64 v24, v24, v8, s[88:89]
	v_cndmask_b32_e64 v8, v26, v8, s[88:89]
	v_cmp_neq_f32_e32 vcc, v24, v8
	v_cmp_class_f32_e64 s[0:1], v24, s33
	s_or_b64 s[2:3], vcc, s[0:1]
	s_and_saveexec_b64 s[0:1], s[2:3]
	s_cbranch_execz .LBB529_180
; %bb.179:
	v_sub_f32_e32 v24, v24, v8
	s_mov_b32 s2, 0x3fb8aa3b
	v_mul_f32_e32 v25, 0x3fb8aa3b, v24
	v_fma_f32 v26, v24, s2, -v25
	v_rndne_f32_e32 v27, v25
	v_fmamk_f32 v26, v24, 0x32a5705f, v26
	v_sub_f32_e32 v25, v25, v27
	v_add_f32_e32 v25, v25, v26
	v_exp_f32_e32 v25, v25
	v_cvt_i32_f32_e32 v26, v27
	s_mov_b32 s2, 0xc2ce8ed0
	v_cmp_ngt_f32_e32 vcc, s2, v24
	s_mov_b32 s2, 0x42b17218
	v_ldexp_f32 v25, v25, v26
	v_cndmask_b32_e32 v25, 0, v25, vcc
	v_mov_b32_e32 v26, 0x7f800000
	v_cmp_nlt_f32_e32 vcc, s2, v24
	s_mov_b32 s2, 0x3f2aaaab
	s_mov_b32 s3, 0x7f800000
	v_cndmask_b32_e32 v40, v26, v25, vcc
	v_add_f32_e32 v26, 1.0, v40
	v_add_f32_e32 v24, -1.0, v26
	v_sub_f32_e32 v25, v24, v26
	v_add_f32_e32 v25, 1.0, v25
	v_sub_f32_e32 v24, v40, v24
	v_add_f32_e32 v27, v24, v25
	v_frexp_mant_f32_e32 v28, v26
	v_cvt_f64_f32_e32 v[24:25], v26
	v_frexp_exp_i32_f64_e32 v24, v[24:25]
	v_cmp_gt_f32_e32 vcc, s2, v28
	s_mov_b32 s2, 0x3f317218
	s_nop 0
	v_subbrev_co_u32_e32 v32, vcc, 0, v24, vcc
	v_sub_u32_e32 v24, 0, v32
	v_ldexp_f32 v25, v26, v24
	v_add_f32_e32 v26, -1.0, v25
	v_add_f32_e32 v28, 1.0, v25
	v_ldexp_f32 v24, v27, v24
	v_add_f32_e32 v27, 1.0, v26
	v_add_f32_e32 v29, -1.0, v28
	v_sub_f32_e32 v27, v25, v27
	v_sub_f32_e32 v25, v25, v29
	v_add_f32_e32 v27, v24, v27
	v_add_f32_e32 v24, v24, v25
	v_add_f32_e32 v33, v28, v24
	v_rcp_f32_e32 v35, v33
	v_sub_f32_e32 v25, v28, v33
	v_add_f32_e32 v34, v24, v25
	v_add_f32_e32 v25, v26, v27
	v_mul_f32_e32 v37, v25, v35
	v_sub_f32_e32 v24, v26, v25
	v_mul_f32_e32 v26, v33, v37
	v_fma_f32 v28, v37, v33, -v26
	v_fmac_f32_e32 v28, v37, v34
	v_add_f32_e32 v36, v27, v24
	v_add_f32_e32 v24, v26, v28
	v_sub_f32_e32 v27, v25, v24
	v_pk_add_f32 v[30:31], v[24:25], v[26:27] neg_lo:[0,1] neg_hi:[0,1]
	v_mov_b32_e32 v29, v24
	v_pk_add_f32 v[24:25], v[30:31], v[28:29] neg_lo:[0,1] neg_hi:[0,1]
	v_cmp_eq_f32_e32 vcc, s3, v40
	v_add_f32_e32 v25, v36, v25
	v_add_f32_e32 v24, v24, v25
	;; [unrolled: 1-line block ×3, first 2 shown]
	v_mul_f32_e32 v36, v35, v25
	v_mul_f32_e32 v26, v33, v36
	v_fma_f32 v28, v36, v33, -v26
	v_fmac_f32_e32 v28, v36, v34
	v_sub_f32_e32 v27, v27, v25
	v_add_f32_e32 v33, v24, v27
	v_add_f32_e32 v24, v26, v28
	v_sub_f32_e32 v27, v25, v24
	v_pk_add_f32 v[30:31], v[24:25], v[26:27] neg_lo:[0,1] neg_hi:[0,1]
	v_mov_b32_e32 v29, v24
	v_pk_add_f32 v[24:25], v[30:31], v[28:29] neg_lo:[0,1] neg_hi:[0,1]
	v_cvt_f32_i32_e32 v26, v32
	v_add_f32_e32 v25, v33, v25
	v_add_f32_e32 v24, v24, v25
	;; [unrolled: 1-line block ×4, first 2 shown]
	v_sub_f32_e32 v25, v27, v37
	v_mul_f32_e32 v24, v35, v24
	v_sub_f32_e32 v25, v36, v25
	v_add_f32_e32 v24, v25, v24
	v_add_f32_e32 v28, v27, v24
	v_mul_f32_e32 v30, v28, v28
	v_mov_b32_e32 v25, 0x3ecc95a3
	v_sub_f32_e32 v27, v28, v27
	v_fmac_f32_e32 v25, 0x3e9b6dac, v30
	v_sub_f32_e32 v24, v24, v27
	v_fmaak_f32 v25, v30, v25, 0x3f2aaada
	v_ldexp_f32 v31, v24, 1
	v_mul_f32_e32 v27, v28, v30
	v_mov_b32_e32 v24, 0x3f317218
	v_pk_mul_f32 v[24:25], v[26:27], v[24:25]
	v_ldexp_f32 v29, v28, 1
	v_fma_f32 v27, v26, s2, -v24
	v_fmamk_f32 v28, v26, 0xb102e308, v27
	v_pk_add_f32 v[26:27], v[24:25], v[28:29]
	v_mov_b32_e32 v30, v24
	v_sub_f32_e32 v29, v27, v29
	v_sub_f32_e32 v29, v25, v29
	v_add_f32_e32 v31, v31, v29
	v_pk_add_f32 v[24:25], v[26:27], v[24:25] neg_lo:[0,1] neg_hi:[0,1]
	v_pk_add_f32 v[32:33], v[26:27], v[30:31]
	v_mov_b32_e32 v29, v26
	v_mov_b32_e32 v25, v33
	v_pk_add_f32 v[34:35], v[28:29], v[24:25] neg_lo:[0,1] neg_hi:[0,1]
	v_pk_add_f32 v[24:25], v[28:29], v[24:25]
	v_mov_b32_e32 v30, v31
	v_mov_b32_e32 v28, v25
	v_pk_add_f32 v[36:37], v[28:29], v[26:27] neg_lo:[0,1] neg_hi:[0,1]
	v_mov_b32_e32 v24, v33
	v_mov_b32_e32 v29, v36
	v_pk_add_f32 v[38:39], v[32:33], v[28:29] neg_lo:[0,1] neg_hi:[0,1]
	v_mov_b32_e32 v32, v27
	v_mov_b32_e32 v33, v36
	;; [unrolled: 1-line block ×3, first 2 shown]
	v_pk_add_f32 v[24:25], v[24:25], v[32:33] neg_lo:[0,1] neg_hi:[0,1]
	v_mov_b32_e32 v31, v26
	v_pk_add_f32 v[24:25], v[30:31], v[24:25] neg_lo:[0,1] neg_hi:[0,1]
	v_mov_b32_e32 v38, v34
	v_pk_add_f32 v[26:27], v[38:39], v[24:25]
	s_mov_b32 s2, 0x33800000
	v_mov_b32_e32 v30, v27
	v_pk_add_f32 v[30:31], v[26:27], v[30:31]
	v_cmp_lt_f32_e64 s[2:3], |v40|, s2
	v_pk_add_f32 v[28:29], v[28:29], v[30:31]
	v_mov_b32_e32 v25, v30
	v_mov_b32_e32 v27, v28
	v_pk_add_f32 v[32:33], v[26:27], v[34:35] neg_lo:[0,1] neg_hi:[0,1]
	s_or_b64 vcc, vcc, s[2:3]
	v_sub_f32_e32 v26, v26, v32
	v_pk_add_f32 v[24:25], v[24:25], v[32:33] neg_lo:[0,1] neg_hi:[0,1]
	v_sub_f32_e32 v26, v34, v26
	v_add_f32_e32 v24, v24, v26
	v_add_f32_e32 v24, v24, v25
	;; [unrolled: 1-line block ×3, first 2 shown]
	v_cndmask_b32_e32 v24, v24, v40, vcc
	v_add_f32_e32 v25, v8, v24
.LBB529_180:
	s_or_b64 exec, exec, s[0:1]
	v_bfe_u32 v8, v25, 16, 1
	v_add3_u32 v8, v25, v8, s48
	v_lshrrev_b32_e32 v8, 16, v8
	v_mov_b32_e32 v24, 0x7fc0
	v_cmp_o_f32_e32 vcc, v25, v25
	s_nop 1
	v_cndmask_b32_e32 v8, v24, v8, vcc
	v_lshlrev_b32_e32 v26, 16, v8
	v_max_f32_e32 v25, v26, v26
	v_min_f32_e32 v27, v25, v47
	v_cmp_u_f32_e32 vcc, v26, v26
	v_max_f32_e32 v25, v25, v47
	s_nop 0
	v_cndmask_b32_e32 v27, v27, v26, vcc
	v_cndmask_b32_e32 v25, v25, v26, vcc
	v_cndmask_b32_e64 v27, v27, v44, s[90:91]
	v_cndmask_b32_e64 v25, v25, v44, s[90:91]
	v_cmp_neq_f32_e32 vcc, v27, v25
	v_cmp_class_f32_e64 s[0:1], v27, s33
	s_or_b64 s[2:3], vcc, s[0:1]
	s_and_saveexec_b64 s[0:1], s[2:3]
	s_cbranch_execz .LBB529_182
; %bb.181:
	v_sub_f32_e32 v26, v27, v25
	s_mov_b32 s2, 0x3fb8aa3b
	v_mul_f32_e32 v27, 0x3fb8aa3b, v26
	v_fma_f32 v28, v26, s2, -v27
	v_rndne_f32_e32 v29, v27
	v_fmamk_f32 v28, v26, 0x32a5705f, v28
	v_sub_f32_e32 v27, v27, v29
	v_add_f32_e32 v27, v27, v28
	v_exp_f32_e32 v27, v27
	v_cvt_i32_f32_e32 v28, v29
	s_mov_b32 s2, 0xc2ce8ed0
	v_cmp_ngt_f32_e32 vcc, s2, v26
	s_mov_b32 s2, 0x42b17218
	v_ldexp_f32 v27, v27, v28
	v_cndmask_b32_e32 v27, 0, v27, vcc
	v_mov_b32_e32 v28, 0x7f800000
	v_cmp_nlt_f32_e32 vcc, s2, v26
	s_mov_b32 s2, 0x3f2aaaab
	s_mov_b32 s3, 0x7f800000
	v_cndmask_b32_e32 v42, v28, v27, vcc
	v_add_f32_e32 v28, 1.0, v42
	v_add_f32_e32 v26, -1.0, v28
	v_sub_f32_e32 v27, v26, v28
	v_add_f32_e32 v27, 1.0, v27
	v_sub_f32_e32 v26, v42, v26
	v_add_f32_e32 v29, v26, v27
	v_frexp_mant_f32_e32 v30, v28
	v_cvt_f64_f32_e32 v[26:27], v28
	v_frexp_exp_i32_f64_e32 v26, v[26:27]
	v_cmp_gt_f32_e32 vcc, s2, v30
	s_mov_b32 s2, 0x3f317218
	s_nop 0
	v_subbrev_co_u32_e32 v34, vcc, 0, v26, vcc
	v_sub_u32_e32 v26, 0, v34
	v_ldexp_f32 v27, v28, v26
	v_add_f32_e32 v28, -1.0, v27
	v_add_f32_e32 v30, 1.0, v27
	v_ldexp_f32 v26, v29, v26
	v_add_f32_e32 v29, 1.0, v28
	v_add_f32_e32 v31, -1.0, v30
	v_sub_f32_e32 v29, v27, v29
	v_sub_f32_e32 v27, v27, v31
	v_add_f32_e32 v29, v26, v29
	v_add_f32_e32 v26, v26, v27
	;; [unrolled: 1-line block ×3, first 2 shown]
	v_rcp_f32_e32 v37, v35
	v_sub_f32_e32 v27, v30, v35
	v_add_f32_e32 v36, v26, v27
	v_add_f32_e32 v27, v28, v29
	v_mul_f32_e32 v39, v27, v37
	v_sub_f32_e32 v26, v28, v27
	v_mul_f32_e32 v28, v35, v39
	v_fma_f32 v30, v39, v35, -v28
	v_fmac_f32_e32 v30, v39, v36
	v_add_f32_e32 v38, v29, v26
	v_add_f32_e32 v26, v28, v30
	v_sub_f32_e32 v29, v27, v26
	v_pk_add_f32 v[32:33], v[26:27], v[28:29] neg_lo:[0,1] neg_hi:[0,1]
	v_mov_b32_e32 v31, v26
	v_pk_add_f32 v[26:27], v[32:33], v[30:31] neg_lo:[0,1] neg_hi:[0,1]
	v_cmp_eq_f32_e32 vcc, s3, v42
	v_add_f32_e32 v27, v38, v27
	v_add_f32_e32 v26, v26, v27
	;; [unrolled: 1-line block ×3, first 2 shown]
	v_mul_f32_e32 v38, v37, v27
	v_mul_f32_e32 v28, v35, v38
	v_fma_f32 v30, v38, v35, -v28
	v_fmac_f32_e32 v30, v38, v36
	v_sub_f32_e32 v29, v29, v27
	v_add_f32_e32 v35, v26, v29
	v_add_f32_e32 v26, v28, v30
	v_sub_f32_e32 v29, v27, v26
	v_pk_add_f32 v[32:33], v[26:27], v[28:29] neg_lo:[0,1] neg_hi:[0,1]
	v_mov_b32_e32 v31, v26
	v_pk_add_f32 v[26:27], v[32:33], v[30:31] neg_lo:[0,1] neg_hi:[0,1]
	v_cvt_f32_i32_e32 v28, v34
	v_add_f32_e32 v27, v35, v27
	v_add_f32_e32 v26, v26, v27
	;; [unrolled: 1-line block ×4, first 2 shown]
	v_sub_f32_e32 v27, v29, v39
	v_mul_f32_e32 v26, v37, v26
	v_sub_f32_e32 v27, v38, v27
	v_add_f32_e32 v26, v27, v26
	v_add_f32_e32 v30, v29, v26
	v_mul_f32_e32 v32, v30, v30
	v_mov_b32_e32 v27, 0x3ecc95a3
	v_sub_f32_e32 v29, v30, v29
	v_fmac_f32_e32 v27, 0x3e9b6dac, v32
	v_sub_f32_e32 v26, v26, v29
	v_fmaak_f32 v27, v32, v27, 0x3f2aaada
	v_ldexp_f32 v33, v26, 1
	v_mul_f32_e32 v29, v30, v32
	v_mov_b32_e32 v26, 0x3f317218
	v_pk_mul_f32 v[26:27], v[28:29], v[26:27]
	v_ldexp_f32 v31, v30, 1
	v_fma_f32 v29, v28, s2, -v26
	v_fmamk_f32 v30, v28, 0xb102e308, v29
	v_pk_add_f32 v[28:29], v[26:27], v[30:31]
	v_mov_b32_e32 v32, v26
	v_sub_f32_e32 v31, v29, v31
	v_sub_f32_e32 v31, v27, v31
	v_add_f32_e32 v33, v33, v31
	v_pk_add_f32 v[26:27], v[28:29], v[26:27] neg_lo:[0,1] neg_hi:[0,1]
	v_pk_add_f32 v[34:35], v[28:29], v[32:33]
	v_mov_b32_e32 v31, v28
	v_mov_b32_e32 v27, v35
	v_pk_add_f32 v[36:37], v[30:31], v[26:27] neg_lo:[0,1] neg_hi:[0,1]
	v_pk_add_f32 v[26:27], v[30:31], v[26:27]
	v_mov_b32_e32 v32, v33
	v_mov_b32_e32 v30, v27
	v_pk_add_f32 v[38:39], v[30:31], v[28:29] neg_lo:[0,1] neg_hi:[0,1]
	v_mov_b32_e32 v26, v35
	v_mov_b32_e32 v31, v38
	v_pk_add_f32 v[40:41], v[34:35], v[30:31] neg_lo:[0,1] neg_hi:[0,1]
	v_mov_b32_e32 v34, v29
	v_mov_b32_e32 v35, v38
	;; [unrolled: 1-line block ×3, first 2 shown]
	v_pk_add_f32 v[26:27], v[26:27], v[34:35] neg_lo:[0,1] neg_hi:[0,1]
	v_mov_b32_e32 v33, v28
	v_pk_add_f32 v[26:27], v[32:33], v[26:27] neg_lo:[0,1] neg_hi:[0,1]
	v_mov_b32_e32 v40, v36
	v_pk_add_f32 v[28:29], v[40:41], v[26:27]
	s_mov_b32 s2, 0x33800000
	v_mov_b32_e32 v32, v29
	v_pk_add_f32 v[32:33], v[28:29], v[32:33]
	v_cmp_lt_f32_e64 s[2:3], |v42|, s2
	v_pk_add_f32 v[30:31], v[30:31], v[32:33]
	v_mov_b32_e32 v27, v32
	v_mov_b32_e32 v29, v30
	v_pk_add_f32 v[34:35], v[28:29], v[36:37] neg_lo:[0,1] neg_hi:[0,1]
	s_or_b64 vcc, vcc, s[2:3]
	v_sub_f32_e32 v28, v28, v34
	v_pk_add_f32 v[26:27], v[26:27], v[34:35] neg_lo:[0,1] neg_hi:[0,1]
	v_sub_f32_e32 v28, v36, v28
	v_add_f32_e32 v26, v26, v28
	v_add_f32_e32 v26, v26, v27
	;; [unrolled: 1-line block ×3, first 2 shown]
	v_cndmask_b32_e32 v26, v26, v42, vcc
	v_add_f32_e32 v26, v25, v26
.LBB529_182:
	s_or_b64 exec, exec, s[0:1]
	v_bfe_u32 v25, v26, 16, 1
	v_add3_u32 v25, v26, v25, s48
	v_lshrrev_b32_e32 v25, 16, v25
	v_cmp_o_f32_e32 vcc, v26, v26
	s_movk_i32 s0, 0x1f8
	s_nop 0
	v_cndmask_b32_e32 v24, v24, v25, vcc
	v_lshlrev_b32_e32 v25, 16, v24
	v_max_f32_e32 v27, v25, v25
	v_min_f32_e32 v26, v27, v48
	v_cmp_u_f32_e32 vcc, v25, v25
	v_max_f32_e32 v27, v27, v48
	s_nop 0
	v_cndmask_b32_e32 v26, v26, v25, vcc
	v_cndmask_b32_e32 v27, v27, v25, vcc
	v_cndmask_b32_e64 v26, v26, v9, s[92:93]
	v_cndmask_b32_e64 v9, v27, v9, s[92:93]
	v_cmp_neq_f32_e32 vcc, v26, v9
	v_cmp_class_f32_e64 s[0:1], v26, s0
	s_or_b64 s[2:3], vcc, s[0:1]
	s_and_saveexec_b64 s[0:1], s[2:3]
	s_cbranch_execz .LBB529_184
; %bb.183:
	v_sub_f32_e32 v25, v26, v9
	s_mov_b32 s2, 0x3fb8aa3b
	v_mul_f32_e32 v26, 0x3fb8aa3b, v25
	v_fma_f32 v27, v25, s2, -v26
	v_rndne_f32_e32 v28, v26
	v_fmamk_f32 v27, v25, 0x32a5705f, v27
	v_sub_f32_e32 v26, v26, v28
	v_add_f32_e32 v26, v26, v27
	v_exp_f32_e32 v26, v26
	v_cvt_i32_f32_e32 v27, v28
	s_mov_b32 s2, 0xc2ce8ed0
	v_cmp_ngt_f32_e32 vcc, s2, v25
	s_mov_b32 s2, 0x42b17218
	v_ldexp_f32 v26, v26, v27
	v_cndmask_b32_e32 v26, 0, v26, vcc
	v_mov_b32_e32 v27, 0x7f800000
	v_cmp_nlt_f32_e32 vcc, s2, v25
	s_mov_b32 s2, 0x3f2aaaab
	s_mov_b32 s3, 0x7f800000
	v_cndmask_b32_e32 v42, v27, v26, vcc
	v_add_f32_e32 v25, 1.0, v42
	v_add_f32_e32 v26, -1.0, v25
	v_sub_f32_e32 v27, v26, v25
	v_add_f32_e32 v27, 1.0, v27
	v_sub_f32_e32 v26, v42, v26
	v_add_f32_e32 v28, v26, v27
	v_frexp_mant_f32_e32 v29, v25
	v_cvt_f64_f32_e32 v[26:27], v25
	v_frexp_exp_i32_f64_e32 v26, v[26:27]
	v_cmp_gt_f32_e32 vcc, s2, v29
	s_mov_b32 s2, 0x3f317218
	s_nop 0
	v_subbrev_co_u32_e32 v34, vcc, 0, v26, vcc
	v_sub_u32_e32 v26, 0, v34
	v_ldexp_f32 v25, v25, v26
	v_ldexp_f32 v26, v28, v26
	v_add_f32_e32 v28, -1.0, v25
	v_add_f32_e32 v27, 1.0, v28
	v_sub_f32_e32 v27, v25, v27
	v_add_f32_e32 v29, v26, v27
	v_add_f32_e32 v27, 1.0, v25
	v_add_f32_e32 v30, -1.0, v27
	v_sub_f32_e32 v25, v25, v30
	v_add_f32_e32 v25, v26, v25
	v_add_f32_e32 v35, v27, v25
	v_rcp_f32_e32 v36, v35
	v_sub_f32_e32 v26, v27, v35
	v_add_f32_e32 v27, v28, v29
	v_add_f32_e32 v25, v25, v26
	v_mul_f32_e32 v38, v27, v36
	v_sub_f32_e32 v26, v28, v27
	v_mul_f32_e32 v28, v35, v38
	v_fma_f32 v30, v38, v35, -v28
	v_fmac_f32_e32 v30, v38, v25
	v_add_f32_e32 v37, v29, v26
	v_add_f32_e32 v26, v28, v30
	v_sub_f32_e32 v29, v27, v26
	v_pk_add_f32 v[32:33], v[26:27], v[28:29] neg_lo:[0,1] neg_hi:[0,1]
	v_mov_b32_e32 v31, v26
	v_pk_add_f32 v[26:27], v[32:33], v[30:31] neg_lo:[0,1] neg_hi:[0,1]
	v_cmp_eq_f32_e32 vcc, s3, v42
	v_add_f32_e32 v27, v37, v27
	v_add_f32_e32 v26, v26, v27
	;; [unrolled: 1-line block ×3, first 2 shown]
	v_mul_f32_e32 v37, v36, v27
	v_mul_f32_e32 v28, v35, v37
	v_fma_f32 v30, v37, v35, -v28
	v_fmac_f32_e32 v30, v37, v25
	v_sub_f32_e32 v25, v29, v27
	v_add_f32_e32 v25, v26, v25
	v_add_f32_e32 v26, v28, v30
	v_sub_f32_e32 v29, v27, v26
	v_pk_add_f32 v[32:33], v[26:27], v[28:29] neg_lo:[0,1] neg_hi:[0,1]
	v_mov_b32_e32 v31, v26
	v_pk_add_f32 v[26:27], v[32:33], v[30:31] neg_lo:[0,1] neg_hi:[0,1]
	v_cvt_f32_i32_e32 v28, v34
	v_add_f32_e32 v25, v25, v27
	v_add_f32_e32 v25, v26, v25
	;; [unrolled: 1-line block ×4, first 2 shown]
	v_sub_f32_e32 v27, v26, v38
	v_mul_f32_e32 v25, v36, v25
	v_sub_f32_e32 v27, v37, v27
	v_add_f32_e32 v25, v27, v25
	v_add_f32_e32 v29, v26, v25
	v_mul_f32_e32 v30, v29, v29
	v_mov_b32_e32 v27, 0x3ecc95a3
	v_fmac_f32_e32 v27, 0x3e9b6dac, v30
	v_sub_f32_e32 v26, v29, v26
	v_fmaak_f32 v27, v30, v27, 0x3f2aaada
	v_sub_f32_e32 v25, v25, v26
	v_ldexp_f32 v31, v29, 1
	v_mul_f32_e32 v29, v29, v30
	v_mov_b32_e32 v26, 0x3f317218
	v_pk_mul_f32 v[26:27], v[28:29], v[26:27]
	v_ldexp_f32 v25, v25, 1
	v_fma_f32 v29, v28, s2, -v26
	v_fmamk_f32 v30, v28, 0xb102e308, v29
	v_pk_add_f32 v[28:29], v[26:27], v[30:31]
	v_mov_b32_e32 v32, v26
	v_sub_f32_e32 v31, v29, v31
	v_sub_f32_e32 v31, v27, v31
	v_add_f32_e32 v33, v25, v31
	v_pk_add_f32 v[26:27], v[28:29], v[26:27] neg_lo:[0,1] neg_hi:[0,1]
	v_pk_add_f32 v[34:35], v[28:29], v[32:33]
	v_mov_b32_e32 v31, v28
	v_mov_b32_e32 v27, v35
	v_pk_add_f32 v[36:37], v[30:31], v[26:27] neg_lo:[0,1] neg_hi:[0,1]
	v_pk_add_f32 v[26:27], v[30:31], v[26:27]
	v_mov_b32_e32 v32, v33
	v_mov_b32_e32 v30, v27
	v_pk_add_f32 v[38:39], v[30:31], v[28:29] neg_lo:[0,1] neg_hi:[0,1]
	v_mov_b32_e32 v26, v35
	v_mov_b32_e32 v25, v38
	v_pk_add_f32 v[40:41], v[34:35], v[24:25] neg_lo:[0,1] neg_hi:[0,1]
	v_mov_b32_e32 v34, v29
	v_mov_b32_e32 v35, v38
	;; [unrolled: 1-line block ×3, first 2 shown]
	v_pk_add_f32 v[26:27], v[26:27], v[34:35] neg_lo:[0,1] neg_hi:[0,1]
	v_mov_b32_e32 v33, v28
	v_pk_add_f32 v[26:27], v[32:33], v[26:27] neg_lo:[0,1] neg_hi:[0,1]
	v_mov_b32_e32 v40, v36
	v_pk_add_f32 v[28:29], v[40:41], v[26:27]
	s_mov_b32 s2, 0x33800000
	v_mov_b32_e32 v32, v29
	v_pk_add_f32 v[32:33], v[28:29], v[32:33]
	v_cmp_lt_f32_e64 s[2:3], |v42|, s2
	v_pk_add_f32 v[30:31], v[30:31], v[32:33]
	v_mov_b32_e32 v27, v32
	v_mov_b32_e32 v29, v30
	v_pk_add_f32 v[34:35], v[28:29], v[36:37] neg_lo:[0,1] neg_hi:[0,1]
	s_or_b64 vcc, vcc, s[2:3]
	v_sub_f32_e32 v25, v28, v34
	v_pk_add_f32 v[26:27], v[26:27], v[34:35] neg_lo:[0,1] neg_hi:[0,1]
	v_sub_f32_e32 v25, v36, v25
	v_add_f32_e32 v25, v26, v25
	v_add_f32_e32 v25, v25, v27
	;; [unrolled: 1-line block ×3, first 2 shown]
	v_cndmask_b32_e32 v25, v25, v42, vcc
	v_add_f32_e32 v25, v9, v25
.LBB529_184:
	s_or_b64 exec, exec, s[0:1]
	v_bfe_u32 v9, v25, 16, 1
	s_movk_i32 s0, 0x7fff
	v_add3_u32 v9, v25, v9, s0
	s_mov_b32 s0, 0x5040100
	v_lshrrev_b32_e32 v9, 16, v9
	v_mov_b32_e32 v26, 0x7fc0
	v_cmp_o_f32_e32 vcc, v25, v25
	v_add_u32_e32 v25, v14, v53
	v_perm_b32 v5, v5, v16, s0
	v_perm_b32 v4, v4, v15, s0
	;; [unrolled: 1-line block ×4, first 2 shown]
	v_cndmask_b32_e32 v9, v26, v9, vcc
	s_waitcnt lgkmcnt(0)
	s_barrier
	ds_write_b128 v25, v[2:5]
	v_perm_b32 v3, v13, v20, s0
	v_perm_b32 v2, v12, v19, s0
	;; [unrolled: 1-line block ×4, first 2 shown]
	ds_write_b128 v25, v[0:3] offset:16
	v_perm_b32 v2, v8, v23, s0
	v_perm_b32 v1, v7, v22, s0
	;; [unrolled: 1-line block ×4, first 2 shown]
	ds_write_b128 v25, v[0:3] offset:32
	s_waitcnt lgkmcnt(0)
	s_barrier
	ds_read_u16 v26, v14 offset:512
	ds_read_u16 v25, v14 offset:1024
	;; [unrolled: 1-line block ×23, first 2 shown]
	v_readlane_b32 s0, v77, 6
	v_mov_b32_e32 v15, 0
	v_readlane_b32 s1, v77, 7
	s_nop 1
	v_lshl_add_u64 v[0:1], s[0:1], 0, v[14:15]
	s_mov_b64 s[0:1], exec
	v_readlane_b32 s2, v77, 0
	v_readlane_b32 s3, v77, 1
	s_and_b64 s[2:3], s[0:1], s[2:3]
	s_mov_b64 exec, s[2:3]
	s_cbranch_execz .LBB529_186
; %bb.185:
	ds_read_u16 v14, v14
	s_waitcnt lgkmcnt(0)
	global_store_short v[0:1], v14, off
.LBB529_186:
	s_or_b64 exec, exec, s[0:1]
	s_mov_b64 s[0:1], exec
	v_readlane_b32 s2, v77, 2
	v_readlane_b32 s3, v77, 3
	s_and_b64 s[2:3], s[0:1], s[2:3]
	s_mov_b64 exec, s[2:3]
	s_cbranch_execz .LBB529_188
; %bb.187:
	s_waitcnt lgkmcnt(14)
	global_store_short v[0:1], v26, off offset:512
.LBB529_188:
	s_or_b64 exec, exec, s[0:1]
	s_mov_b64 s[0:1], exec
	v_readlane_b32 s2, v77, 4
	v_readlane_b32 s3, v77, 5
	s_and_b64 s[2:3], s[0:1], s[2:3]
	s_mov_b64 exec, s[2:3]
	s_cbranch_execnz .LBB529_211
; %bb.189:
	s_or_b64 exec, exec, s[0:1]
	s_and_saveexec_b64 s[0:1], s[4:5]
	s_cbranch_execnz .LBB529_212
.LBB529_190:
	s_or_b64 exec, exec, s[0:1]
	s_and_saveexec_b64 s[0:1], s[6:7]
	s_cbranch_execnz .LBB529_213
.LBB529_191:
	s_or_b64 exec, exec, s[0:1]
	s_and_saveexec_b64 s[0:1], s[8:9]
	s_cbranch_execnz .LBB529_214
.LBB529_192:
	s_or_b64 exec, exec, s[0:1]
	s_and_saveexec_b64 s[0:1], s[10:11]
	s_cbranch_execnz .LBB529_215
.LBB529_193:
	s_or_b64 exec, exec, s[0:1]
	s_and_saveexec_b64 s[0:1], s[12:13]
	s_cbranch_execnz .LBB529_216
.LBB529_194:
	s_or_b64 exec, exec, s[0:1]
	s_and_saveexec_b64 s[0:1], s[14:15]
	s_cbranch_execnz .LBB529_217
.LBB529_195:
	s_or_b64 exec, exec, s[0:1]
	s_and_saveexec_b64 s[0:1], s[16:17]
	s_cbranch_execnz .LBB529_218
.LBB529_196:
	s_or_b64 exec, exec, s[0:1]
	s_and_saveexec_b64 s[0:1], s[18:19]
	s_cbranch_execnz .LBB529_219
.LBB529_197:
	s_or_b64 exec, exec, s[0:1]
	s_and_saveexec_b64 s[0:1], s[20:21]
	s_cbranch_execnz .LBB529_220
.LBB529_198:
	s_or_b64 exec, exec, s[0:1]
	s_and_saveexec_b64 s[0:1], s[22:23]
	s_cbranch_execnz .LBB529_221
.LBB529_199:
	s_or_b64 exec, exec, s[0:1]
	s_and_saveexec_b64 s[0:1], s[24:25]
	s_cbranch_execnz .LBB529_222
.LBB529_200:
	s_or_b64 exec, exec, s[0:1]
	s_and_saveexec_b64 s[0:1], s[26:27]
	s_cbranch_execnz .LBB529_223
.LBB529_201:
	s_or_b64 exec, exec, s[0:1]
	s_and_saveexec_b64 s[0:1], s[28:29]
	s_cbranch_execnz .LBB529_224
.LBB529_202:
	s_or_b64 exec, exec, s[0:1]
	s_and_saveexec_b64 s[0:1], s[30:31]
	s_cbranch_execnz .LBB529_225
.LBB529_203:
	s_or_b64 exec, exec, s[0:1]
	s_and_saveexec_b64 s[0:1], s[34:35]
	s_cbranch_execnz .LBB529_226
.LBB529_204:
	s_or_b64 exec, exec, s[0:1]
	s_and_saveexec_b64 s[0:1], s[36:37]
	s_cbranch_execnz .LBB529_227
.LBB529_205:
	s_or_b64 exec, exec, s[0:1]
	s_and_saveexec_b64 s[0:1], s[38:39]
	s_cbranch_execnz .LBB529_228
.LBB529_206:
	s_or_b64 exec, exec, s[0:1]
	s_and_saveexec_b64 s[0:1], s[40:41]
	s_cbranch_execnz .LBB529_229
.LBB529_207:
	s_or_b64 exec, exec, s[0:1]
	s_and_saveexec_b64 s[0:1], s[42:43]
	s_cbranch_execnz .LBB529_230
.LBB529_208:
	s_or_b64 exec, exec, s[0:1]
	s_and_saveexec_b64 s[0:1], s[44:45]
	s_cbranch_execnz .LBB529_231
.LBB529_209:
	s_or_b64 exec, exec, s[0:1]
	s_and_saveexec_b64 s[0:1], s[46:47]
	s_cbranch_execnz .LBB529_232
.LBB529_210:
	s_endpgm
.LBB529_211:
	s_waitcnt lgkmcnt(14)
	global_store_short v[0:1], v25, off offset:1024
	s_or_b64 exec, exec, s[0:1]
	s_and_saveexec_b64 s[0:1], s[4:5]
	s_cbranch_execz .LBB529_190
.LBB529_212:
	s_waitcnt lgkmcnt(14)
	global_store_short v[0:1], v24, off offset:1536
	s_or_b64 exec, exec, s[0:1]
	s_and_saveexec_b64 s[0:1], s[6:7]
	s_cbranch_execz .LBB529_191
.LBB529_213:
	s_waitcnt lgkmcnt(14)
	global_store_short v[0:1], v23, off offset:2048
	s_or_b64 exec, exec, s[0:1]
	s_and_saveexec_b64 s[0:1], s[8:9]
	s_cbranch_execz .LBB529_192
.LBB529_214:
	s_waitcnt lgkmcnt(14)
	global_store_short v[0:1], v22, off offset:2560
	s_or_b64 exec, exec, s[0:1]
	s_and_saveexec_b64 s[0:1], s[10:11]
	s_cbranch_execz .LBB529_193
.LBB529_215:
	s_waitcnt lgkmcnt(14)
	global_store_short v[0:1], v21, off offset:3072
	s_or_b64 exec, exec, s[0:1]
	s_and_saveexec_b64 s[0:1], s[12:13]
	s_cbranch_execz .LBB529_194
.LBB529_216:
	s_waitcnt lgkmcnt(14)
	global_store_short v[0:1], v20, off offset:3584
	s_or_b64 exec, exec, s[0:1]
	s_and_saveexec_b64 s[0:1], s[14:15]
	s_cbranch_execz .LBB529_195
.LBB529_217:
	v_add_co_u32_e32 v14, vcc, 0x1000, v0
	s_nop 1
	v_addc_co_u32_e32 v15, vcc, 0, v1, vcc
	s_waitcnt lgkmcnt(14)
	global_store_short v[14:15], v19, off
	s_or_b64 exec, exec, s[0:1]
	s_and_saveexec_b64 s[0:1], s[16:17]
	s_cbranch_execz .LBB529_196
.LBB529_218:
	v_add_co_u32_e32 v14, vcc, 0x1000, v0
	s_nop 1
	v_addc_co_u32_e32 v15, vcc, 0, v1, vcc
	s_waitcnt lgkmcnt(14)
	global_store_short v[14:15], v18, off offset:512
	s_or_b64 exec, exec, s[0:1]
	s_and_saveexec_b64 s[0:1], s[18:19]
	s_cbranch_execz .LBB529_197
.LBB529_219:
	v_add_co_u32_e32 v14, vcc, 0x1000, v0
	s_nop 1
	v_addc_co_u32_e32 v15, vcc, 0, v1, vcc
	s_waitcnt lgkmcnt(13)
	global_store_short v[14:15], v17, off offset:1024
	s_or_b64 exec, exec, s[0:1]
	s_and_saveexec_b64 s[0:1], s[20:21]
	s_cbranch_execz .LBB529_198
.LBB529_220:
	v_add_co_u32_e32 v14, vcc, 0x1000, v0
	s_nop 1
	v_addc_co_u32_e32 v15, vcc, 0, v1, vcc
	s_waitcnt lgkmcnt(12)
	global_store_short v[14:15], v16, off offset:1536
	s_or_b64 exec, exec, s[0:1]
	s_and_saveexec_b64 s[0:1], s[22:23]
	s_cbranch_execz .LBB529_199
.LBB529_221:
	v_add_co_u32_e32 v14, vcc, 0x1000, v0
	s_nop 1
	v_addc_co_u32_e32 v15, vcc, 0, v1, vcc
	s_waitcnt lgkmcnt(11)
	global_store_short v[14:15], v13, off offset:2048
	s_or_b64 exec, exec, s[0:1]
	s_and_saveexec_b64 s[0:1], s[24:25]
	s_cbranch_execz .LBB529_200
.LBB529_222:
	v_add_co_u32_e32 v14, vcc, 0x1000, v0
	s_nop 1
	v_addc_co_u32_e32 v15, vcc, 0, v1, vcc
	s_waitcnt lgkmcnt(10)
	global_store_short v[14:15], v12, off offset:2560
	s_or_b64 exec, exec, s[0:1]
	s_and_saveexec_b64 s[0:1], s[26:27]
	s_cbranch_execz .LBB529_201
.LBB529_223:
	s_waitcnt lgkmcnt(10)
	v_add_co_u32_e32 v12, vcc, 0x1000, v0
	s_nop 1
	v_addc_co_u32_e32 v13, vcc, 0, v1, vcc
	s_waitcnt lgkmcnt(9)
	global_store_short v[12:13], v11, off offset:3072
	s_or_b64 exec, exec, s[0:1]
	s_and_saveexec_b64 s[0:1], s[28:29]
	s_cbranch_execz .LBB529_202
.LBB529_224:
	s_waitcnt lgkmcnt(10)
	v_add_co_u32_e32 v12, vcc, 0x1000, v0
	s_nop 1
	v_addc_co_u32_e32 v13, vcc, 0, v1, vcc
	s_waitcnt lgkmcnt(8)
	global_store_short v[12:13], v10, off offset:3584
	s_or_b64 exec, exec, s[0:1]
	s_and_saveexec_b64 s[0:1], s[30:31]
	s_cbranch_execz .LBB529_203
.LBB529_225:
	s_waitcnt lgkmcnt(8)
	v_add_co_u32_e32 v10, vcc, 0x2000, v0
	s_nop 1
	v_addc_co_u32_e32 v11, vcc, 0, v1, vcc
	s_waitcnt lgkmcnt(7)
	global_store_short v[10:11], v9, off
	s_or_b64 exec, exec, s[0:1]
	s_and_saveexec_b64 s[0:1], s[34:35]
	s_cbranch_execz .LBB529_204
.LBB529_226:
	s_waitcnt lgkmcnt(8)
	v_add_co_u32_e32 v10, vcc, 0x2000, v0
	s_nop 1
	v_addc_co_u32_e32 v11, vcc, 0, v1, vcc
	s_waitcnt lgkmcnt(6)
	global_store_short v[10:11], v8, off offset:512
	s_or_b64 exec, exec, s[0:1]
	s_and_saveexec_b64 s[0:1], s[36:37]
	s_cbranch_execz .LBB529_205
.LBB529_227:
	s_waitcnt lgkmcnt(6)
	v_add_co_u32_e32 v8, vcc, 0x2000, v0
	s_nop 1
	v_addc_co_u32_e32 v9, vcc, 0, v1, vcc
	s_waitcnt lgkmcnt(5)
	global_store_short v[8:9], v7, off offset:1024
	s_or_b64 exec, exec, s[0:1]
	s_and_saveexec_b64 s[0:1], s[38:39]
	s_cbranch_execz .LBB529_206
.LBB529_228:
	s_waitcnt lgkmcnt(6)
	v_add_co_u32_e32 v8, vcc, 0x2000, v0
	s_nop 1
	v_addc_co_u32_e32 v9, vcc, 0, v1, vcc
	s_waitcnt lgkmcnt(4)
	global_store_short v[8:9], v6, off offset:1536
	s_or_b64 exec, exec, s[0:1]
	s_and_saveexec_b64 s[0:1], s[40:41]
	s_cbranch_execz .LBB529_207
.LBB529_229:
	s_waitcnt lgkmcnt(4)
	v_add_co_u32_e32 v6, vcc, 0x2000, v0
	s_nop 1
	v_addc_co_u32_e32 v7, vcc, 0, v1, vcc
	s_waitcnt lgkmcnt(3)
	global_store_short v[6:7], v5, off offset:2048
	s_or_b64 exec, exec, s[0:1]
	s_and_saveexec_b64 s[0:1], s[42:43]
	s_cbranch_execz .LBB529_208
.LBB529_230:
	s_waitcnt lgkmcnt(4)
	v_add_co_u32_e32 v6, vcc, 0x2000, v0
	s_nop 1
	v_addc_co_u32_e32 v7, vcc, 0, v1, vcc
	s_waitcnt lgkmcnt(2)
	global_store_short v[6:7], v4, off offset:2560
	s_or_b64 exec, exec, s[0:1]
	s_and_saveexec_b64 s[0:1], s[44:45]
	s_cbranch_execz .LBB529_209
.LBB529_231:
	s_waitcnt lgkmcnt(2)
	v_add_co_u32_e32 v4, vcc, 0x2000, v0
	s_nop 1
	v_addc_co_u32_e32 v5, vcc, 0, v1, vcc
	s_waitcnt lgkmcnt(1)
	global_store_short v[4:5], v3, off offset:3072
	s_or_b64 exec, exec, s[0:1]
	s_and_saveexec_b64 s[0:1], s[46:47]
	s_cbranch_execz .LBB529_210
.LBB529_232:
	v_add_co_u32_e32 v0, vcc, 0x2000, v0
	s_nop 1
	v_addc_co_u32_e32 v1, vcc, 0, v1, vcc
	s_waitcnt lgkmcnt(0)
	global_store_short v[0:1], v2, off offset:3584
	s_endpgm
	.section	.rodata,"a",@progbits
	.p2align	6, 0x0
	.amdhsa_kernel _ZN7rocprim17ROCPRIM_400000_NS6detail17trampoline_kernelINS0_14default_configENS1_20scan_config_selectorIN3c108BFloat16EEEZZNS1_9scan_implILNS1_25lookback_scan_determinismE0ELb0ELb0ES3_PKS6_PS6_S6_ZZZN2at6native31launch_logcumsumexp_cuda_kernelERKNSD_10TensorBaseESH_lENKUlvE_clEvENKUlvE4_clEvEUlS6_S6_E_S6_EEDaPvRmT3_T4_T5_mT6_P12ihipStream_tbENKUlT_T0_E_clISt17integral_constantIbLb0EESX_IbLb1EEEEDaST_SU_EUlST_E0_NS1_11comp_targetILNS1_3genE5ELNS1_11target_archE942ELNS1_3gpuE9ELNS1_3repE0EEENS1_30default_config_static_selectorELNS0_4arch9wavefront6targetE1EEEvT1_
		.amdhsa_group_segment_fixed_size 12288
		.amdhsa_private_segment_fixed_size 0
		.amdhsa_kernarg_size 32
		.amdhsa_user_sgpr_count 2
		.amdhsa_user_sgpr_dispatch_ptr 0
		.amdhsa_user_sgpr_queue_ptr 0
		.amdhsa_user_sgpr_kernarg_segment_ptr 1
		.amdhsa_user_sgpr_dispatch_id 0
		.amdhsa_user_sgpr_kernarg_preload_length 0
		.amdhsa_user_sgpr_kernarg_preload_offset 0
		.amdhsa_user_sgpr_private_segment_size 0
		.amdhsa_uses_dynamic_stack 0
		.amdhsa_enable_private_segment 0
		.amdhsa_system_sgpr_workgroup_id_x 1
		.amdhsa_system_sgpr_workgroup_id_y 0
		.amdhsa_system_sgpr_workgroup_id_z 0
		.amdhsa_system_sgpr_workgroup_info 0
		.amdhsa_system_vgpr_workitem_id 0
		.amdhsa_next_free_vgpr 78
		.amdhsa_next_free_sgpr 100
		.amdhsa_accum_offset 80
		.amdhsa_reserve_vcc 1
		.amdhsa_float_round_mode_32 0
		.amdhsa_float_round_mode_16_64 0
		.amdhsa_float_denorm_mode_32 3
		.amdhsa_float_denorm_mode_16_64 3
		.amdhsa_dx10_clamp 1
		.amdhsa_ieee_mode 1
		.amdhsa_fp16_overflow 0
		.amdhsa_tg_split 0
		.amdhsa_exception_fp_ieee_invalid_op 0
		.amdhsa_exception_fp_denorm_src 0
		.amdhsa_exception_fp_ieee_div_zero 0
		.amdhsa_exception_fp_ieee_overflow 0
		.amdhsa_exception_fp_ieee_underflow 0
		.amdhsa_exception_fp_ieee_inexact 0
		.amdhsa_exception_int_div_zero 0
	.end_amdhsa_kernel
	.section	.text._ZN7rocprim17ROCPRIM_400000_NS6detail17trampoline_kernelINS0_14default_configENS1_20scan_config_selectorIN3c108BFloat16EEEZZNS1_9scan_implILNS1_25lookback_scan_determinismE0ELb0ELb0ES3_PKS6_PS6_S6_ZZZN2at6native31launch_logcumsumexp_cuda_kernelERKNSD_10TensorBaseESH_lENKUlvE_clEvENKUlvE4_clEvEUlS6_S6_E_S6_EEDaPvRmT3_T4_T5_mT6_P12ihipStream_tbENKUlT_T0_E_clISt17integral_constantIbLb0EESX_IbLb1EEEEDaST_SU_EUlST_E0_NS1_11comp_targetILNS1_3genE5ELNS1_11target_archE942ELNS1_3gpuE9ELNS1_3repE0EEENS1_30default_config_static_selectorELNS0_4arch9wavefront6targetE1EEEvT1_,"axG",@progbits,_ZN7rocprim17ROCPRIM_400000_NS6detail17trampoline_kernelINS0_14default_configENS1_20scan_config_selectorIN3c108BFloat16EEEZZNS1_9scan_implILNS1_25lookback_scan_determinismE0ELb0ELb0ES3_PKS6_PS6_S6_ZZZN2at6native31launch_logcumsumexp_cuda_kernelERKNSD_10TensorBaseESH_lENKUlvE_clEvENKUlvE4_clEvEUlS6_S6_E_S6_EEDaPvRmT3_T4_T5_mT6_P12ihipStream_tbENKUlT_T0_E_clISt17integral_constantIbLb0EESX_IbLb1EEEEDaST_SU_EUlST_E0_NS1_11comp_targetILNS1_3genE5ELNS1_11target_archE942ELNS1_3gpuE9ELNS1_3repE0EEENS1_30default_config_static_selectorELNS0_4arch9wavefront6targetE1EEEvT1_,comdat
.Lfunc_end529:
	.size	_ZN7rocprim17ROCPRIM_400000_NS6detail17trampoline_kernelINS0_14default_configENS1_20scan_config_selectorIN3c108BFloat16EEEZZNS1_9scan_implILNS1_25lookback_scan_determinismE0ELb0ELb0ES3_PKS6_PS6_S6_ZZZN2at6native31launch_logcumsumexp_cuda_kernelERKNSD_10TensorBaseESH_lENKUlvE_clEvENKUlvE4_clEvEUlS6_S6_E_S6_EEDaPvRmT3_T4_T5_mT6_P12ihipStream_tbENKUlT_T0_E_clISt17integral_constantIbLb0EESX_IbLb1EEEEDaST_SU_EUlST_E0_NS1_11comp_targetILNS1_3genE5ELNS1_11target_archE942ELNS1_3gpuE9ELNS1_3repE0EEENS1_30default_config_static_selectorELNS0_4arch9wavefront6targetE1EEEvT1_, .Lfunc_end529-_ZN7rocprim17ROCPRIM_400000_NS6detail17trampoline_kernelINS0_14default_configENS1_20scan_config_selectorIN3c108BFloat16EEEZZNS1_9scan_implILNS1_25lookback_scan_determinismE0ELb0ELb0ES3_PKS6_PS6_S6_ZZZN2at6native31launch_logcumsumexp_cuda_kernelERKNSD_10TensorBaseESH_lENKUlvE_clEvENKUlvE4_clEvEUlS6_S6_E_S6_EEDaPvRmT3_T4_T5_mT6_P12ihipStream_tbENKUlT_T0_E_clISt17integral_constantIbLb0EESX_IbLb1EEEEDaST_SU_EUlST_E0_NS1_11comp_targetILNS1_3genE5ELNS1_11target_archE942ELNS1_3gpuE9ELNS1_3repE0EEENS1_30default_config_static_selectorELNS0_4arch9wavefront6targetE1EEEvT1_
                                        ; -- End function
	.section	.AMDGPU.csdata,"",@progbits
; Kernel info:
; codeLenInByte = 52992
; NumSgprs: 106
; NumVgprs: 78
; NumAgprs: 0
; TotalNumVgprs: 78
; ScratchSize: 0
; MemoryBound: 0
; FloatMode: 240
; IeeeMode: 1
; LDSByteSize: 12288 bytes/workgroup (compile time only)
; SGPRBlocks: 13
; VGPRBlocks: 9
; NumSGPRsForWavesPerEU: 106
; NumVGPRsForWavesPerEU: 78
; AccumOffset: 80
; Occupancy: 5
; WaveLimiterHint : 0
; COMPUTE_PGM_RSRC2:SCRATCH_EN: 0
; COMPUTE_PGM_RSRC2:USER_SGPR: 2
; COMPUTE_PGM_RSRC2:TRAP_HANDLER: 0
; COMPUTE_PGM_RSRC2:TGID_X_EN: 1
; COMPUTE_PGM_RSRC2:TGID_Y_EN: 0
; COMPUTE_PGM_RSRC2:TGID_Z_EN: 0
; COMPUTE_PGM_RSRC2:TIDIG_COMP_CNT: 0
; COMPUTE_PGM_RSRC3_GFX90A:ACCUM_OFFSET: 19
; COMPUTE_PGM_RSRC3_GFX90A:TG_SPLIT: 0
	.section	.text._ZN7rocprim17ROCPRIM_400000_NS6detail17trampoline_kernelINS0_14default_configENS1_20scan_config_selectorIN3c108BFloat16EEEZZNS1_9scan_implILNS1_25lookback_scan_determinismE0ELb0ELb0ES3_PKS6_PS6_S6_ZZZN2at6native31launch_logcumsumexp_cuda_kernelERKNSD_10TensorBaseESH_lENKUlvE_clEvENKUlvE4_clEvEUlS6_S6_E_S6_EEDaPvRmT3_T4_T5_mT6_P12ihipStream_tbENKUlT_T0_E_clISt17integral_constantIbLb0EESX_IbLb1EEEEDaST_SU_EUlST_E0_NS1_11comp_targetILNS1_3genE4ELNS1_11target_archE910ELNS1_3gpuE8ELNS1_3repE0EEENS1_30default_config_static_selectorELNS0_4arch9wavefront6targetE1EEEvT1_,"axG",@progbits,_ZN7rocprim17ROCPRIM_400000_NS6detail17trampoline_kernelINS0_14default_configENS1_20scan_config_selectorIN3c108BFloat16EEEZZNS1_9scan_implILNS1_25lookback_scan_determinismE0ELb0ELb0ES3_PKS6_PS6_S6_ZZZN2at6native31launch_logcumsumexp_cuda_kernelERKNSD_10TensorBaseESH_lENKUlvE_clEvENKUlvE4_clEvEUlS6_S6_E_S6_EEDaPvRmT3_T4_T5_mT6_P12ihipStream_tbENKUlT_T0_E_clISt17integral_constantIbLb0EESX_IbLb1EEEEDaST_SU_EUlST_E0_NS1_11comp_targetILNS1_3genE4ELNS1_11target_archE910ELNS1_3gpuE8ELNS1_3repE0EEENS1_30default_config_static_selectorELNS0_4arch9wavefront6targetE1EEEvT1_,comdat
	.globl	_ZN7rocprim17ROCPRIM_400000_NS6detail17trampoline_kernelINS0_14default_configENS1_20scan_config_selectorIN3c108BFloat16EEEZZNS1_9scan_implILNS1_25lookback_scan_determinismE0ELb0ELb0ES3_PKS6_PS6_S6_ZZZN2at6native31launch_logcumsumexp_cuda_kernelERKNSD_10TensorBaseESH_lENKUlvE_clEvENKUlvE4_clEvEUlS6_S6_E_S6_EEDaPvRmT3_T4_T5_mT6_P12ihipStream_tbENKUlT_T0_E_clISt17integral_constantIbLb0EESX_IbLb1EEEEDaST_SU_EUlST_E0_NS1_11comp_targetILNS1_3genE4ELNS1_11target_archE910ELNS1_3gpuE8ELNS1_3repE0EEENS1_30default_config_static_selectorELNS0_4arch9wavefront6targetE1EEEvT1_ ; -- Begin function _ZN7rocprim17ROCPRIM_400000_NS6detail17trampoline_kernelINS0_14default_configENS1_20scan_config_selectorIN3c108BFloat16EEEZZNS1_9scan_implILNS1_25lookback_scan_determinismE0ELb0ELb0ES3_PKS6_PS6_S6_ZZZN2at6native31launch_logcumsumexp_cuda_kernelERKNSD_10TensorBaseESH_lENKUlvE_clEvENKUlvE4_clEvEUlS6_S6_E_S6_EEDaPvRmT3_T4_T5_mT6_P12ihipStream_tbENKUlT_T0_E_clISt17integral_constantIbLb0EESX_IbLb1EEEEDaST_SU_EUlST_E0_NS1_11comp_targetILNS1_3genE4ELNS1_11target_archE910ELNS1_3gpuE8ELNS1_3repE0EEENS1_30default_config_static_selectorELNS0_4arch9wavefront6targetE1EEEvT1_
	.p2align	8
	.type	_ZN7rocprim17ROCPRIM_400000_NS6detail17trampoline_kernelINS0_14default_configENS1_20scan_config_selectorIN3c108BFloat16EEEZZNS1_9scan_implILNS1_25lookback_scan_determinismE0ELb0ELb0ES3_PKS6_PS6_S6_ZZZN2at6native31launch_logcumsumexp_cuda_kernelERKNSD_10TensorBaseESH_lENKUlvE_clEvENKUlvE4_clEvEUlS6_S6_E_S6_EEDaPvRmT3_T4_T5_mT6_P12ihipStream_tbENKUlT_T0_E_clISt17integral_constantIbLb0EESX_IbLb1EEEEDaST_SU_EUlST_E0_NS1_11comp_targetILNS1_3genE4ELNS1_11target_archE910ELNS1_3gpuE8ELNS1_3repE0EEENS1_30default_config_static_selectorELNS0_4arch9wavefront6targetE1EEEvT1_,@function
_ZN7rocprim17ROCPRIM_400000_NS6detail17trampoline_kernelINS0_14default_configENS1_20scan_config_selectorIN3c108BFloat16EEEZZNS1_9scan_implILNS1_25lookback_scan_determinismE0ELb0ELb0ES3_PKS6_PS6_S6_ZZZN2at6native31launch_logcumsumexp_cuda_kernelERKNSD_10TensorBaseESH_lENKUlvE_clEvENKUlvE4_clEvEUlS6_S6_E_S6_EEDaPvRmT3_T4_T5_mT6_P12ihipStream_tbENKUlT_T0_E_clISt17integral_constantIbLb0EESX_IbLb1EEEEDaST_SU_EUlST_E0_NS1_11comp_targetILNS1_3genE4ELNS1_11target_archE910ELNS1_3gpuE8ELNS1_3repE0EEENS1_30default_config_static_selectorELNS0_4arch9wavefront6targetE1EEEvT1_: ; @_ZN7rocprim17ROCPRIM_400000_NS6detail17trampoline_kernelINS0_14default_configENS1_20scan_config_selectorIN3c108BFloat16EEEZZNS1_9scan_implILNS1_25lookback_scan_determinismE0ELb0ELb0ES3_PKS6_PS6_S6_ZZZN2at6native31launch_logcumsumexp_cuda_kernelERKNSD_10TensorBaseESH_lENKUlvE_clEvENKUlvE4_clEvEUlS6_S6_E_S6_EEDaPvRmT3_T4_T5_mT6_P12ihipStream_tbENKUlT_T0_E_clISt17integral_constantIbLb0EESX_IbLb1EEEEDaST_SU_EUlST_E0_NS1_11comp_targetILNS1_3genE4ELNS1_11target_archE910ELNS1_3gpuE8ELNS1_3repE0EEENS1_30default_config_static_selectorELNS0_4arch9wavefront6targetE1EEEvT1_
; %bb.0:
	.section	.rodata,"a",@progbits
	.p2align	6, 0x0
	.amdhsa_kernel _ZN7rocprim17ROCPRIM_400000_NS6detail17trampoline_kernelINS0_14default_configENS1_20scan_config_selectorIN3c108BFloat16EEEZZNS1_9scan_implILNS1_25lookback_scan_determinismE0ELb0ELb0ES3_PKS6_PS6_S6_ZZZN2at6native31launch_logcumsumexp_cuda_kernelERKNSD_10TensorBaseESH_lENKUlvE_clEvENKUlvE4_clEvEUlS6_S6_E_S6_EEDaPvRmT3_T4_T5_mT6_P12ihipStream_tbENKUlT_T0_E_clISt17integral_constantIbLb0EESX_IbLb1EEEEDaST_SU_EUlST_E0_NS1_11comp_targetILNS1_3genE4ELNS1_11target_archE910ELNS1_3gpuE8ELNS1_3repE0EEENS1_30default_config_static_selectorELNS0_4arch9wavefront6targetE1EEEvT1_
		.amdhsa_group_segment_fixed_size 0
		.amdhsa_private_segment_fixed_size 0
		.amdhsa_kernarg_size 32
		.amdhsa_user_sgpr_count 2
		.amdhsa_user_sgpr_dispatch_ptr 0
		.amdhsa_user_sgpr_queue_ptr 0
		.amdhsa_user_sgpr_kernarg_segment_ptr 1
		.amdhsa_user_sgpr_dispatch_id 0
		.amdhsa_user_sgpr_kernarg_preload_length 0
		.amdhsa_user_sgpr_kernarg_preload_offset 0
		.amdhsa_user_sgpr_private_segment_size 0
		.amdhsa_uses_dynamic_stack 0
		.amdhsa_enable_private_segment 0
		.amdhsa_system_sgpr_workgroup_id_x 1
		.amdhsa_system_sgpr_workgroup_id_y 0
		.amdhsa_system_sgpr_workgroup_id_z 0
		.amdhsa_system_sgpr_workgroup_info 0
		.amdhsa_system_vgpr_workitem_id 0
		.amdhsa_next_free_vgpr 1
		.amdhsa_next_free_sgpr 0
		.amdhsa_accum_offset 4
		.amdhsa_reserve_vcc 0
		.amdhsa_float_round_mode_32 0
		.amdhsa_float_round_mode_16_64 0
		.amdhsa_float_denorm_mode_32 3
		.amdhsa_float_denorm_mode_16_64 3
		.amdhsa_dx10_clamp 1
		.amdhsa_ieee_mode 1
		.amdhsa_fp16_overflow 0
		.amdhsa_tg_split 0
		.amdhsa_exception_fp_ieee_invalid_op 0
		.amdhsa_exception_fp_denorm_src 0
		.amdhsa_exception_fp_ieee_div_zero 0
		.amdhsa_exception_fp_ieee_overflow 0
		.amdhsa_exception_fp_ieee_underflow 0
		.amdhsa_exception_fp_ieee_inexact 0
		.amdhsa_exception_int_div_zero 0
	.end_amdhsa_kernel
	.section	.text._ZN7rocprim17ROCPRIM_400000_NS6detail17trampoline_kernelINS0_14default_configENS1_20scan_config_selectorIN3c108BFloat16EEEZZNS1_9scan_implILNS1_25lookback_scan_determinismE0ELb0ELb0ES3_PKS6_PS6_S6_ZZZN2at6native31launch_logcumsumexp_cuda_kernelERKNSD_10TensorBaseESH_lENKUlvE_clEvENKUlvE4_clEvEUlS6_S6_E_S6_EEDaPvRmT3_T4_T5_mT6_P12ihipStream_tbENKUlT_T0_E_clISt17integral_constantIbLb0EESX_IbLb1EEEEDaST_SU_EUlST_E0_NS1_11comp_targetILNS1_3genE4ELNS1_11target_archE910ELNS1_3gpuE8ELNS1_3repE0EEENS1_30default_config_static_selectorELNS0_4arch9wavefront6targetE1EEEvT1_,"axG",@progbits,_ZN7rocprim17ROCPRIM_400000_NS6detail17trampoline_kernelINS0_14default_configENS1_20scan_config_selectorIN3c108BFloat16EEEZZNS1_9scan_implILNS1_25lookback_scan_determinismE0ELb0ELb0ES3_PKS6_PS6_S6_ZZZN2at6native31launch_logcumsumexp_cuda_kernelERKNSD_10TensorBaseESH_lENKUlvE_clEvENKUlvE4_clEvEUlS6_S6_E_S6_EEDaPvRmT3_T4_T5_mT6_P12ihipStream_tbENKUlT_T0_E_clISt17integral_constantIbLb0EESX_IbLb1EEEEDaST_SU_EUlST_E0_NS1_11comp_targetILNS1_3genE4ELNS1_11target_archE910ELNS1_3gpuE8ELNS1_3repE0EEENS1_30default_config_static_selectorELNS0_4arch9wavefront6targetE1EEEvT1_,comdat
.Lfunc_end530:
	.size	_ZN7rocprim17ROCPRIM_400000_NS6detail17trampoline_kernelINS0_14default_configENS1_20scan_config_selectorIN3c108BFloat16EEEZZNS1_9scan_implILNS1_25lookback_scan_determinismE0ELb0ELb0ES3_PKS6_PS6_S6_ZZZN2at6native31launch_logcumsumexp_cuda_kernelERKNSD_10TensorBaseESH_lENKUlvE_clEvENKUlvE4_clEvEUlS6_S6_E_S6_EEDaPvRmT3_T4_T5_mT6_P12ihipStream_tbENKUlT_T0_E_clISt17integral_constantIbLb0EESX_IbLb1EEEEDaST_SU_EUlST_E0_NS1_11comp_targetILNS1_3genE4ELNS1_11target_archE910ELNS1_3gpuE8ELNS1_3repE0EEENS1_30default_config_static_selectorELNS0_4arch9wavefront6targetE1EEEvT1_, .Lfunc_end530-_ZN7rocprim17ROCPRIM_400000_NS6detail17trampoline_kernelINS0_14default_configENS1_20scan_config_selectorIN3c108BFloat16EEEZZNS1_9scan_implILNS1_25lookback_scan_determinismE0ELb0ELb0ES3_PKS6_PS6_S6_ZZZN2at6native31launch_logcumsumexp_cuda_kernelERKNSD_10TensorBaseESH_lENKUlvE_clEvENKUlvE4_clEvEUlS6_S6_E_S6_EEDaPvRmT3_T4_T5_mT6_P12ihipStream_tbENKUlT_T0_E_clISt17integral_constantIbLb0EESX_IbLb1EEEEDaST_SU_EUlST_E0_NS1_11comp_targetILNS1_3genE4ELNS1_11target_archE910ELNS1_3gpuE8ELNS1_3repE0EEENS1_30default_config_static_selectorELNS0_4arch9wavefront6targetE1EEEvT1_
                                        ; -- End function
	.section	.AMDGPU.csdata,"",@progbits
; Kernel info:
; codeLenInByte = 0
; NumSgprs: 6
; NumVgprs: 0
; NumAgprs: 0
; TotalNumVgprs: 0
; ScratchSize: 0
; MemoryBound: 0
; FloatMode: 240
; IeeeMode: 1
; LDSByteSize: 0 bytes/workgroup (compile time only)
; SGPRBlocks: 0
; VGPRBlocks: 0
; NumSGPRsForWavesPerEU: 6
; NumVGPRsForWavesPerEU: 1
; AccumOffset: 4
; Occupancy: 8
; WaveLimiterHint : 0
; COMPUTE_PGM_RSRC2:SCRATCH_EN: 0
; COMPUTE_PGM_RSRC2:USER_SGPR: 2
; COMPUTE_PGM_RSRC2:TRAP_HANDLER: 0
; COMPUTE_PGM_RSRC2:TGID_X_EN: 1
; COMPUTE_PGM_RSRC2:TGID_Y_EN: 0
; COMPUTE_PGM_RSRC2:TGID_Z_EN: 0
; COMPUTE_PGM_RSRC2:TIDIG_COMP_CNT: 0
; COMPUTE_PGM_RSRC3_GFX90A:ACCUM_OFFSET: 0
; COMPUTE_PGM_RSRC3_GFX90A:TG_SPLIT: 0
	.section	.text._ZN7rocprim17ROCPRIM_400000_NS6detail17trampoline_kernelINS0_14default_configENS1_20scan_config_selectorIN3c108BFloat16EEEZZNS1_9scan_implILNS1_25lookback_scan_determinismE0ELb0ELb0ES3_PKS6_PS6_S6_ZZZN2at6native31launch_logcumsumexp_cuda_kernelERKNSD_10TensorBaseESH_lENKUlvE_clEvENKUlvE4_clEvEUlS6_S6_E_S6_EEDaPvRmT3_T4_T5_mT6_P12ihipStream_tbENKUlT_T0_E_clISt17integral_constantIbLb0EESX_IbLb1EEEEDaST_SU_EUlST_E0_NS1_11comp_targetILNS1_3genE3ELNS1_11target_archE908ELNS1_3gpuE7ELNS1_3repE0EEENS1_30default_config_static_selectorELNS0_4arch9wavefront6targetE1EEEvT1_,"axG",@progbits,_ZN7rocprim17ROCPRIM_400000_NS6detail17trampoline_kernelINS0_14default_configENS1_20scan_config_selectorIN3c108BFloat16EEEZZNS1_9scan_implILNS1_25lookback_scan_determinismE0ELb0ELb0ES3_PKS6_PS6_S6_ZZZN2at6native31launch_logcumsumexp_cuda_kernelERKNSD_10TensorBaseESH_lENKUlvE_clEvENKUlvE4_clEvEUlS6_S6_E_S6_EEDaPvRmT3_T4_T5_mT6_P12ihipStream_tbENKUlT_T0_E_clISt17integral_constantIbLb0EESX_IbLb1EEEEDaST_SU_EUlST_E0_NS1_11comp_targetILNS1_3genE3ELNS1_11target_archE908ELNS1_3gpuE7ELNS1_3repE0EEENS1_30default_config_static_selectorELNS0_4arch9wavefront6targetE1EEEvT1_,comdat
	.globl	_ZN7rocprim17ROCPRIM_400000_NS6detail17trampoline_kernelINS0_14default_configENS1_20scan_config_selectorIN3c108BFloat16EEEZZNS1_9scan_implILNS1_25lookback_scan_determinismE0ELb0ELb0ES3_PKS6_PS6_S6_ZZZN2at6native31launch_logcumsumexp_cuda_kernelERKNSD_10TensorBaseESH_lENKUlvE_clEvENKUlvE4_clEvEUlS6_S6_E_S6_EEDaPvRmT3_T4_T5_mT6_P12ihipStream_tbENKUlT_T0_E_clISt17integral_constantIbLb0EESX_IbLb1EEEEDaST_SU_EUlST_E0_NS1_11comp_targetILNS1_3genE3ELNS1_11target_archE908ELNS1_3gpuE7ELNS1_3repE0EEENS1_30default_config_static_selectorELNS0_4arch9wavefront6targetE1EEEvT1_ ; -- Begin function _ZN7rocprim17ROCPRIM_400000_NS6detail17trampoline_kernelINS0_14default_configENS1_20scan_config_selectorIN3c108BFloat16EEEZZNS1_9scan_implILNS1_25lookback_scan_determinismE0ELb0ELb0ES3_PKS6_PS6_S6_ZZZN2at6native31launch_logcumsumexp_cuda_kernelERKNSD_10TensorBaseESH_lENKUlvE_clEvENKUlvE4_clEvEUlS6_S6_E_S6_EEDaPvRmT3_T4_T5_mT6_P12ihipStream_tbENKUlT_T0_E_clISt17integral_constantIbLb0EESX_IbLb1EEEEDaST_SU_EUlST_E0_NS1_11comp_targetILNS1_3genE3ELNS1_11target_archE908ELNS1_3gpuE7ELNS1_3repE0EEENS1_30default_config_static_selectorELNS0_4arch9wavefront6targetE1EEEvT1_
	.p2align	8
	.type	_ZN7rocprim17ROCPRIM_400000_NS6detail17trampoline_kernelINS0_14default_configENS1_20scan_config_selectorIN3c108BFloat16EEEZZNS1_9scan_implILNS1_25lookback_scan_determinismE0ELb0ELb0ES3_PKS6_PS6_S6_ZZZN2at6native31launch_logcumsumexp_cuda_kernelERKNSD_10TensorBaseESH_lENKUlvE_clEvENKUlvE4_clEvEUlS6_S6_E_S6_EEDaPvRmT3_T4_T5_mT6_P12ihipStream_tbENKUlT_T0_E_clISt17integral_constantIbLb0EESX_IbLb1EEEEDaST_SU_EUlST_E0_NS1_11comp_targetILNS1_3genE3ELNS1_11target_archE908ELNS1_3gpuE7ELNS1_3repE0EEENS1_30default_config_static_selectorELNS0_4arch9wavefront6targetE1EEEvT1_,@function
_ZN7rocprim17ROCPRIM_400000_NS6detail17trampoline_kernelINS0_14default_configENS1_20scan_config_selectorIN3c108BFloat16EEEZZNS1_9scan_implILNS1_25lookback_scan_determinismE0ELb0ELb0ES3_PKS6_PS6_S6_ZZZN2at6native31launch_logcumsumexp_cuda_kernelERKNSD_10TensorBaseESH_lENKUlvE_clEvENKUlvE4_clEvEUlS6_S6_E_S6_EEDaPvRmT3_T4_T5_mT6_P12ihipStream_tbENKUlT_T0_E_clISt17integral_constantIbLb0EESX_IbLb1EEEEDaST_SU_EUlST_E0_NS1_11comp_targetILNS1_3genE3ELNS1_11target_archE908ELNS1_3gpuE7ELNS1_3repE0EEENS1_30default_config_static_selectorELNS0_4arch9wavefront6targetE1EEEvT1_: ; @_ZN7rocprim17ROCPRIM_400000_NS6detail17trampoline_kernelINS0_14default_configENS1_20scan_config_selectorIN3c108BFloat16EEEZZNS1_9scan_implILNS1_25lookback_scan_determinismE0ELb0ELb0ES3_PKS6_PS6_S6_ZZZN2at6native31launch_logcumsumexp_cuda_kernelERKNSD_10TensorBaseESH_lENKUlvE_clEvENKUlvE4_clEvEUlS6_S6_E_S6_EEDaPvRmT3_T4_T5_mT6_P12ihipStream_tbENKUlT_T0_E_clISt17integral_constantIbLb0EESX_IbLb1EEEEDaST_SU_EUlST_E0_NS1_11comp_targetILNS1_3genE3ELNS1_11target_archE908ELNS1_3gpuE7ELNS1_3repE0EEENS1_30default_config_static_selectorELNS0_4arch9wavefront6targetE1EEEvT1_
; %bb.0:
	.section	.rodata,"a",@progbits
	.p2align	6, 0x0
	.amdhsa_kernel _ZN7rocprim17ROCPRIM_400000_NS6detail17trampoline_kernelINS0_14default_configENS1_20scan_config_selectorIN3c108BFloat16EEEZZNS1_9scan_implILNS1_25lookback_scan_determinismE0ELb0ELb0ES3_PKS6_PS6_S6_ZZZN2at6native31launch_logcumsumexp_cuda_kernelERKNSD_10TensorBaseESH_lENKUlvE_clEvENKUlvE4_clEvEUlS6_S6_E_S6_EEDaPvRmT3_T4_T5_mT6_P12ihipStream_tbENKUlT_T0_E_clISt17integral_constantIbLb0EESX_IbLb1EEEEDaST_SU_EUlST_E0_NS1_11comp_targetILNS1_3genE3ELNS1_11target_archE908ELNS1_3gpuE7ELNS1_3repE0EEENS1_30default_config_static_selectorELNS0_4arch9wavefront6targetE1EEEvT1_
		.amdhsa_group_segment_fixed_size 0
		.amdhsa_private_segment_fixed_size 0
		.amdhsa_kernarg_size 32
		.amdhsa_user_sgpr_count 2
		.amdhsa_user_sgpr_dispatch_ptr 0
		.amdhsa_user_sgpr_queue_ptr 0
		.amdhsa_user_sgpr_kernarg_segment_ptr 1
		.amdhsa_user_sgpr_dispatch_id 0
		.amdhsa_user_sgpr_kernarg_preload_length 0
		.amdhsa_user_sgpr_kernarg_preload_offset 0
		.amdhsa_user_sgpr_private_segment_size 0
		.amdhsa_uses_dynamic_stack 0
		.amdhsa_enable_private_segment 0
		.amdhsa_system_sgpr_workgroup_id_x 1
		.amdhsa_system_sgpr_workgroup_id_y 0
		.amdhsa_system_sgpr_workgroup_id_z 0
		.amdhsa_system_sgpr_workgroup_info 0
		.amdhsa_system_vgpr_workitem_id 0
		.amdhsa_next_free_vgpr 1
		.amdhsa_next_free_sgpr 0
		.amdhsa_accum_offset 4
		.amdhsa_reserve_vcc 0
		.amdhsa_float_round_mode_32 0
		.amdhsa_float_round_mode_16_64 0
		.amdhsa_float_denorm_mode_32 3
		.amdhsa_float_denorm_mode_16_64 3
		.amdhsa_dx10_clamp 1
		.amdhsa_ieee_mode 1
		.amdhsa_fp16_overflow 0
		.amdhsa_tg_split 0
		.amdhsa_exception_fp_ieee_invalid_op 0
		.amdhsa_exception_fp_denorm_src 0
		.amdhsa_exception_fp_ieee_div_zero 0
		.amdhsa_exception_fp_ieee_overflow 0
		.amdhsa_exception_fp_ieee_underflow 0
		.amdhsa_exception_fp_ieee_inexact 0
		.amdhsa_exception_int_div_zero 0
	.end_amdhsa_kernel
	.section	.text._ZN7rocprim17ROCPRIM_400000_NS6detail17trampoline_kernelINS0_14default_configENS1_20scan_config_selectorIN3c108BFloat16EEEZZNS1_9scan_implILNS1_25lookback_scan_determinismE0ELb0ELb0ES3_PKS6_PS6_S6_ZZZN2at6native31launch_logcumsumexp_cuda_kernelERKNSD_10TensorBaseESH_lENKUlvE_clEvENKUlvE4_clEvEUlS6_S6_E_S6_EEDaPvRmT3_T4_T5_mT6_P12ihipStream_tbENKUlT_T0_E_clISt17integral_constantIbLb0EESX_IbLb1EEEEDaST_SU_EUlST_E0_NS1_11comp_targetILNS1_3genE3ELNS1_11target_archE908ELNS1_3gpuE7ELNS1_3repE0EEENS1_30default_config_static_selectorELNS0_4arch9wavefront6targetE1EEEvT1_,"axG",@progbits,_ZN7rocprim17ROCPRIM_400000_NS6detail17trampoline_kernelINS0_14default_configENS1_20scan_config_selectorIN3c108BFloat16EEEZZNS1_9scan_implILNS1_25lookback_scan_determinismE0ELb0ELb0ES3_PKS6_PS6_S6_ZZZN2at6native31launch_logcumsumexp_cuda_kernelERKNSD_10TensorBaseESH_lENKUlvE_clEvENKUlvE4_clEvEUlS6_S6_E_S6_EEDaPvRmT3_T4_T5_mT6_P12ihipStream_tbENKUlT_T0_E_clISt17integral_constantIbLb0EESX_IbLb1EEEEDaST_SU_EUlST_E0_NS1_11comp_targetILNS1_3genE3ELNS1_11target_archE908ELNS1_3gpuE7ELNS1_3repE0EEENS1_30default_config_static_selectorELNS0_4arch9wavefront6targetE1EEEvT1_,comdat
.Lfunc_end531:
	.size	_ZN7rocprim17ROCPRIM_400000_NS6detail17trampoline_kernelINS0_14default_configENS1_20scan_config_selectorIN3c108BFloat16EEEZZNS1_9scan_implILNS1_25lookback_scan_determinismE0ELb0ELb0ES3_PKS6_PS6_S6_ZZZN2at6native31launch_logcumsumexp_cuda_kernelERKNSD_10TensorBaseESH_lENKUlvE_clEvENKUlvE4_clEvEUlS6_S6_E_S6_EEDaPvRmT3_T4_T5_mT6_P12ihipStream_tbENKUlT_T0_E_clISt17integral_constantIbLb0EESX_IbLb1EEEEDaST_SU_EUlST_E0_NS1_11comp_targetILNS1_3genE3ELNS1_11target_archE908ELNS1_3gpuE7ELNS1_3repE0EEENS1_30default_config_static_selectorELNS0_4arch9wavefront6targetE1EEEvT1_, .Lfunc_end531-_ZN7rocprim17ROCPRIM_400000_NS6detail17trampoline_kernelINS0_14default_configENS1_20scan_config_selectorIN3c108BFloat16EEEZZNS1_9scan_implILNS1_25lookback_scan_determinismE0ELb0ELb0ES3_PKS6_PS6_S6_ZZZN2at6native31launch_logcumsumexp_cuda_kernelERKNSD_10TensorBaseESH_lENKUlvE_clEvENKUlvE4_clEvEUlS6_S6_E_S6_EEDaPvRmT3_T4_T5_mT6_P12ihipStream_tbENKUlT_T0_E_clISt17integral_constantIbLb0EESX_IbLb1EEEEDaST_SU_EUlST_E0_NS1_11comp_targetILNS1_3genE3ELNS1_11target_archE908ELNS1_3gpuE7ELNS1_3repE0EEENS1_30default_config_static_selectorELNS0_4arch9wavefront6targetE1EEEvT1_
                                        ; -- End function
	.section	.AMDGPU.csdata,"",@progbits
; Kernel info:
; codeLenInByte = 0
; NumSgprs: 6
; NumVgprs: 0
; NumAgprs: 0
; TotalNumVgprs: 0
; ScratchSize: 0
; MemoryBound: 0
; FloatMode: 240
; IeeeMode: 1
; LDSByteSize: 0 bytes/workgroup (compile time only)
; SGPRBlocks: 0
; VGPRBlocks: 0
; NumSGPRsForWavesPerEU: 6
; NumVGPRsForWavesPerEU: 1
; AccumOffset: 4
; Occupancy: 8
; WaveLimiterHint : 0
; COMPUTE_PGM_RSRC2:SCRATCH_EN: 0
; COMPUTE_PGM_RSRC2:USER_SGPR: 2
; COMPUTE_PGM_RSRC2:TRAP_HANDLER: 0
; COMPUTE_PGM_RSRC2:TGID_X_EN: 1
; COMPUTE_PGM_RSRC2:TGID_Y_EN: 0
; COMPUTE_PGM_RSRC2:TGID_Z_EN: 0
; COMPUTE_PGM_RSRC2:TIDIG_COMP_CNT: 0
; COMPUTE_PGM_RSRC3_GFX90A:ACCUM_OFFSET: 0
; COMPUTE_PGM_RSRC3_GFX90A:TG_SPLIT: 0
	.section	.text._ZN7rocprim17ROCPRIM_400000_NS6detail17trampoline_kernelINS0_14default_configENS1_20scan_config_selectorIN3c108BFloat16EEEZZNS1_9scan_implILNS1_25lookback_scan_determinismE0ELb0ELb0ES3_PKS6_PS6_S6_ZZZN2at6native31launch_logcumsumexp_cuda_kernelERKNSD_10TensorBaseESH_lENKUlvE_clEvENKUlvE4_clEvEUlS6_S6_E_S6_EEDaPvRmT3_T4_T5_mT6_P12ihipStream_tbENKUlT_T0_E_clISt17integral_constantIbLb0EESX_IbLb1EEEEDaST_SU_EUlST_E0_NS1_11comp_targetILNS1_3genE2ELNS1_11target_archE906ELNS1_3gpuE6ELNS1_3repE0EEENS1_30default_config_static_selectorELNS0_4arch9wavefront6targetE1EEEvT1_,"axG",@progbits,_ZN7rocprim17ROCPRIM_400000_NS6detail17trampoline_kernelINS0_14default_configENS1_20scan_config_selectorIN3c108BFloat16EEEZZNS1_9scan_implILNS1_25lookback_scan_determinismE0ELb0ELb0ES3_PKS6_PS6_S6_ZZZN2at6native31launch_logcumsumexp_cuda_kernelERKNSD_10TensorBaseESH_lENKUlvE_clEvENKUlvE4_clEvEUlS6_S6_E_S6_EEDaPvRmT3_T4_T5_mT6_P12ihipStream_tbENKUlT_T0_E_clISt17integral_constantIbLb0EESX_IbLb1EEEEDaST_SU_EUlST_E0_NS1_11comp_targetILNS1_3genE2ELNS1_11target_archE906ELNS1_3gpuE6ELNS1_3repE0EEENS1_30default_config_static_selectorELNS0_4arch9wavefront6targetE1EEEvT1_,comdat
	.globl	_ZN7rocprim17ROCPRIM_400000_NS6detail17trampoline_kernelINS0_14default_configENS1_20scan_config_selectorIN3c108BFloat16EEEZZNS1_9scan_implILNS1_25lookback_scan_determinismE0ELb0ELb0ES3_PKS6_PS6_S6_ZZZN2at6native31launch_logcumsumexp_cuda_kernelERKNSD_10TensorBaseESH_lENKUlvE_clEvENKUlvE4_clEvEUlS6_S6_E_S6_EEDaPvRmT3_T4_T5_mT6_P12ihipStream_tbENKUlT_T0_E_clISt17integral_constantIbLb0EESX_IbLb1EEEEDaST_SU_EUlST_E0_NS1_11comp_targetILNS1_3genE2ELNS1_11target_archE906ELNS1_3gpuE6ELNS1_3repE0EEENS1_30default_config_static_selectorELNS0_4arch9wavefront6targetE1EEEvT1_ ; -- Begin function _ZN7rocprim17ROCPRIM_400000_NS6detail17trampoline_kernelINS0_14default_configENS1_20scan_config_selectorIN3c108BFloat16EEEZZNS1_9scan_implILNS1_25lookback_scan_determinismE0ELb0ELb0ES3_PKS6_PS6_S6_ZZZN2at6native31launch_logcumsumexp_cuda_kernelERKNSD_10TensorBaseESH_lENKUlvE_clEvENKUlvE4_clEvEUlS6_S6_E_S6_EEDaPvRmT3_T4_T5_mT6_P12ihipStream_tbENKUlT_T0_E_clISt17integral_constantIbLb0EESX_IbLb1EEEEDaST_SU_EUlST_E0_NS1_11comp_targetILNS1_3genE2ELNS1_11target_archE906ELNS1_3gpuE6ELNS1_3repE0EEENS1_30default_config_static_selectorELNS0_4arch9wavefront6targetE1EEEvT1_
	.p2align	8
	.type	_ZN7rocprim17ROCPRIM_400000_NS6detail17trampoline_kernelINS0_14default_configENS1_20scan_config_selectorIN3c108BFloat16EEEZZNS1_9scan_implILNS1_25lookback_scan_determinismE0ELb0ELb0ES3_PKS6_PS6_S6_ZZZN2at6native31launch_logcumsumexp_cuda_kernelERKNSD_10TensorBaseESH_lENKUlvE_clEvENKUlvE4_clEvEUlS6_S6_E_S6_EEDaPvRmT3_T4_T5_mT6_P12ihipStream_tbENKUlT_T0_E_clISt17integral_constantIbLb0EESX_IbLb1EEEEDaST_SU_EUlST_E0_NS1_11comp_targetILNS1_3genE2ELNS1_11target_archE906ELNS1_3gpuE6ELNS1_3repE0EEENS1_30default_config_static_selectorELNS0_4arch9wavefront6targetE1EEEvT1_,@function
_ZN7rocprim17ROCPRIM_400000_NS6detail17trampoline_kernelINS0_14default_configENS1_20scan_config_selectorIN3c108BFloat16EEEZZNS1_9scan_implILNS1_25lookback_scan_determinismE0ELb0ELb0ES3_PKS6_PS6_S6_ZZZN2at6native31launch_logcumsumexp_cuda_kernelERKNSD_10TensorBaseESH_lENKUlvE_clEvENKUlvE4_clEvEUlS6_S6_E_S6_EEDaPvRmT3_T4_T5_mT6_P12ihipStream_tbENKUlT_T0_E_clISt17integral_constantIbLb0EESX_IbLb1EEEEDaST_SU_EUlST_E0_NS1_11comp_targetILNS1_3genE2ELNS1_11target_archE906ELNS1_3gpuE6ELNS1_3repE0EEENS1_30default_config_static_selectorELNS0_4arch9wavefront6targetE1EEEvT1_: ; @_ZN7rocprim17ROCPRIM_400000_NS6detail17trampoline_kernelINS0_14default_configENS1_20scan_config_selectorIN3c108BFloat16EEEZZNS1_9scan_implILNS1_25lookback_scan_determinismE0ELb0ELb0ES3_PKS6_PS6_S6_ZZZN2at6native31launch_logcumsumexp_cuda_kernelERKNSD_10TensorBaseESH_lENKUlvE_clEvENKUlvE4_clEvEUlS6_S6_E_S6_EEDaPvRmT3_T4_T5_mT6_P12ihipStream_tbENKUlT_T0_E_clISt17integral_constantIbLb0EESX_IbLb1EEEEDaST_SU_EUlST_E0_NS1_11comp_targetILNS1_3genE2ELNS1_11target_archE906ELNS1_3gpuE6ELNS1_3repE0EEENS1_30default_config_static_selectorELNS0_4arch9wavefront6targetE1EEEvT1_
; %bb.0:
	.section	.rodata,"a",@progbits
	.p2align	6, 0x0
	.amdhsa_kernel _ZN7rocprim17ROCPRIM_400000_NS6detail17trampoline_kernelINS0_14default_configENS1_20scan_config_selectorIN3c108BFloat16EEEZZNS1_9scan_implILNS1_25lookback_scan_determinismE0ELb0ELb0ES3_PKS6_PS6_S6_ZZZN2at6native31launch_logcumsumexp_cuda_kernelERKNSD_10TensorBaseESH_lENKUlvE_clEvENKUlvE4_clEvEUlS6_S6_E_S6_EEDaPvRmT3_T4_T5_mT6_P12ihipStream_tbENKUlT_T0_E_clISt17integral_constantIbLb0EESX_IbLb1EEEEDaST_SU_EUlST_E0_NS1_11comp_targetILNS1_3genE2ELNS1_11target_archE906ELNS1_3gpuE6ELNS1_3repE0EEENS1_30default_config_static_selectorELNS0_4arch9wavefront6targetE1EEEvT1_
		.amdhsa_group_segment_fixed_size 0
		.amdhsa_private_segment_fixed_size 0
		.amdhsa_kernarg_size 32
		.amdhsa_user_sgpr_count 2
		.amdhsa_user_sgpr_dispatch_ptr 0
		.amdhsa_user_sgpr_queue_ptr 0
		.amdhsa_user_sgpr_kernarg_segment_ptr 1
		.amdhsa_user_sgpr_dispatch_id 0
		.amdhsa_user_sgpr_kernarg_preload_length 0
		.amdhsa_user_sgpr_kernarg_preload_offset 0
		.amdhsa_user_sgpr_private_segment_size 0
		.amdhsa_uses_dynamic_stack 0
		.amdhsa_enable_private_segment 0
		.amdhsa_system_sgpr_workgroup_id_x 1
		.amdhsa_system_sgpr_workgroup_id_y 0
		.amdhsa_system_sgpr_workgroup_id_z 0
		.amdhsa_system_sgpr_workgroup_info 0
		.amdhsa_system_vgpr_workitem_id 0
		.amdhsa_next_free_vgpr 1
		.amdhsa_next_free_sgpr 0
		.amdhsa_accum_offset 4
		.amdhsa_reserve_vcc 0
		.amdhsa_float_round_mode_32 0
		.amdhsa_float_round_mode_16_64 0
		.amdhsa_float_denorm_mode_32 3
		.amdhsa_float_denorm_mode_16_64 3
		.amdhsa_dx10_clamp 1
		.amdhsa_ieee_mode 1
		.amdhsa_fp16_overflow 0
		.amdhsa_tg_split 0
		.amdhsa_exception_fp_ieee_invalid_op 0
		.amdhsa_exception_fp_denorm_src 0
		.amdhsa_exception_fp_ieee_div_zero 0
		.amdhsa_exception_fp_ieee_overflow 0
		.amdhsa_exception_fp_ieee_underflow 0
		.amdhsa_exception_fp_ieee_inexact 0
		.amdhsa_exception_int_div_zero 0
	.end_amdhsa_kernel
	.section	.text._ZN7rocprim17ROCPRIM_400000_NS6detail17trampoline_kernelINS0_14default_configENS1_20scan_config_selectorIN3c108BFloat16EEEZZNS1_9scan_implILNS1_25lookback_scan_determinismE0ELb0ELb0ES3_PKS6_PS6_S6_ZZZN2at6native31launch_logcumsumexp_cuda_kernelERKNSD_10TensorBaseESH_lENKUlvE_clEvENKUlvE4_clEvEUlS6_S6_E_S6_EEDaPvRmT3_T4_T5_mT6_P12ihipStream_tbENKUlT_T0_E_clISt17integral_constantIbLb0EESX_IbLb1EEEEDaST_SU_EUlST_E0_NS1_11comp_targetILNS1_3genE2ELNS1_11target_archE906ELNS1_3gpuE6ELNS1_3repE0EEENS1_30default_config_static_selectorELNS0_4arch9wavefront6targetE1EEEvT1_,"axG",@progbits,_ZN7rocprim17ROCPRIM_400000_NS6detail17trampoline_kernelINS0_14default_configENS1_20scan_config_selectorIN3c108BFloat16EEEZZNS1_9scan_implILNS1_25lookback_scan_determinismE0ELb0ELb0ES3_PKS6_PS6_S6_ZZZN2at6native31launch_logcumsumexp_cuda_kernelERKNSD_10TensorBaseESH_lENKUlvE_clEvENKUlvE4_clEvEUlS6_S6_E_S6_EEDaPvRmT3_T4_T5_mT6_P12ihipStream_tbENKUlT_T0_E_clISt17integral_constantIbLb0EESX_IbLb1EEEEDaST_SU_EUlST_E0_NS1_11comp_targetILNS1_3genE2ELNS1_11target_archE906ELNS1_3gpuE6ELNS1_3repE0EEENS1_30default_config_static_selectorELNS0_4arch9wavefront6targetE1EEEvT1_,comdat
.Lfunc_end532:
	.size	_ZN7rocprim17ROCPRIM_400000_NS6detail17trampoline_kernelINS0_14default_configENS1_20scan_config_selectorIN3c108BFloat16EEEZZNS1_9scan_implILNS1_25lookback_scan_determinismE0ELb0ELb0ES3_PKS6_PS6_S6_ZZZN2at6native31launch_logcumsumexp_cuda_kernelERKNSD_10TensorBaseESH_lENKUlvE_clEvENKUlvE4_clEvEUlS6_S6_E_S6_EEDaPvRmT3_T4_T5_mT6_P12ihipStream_tbENKUlT_T0_E_clISt17integral_constantIbLb0EESX_IbLb1EEEEDaST_SU_EUlST_E0_NS1_11comp_targetILNS1_3genE2ELNS1_11target_archE906ELNS1_3gpuE6ELNS1_3repE0EEENS1_30default_config_static_selectorELNS0_4arch9wavefront6targetE1EEEvT1_, .Lfunc_end532-_ZN7rocprim17ROCPRIM_400000_NS6detail17trampoline_kernelINS0_14default_configENS1_20scan_config_selectorIN3c108BFloat16EEEZZNS1_9scan_implILNS1_25lookback_scan_determinismE0ELb0ELb0ES3_PKS6_PS6_S6_ZZZN2at6native31launch_logcumsumexp_cuda_kernelERKNSD_10TensorBaseESH_lENKUlvE_clEvENKUlvE4_clEvEUlS6_S6_E_S6_EEDaPvRmT3_T4_T5_mT6_P12ihipStream_tbENKUlT_T0_E_clISt17integral_constantIbLb0EESX_IbLb1EEEEDaST_SU_EUlST_E0_NS1_11comp_targetILNS1_3genE2ELNS1_11target_archE906ELNS1_3gpuE6ELNS1_3repE0EEENS1_30default_config_static_selectorELNS0_4arch9wavefront6targetE1EEEvT1_
                                        ; -- End function
	.section	.AMDGPU.csdata,"",@progbits
; Kernel info:
; codeLenInByte = 0
; NumSgprs: 6
; NumVgprs: 0
; NumAgprs: 0
; TotalNumVgprs: 0
; ScratchSize: 0
; MemoryBound: 0
; FloatMode: 240
; IeeeMode: 1
; LDSByteSize: 0 bytes/workgroup (compile time only)
; SGPRBlocks: 0
; VGPRBlocks: 0
; NumSGPRsForWavesPerEU: 6
; NumVGPRsForWavesPerEU: 1
; AccumOffset: 4
; Occupancy: 8
; WaveLimiterHint : 0
; COMPUTE_PGM_RSRC2:SCRATCH_EN: 0
; COMPUTE_PGM_RSRC2:USER_SGPR: 2
; COMPUTE_PGM_RSRC2:TRAP_HANDLER: 0
; COMPUTE_PGM_RSRC2:TGID_X_EN: 1
; COMPUTE_PGM_RSRC2:TGID_Y_EN: 0
; COMPUTE_PGM_RSRC2:TGID_Z_EN: 0
; COMPUTE_PGM_RSRC2:TIDIG_COMP_CNT: 0
; COMPUTE_PGM_RSRC3_GFX90A:ACCUM_OFFSET: 0
; COMPUTE_PGM_RSRC3_GFX90A:TG_SPLIT: 0
	.section	.text._ZN7rocprim17ROCPRIM_400000_NS6detail17trampoline_kernelINS0_14default_configENS1_20scan_config_selectorIN3c108BFloat16EEEZZNS1_9scan_implILNS1_25lookback_scan_determinismE0ELb0ELb0ES3_PKS6_PS6_S6_ZZZN2at6native31launch_logcumsumexp_cuda_kernelERKNSD_10TensorBaseESH_lENKUlvE_clEvENKUlvE4_clEvEUlS6_S6_E_S6_EEDaPvRmT3_T4_T5_mT6_P12ihipStream_tbENKUlT_T0_E_clISt17integral_constantIbLb0EESX_IbLb1EEEEDaST_SU_EUlST_E0_NS1_11comp_targetILNS1_3genE10ELNS1_11target_archE1201ELNS1_3gpuE5ELNS1_3repE0EEENS1_30default_config_static_selectorELNS0_4arch9wavefront6targetE1EEEvT1_,"axG",@progbits,_ZN7rocprim17ROCPRIM_400000_NS6detail17trampoline_kernelINS0_14default_configENS1_20scan_config_selectorIN3c108BFloat16EEEZZNS1_9scan_implILNS1_25lookback_scan_determinismE0ELb0ELb0ES3_PKS6_PS6_S6_ZZZN2at6native31launch_logcumsumexp_cuda_kernelERKNSD_10TensorBaseESH_lENKUlvE_clEvENKUlvE4_clEvEUlS6_S6_E_S6_EEDaPvRmT3_T4_T5_mT6_P12ihipStream_tbENKUlT_T0_E_clISt17integral_constantIbLb0EESX_IbLb1EEEEDaST_SU_EUlST_E0_NS1_11comp_targetILNS1_3genE10ELNS1_11target_archE1201ELNS1_3gpuE5ELNS1_3repE0EEENS1_30default_config_static_selectorELNS0_4arch9wavefront6targetE1EEEvT1_,comdat
	.globl	_ZN7rocprim17ROCPRIM_400000_NS6detail17trampoline_kernelINS0_14default_configENS1_20scan_config_selectorIN3c108BFloat16EEEZZNS1_9scan_implILNS1_25lookback_scan_determinismE0ELb0ELb0ES3_PKS6_PS6_S6_ZZZN2at6native31launch_logcumsumexp_cuda_kernelERKNSD_10TensorBaseESH_lENKUlvE_clEvENKUlvE4_clEvEUlS6_S6_E_S6_EEDaPvRmT3_T4_T5_mT6_P12ihipStream_tbENKUlT_T0_E_clISt17integral_constantIbLb0EESX_IbLb1EEEEDaST_SU_EUlST_E0_NS1_11comp_targetILNS1_3genE10ELNS1_11target_archE1201ELNS1_3gpuE5ELNS1_3repE0EEENS1_30default_config_static_selectorELNS0_4arch9wavefront6targetE1EEEvT1_ ; -- Begin function _ZN7rocprim17ROCPRIM_400000_NS6detail17trampoline_kernelINS0_14default_configENS1_20scan_config_selectorIN3c108BFloat16EEEZZNS1_9scan_implILNS1_25lookback_scan_determinismE0ELb0ELb0ES3_PKS6_PS6_S6_ZZZN2at6native31launch_logcumsumexp_cuda_kernelERKNSD_10TensorBaseESH_lENKUlvE_clEvENKUlvE4_clEvEUlS6_S6_E_S6_EEDaPvRmT3_T4_T5_mT6_P12ihipStream_tbENKUlT_T0_E_clISt17integral_constantIbLb0EESX_IbLb1EEEEDaST_SU_EUlST_E0_NS1_11comp_targetILNS1_3genE10ELNS1_11target_archE1201ELNS1_3gpuE5ELNS1_3repE0EEENS1_30default_config_static_selectorELNS0_4arch9wavefront6targetE1EEEvT1_
	.p2align	8
	.type	_ZN7rocprim17ROCPRIM_400000_NS6detail17trampoline_kernelINS0_14default_configENS1_20scan_config_selectorIN3c108BFloat16EEEZZNS1_9scan_implILNS1_25lookback_scan_determinismE0ELb0ELb0ES3_PKS6_PS6_S6_ZZZN2at6native31launch_logcumsumexp_cuda_kernelERKNSD_10TensorBaseESH_lENKUlvE_clEvENKUlvE4_clEvEUlS6_S6_E_S6_EEDaPvRmT3_T4_T5_mT6_P12ihipStream_tbENKUlT_T0_E_clISt17integral_constantIbLb0EESX_IbLb1EEEEDaST_SU_EUlST_E0_NS1_11comp_targetILNS1_3genE10ELNS1_11target_archE1201ELNS1_3gpuE5ELNS1_3repE0EEENS1_30default_config_static_selectorELNS0_4arch9wavefront6targetE1EEEvT1_,@function
_ZN7rocprim17ROCPRIM_400000_NS6detail17trampoline_kernelINS0_14default_configENS1_20scan_config_selectorIN3c108BFloat16EEEZZNS1_9scan_implILNS1_25lookback_scan_determinismE0ELb0ELb0ES3_PKS6_PS6_S6_ZZZN2at6native31launch_logcumsumexp_cuda_kernelERKNSD_10TensorBaseESH_lENKUlvE_clEvENKUlvE4_clEvEUlS6_S6_E_S6_EEDaPvRmT3_T4_T5_mT6_P12ihipStream_tbENKUlT_T0_E_clISt17integral_constantIbLb0EESX_IbLb1EEEEDaST_SU_EUlST_E0_NS1_11comp_targetILNS1_3genE10ELNS1_11target_archE1201ELNS1_3gpuE5ELNS1_3repE0EEENS1_30default_config_static_selectorELNS0_4arch9wavefront6targetE1EEEvT1_: ; @_ZN7rocprim17ROCPRIM_400000_NS6detail17trampoline_kernelINS0_14default_configENS1_20scan_config_selectorIN3c108BFloat16EEEZZNS1_9scan_implILNS1_25lookback_scan_determinismE0ELb0ELb0ES3_PKS6_PS6_S6_ZZZN2at6native31launch_logcumsumexp_cuda_kernelERKNSD_10TensorBaseESH_lENKUlvE_clEvENKUlvE4_clEvEUlS6_S6_E_S6_EEDaPvRmT3_T4_T5_mT6_P12ihipStream_tbENKUlT_T0_E_clISt17integral_constantIbLb0EESX_IbLb1EEEEDaST_SU_EUlST_E0_NS1_11comp_targetILNS1_3genE10ELNS1_11target_archE1201ELNS1_3gpuE5ELNS1_3repE0EEENS1_30default_config_static_selectorELNS0_4arch9wavefront6targetE1EEEvT1_
; %bb.0:
	.section	.rodata,"a",@progbits
	.p2align	6, 0x0
	.amdhsa_kernel _ZN7rocprim17ROCPRIM_400000_NS6detail17trampoline_kernelINS0_14default_configENS1_20scan_config_selectorIN3c108BFloat16EEEZZNS1_9scan_implILNS1_25lookback_scan_determinismE0ELb0ELb0ES3_PKS6_PS6_S6_ZZZN2at6native31launch_logcumsumexp_cuda_kernelERKNSD_10TensorBaseESH_lENKUlvE_clEvENKUlvE4_clEvEUlS6_S6_E_S6_EEDaPvRmT3_T4_T5_mT6_P12ihipStream_tbENKUlT_T0_E_clISt17integral_constantIbLb0EESX_IbLb1EEEEDaST_SU_EUlST_E0_NS1_11comp_targetILNS1_3genE10ELNS1_11target_archE1201ELNS1_3gpuE5ELNS1_3repE0EEENS1_30default_config_static_selectorELNS0_4arch9wavefront6targetE1EEEvT1_
		.amdhsa_group_segment_fixed_size 0
		.amdhsa_private_segment_fixed_size 0
		.amdhsa_kernarg_size 32
		.amdhsa_user_sgpr_count 2
		.amdhsa_user_sgpr_dispatch_ptr 0
		.amdhsa_user_sgpr_queue_ptr 0
		.amdhsa_user_sgpr_kernarg_segment_ptr 1
		.amdhsa_user_sgpr_dispatch_id 0
		.amdhsa_user_sgpr_kernarg_preload_length 0
		.amdhsa_user_sgpr_kernarg_preload_offset 0
		.amdhsa_user_sgpr_private_segment_size 0
		.amdhsa_uses_dynamic_stack 0
		.amdhsa_enable_private_segment 0
		.amdhsa_system_sgpr_workgroup_id_x 1
		.amdhsa_system_sgpr_workgroup_id_y 0
		.amdhsa_system_sgpr_workgroup_id_z 0
		.amdhsa_system_sgpr_workgroup_info 0
		.amdhsa_system_vgpr_workitem_id 0
		.amdhsa_next_free_vgpr 1
		.amdhsa_next_free_sgpr 0
		.amdhsa_accum_offset 4
		.amdhsa_reserve_vcc 0
		.amdhsa_float_round_mode_32 0
		.amdhsa_float_round_mode_16_64 0
		.amdhsa_float_denorm_mode_32 3
		.amdhsa_float_denorm_mode_16_64 3
		.amdhsa_dx10_clamp 1
		.amdhsa_ieee_mode 1
		.amdhsa_fp16_overflow 0
		.amdhsa_tg_split 0
		.amdhsa_exception_fp_ieee_invalid_op 0
		.amdhsa_exception_fp_denorm_src 0
		.amdhsa_exception_fp_ieee_div_zero 0
		.amdhsa_exception_fp_ieee_overflow 0
		.amdhsa_exception_fp_ieee_underflow 0
		.amdhsa_exception_fp_ieee_inexact 0
		.amdhsa_exception_int_div_zero 0
	.end_amdhsa_kernel
	.section	.text._ZN7rocprim17ROCPRIM_400000_NS6detail17trampoline_kernelINS0_14default_configENS1_20scan_config_selectorIN3c108BFloat16EEEZZNS1_9scan_implILNS1_25lookback_scan_determinismE0ELb0ELb0ES3_PKS6_PS6_S6_ZZZN2at6native31launch_logcumsumexp_cuda_kernelERKNSD_10TensorBaseESH_lENKUlvE_clEvENKUlvE4_clEvEUlS6_S6_E_S6_EEDaPvRmT3_T4_T5_mT6_P12ihipStream_tbENKUlT_T0_E_clISt17integral_constantIbLb0EESX_IbLb1EEEEDaST_SU_EUlST_E0_NS1_11comp_targetILNS1_3genE10ELNS1_11target_archE1201ELNS1_3gpuE5ELNS1_3repE0EEENS1_30default_config_static_selectorELNS0_4arch9wavefront6targetE1EEEvT1_,"axG",@progbits,_ZN7rocprim17ROCPRIM_400000_NS6detail17trampoline_kernelINS0_14default_configENS1_20scan_config_selectorIN3c108BFloat16EEEZZNS1_9scan_implILNS1_25lookback_scan_determinismE0ELb0ELb0ES3_PKS6_PS6_S6_ZZZN2at6native31launch_logcumsumexp_cuda_kernelERKNSD_10TensorBaseESH_lENKUlvE_clEvENKUlvE4_clEvEUlS6_S6_E_S6_EEDaPvRmT3_T4_T5_mT6_P12ihipStream_tbENKUlT_T0_E_clISt17integral_constantIbLb0EESX_IbLb1EEEEDaST_SU_EUlST_E0_NS1_11comp_targetILNS1_3genE10ELNS1_11target_archE1201ELNS1_3gpuE5ELNS1_3repE0EEENS1_30default_config_static_selectorELNS0_4arch9wavefront6targetE1EEEvT1_,comdat
.Lfunc_end533:
	.size	_ZN7rocprim17ROCPRIM_400000_NS6detail17trampoline_kernelINS0_14default_configENS1_20scan_config_selectorIN3c108BFloat16EEEZZNS1_9scan_implILNS1_25lookback_scan_determinismE0ELb0ELb0ES3_PKS6_PS6_S6_ZZZN2at6native31launch_logcumsumexp_cuda_kernelERKNSD_10TensorBaseESH_lENKUlvE_clEvENKUlvE4_clEvEUlS6_S6_E_S6_EEDaPvRmT3_T4_T5_mT6_P12ihipStream_tbENKUlT_T0_E_clISt17integral_constantIbLb0EESX_IbLb1EEEEDaST_SU_EUlST_E0_NS1_11comp_targetILNS1_3genE10ELNS1_11target_archE1201ELNS1_3gpuE5ELNS1_3repE0EEENS1_30default_config_static_selectorELNS0_4arch9wavefront6targetE1EEEvT1_, .Lfunc_end533-_ZN7rocprim17ROCPRIM_400000_NS6detail17trampoline_kernelINS0_14default_configENS1_20scan_config_selectorIN3c108BFloat16EEEZZNS1_9scan_implILNS1_25lookback_scan_determinismE0ELb0ELb0ES3_PKS6_PS6_S6_ZZZN2at6native31launch_logcumsumexp_cuda_kernelERKNSD_10TensorBaseESH_lENKUlvE_clEvENKUlvE4_clEvEUlS6_S6_E_S6_EEDaPvRmT3_T4_T5_mT6_P12ihipStream_tbENKUlT_T0_E_clISt17integral_constantIbLb0EESX_IbLb1EEEEDaST_SU_EUlST_E0_NS1_11comp_targetILNS1_3genE10ELNS1_11target_archE1201ELNS1_3gpuE5ELNS1_3repE0EEENS1_30default_config_static_selectorELNS0_4arch9wavefront6targetE1EEEvT1_
                                        ; -- End function
	.section	.AMDGPU.csdata,"",@progbits
; Kernel info:
; codeLenInByte = 0
; NumSgprs: 6
; NumVgprs: 0
; NumAgprs: 0
; TotalNumVgprs: 0
; ScratchSize: 0
; MemoryBound: 0
; FloatMode: 240
; IeeeMode: 1
; LDSByteSize: 0 bytes/workgroup (compile time only)
; SGPRBlocks: 0
; VGPRBlocks: 0
; NumSGPRsForWavesPerEU: 6
; NumVGPRsForWavesPerEU: 1
; AccumOffset: 4
; Occupancy: 8
; WaveLimiterHint : 0
; COMPUTE_PGM_RSRC2:SCRATCH_EN: 0
; COMPUTE_PGM_RSRC2:USER_SGPR: 2
; COMPUTE_PGM_RSRC2:TRAP_HANDLER: 0
; COMPUTE_PGM_RSRC2:TGID_X_EN: 1
; COMPUTE_PGM_RSRC2:TGID_Y_EN: 0
; COMPUTE_PGM_RSRC2:TGID_Z_EN: 0
; COMPUTE_PGM_RSRC2:TIDIG_COMP_CNT: 0
; COMPUTE_PGM_RSRC3_GFX90A:ACCUM_OFFSET: 0
; COMPUTE_PGM_RSRC3_GFX90A:TG_SPLIT: 0
	.section	.text._ZN7rocprim17ROCPRIM_400000_NS6detail17trampoline_kernelINS0_14default_configENS1_20scan_config_selectorIN3c108BFloat16EEEZZNS1_9scan_implILNS1_25lookback_scan_determinismE0ELb0ELb0ES3_PKS6_PS6_S6_ZZZN2at6native31launch_logcumsumexp_cuda_kernelERKNSD_10TensorBaseESH_lENKUlvE_clEvENKUlvE4_clEvEUlS6_S6_E_S6_EEDaPvRmT3_T4_T5_mT6_P12ihipStream_tbENKUlT_T0_E_clISt17integral_constantIbLb0EESX_IbLb1EEEEDaST_SU_EUlST_E0_NS1_11comp_targetILNS1_3genE10ELNS1_11target_archE1200ELNS1_3gpuE4ELNS1_3repE0EEENS1_30default_config_static_selectorELNS0_4arch9wavefront6targetE1EEEvT1_,"axG",@progbits,_ZN7rocprim17ROCPRIM_400000_NS6detail17trampoline_kernelINS0_14default_configENS1_20scan_config_selectorIN3c108BFloat16EEEZZNS1_9scan_implILNS1_25lookback_scan_determinismE0ELb0ELb0ES3_PKS6_PS6_S6_ZZZN2at6native31launch_logcumsumexp_cuda_kernelERKNSD_10TensorBaseESH_lENKUlvE_clEvENKUlvE4_clEvEUlS6_S6_E_S6_EEDaPvRmT3_T4_T5_mT6_P12ihipStream_tbENKUlT_T0_E_clISt17integral_constantIbLb0EESX_IbLb1EEEEDaST_SU_EUlST_E0_NS1_11comp_targetILNS1_3genE10ELNS1_11target_archE1200ELNS1_3gpuE4ELNS1_3repE0EEENS1_30default_config_static_selectorELNS0_4arch9wavefront6targetE1EEEvT1_,comdat
	.globl	_ZN7rocprim17ROCPRIM_400000_NS6detail17trampoline_kernelINS0_14default_configENS1_20scan_config_selectorIN3c108BFloat16EEEZZNS1_9scan_implILNS1_25lookback_scan_determinismE0ELb0ELb0ES3_PKS6_PS6_S6_ZZZN2at6native31launch_logcumsumexp_cuda_kernelERKNSD_10TensorBaseESH_lENKUlvE_clEvENKUlvE4_clEvEUlS6_S6_E_S6_EEDaPvRmT3_T4_T5_mT6_P12ihipStream_tbENKUlT_T0_E_clISt17integral_constantIbLb0EESX_IbLb1EEEEDaST_SU_EUlST_E0_NS1_11comp_targetILNS1_3genE10ELNS1_11target_archE1200ELNS1_3gpuE4ELNS1_3repE0EEENS1_30default_config_static_selectorELNS0_4arch9wavefront6targetE1EEEvT1_ ; -- Begin function _ZN7rocprim17ROCPRIM_400000_NS6detail17trampoline_kernelINS0_14default_configENS1_20scan_config_selectorIN3c108BFloat16EEEZZNS1_9scan_implILNS1_25lookback_scan_determinismE0ELb0ELb0ES3_PKS6_PS6_S6_ZZZN2at6native31launch_logcumsumexp_cuda_kernelERKNSD_10TensorBaseESH_lENKUlvE_clEvENKUlvE4_clEvEUlS6_S6_E_S6_EEDaPvRmT3_T4_T5_mT6_P12ihipStream_tbENKUlT_T0_E_clISt17integral_constantIbLb0EESX_IbLb1EEEEDaST_SU_EUlST_E0_NS1_11comp_targetILNS1_3genE10ELNS1_11target_archE1200ELNS1_3gpuE4ELNS1_3repE0EEENS1_30default_config_static_selectorELNS0_4arch9wavefront6targetE1EEEvT1_
	.p2align	8
	.type	_ZN7rocprim17ROCPRIM_400000_NS6detail17trampoline_kernelINS0_14default_configENS1_20scan_config_selectorIN3c108BFloat16EEEZZNS1_9scan_implILNS1_25lookback_scan_determinismE0ELb0ELb0ES3_PKS6_PS6_S6_ZZZN2at6native31launch_logcumsumexp_cuda_kernelERKNSD_10TensorBaseESH_lENKUlvE_clEvENKUlvE4_clEvEUlS6_S6_E_S6_EEDaPvRmT3_T4_T5_mT6_P12ihipStream_tbENKUlT_T0_E_clISt17integral_constantIbLb0EESX_IbLb1EEEEDaST_SU_EUlST_E0_NS1_11comp_targetILNS1_3genE10ELNS1_11target_archE1200ELNS1_3gpuE4ELNS1_3repE0EEENS1_30default_config_static_selectorELNS0_4arch9wavefront6targetE1EEEvT1_,@function
_ZN7rocprim17ROCPRIM_400000_NS6detail17trampoline_kernelINS0_14default_configENS1_20scan_config_selectorIN3c108BFloat16EEEZZNS1_9scan_implILNS1_25lookback_scan_determinismE0ELb0ELb0ES3_PKS6_PS6_S6_ZZZN2at6native31launch_logcumsumexp_cuda_kernelERKNSD_10TensorBaseESH_lENKUlvE_clEvENKUlvE4_clEvEUlS6_S6_E_S6_EEDaPvRmT3_T4_T5_mT6_P12ihipStream_tbENKUlT_T0_E_clISt17integral_constantIbLb0EESX_IbLb1EEEEDaST_SU_EUlST_E0_NS1_11comp_targetILNS1_3genE10ELNS1_11target_archE1200ELNS1_3gpuE4ELNS1_3repE0EEENS1_30default_config_static_selectorELNS0_4arch9wavefront6targetE1EEEvT1_: ; @_ZN7rocprim17ROCPRIM_400000_NS6detail17trampoline_kernelINS0_14default_configENS1_20scan_config_selectorIN3c108BFloat16EEEZZNS1_9scan_implILNS1_25lookback_scan_determinismE0ELb0ELb0ES3_PKS6_PS6_S6_ZZZN2at6native31launch_logcumsumexp_cuda_kernelERKNSD_10TensorBaseESH_lENKUlvE_clEvENKUlvE4_clEvEUlS6_S6_E_S6_EEDaPvRmT3_T4_T5_mT6_P12ihipStream_tbENKUlT_T0_E_clISt17integral_constantIbLb0EESX_IbLb1EEEEDaST_SU_EUlST_E0_NS1_11comp_targetILNS1_3genE10ELNS1_11target_archE1200ELNS1_3gpuE4ELNS1_3repE0EEENS1_30default_config_static_selectorELNS0_4arch9wavefront6targetE1EEEvT1_
; %bb.0:
	.section	.rodata,"a",@progbits
	.p2align	6, 0x0
	.amdhsa_kernel _ZN7rocprim17ROCPRIM_400000_NS6detail17trampoline_kernelINS0_14default_configENS1_20scan_config_selectorIN3c108BFloat16EEEZZNS1_9scan_implILNS1_25lookback_scan_determinismE0ELb0ELb0ES3_PKS6_PS6_S6_ZZZN2at6native31launch_logcumsumexp_cuda_kernelERKNSD_10TensorBaseESH_lENKUlvE_clEvENKUlvE4_clEvEUlS6_S6_E_S6_EEDaPvRmT3_T4_T5_mT6_P12ihipStream_tbENKUlT_T0_E_clISt17integral_constantIbLb0EESX_IbLb1EEEEDaST_SU_EUlST_E0_NS1_11comp_targetILNS1_3genE10ELNS1_11target_archE1200ELNS1_3gpuE4ELNS1_3repE0EEENS1_30default_config_static_selectorELNS0_4arch9wavefront6targetE1EEEvT1_
		.amdhsa_group_segment_fixed_size 0
		.amdhsa_private_segment_fixed_size 0
		.amdhsa_kernarg_size 32
		.amdhsa_user_sgpr_count 2
		.amdhsa_user_sgpr_dispatch_ptr 0
		.amdhsa_user_sgpr_queue_ptr 0
		.amdhsa_user_sgpr_kernarg_segment_ptr 1
		.amdhsa_user_sgpr_dispatch_id 0
		.amdhsa_user_sgpr_kernarg_preload_length 0
		.amdhsa_user_sgpr_kernarg_preload_offset 0
		.amdhsa_user_sgpr_private_segment_size 0
		.amdhsa_uses_dynamic_stack 0
		.amdhsa_enable_private_segment 0
		.amdhsa_system_sgpr_workgroup_id_x 1
		.amdhsa_system_sgpr_workgroup_id_y 0
		.amdhsa_system_sgpr_workgroup_id_z 0
		.amdhsa_system_sgpr_workgroup_info 0
		.amdhsa_system_vgpr_workitem_id 0
		.amdhsa_next_free_vgpr 1
		.amdhsa_next_free_sgpr 0
		.amdhsa_accum_offset 4
		.amdhsa_reserve_vcc 0
		.amdhsa_float_round_mode_32 0
		.amdhsa_float_round_mode_16_64 0
		.amdhsa_float_denorm_mode_32 3
		.amdhsa_float_denorm_mode_16_64 3
		.amdhsa_dx10_clamp 1
		.amdhsa_ieee_mode 1
		.amdhsa_fp16_overflow 0
		.amdhsa_tg_split 0
		.amdhsa_exception_fp_ieee_invalid_op 0
		.amdhsa_exception_fp_denorm_src 0
		.amdhsa_exception_fp_ieee_div_zero 0
		.amdhsa_exception_fp_ieee_overflow 0
		.amdhsa_exception_fp_ieee_underflow 0
		.amdhsa_exception_fp_ieee_inexact 0
		.amdhsa_exception_int_div_zero 0
	.end_amdhsa_kernel
	.section	.text._ZN7rocprim17ROCPRIM_400000_NS6detail17trampoline_kernelINS0_14default_configENS1_20scan_config_selectorIN3c108BFloat16EEEZZNS1_9scan_implILNS1_25lookback_scan_determinismE0ELb0ELb0ES3_PKS6_PS6_S6_ZZZN2at6native31launch_logcumsumexp_cuda_kernelERKNSD_10TensorBaseESH_lENKUlvE_clEvENKUlvE4_clEvEUlS6_S6_E_S6_EEDaPvRmT3_T4_T5_mT6_P12ihipStream_tbENKUlT_T0_E_clISt17integral_constantIbLb0EESX_IbLb1EEEEDaST_SU_EUlST_E0_NS1_11comp_targetILNS1_3genE10ELNS1_11target_archE1200ELNS1_3gpuE4ELNS1_3repE0EEENS1_30default_config_static_selectorELNS0_4arch9wavefront6targetE1EEEvT1_,"axG",@progbits,_ZN7rocprim17ROCPRIM_400000_NS6detail17trampoline_kernelINS0_14default_configENS1_20scan_config_selectorIN3c108BFloat16EEEZZNS1_9scan_implILNS1_25lookback_scan_determinismE0ELb0ELb0ES3_PKS6_PS6_S6_ZZZN2at6native31launch_logcumsumexp_cuda_kernelERKNSD_10TensorBaseESH_lENKUlvE_clEvENKUlvE4_clEvEUlS6_S6_E_S6_EEDaPvRmT3_T4_T5_mT6_P12ihipStream_tbENKUlT_T0_E_clISt17integral_constantIbLb0EESX_IbLb1EEEEDaST_SU_EUlST_E0_NS1_11comp_targetILNS1_3genE10ELNS1_11target_archE1200ELNS1_3gpuE4ELNS1_3repE0EEENS1_30default_config_static_selectorELNS0_4arch9wavefront6targetE1EEEvT1_,comdat
.Lfunc_end534:
	.size	_ZN7rocprim17ROCPRIM_400000_NS6detail17trampoline_kernelINS0_14default_configENS1_20scan_config_selectorIN3c108BFloat16EEEZZNS1_9scan_implILNS1_25lookback_scan_determinismE0ELb0ELb0ES3_PKS6_PS6_S6_ZZZN2at6native31launch_logcumsumexp_cuda_kernelERKNSD_10TensorBaseESH_lENKUlvE_clEvENKUlvE4_clEvEUlS6_S6_E_S6_EEDaPvRmT3_T4_T5_mT6_P12ihipStream_tbENKUlT_T0_E_clISt17integral_constantIbLb0EESX_IbLb1EEEEDaST_SU_EUlST_E0_NS1_11comp_targetILNS1_3genE10ELNS1_11target_archE1200ELNS1_3gpuE4ELNS1_3repE0EEENS1_30default_config_static_selectorELNS0_4arch9wavefront6targetE1EEEvT1_, .Lfunc_end534-_ZN7rocprim17ROCPRIM_400000_NS6detail17trampoline_kernelINS0_14default_configENS1_20scan_config_selectorIN3c108BFloat16EEEZZNS1_9scan_implILNS1_25lookback_scan_determinismE0ELb0ELb0ES3_PKS6_PS6_S6_ZZZN2at6native31launch_logcumsumexp_cuda_kernelERKNSD_10TensorBaseESH_lENKUlvE_clEvENKUlvE4_clEvEUlS6_S6_E_S6_EEDaPvRmT3_T4_T5_mT6_P12ihipStream_tbENKUlT_T0_E_clISt17integral_constantIbLb0EESX_IbLb1EEEEDaST_SU_EUlST_E0_NS1_11comp_targetILNS1_3genE10ELNS1_11target_archE1200ELNS1_3gpuE4ELNS1_3repE0EEENS1_30default_config_static_selectorELNS0_4arch9wavefront6targetE1EEEvT1_
                                        ; -- End function
	.section	.AMDGPU.csdata,"",@progbits
; Kernel info:
; codeLenInByte = 0
; NumSgprs: 6
; NumVgprs: 0
; NumAgprs: 0
; TotalNumVgprs: 0
; ScratchSize: 0
; MemoryBound: 0
; FloatMode: 240
; IeeeMode: 1
; LDSByteSize: 0 bytes/workgroup (compile time only)
; SGPRBlocks: 0
; VGPRBlocks: 0
; NumSGPRsForWavesPerEU: 6
; NumVGPRsForWavesPerEU: 1
; AccumOffset: 4
; Occupancy: 8
; WaveLimiterHint : 0
; COMPUTE_PGM_RSRC2:SCRATCH_EN: 0
; COMPUTE_PGM_RSRC2:USER_SGPR: 2
; COMPUTE_PGM_RSRC2:TRAP_HANDLER: 0
; COMPUTE_PGM_RSRC2:TGID_X_EN: 1
; COMPUTE_PGM_RSRC2:TGID_Y_EN: 0
; COMPUTE_PGM_RSRC2:TGID_Z_EN: 0
; COMPUTE_PGM_RSRC2:TIDIG_COMP_CNT: 0
; COMPUTE_PGM_RSRC3_GFX90A:ACCUM_OFFSET: 0
; COMPUTE_PGM_RSRC3_GFX90A:TG_SPLIT: 0
	.section	.text._ZN7rocprim17ROCPRIM_400000_NS6detail17trampoline_kernelINS0_14default_configENS1_20scan_config_selectorIN3c108BFloat16EEEZZNS1_9scan_implILNS1_25lookback_scan_determinismE0ELb0ELb0ES3_PKS6_PS6_S6_ZZZN2at6native31launch_logcumsumexp_cuda_kernelERKNSD_10TensorBaseESH_lENKUlvE_clEvENKUlvE4_clEvEUlS6_S6_E_S6_EEDaPvRmT3_T4_T5_mT6_P12ihipStream_tbENKUlT_T0_E_clISt17integral_constantIbLb0EESX_IbLb1EEEEDaST_SU_EUlST_E0_NS1_11comp_targetILNS1_3genE9ELNS1_11target_archE1100ELNS1_3gpuE3ELNS1_3repE0EEENS1_30default_config_static_selectorELNS0_4arch9wavefront6targetE1EEEvT1_,"axG",@progbits,_ZN7rocprim17ROCPRIM_400000_NS6detail17trampoline_kernelINS0_14default_configENS1_20scan_config_selectorIN3c108BFloat16EEEZZNS1_9scan_implILNS1_25lookback_scan_determinismE0ELb0ELb0ES3_PKS6_PS6_S6_ZZZN2at6native31launch_logcumsumexp_cuda_kernelERKNSD_10TensorBaseESH_lENKUlvE_clEvENKUlvE4_clEvEUlS6_S6_E_S6_EEDaPvRmT3_T4_T5_mT6_P12ihipStream_tbENKUlT_T0_E_clISt17integral_constantIbLb0EESX_IbLb1EEEEDaST_SU_EUlST_E0_NS1_11comp_targetILNS1_3genE9ELNS1_11target_archE1100ELNS1_3gpuE3ELNS1_3repE0EEENS1_30default_config_static_selectorELNS0_4arch9wavefront6targetE1EEEvT1_,comdat
	.globl	_ZN7rocprim17ROCPRIM_400000_NS6detail17trampoline_kernelINS0_14default_configENS1_20scan_config_selectorIN3c108BFloat16EEEZZNS1_9scan_implILNS1_25lookback_scan_determinismE0ELb0ELb0ES3_PKS6_PS6_S6_ZZZN2at6native31launch_logcumsumexp_cuda_kernelERKNSD_10TensorBaseESH_lENKUlvE_clEvENKUlvE4_clEvEUlS6_S6_E_S6_EEDaPvRmT3_T4_T5_mT6_P12ihipStream_tbENKUlT_T0_E_clISt17integral_constantIbLb0EESX_IbLb1EEEEDaST_SU_EUlST_E0_NS1_11comp_targetILNS1_3genE9ELNS1_11target_archE1100ELNS1_3gpuE3ELNS1_3repE0EEENS1_30default_config_static_selectorELNS0_4arch9wavefront6targetE1EEEvT1_ ; -- Begin function _ZN7rocprim17ROCPRIM_400000_NS6detail17trampoline_kernelINS0_14default_configENS1_20scan_config_selectorIN3c108BFloat16EEEZZNS1_9scan_implILNS1_25lookback_scan_determinismE0ELb0ELb0ES3_PKS6_PS6_S6_ZZZN2at6native31launch_logcumsumexp_cuda_kernelERKNSD_10TensorBaseESH_lENKUlvE_clEvENKUlvE4_clEvEUlS6_S6_E_S6_EEDaPvRmT3_T4_T5_mT6_P12ihipStream_tbENKUlT_T0_E_clISt17integral_constantIbLb0EESX_IbLb1EEEEDaST_SU_EUlST_E0_NS1_11comp_targetILNS1_3genE9ELNS1_11target_archE1100ELNS1_3gpuE3ELNS1_3repE0EEENS1_30default_config_static_selectorELNS0_4arch9wavefront6targetE1EEEvT1_
	.p2align	8
	.type	_ZN7rocprim17ROCPRIM_400000_NS6detail17trampoline_kernelINS0_14default_configENS1_20scan_config_selectorIN3c108BFloat16EEEZZNS1_9scan_implILNS1_25lookback_scan_determinismE0ELb0ELb0ES3_PKS6_PS6_S6_ZZZN2at6native31launch_logcumsumexp_cuda_kernelERKNSD_10TensorBaseESH_lENKUlvE_clEvENKUlvE4_clEvEUlS6_S6_E_S6_EEDaPvRmT3_T4_T5_mT6_P12ihipStream_tbENKUlT_T0_E_clISt17integral_constantIbLb0EESX_IbLb1EEEEDaST_SU_EUlST_E0_NS1_11comp_targetILNS1_3genE9ELNS1_11target_archE1100ELNS1_3gpuE3ELNS1_3repE0EEENS1_30default_config_static_selectorELNS0_4arch9wavefront6targetE1EEEvT1_,@function
_ZN7rocprim17ROCPRIM_400000_NS6detail17trampoline_kernelINS0_14default_configENS1_20scan_config_selectorIN3c108BFloat16EEEZZNS1_9scan_implILNS1_25lookback_scan_determinismE0ELb0ELb0ES3_PKS6_PS6_S6_ZZZN2at6native31launch_logcumsumexp_cuda_kernelERKNSD_10TensorBaseESH_lENKUlvE_clEvENKUlvE4_clEvEUlS6_S6_E_S6_EEDaPvRmT3_T4_T5_mT6_P12ihipStream_tbENKUlT_T0_E_clISt17integral_constantIbLb0EESX_IbLb1EEEEDaST_SU_EUlST_E0_NS1_11comp_targetILNS1_3genE9ELNS1_11target_archE1100ELNS1_3gpuE3ELNS1_3repE0EEENS1_30default_config_static_selectorELNS0_4arch9wavefront6targetE1EEEvT1_: ; @_ZN7rocprim17ROCPRIM_400000_NS6detail17trampoline_kernelINS0_14default_configENS1_20scan_config_selectorIN3c108BFloat16EEEZZNS1_9scan_implILNS1_25lookback_scan_determinismE0ELb0ELb0ES3_PKS6_PS6_S6_ZZZN2at6native31launch_logcumsumexp_cuda_kernelERKNSD_10TensorBaseESH_lENKUlvE_clEvENKUlvE4_clEvEUlS6_S6_E_S6_EEDaPvRmT3_T4_T5_mT6_P12ihipStream_tbENKUlT_T0_E_clISt17integral_constantIbLb0EESX_IbLb1EEEEDaST_SU_EUlST_E0_NS1_11comp_targetILNS1_3genE9ELNS1_11target_archE1100ELNS1_3gpuE3ELNS1_3repE0EEENS1_30default_config_static_selectorELNS0_4arch9wavefront6targetE1EEEvT1_
; %bb.0:
	.section	.rodata,"a",@progbits
	.p2align	6, 0x0
	.amdhsa_kernel _ZN7rocprim17ROCPRIM_400000_NS6detail17trampoline_kernelINS0_14default_configENS1_20scan_config_selectorIN3c108BFloat16EEEZZNS1_9scan_implILNS1_25lookback_scan_determinismE0ELb0ELb0ES3_PKS6_PS6_S6_ZZZN2at6native31launch_logcumsumexp_cuda_kernelERKNSD_10TensorBaseESH_lENKUlvE_clEvENKUlvE4_clEvEUlS6_S6_E_S6_EEDaPvRmT3_T4_T5_mT6_P12ihipStream_tbENKUlT_T0_E_clISt17integral_constantIbLb0EESX_IbLb1EEEEDaST_SU_EUlST_E0_NS1_11comp_targetILNS1_3genE9ELNS1_11target_archE1100ELNS1_3gpuE3ELNS1_3repE0EEENS1_30default_config_static_selectorELNS0_4arch9wavefront6targetE1EEEvT1_
		.amdhsa_group_segment_fixed_size 0
		.amdhsa_private_segment_fixed_size 0
		.amdhsa_kernarg_size 32
		.amdhsa_user_sgpr_count 2
		.amdhsa_user_sgpr_dispatch_ptr 0
		.amdhsa_user_sgpr_queue_ptr 0
		.amdhsa_user_sgpr_kernarg_segment_ptr 1
		.amdhsa_user_sgpr_dispatch_id 0
		.amdhsa_user_sgpr_kernarg_preload_length 0
		.amdhsa_user_sgpr_kernarg_preload_offset 0
		.amdhsa_user_sgpr_private_segment_size 0
		.amdhsa_uses_dynamic_stack 0
		.amdhsa_enable_private_segment 0
		.amdhsa_system_sgpr_workgroup_id_x 1
		.amdhsa_system_sgpr_workgroup_id_y 0
		.amdhsa_system_sgpr_workgroup_id_z 0
		.amdhsa_system_sgpr_workgroup_info 0
		.amdhsa_system_vgpr_workitem_id 0
		.amdhsa_next_free_vgpr 1
		.amdhsa_next_free_sgpr 0
		.amdhsa_accum_offset 4
		.amdhsa_reserve_vcc 0
		.amdhsa_float_round_mode_32 0
		.amdhsa_float_round_mode_16_64 0
		.amdhsa_float_denorm_mode_32 3
		.amdhsa_float_denorm_mode_16_64 3
		.amdhsa_dx10_clamp 1
		.amdhsa_ieee_mode 1
		.amdhsa_fp16_overflow 0
		.amdhsa_tg_split 0
		.amdhsa_exception_fp_ieee_invalid_op 0
		.amdhsa_exception_fp_denorm_src 0
		.amdhsa_exception_fp_ieee_div_zero 0
		.amdhsa_exception_fp_ieee_overflow 0
		.amdhsa_exception_fp_ieee_underflow 0
		.amdhsa_exception_fp_ieee_inexact 0
		.amdhsa_exception_int_div_zero 0
	.end_amdhsa_kernel
	.section	.text._ZN7rocprim17ROCPRIM_400000_NS6detail17trampoline_kernelINS0_14default_configENS1_20scan_config_selectorIN3c108BFloat16EEEZZNS1_9scan_implILNS1_25lookback_scan_determinismE0ELb0ELb0ES3_PKS6_PS6_S6_ZZZN2at6native31launch_logcumsumexp_cuda_kernelERKNSD_10TensorBaseESH_lENKUlvE_clEvENKUlvE4_clEvEUlS6_S6_E_S6_EEDaPvRmT3_T4_T5_mT6_P12ihipStream_tbENKUlT_T0_E_clISt17integral_constantIbLb0EESX_IbLb1EEEEDaST_SU_EUlST_E0_NS1_11comp_targetILNS1_3genE9ELNS1_11target_archE1100ELNS1_3gpuE3ELNS1_3repE0EEENS1_30default_config_static_selectorELNS0_4arch9wavefront6targetE1EEEvT1_,"axG",@progbits,_ZN7rocprim17ROCPRIM_400000_NS6detail17trampoline_kernelINS0_14default_configENS1_20scan_config_selectorIN3c108BFloat16EEEZZNS1_9scan_implILNS1_25lookback_scan_determinismE0ELb0ELb0ES3_PKS6_PS6_S6_ZZZN2at6native31launch_logcumsumexp_cuda_kernelERKNSD_10TensorBaseESH_lENKUlvE_clEvENKUlvE4_clEvEUlS6_S6_E_S6_EEDaPvRmT3_T4_T5_mT6_P12ihipStream_tbENKUlT_T0_E_clISt17integral_constantIbLb0EESX_IbLb1EEEEDaST_SU_EUlST_E0_NS1_11comp_targetILNS1_3genE9ELNS1_11target_archE1100ELNS1_3gpuE3ELNS1_3repE0EEENS1_30default_config_static_selectorELNS0_4arch9wavefront6targetE1EEEvT1_,comdat
.Lfunc_end535:
	.size	_ZN7rocprim17ROCPRIM_400000_NS6detail17trampoline_kernelINS0_14default_configENS1_20scan_config_selectorIN3c108BFloat16EEEZZNS1_9scan_implILNS1_25lookback_scan_determinismE0ELb0ELb0ES3_PKS6_PS6_S6_ZZZN2at6native31launch_logcumsumexp_cuda_kernelERKNSD_10TensorBaseESH_lENKUlvE_clEvENKUlvE4_clEvEUlS6_S6_E_S6_EEDaPvRmT3_T4_T5_mT6_P12ihipStream_tbENKUlT_T0_E_clISt17integral_constantIbLb0EESX_IbLb1EEEEDaST_SU_EUlST_E0_NS1_11comp_targetILNS1_3genE9ELNS1_11target_archE1100ELNS1_3gpuE3ELNS1_3repE0EEENS1_30default_config_static_selectorELNS0_4arch9wavefront6targetE1EEEvT1_, .Lfunc_end535-_ZN7rocprim17ROCPRIM_400000_NS6detail17trampoline_kernelINS0_14default_configENS1_20scan_config_selectorIN3c108BFloat16EEEZZNS1_9scan_implILNS1_25lookback_scan_determinismE0ELb0ELb0ES3_PKS6_PS6_S6_ZZZN2at6native31launch_logcumsumexp_cuda_kernelERKNSD_10TensorBaseESH_lENKUlvE_clEvENKUlvE4_clEvEUlS6_S6_E_S6_EEDaPvRmT3_T4_T5_mT6_P12ihipStream_tbENKUlT_T0_E_clISt17integral_constantIbLb0EESX_IbLb1EEEEDaST_SU_EUlST_E0_NS1_11comp_targetILNS1_3genE9ELNS1_11target_archE1100ELNS1_3gpuE3ELNS1_3repE0EEENS1_30default_config_static_selectorELNS0_4arch9wavefront6targetE1EEEvT1_
                                        ; -- End function
	.section	.AMDGPU.csdata,"",@progbits
; Kernel info:
; codeLenInByte = 0
; NumSgprs: 6
; NumVgprs: 0
; NumAgprs: 0
; TotalNumVgprs: 0
; ScratchSize: 0
; MemoryBound: 0
; FloatMode: 240
; IeeeMode: 1
; LDSByteSize: 0 bytes/workgroup (compile time only)
; SGPRBlocks: 0
; VGPRBlocks: 0
; NumSGPRsForWavesPerEU: 6
; NumVGPRsForWavesPerEU: 1
; AccumOffset: 4
; Occupancy: 8
; WaveLimiterHint : 0
; COMPUTE_PGM_RSRC2:SCRATCH_EN: 0
; COMPUTE_PGM_RSRC2:USER_SGPR: 2
; COMPUTE_PGM_RSRC2:TRAP_HANDLER: 0
; COMPUTE_PGM_RSRC2:TGID_X_EN: 1
; COMPUTE_PGM_RSRC2:TGID_Y_EN: 0
; COMPUTE_PGM_RSRC2:TGID_Z_EN: 0
; COMPUTE_PGM_RSRC2:TIDIG_COMP_CNT: 0
; COMPUTE_PGM_RSRC3_GFX90A:ACCUM_OFFSET: 0
; COMPUTE_PGM_RSRC3_GFX90A:TG_SPLIT: 0
	.section	.text._ZN7rocprim17ROCPRIM_400000_NS6detail17trampoline_kernelINS0_14default_configENS1_20scan_config_selectorIN3c108BFloat16EEEZZNS1_9scan_implILNS1_25lookback_scan_determinismE0ELb0ELb0ES3_PKS6_PS6_S6_ZZZN2at6native31launch_logcumsumexp_cuda_kernelERKNSD_10TensorBaseESH_lENKUlvE_clEvENKUlvE4_clEvEUlS6_S6_E_S6_EEDaPvRmT3_T4_T5_mT6_P12ihipStream_tbENKUlT_T0_E_clISt17integral_constantIbLb0EESX_IbLb1EEEEDaST_SU_EUlST_E0_NS1_11comp_targetILNS1_3genE8ELNS1_11target_archE1030ELNS1_3gpuE2ELNS1_3repE0EEENS1_30default_config_static_selectorELNS0_4arch9wavefront6targetE1EEEvT1_,"axG",@progbits,_ZN7rocprim17ROCPRIM_400000_NS6detail17trampoline_kernelINS0_14default_configENS1_20scan_config_selectorIN3c108BFloat16EEEZZNS1_9scan_implILNS1_25lookback_scan_determinismE0ELb0ELb0ES3_PKS6_PS6_S6_ZZZN2at6native31launch_logcumsumexp_cuda_kernelERKNSD_10TensorBaseESH_lENKUlvE_clEvENKUlvE4_clEvEUlS6_S6_E_S6_EEDaPvRmT3_T4_T5_mT6_P12ihipStream_tbENKUlT_T0_E_clISt17integral_constantIbLb0EESX_IbLb1EEEEDaST_SU_EUlST_E0_NS1_11comp_targetILNS1_3genE8ELNS1_11target_archE1030ELNS1_3gpuE2ELNS1_3repE0EEENS1_30default_config_static_selectorELNS0_4arch9wavefront6targetE1EEEvT1_,comdat
	.globl	_ZN7rocprim17ROCPRIM_400000_NS6detail17trampoline_kernelINS0_14default_configENS1_20scan_config_selectorIN3c108BFloat16EEEZZNS1_9scan_implILNS1_25lookback_scan_determinismE0ELb0ELb0ES3_PKS6_PS6_S6_ZZZN2at6native31launch_logcumsumexp_cuda_kernelERKNSD_10TensorBaseESH_lENKUlvE_clEvENKUlvE4_clEvEUlS6_S6_E_S6_EEDaPvRmT3_T4_T5_mT6_P12ihipStream_tbENKUlT_T0_E_clISt17integral_constantIbLb0EESX_IbLb1EEEEDaST_SU_EUlST_E0_NS1_11comp_targetILNS1_3genE8ELNS1_11target_archE1030ELNS1_3gpuE2ELNS1_3repE0EEENS1_30default_config_static_selectorELNS0_4arch9wavefront6targetE1EEEvT1_ ; -- Begin function _ZN7rocprim17ROCPRIM_400000_NS6detail17trampoline_kernelINS0_14default_configENS1_20scan_config_selectorIN3c108BFloat16EEEZZNS1_9scan_implILNS1_25lookback_scan_determinismE0ELb0ELb0ES3_PKS6_PS6_S6_ZZZN2at6native31launch_logcumsumexp_cuda_kernelERKNSD_10TensorBaseESH_lENKUlvE_clEvENKUlvE4_clEvEUlS6_S6_E_S6_EEDaPvRmT3_T4_T5_mT6_P12ihipStream_tbENKUlT_T0_E_clISt17integral_constantIbLb0EESX_IbLb1EEEEDaST_SU_EUlST_E0_NS1_11comp_targetILNS1_3genE8ELNS1_11target_archE1030ELNS1_3gpuE2ELNS1_3repE0EEENS1_30default_config_static_selectorELNS0_4arch9wavefront6targetE1EEEvT1_
	.p2align	8
	.type	_ZN7rocprim17ROCPRIM_400000_NS6detail17trampoline_kernelINS0_14default_configENS1_20scan_config_selectorIN3c108BFloat16EEEZZNS1_9scan_implILNS1_25lookback_scan_determinismE0ELb0ELb0ES3_PKS6_PS6_S6_ZZZN2at6native31launch_logcumsumexp_cuda_kernelERKNSD_10TensorBaseESH_lENKUlvE_clEvENKUlvE4_clEvEUlS6_S6_E_S6_EEDaPvRmT3_T4_T5_mT6_P12ihipStream_tbENKUlT_T0_E_clISt17integral_constantIbLb0EESX_IbLb1EEEEDaST_SU_EUlST_E0_NS1_11comp_targetILNS1_3genE8ELNS1_11target_archE1030ELNS1_3gpuE2ELNS1_3repE0EEENS1_30default_config_static_selectorELNS0_4arch9wavefront6targetE1EEEvT1_,@function
_ZN7rocprim17ROCPRIM_400000_NS6detail17trampoline_kernelINS0_14default_configENS1_20scan_config_selectorIN3c108BFloat16EEEZZNS1_9scan_implILNS1_25lookback_scan_determinismE0ELb0ELb0ES3_PKS6_PS6_S6_ZZZN2at6native31launch_logcumsumexp_cuda_kernelERKNSD_10TensorBaseESH_lENKUlvE_clEvENKUlvE4_clEvEUlS6_S6_E_S6_EEDaPvRmT3_T4_T5_mT6_P12ihipStream_tbENKUlT_T0_E_clISt17integral_constantIbLb0EESX_IbLb1EEEEDaST_SU_EUlST_E0_NS1_11comp_targetILNS1_3genE8ELNS1_11target_archE1030ELNS1_3gpuE2ELNS1_3repE0EEENS1_30default_config_static_selectorELNS0_4arch9wavefront6targetE1EEEvT1_: ; @_ZN7rocprim17ROCPRIM_400000_NS6detail17trampoline_kernelINS0_14default_configENS1_20scan_config_selectorIN3c108BFloat16EEEZZNS1_9scan_implILNS1_25lookback_scan_determinismE0ELb0ELb0ES3_PKS6_PS6_S6_ZZZN2at6native31launch_logcumsumexp_cuda_kernelERKNSD_10TensorBaseESH_lENKUlvE_clEvENKUlvE4_clEvEUlS6_S6_E_S6_EEDaPvRmT3_T4_T5_mT6_P12ihipStream_tbENKUlT_T0_E_clISt17integral_constantIbLb0EESX_IbLb1EEEEDaST_SU_EUlST_E0_NS1_11comp_targetILNS1_3genE8ELNS1_11target_archE1030ELNS1_3gpuE2ELNS1_3repE0EEENS1_30default_config_static_selectorELNS0_4arch9wavefront6targetE1EEEvT1_
; %bb.0:
	.section	.rodata,"a",@progbits
	.p2align	6, 0x0
	.amdhsa_kernel _ZN7rocprim17ROCPRIM_400000_NS6detail17trampoline_kernelINS0_14default_configENS1_20scan_config_selectorIN3c108BFloat16EEEZZNS1_9scan_implILNS1_25lookback_scan_determinismE0ELb0ELb0ES3_PKS6_PS6_S6_ZZZN2at6native31launch_logcumsumexp_cuda_kernelERKNSD_10TensorBaseESH_lENKUlvE_clEvENKUlvE4_clEvEUlS6_S6_E_S6_EEDaPvRmT3_T4_T5_mT6_P12ihipStream_tbENKUlT_T0_E_clISt17integral_constantIbLb0EESX_IbLb1EEEEDaST_SU_EUlST_E0_NS1_11comp_targetILNS1_3genE8ELNS1_11target_archE1030ELNS1_3gpuE2ELNS1_3repE0EEENS1_30default_config_static_selectorELNS0_4arch9wavefront6targetE1EEEvT1_
		.amdhsa_group_segment_fixed_size 0
		.amdhsa_private_segment_fixed_size 0
		.amdhsa_kernarg_size 32
		.amdhsa_user_sgpr_count 2
		.amdhsa_user_sgpr_dispatch_ptr 0
		.amdhsa_user_sgpr_queue_ptr 0
		.amdhsa_user_sgpr_kernarg_segment_ptr 1
		.amdhsa_user_sgpr_dispatch_id 0
		.amdhsa_user_sgpr_kernarg_preload_length 0
		.amdhsa_user_sgpr_kernarg_preload_offset 0
		.amdhsa_user_sgpr_private_segment_size 0
		.amdhsa_uses_dynamic_stack 0
		.amdhsa_enable_private_segment 0
		.amdhsa_system_sgpr_workgroup_id_x 1
		.amdhsa_system_sgpr_workgroup_id_y 0
		.amdhsa_system_sgpr_workgroup_id_z 0
		.amdhsa_system_sgpr_workgroup_info 0
		.amdhsa_system_vgpr_workitem_id 0
		.amdhsa_next_free_vgpr 1
		.amdhsa_next_free_sgpr 0
		.amdhsa_accum_offset 4
		.amdhsa_reserve_vcc 0
		.amdhsa_float_round_mode_32 0
		.amdhsa_float_round_mode_16_64 0
		.amdhsa_float_denorm_mode_32 3
		.amdhsa_float_denorm_mode_16_64 3
		.amdhsa_dx10_clamp 1
		.amdhsa_ieee_mode 1
		.amdhsa_fp16_overflow 0
		.amdhsa_tg_split 0
		.amdhsa_exception_fp_ieee_invalid_op 0
		.amdhsa_exception_fp_denorm_src 0
		.amdhsa_exception_fp_ieee_div_zero 0
		.amdhsa_exception_fp_ieee_overflow 0
		.amdhsa_exception_fp_ieee_underflow 0
		.amdhsa_exception_fp_ieee_inexact 0
		.amdhsa_exception_int_div_zero 0
	.end_amdhsa_kernel
	.section	.text._ZN7rocprim17ROCPRIM_400000_NS6detail17trampoline_kernelINS0_14default_configENS1_20scan_config_selectorIN3c108BFloat16EEEZZNS1_9scan_implILNS1_25lookback_scan_determinismE0ELb0ELb0ES3_PKS6_PS6_S6_ZZZN2at6native31launch_logcumsumexp_cuda_kernelERKNSD_10TensorBaseESH_lENKUlvE_clEvENKUlvE4_clEvEUlS6_S6_E_S6_EEDaPvRmT3_T4_T5_mT6_P12ihipStream_tbENKUlT_T0_E_clISt17integral_constantIbLb0EESX_IbLb1EEEEDaST_SU_EUlST_E0_NS1_11comp_targetILNS1_3genE8ELNS1_11target_archE1030ELNS1_3gpuE2ELNS1_3repE0EEENS1_30default_config_static_selectorELNS0_4arch9wavefront6targetE1EEEvT1_,"axG",@progbits,_ZN7rocprim17ROCPRIM_400000_NS6detail17trampoline_kernelINS0_14default_configENS1_20scan_config_selectorIN3c108BFloat16EEEZZNS1_9scan_implILNS1_25lookback_scan_determinismE0ELb0ELb0ES3_PKS6_PS6_S6_ZZZN2at6native31launch_logcumsumexp_cuda_kernelERKNSD_10TensorBaseESH_lENKUlvE_clEvENKUlvE4_clEvEUlS6_S6_E_S6_EEDaPvRmT3_T4_T5_mT6_P12ihipStream_tbENKUlT_T0_E_clISt17integral_constantIbLb0EESX_IbLb1EEEEDaST_SU_EUlST_E0_NS1_11comp_targetILNS1_3genE8ELNS1_11target_archE1030ELNS1_3gpuE2ELNS1_3repE0EEENS1_30default_config_static_selectorELNS0_4arch9wavefront6targetE1EEEvT1_,comdat
.Lfunc_end536:
	.size	_ZN7rocprim17ROCPRIM_400000_NS6detail17trampoline_kernelINS0_14default_configENS1_20scan_config_selectorIN3c108BFloat16EEEZZNS1_9scan_implILNS1_25lookback_scan_determinismE0ELb0ELb0ES3_PKS6_PS6_S6_ZZZN2at6native31launch_logcumsumexp_cuda_kernelERKNSD_10TensorBaseESH_lENKUlvE_clEvENKUlvE4_clEvEUlS6_S6_E_S6_EEDaPvRmT3_T4_T5_mT6_P12ihipStream_tbENKUlT_T0_E_clISt17integral_constantIbLb0EESX_IbLb1EEEEDaST_SU_EUlST_E0_NS1_11comp_targetILNS1_3genE8ELNS1_11target_archE1030ELNS1_3gpuE2ELNS1_3repE0EEENS1_30default_config_static_selectorELNS0_4arch9wavefront6targetE1EEEvT1_, .Lfunc_end536-_ZN7rocprim17ROCPRIM_400000_NS6detail17trampoline_kernelINS0_14default_configENS1_20scan_config_selectorIN3c108BFloat16EEEZZNS1_9scan_implILNS1_25lookback_scan_determinismE0ELb0ELb0ES3_PKS6_PS6_S6_ZZZN2at6native31launch_logcumsumexp_cuda_kernelERKNSD_10TensorBaseESH_lENKUlvE_clEvENKUlvE4_clEvEUlS6_S6_E_S6_EEDaPvRmT3_T4_T5_mT6_P12ihipStream_tbENKUlT_T0_E_clISt17integral_constantIbLb0EESX_IbLb1EEEEDaST_SU_EUlST_E0_NS1_11comp_targetILNS1_3genE8ELNS1_11target_archE1030ELNS1_3gpuE2ELNS1_3repE0EEENS1_30default_config_static_selectorELNS0_4arch9wavefront6targetE1EEEvT1_
                                        ; -- End function
	.section	.AMDGPU.csdata,"",@progbits
; Kernel info:
; codeLenInByte = 0
; NumSgprs: 6
; NumVgprs: 0
; NumAgprs: 0
; TotalNumVgprs: 0
; ScratchSize: 0
; MemoryBound: 0
; FloatMode: 240
; IeeeMode: 1
; LDSByteSize: 0 bytes/workgroup (compile time only)
; SGPRBlocks: 0
; VGPRBlocks: 0
; NumSGPRsForWavesPerEU: 6
; NumVGPRsForWavesPerEU: 1
; AccumOffset: 4
; Occupancy: 8
; WaveLimiterHint : 0
; COMPUTE_PGM_RSRC2:SCRATCH_EN: 0
; COMPUTE_PGM_RSRC2:USER_SGPR: 2
; COMPUTE_PGM_RSRC2:TRAP_HANDLER: 0
; COMPUTE_PGM_RSRC2:TGID_X_EN: 1
; COMPUTE_PGM_RSRC2:TGID_Y_EN: 0
; COMPUTE_PGM_RSRC2:TGID_Z_EN: 0
; COMPUTE_PGM_RSRC2:TIDIG_COMP_CNT: 0
; COMPUTE_PGM_RSRC3_GFX90A:ACCUM_OFFSET: 0
; COMPUTE_PGM_RSRC3_GFX90A:TG_SPLIT: 0
	.section	.text._ZN2at6native32tensor_kernel_scan_innermost_dimIN3c108BFloat16EZZZNS0_31launch_logcumsumexp_cuda_kernelERKNS_10TensorBaseES6_lENKUlvE_clEvENKUlvE4_clEvEUlS3_S3_E_EEvPT_PKSA_jjjSA_T0_,"axG",@progbits,_ZN2at6native32tensor_kernel_scan_innermost_dimIN3c108BFloat16EZZZNS0_31launch_logcumsumexp_cuda_kernelERKNS_10TensorBaseES6_lENKUlvE_clEvENKUlvE4_clEvEUlS3_S3_E_EEvPT_PKSA_jjjSA_T0_,comdat
	.globl	_ZN2at6native32tensor_kernel_scan_innermost_dimIN3c108BFloat16EZZZNS0_31launch_logcumsumexp_cuda_kernelERKNS_10TensorBaseES6_lENKUlvE_clEvENKUlvE4_clEvEUlS3_S3_E_EEvPT_PKSA_jjjSA_T0_ ; -- Begin function _ZN2at6native32tensor_kernel_scan_innermost_dimIN3c108BFloat16EZZZNS0_31launch_logcumsumexp_cuda_kernelERKNS_10TensorBaseES6_lENKUlvE_clEvENKUlvE4_clEvEUlS3_S3_E_EEvPT_PKSA_jjjSA_T0_
	.p2align	8
	.type	_ZN2at6native32tensor_kernel_scan_innermost_dimIN3c108BFloat16EZZZNS0_31launch_logcumsumexp_cuda_kernelERKNS_10TensorBaseES6_lENKUlvE_clEvENKUlvE4_clEvEUlS3_S3_E_EEvPT_PKSA_jjjSA_T0_,@function
_ZN2at6native32tensor_kernel_scan_innermost_dimIN3c108BFloat16EZZZNS0_31launch_logcumsumexp_cuda_kernelERKNS_10TensorBaseES6_lENKUlvE_clEvENKUlvE4_clEvEUlS3_S3_E_EEvPT_PKSA_jjjSA_T0_: ; @_ZN2at6native32tensor_kernel_scan_innermost_dimIN3c108BFloat16EZZZNS0_31launch_logcumsumexp_cuda_kernelERKNS_10TensorBaseES6_lENKUlvE_clEvENKUlvE4_clEvEUlS3_S3_E_EEvPT_PKSA_jjjSA_T0_
; %bb.0:
	s_load_dwordx8 s[16:23], s[0:1], 0x0
	v_bfe_u32 v2, v0, 10, 10
	s_waitcnt lgkmcnt(0)
	s_lshl_b32 s3, 2, s22
	v_mul_lo_u32 v1, s3, v2
	s_mul_hi_u32 s4, s20, s21
	s_mov_b32 s14, s20
	v_lshl_add_u32 v18, v1, 1, 0
	s_cmp_lg_u32 s4, 0
	s_mov_b64 s[4:5], -1
	s_cbranch_scc1 .LBB537_30
; %bb.1:
	s_load_dword s6, s[0:1], 0x2c
	s_add_u32 s4, s0, 32
	s_addc_u32 s5, s1, 0
	s_waitcnt lgkmcnt(0)
	s_lshr_b32 s6, s6, 16
	s_mul_i32 s15, s2, s6
	s_cmp_ge_u32 s15, s20
	s_cbranch_scc1 .LBB537_29
; %bb.2:
	s_load_dword s29, s[4:5], 0x0
	s_lshl_b32 s28, 1, s22
	s_cmp_lg_u32 s21, 0
	v_and_b32_e32 v1, 0x3ff, v0
	s_cselect_b64 s[4:5], -1, 0
	v_lshl_add_u32 v3, v1, 1, v18
	v_add_u32_e32 v15, -2, v18
	v_cndmask_b32_e64 v4, 0, 1, s[4:5]
	v_lshl_add_u32 v14, s28, 1, v3
	v_cmp_eq_u32_e64 s[8:9], 0, v1
	v_lshl_add_u32 v16, s3, 1, v15
	s_waitcnt lgkmcnt(0)
	s_mul_i32 s29, s29, s6
	s_add_i32 s30, s22, 1
	v_cmp_ne_u32_e64 s[4:5], 1, v4
	v_mov_b32_e32 v5, 0
	s_movk_i32 s31, 0x1f8
	s_mov_b32 s33, 0x3fb8aa3b
	s_mov_b32 s34, 0xc2ce8ed0
	s_mov_b32 s35, 0x42b17218
	s_mov_b32 s36, 0x7f800000
	s_mov_b32 s37, 0x3f2aaaab
	v_mov_b32_e32 v17, 0x3ecc95a3
	s_mov_b32 s38, 0x3f317218
	s_mov_b32 s39, 0x33800000
	s_movk_i32 s40, 0x7fff
	v_mov_b32_e32 v19, 0x7f800000
	v_mov_b32_e32 v6, 0x3f317218
	;; [unrolled: 1-line block ×3, first 2 shown]
                                        ; implicit-def: $vgpr4
	s_branch .LBB537_4
.LBB537_3:                              ;   in Loop: Header=BB537_4 Depth=1
	s_add_i32 s15, s15, s29
	s_cmp_ge_u32 s15, s20
	s_cbranch_scc1 .LBB537_29
.LBB537_4:                              ; =>This Loop Header: Depth=1
                                        ;     Child Loop BB537_7 Depth 2
                                        ;       Child Loop BB537_19 Depth 3
	s_and_b64 vcc, exec, s[4:5]
	s_cbranch_vccnz .LBB537_3
; %bb.5:                                ;   in Loop: Header=BB537_4 Depth=1
	v_add_u32_e32 v7, s15, v2
	v_mul_lo_u32 v4, v7, s21
	v_lshlrev_b64 v[10:11], 1, v[4:5]
	v_lshl_add_u64 v[8:9], s[18:19], 0, v[10:11]
	v_lshl_add_u64 v[10:11], s[16:17], 0, v[10:11]
	v_cmp_gt_u32_e32 vcc, s20, v7
	v_cmp_le_u32_e64 s[6:7], s20, v7
	s_mov_b32 s41, 0
	v_mov_b32_e32 v7, s23
	s_branch .LBB537_7
.LBB537_6:                              ;   in Loop: Header=BB537_7 Depth=2
	s_or_b64 exec, exec, s[12:13]
	ds_read_u16 v7, v16
	s_add_i32 s41, s41, s3
	s_cmp_ge_u32 s41, s21
	s_waitcnt lgkmcnt(0)
	s_barrier
	s_cbranch_scc1 .LBB537_3
.LBB537_7:                              ;   Parent Loop BB537_4 Depth=1
                                        ; =>  This Loop Header: Depth=2
                                        ;       Child Loop BB537_19 Depth 3
	v_add_u32_e32 v4, s41, v1
	v_add_u32_e32 v12, s28, v4
	s_and_saveexec_b64 s[24:25], vcc
	s_cbranch_execz .LBB537_16
; %bb.8:                                ;   in Loop: Header=BB537_7 Depth=2
	v_cmp_gt_u32_e64 s[10:11], s21, v4
	v_mov_b32_e32 v13, s23
	s_and_saveexec_b64 s[12:13], s[10:11]
	s_cbranch_execz .LBB537_10
; %bb.9:                                ;   in Loop: Header=BB537_7 Depth=2
	v_lshl_add_u64 v[22:23], v[4:5], 1, v[8:9]
	global_load_ushort v13, v[22:23], off
.LBB537_10:                             ;   in Loop: Header=BB537_7 Depth=2
	s_or_b64 exec, exec, s[12:13]
	s_waitcnt vmcnt(0)
	ds_write_b16 v3, v13
	v_cmp_gt_u32_e64 s[10:11], s21, v12
	v_mov_b32_e32 v13, s23
	s_and_saveexec_b64 s[12:13], s[10:11]
	s_cbranch_execz .LBB537_12
; %bb.11:                               ;   in Loop: Header=BB537_7 Depth=2
	v_mov_b32_e32 v13, v5
	v_lshl_add_u64 v[22:23], v[12:13], 1, v[8:9]
	global_load_ushort v13, v[22:23], off
.LBB537_12:                             ;   in Loop: Header=BB537_7 Depth=2
	s_or_b64 exec, exec, s[12:13]
	s_waitcnt vmcnt(0)
	ds_write_b16 v14, v13
	s_and_b64 exec, exec, s[8:9]
	s_cbranch_execz .LBB537_16
; %bb.13:                               ;   in Loop: Header=BB537_7 Depth=2
	ds_read_u16 v13, v18
	v_lshlrev_b32_e32 v22, 16, v7
	v_max_f32_e32 v23, v22, v22
	v_cmp_u_f32_e64 s[12:13], v22, v22
	s_waitcnt lgkmcnt(0)
	v_lshlrev_b32_e32 v7, 16, v13
	v_max_f32_e32 v13, v7, v7
	v_min_f32_e32 v21, v13, v23
	v_cmp_u_f32_e64 s[10:11], v7, v7
	v_max_f32_e32 v13, v13, v23
	s_nop 0
	v_cndmask_b32_e64 v21, v21, v7, s[10:11]
	v_cndmask_b32_e64 v13, v13, v7, s[10:11]
	;; [unrolled: 1-line block ×4, first 2 shown]
	v_cmp_neq_f32_e64 s[10:11], v21, v13
	v_cmp_class_f32_e64 s[12:13], v21, s31
	s_or_b64 s[10:11], s[10:11], s[12:13]
	s_and_saveexec_b64 s[12:13], s[10:11]
	s_cbranch_execz .LBB537_15
; %bb.14:                               ;   in Loop: Header=BB537_7 Depth=2
	v_sub_f32_e32 v7, v21, v13
	v_mul_f32_e32 v21, 0x3fb8aa3b, v7
	v_fma_f32 v22, v7, s33, -v21
	v_rndne_f32_e32 v23, v21
	v_fmac_f32_e32 v22, 0x32a5705f, v7
	v_sub_f32_e32 v21, v21, v23
	v_add_f32_e32 v21, v21, v22
	v_cvt_i32_f32_e32 v22, v23
	v_exp_f32_e32 v21, v21
	v_cmp_ngt_f32_e64 s[10:11], s34, v7
	v_ldexp_f32 v21, v21, v22
	s_nop 0
	v_cndmask_b32_e64 v21, 0, v21, s[10:11]
	v_cmp_nlt_f32_e64 s[10:11], s35, v7
	s_nop 1
	v_cndmask_b32_e64 v21, v19, v21, s[10:11]
	v_add_f32_e32 v7, 1.0, v21
	v_add_f32_e32 v22, -1.0, v7
	v_sub_f32_e32 v23, v22, v7
	v_add_f32_e32 v23, 1.0, v23
	v_sub_f32_e32 v22, v21, v22
	v_add_f32_e32 v24, v22, v23
	v_frexp_mant_f32_e32 v25, v7
	v_cvt_f64_f32_e32 v[22:23], v7
	v_frexp_exp_i32_f64_e32 v22, v[22:23]
	v_cmp_gt_f32_e64 s[10:11], s37, v25
	v_cmp_lt_f32_e64 s[26:27], |v21|, s39
	s_nop 0
	v_subbrev_co_u32_e64 v30, s[10:11], 0, v22, s[10:11]
	v_sub_u32_e32 v22, 0, v30
	v_ldexp_f32 v7, v7, v22
	v_ldexp_f32 v22, v24, v22
	v_add_f32_e32 v24, -1.0, v7
	v_add_f32_e32 v23, 1.0, v24
	v_sub_f32_e32 v23, v7, v23
	v_add_f32_e32 v25, v22, v23
	v_add_f32_e32 v23, 1.0, v7
	v_add_f32_e32 v26, -1.0, v23
	v_sub_f32_e32 v7, v7, v26
	v_add_f32_e32 v7, v22, v7
	v_add_f32_e32 v31, v23, v7
	v_rcp_f32_e32 v32, v31
	v_sub_f32_e32 v22, v23, v31
	v_add_f32_e32 v23, v24, v25
	v_add_f32_e32 v7, v7, v22
	v_mul_f32_e32 v34, v23, v32
	v_sub_f32_e32 v22, v24, v23
	v_mul_f32_e32 v24, v31, v34
	v_fma_f32 v26, v34, v31, -v24
	v_fmac_f32_e32 v26, v34, v7
	v_add_f32_e32 v33, v25, v22
	v_add_f32_e32 v22, v24, v26
	v_sub_f32_e32 v25, v23, v22
	v_pk_add_f32 v[28:29], v[22:23], v[24:25] neg_lo:[0,1] neg_hi:[0,1]
	v_mov_b32_e32 v27, v22
	v_pk_add_f32 v[22:23], v[28:29], v[26:27] neg_lo:[0,1] neg_hi:[0,1]
	v_cmp_eq_f32_e64 s[10:11], s36, v21
	v_add_f32_e32 v23, v33, v23
	v_add_f32_e32 v22, v22, v23
	v_add_f32_e32 v23, v25, v22
	v_mul_f32_e32 v33, v32, v23
	v_mul_f32_e32 v24, v31, v33
	v_fma_f32 v26, v33, v31, -v24
	v_fmac_f32_e32 v26, v33, v7
	v_sub_f32_e32 v7, v25, v23
	v_add_f32_e32 v7, v22, v7
	v_add_f32_e32 v22, v24, v26
	v_sub_f32_e32 v25, v23, v22
	v_pk_add_f32 v[28:29], v[22:23], v[24:25] neg_lo:[0,1] neg_hi:[0,1]
	v_mov_b32_e32 v27, v22
	v_pk_add_f32 v[22:23], v[28:29], v[26:27] neg_lo:[0,1] neg_hi:[0,1]
	s_or_b64 s[10:11], s[10:11], s[26:27]
	v_add_f32_e32 v7, v7, v23
	v_add_f32_e32 v7, v22, v7
	;; [unrolled: 1-line block ×4, first 2 shown]
	v_sub_f32_e32 v22, v23, v34
	v_mul_f32_e32 v7, v32, v7
	v_sub_f32_e32 v22, v33, v22
	v_add_f32_e32 v24, v22, v7
	v_add_f32_e32 v26, v23, v24
	v_cvt_f32_i32_e32 v22, v30
	v_mul_f32_e32 v27, v26, v26
	v_sub_f32_e32 v23, v26, v23
	v_fmamk_f32 v7, v27, 0x3e9b6dac, v17
	v_sub_f32_e32 v23, v24, v23
	v_fmaak_f32 v7, v27, v7, 0x3f2aaada
	v_ldexp_f32 v28, v23, 1
	v_mul_f32_e32 v23, v26, v27
	v_ldexp_f32 v25, v26, 1
	v_pk_mul_f32 v[26:27], v[22:23], v[6:7]
	s_nop 0
	v_fma_f32 v24, v22, s38, -v26
	v_fmac_f32_e32 v24, 0xb102e308, v22
	v_pk_add_f32 v[22:23], v[26:27], v[24:25]
	s_nop 0
	v_sub_f32_e32 v7, v23, v25
	v_sub_f32_e32 v7, v27, v7
	v_add_f32_e32 v29, v28, v7
	v_mov_b32_e32 v28, v26
	v_pk_add_f32 v[26:27], v[22:23], v[26:27] neg_lo:[0,1] neg_hi:[0,1]
	v_pk_add_f32 v[30:31], v[22:23], v[28:29]
	v_mov_b32_e32 v25, v22
	v_mov_b32_e32 v27, v31
	v_pk_add_f32 v[32:33], v[24:25], v[26:27] neg_lo:[0,1] neg_hi:[0,1]
	v_pk_add_f32 v[24:25], v[24:25], v[26:27]
	v_mov_b32_e32 v28, v29
	v_mov_b32_e32 v26, v25
	v_pk_add_f32 v[34:35], v[26:27], v[22:23] neg_lo:[0,1] neg_hi:[0,1]
	v_mov_b32_e32 v24, v31
	v_mov_b32_e32 v7, v34
	v_pk_add_f32 v[36:37], v[30:31], v[6:7] neg_lo:[0,1] neg_hi:[0,1]
	v_mov_b32_e32 v30, v23
	v_mov_b32_e32 v31, v34
	;; [unrolled: 1-line block ×3, first 2 shown]
	v_pk_add_f32 v[24:25], v[24:25], v[30:31] neg_lo:[0,1] neg_hi:[0,1]
	v_mov_b32_e32 v29, v22
	v_pk_add_f32 v[22:23], v[28:29], v[24:25] neg_lo:[0,1] neg_hi:[0,1]
	v_mov_b32_e32 v36, v32
	v_pk_add_f32 v[24:25], v[36:37], v[22:23]
	s_nop 0
	v_mov_b32_e32 v28, v25
	v_pk_add_f32 v[28:29], v[24:25], v[28:29]
	s_nop 0
	v_pk_add_f32 v[26:27], v[26:27], v[28:29]
	v_mov_b32_e32 v23, v28
	v_mov_b32_e32 v25, v26
	v_pk_add_f32 v[30:31], v[24:25], v[32:33] neg_lo:[0,1] neg_hi:[0,1]
	s_nop 0
	v_sub_f32_e32 v7, v24, v30
	v_pk_add_f32 v[22:23], v[22:23], v[30:31] neg_lo:[0,1] neg_hi:[0,1]
	v_sub_f32_e32 v7, v32, v7
	v_add_f32_e32 v7, v22, v7
	v_add_f32_e32 v7, v7, v23
	;; [unrolled: 1-line block ×3, first 2 shown]
	v_cndmask_b32_e64 v7, v7, v21, s[10:11]
	v_add_f32_e32 v7, v13, v7
.LBB537_15:                             ;   in Loop: Header=BB537_7 Depth=2
	s_or_b64 exec, exec, s[12:13]
	v_bfe_u32 v13, v7, 16, 1
	v_add3_u32 v13, v7, v13, s40
	v_lshrrev_b32_e32 v13, 16, v13
	v_cmp_o_f32_e64 s[10:11], v7, v7
	s_nop 1
	v_cndmask_b32_e64 v7, v20, v13, s[10:11]
	ds_write_b16 v18, v7
.LBB537_16:                             ;   in Loop: Header=BB537_7 Depth=2
	s_or_b64 exec, exec, s[24:25]
	s_mov_b64 s[24:25], 0
	v_mov_b32_e32 v7, 0
	s_waitcnt lgkmcnt(0)
	s_barrier
	s_branch .LBB537_19
.LBB537_17:                             ;   in Loop: Header=BB537_19 Depth=3
	s_or_b64 exec, exec, s[12:13]
	v_bfe_u32 v22, v7, 16, 1
	v_add3_u32 v22, v7, v22, s40
	v_lshrrev_b32_e32 v22, 16, v22
	v_cmp_o_f32_e64 s[10:11], v7, v7
	s_nop 1
	v_cndmask_b32_e64 v7, v20, v22, s[10:11]
	ds_write_b16 v21, v7
.LBB537_18:                             ;   in Loop: Header=BB537_19 Depth=3
	s_or_b64 exec, exec, s[26:27]
	v_cmp_eq_u32_e64 s[10:11], s30, v13
	s_or_b64 s[24:25], s[10:11], s[24:25]
	v_mov_b32_e32 v7, v13
	s_waitcnt lgkmcnt(0)
	s_barrier
	s_andn2_b64 exec, exec, s[24:25]
	s_cbranch_execz .LBB537_24
.LBB537_19:                             ;   Parent Loop BB537_4 Depth=1
                                        ;     Parent Loop BB537_7 Depth=2
                                        ; =>    This Inner Loop Header: Depth=3
	v_add_u32_e32 v13, 1, v7
	s_and_saveexec_b64 s[10:11], s[6:7]
	s_xor_b64 s[10:11], exec, s[10:11]
; %bb.20:                               ;   in Loop: Header=BB537_19 Depth=3
	v_add_u32_e32 v13, 1, v7
                                        ; implicit-def: $vgpr7
; %bb.21:                               ;   in Loop: Header=BB537_19 Depth=3
	s_andn2_saveexec_b64 s[26:27], s[10:11]
	s_cbranch_execz .LBB537_18
; %bb.22:                               ;   in Loop: Header=BB537_19 Depth=3
	v_lshlrev_b32_e64 v21, v7, 1
	v_lshrrev_b32_e32 v22, v7, v1
	v_bfm_b32 v7, v7, 0
	v_lshl_or_b32 v21, v22, v13, v21
	v_and_b32_e32 v7, v7, v1
	v_lshlrev_b32_e32 v22, 1, v21
	v_lshlrev_b32_e32 v7, 1, v7
	v_add3_u32 v21, v18, v22, v7
	v_add_u32_e32 v7, v15, v22
	ds_read_u16 v22, v21
	ds_read_u16 v23, v7
	s_waitcnt lgkmcnt(1)
	v_lshlrev_b32_e32 v7, 16, v22
	s_waitcnt lgkmcnt(0)
	v_lshlrev_b32_e32 v22, 16, v23
	v_max_f32_e32 v24, v22, v22
	v_max_f32_e32 v25, v7, v7
	v_min_f32_e32 v23, v25, v24
	v_cmp_u_f32_e64 s[10:11], v7, v7
	v_max_f32_e32 v24, v25, v24
	v_cmp_u_f32_e64 s[12:13], v22, v22
	v_cndmask_b32_e64 v23, v23, v7, s[10:11]
	v_cndmask_b32_e64 v24, v24, v7, s[10:11]
	v_cndmask_b32_e64 v23, v23, v22, s[12:13]
	v_cndmask_b32_e64 v22, v24, v22, s[12:13]
	v_cmp_neq_f32_e64 s[10:11], v23, v22
	v_cmp_class_f32_e64 s[12:13], v23, s31
	s_or_b64 s[10:11], s[10:11], s[12:13]
	s_and_saveexec_b64 s[12:13], s[10:11]
	s_cbranch_execz .LBB537_17
; %bb.23:                               ;   in Loop: Header=BB537_19 Depth=3
	v_sub_f32_e32 v7, v23, v22
	v_mul_f32_e32 v23, 0x3fb8aa3b, v7
	v_fma_f32 v24, v7, s33, -v23
	v_rndne_f32_e32 v25, v23
	v_fmac_f32_e32 v24, 0x32a5705f, v7
	v_sub_f32_e32 v23, v23, v25
	v_add_f32_e32 v23, v23, v24
	v_cvt_i32_f32_e32 v24, v25
	v_exp_f32_e32 v23, v23
	v_cmp_ngt_f32_e64 s[10:11], s34, v7
	v_ldexp_f32 v23, v23, v24
	s_nop 0
	v_cndmask_b32_e64 v23, 0, v23, s[10:11]
	v_cmp_nlt_f32_e64 s[10:11], s35, v7
	s_nop 1
	v_cndmask_b32_e64 v23, v19, v23, s[10:11]
	v_add_f32_e32 v7, 1.0, v23
	v_add_f32_e32 v24, -1.0, v7
	v_sub_f32_e32 v25, v24, v7
	v_add_f32_e32 v25, 1.0, v25
	v_sub_f32_e32 v24, v23, v24
	v_add_f32_e32 v26, v24, v25
	v_frexp_mant_f32_e32 v27, v7
	v_cvt_f64_f32_e32 v[24:25], v7
	v_frexp_exp_i32_f64_e32 v24, v[24:25]
	v_cmp_gt_f32_e64 s[10:11], s37, v27
	v_cmp_lt_f32_e64 s[42:43], |v23|, s39
	s_nop 0
	v_subbrev_co_u32_e64 v32, s[10:11], 0, v24, s[10:11]
	v_sub_u32_e32 v24, 0, v32
	v_ldexp_f32 v7, v7, v24
	v_ldexp_f32 v24, v26, v24
	v_add_f32_e32 v26, -1.0, v7
	v_add_f32_e32 v25, 1.0, v26
	v_sub_f32_e32 v25, v7, v25
	v_add_f32_e32 v27, v24, v25
	v_add_f32_e32 v25, 1.0, v7
	v_add_f32_e32 v28, -1.0, v25
	v_sub_f32_e32 v7, v7, v28
	v_add_f32_e32 v7, v24, v7
	v_add_f32_e32 v33, v25, v7
	v_rcp_f32_e32 v34, v33
	v_sub_f32_e32 v24, v25, v33
	v_add_f32_e32 v25, v26, v27
	v_add_f32_e32 v7, v7, v24
	v_mul_f32_e32 v36, v25, v34
	v_sub_f32_e32 v24, v26, v25
	v_mul_f32_e32 v26, v33, v36
	v_fma_f32 v28, v36, v33, -v26
	v_fmac_f32_e32 v28, v36, v7
	v_add_f32_e32 v35, v27, v24
	v_add_f32_e32 v24, v26, v28
	v_sub_f32_e32 v27, v25, v24
	v_pk_add_f32 v[30:31], v[24:25], v[26:27] neg_lo:[0,1] neg_hi:[0,1]
	v_mov_b32_e32 v29, v24
	v_pk_add_f32 v[24:25], v[30:31], v[28:29] neg_lo:[0,1] neg_hi:[0,1]
	v_cmp_eq_f32_e64 s[10:11], s36, v23
	v_add_f32_e32 v25, v35, v25
	v_add_f32_e32 v24, v24, v25
	v_add_f32_e32 v25, v27, v24
	v_mul_f32_e32 v35, v34, v25
	v_mul_f32_e32 v26, v33, v35
	v_fma_f32 v28, v35, v33, -v26
	v_fmac_f32_e32 v28, v35, v7
	v_sub_f32_e32 v7, v27, v25
	v_add_f32_e32 v7, v24, v7
	v_add_f32_e32 v24, v26, v28
	v_sub_f32_e32 v27, v25, v24
	v_pk_add_f32 v[30:31], v[24:25], v[26:27] neg_lo:[0,1] neg_hi:[0,1]
	v_mov_b32_e32 v29, v24
	v_pk_add_f32 v[24:25], v[30:31], v[28:29] neg_lo:[0,1] neg_hi:[0,1]
	s_or_b64 s[10:11], s[10:11], s[42:43]
	v_add_f32_e32 v7, v7, v25
	v_add_f32_e32 v7, v24, v7
	;; [unrolled: 1-line block ×4, first 2 shown]
	v_sub_f32_e32 v24, v25, v36
	v_mul_f32_e32 v7, v34, v7
	v_sub_f32_e32 v24, v35, v24
	v_add_f32_e32 v26, v24, v7
	v_add_f32_e32 v28, v25, v26
	v_cvt_f32_i32_e32 v24, v32
	v_mul_f32_e32 v29, v28, v28
	v_sub_f32_e32 v25, v28, v25
	v_fmamk_f32 v7, v29, 0x3e9b6dac, v17
	v_sub_f32_e32 v25, v26, v25
	v_fmaak_f32 v7, v29, v7, 0x3f2aaada
	v_ldexp_f32 v30, v25, 1
	v_mul_f32_e32 v25, v28, v29
	v_ldexp_f32 v27, v28, 1
	v_pk_mul_f32 v[28:29], v[24:25], v[6:7]
	s_nop 0
	v_fma_f32 v26, v24, s38, -v28
	v_fmac_f32_e32 v26, 0xb102e308, v24
	v_pk_add_f32 v[24:25], v[28:29], v[26:27]
	s_nop 0
	v_sub_f32_e32 v7, v25, v27
	v_sub_f32_e32 v7, v29, v7
	v_add_f32_e32 v31, v30, v7
	v_mov_b32_e32 v30, v28
	v_pk_add_f32 v[28:29], v[24:25], v[28:29] neg_lo:[0,1] neg_hi:[0,1]
	v_pk_add_f32 v[32:33], v[24:25], v[30:31]
	v_mov_b32_e32 v27, v24
	v_mov_b32_e32 v29, v33
	v_pk_add_f32 v[34:35], v[26:27], v[28:29] neg_lo:[0,1] neg_hi:[0,1]
	v_pk_add_f32 v[26:27], v[26:27], v[28:29]
	v_mov_b32_e32 v30, v31
	v_mov_b32_e32 v28, v27
	v_pk_add_f32 v[36:37], v[28:29], v[24:25] neg_lo:[0,1] neg_hi:[0,1]
	v_mov_b32_e32 v26, v33
	v_mov_b32_e32 v7, v36
	v_pk_add_f32 v[38:39], v[32:33], v[6:7] neg_lo:[0,1] neg_hi:[0,1]
	v_mov_b32_e32 v32, v25
	v_mov_b32_e32 v33, v36
	;; [unrolled: 1-line block ×3, first 2 shown]
	v_pk_add_f32 v[26:27], v[26:27], v[32:33] neg_lo:[0,1] neg_hi:[0,1]
	v_mov_b32_e32 v31, v24
	v_pk_add_f32 v[24:25], v[30:31], v[26:27] neg_lo:[0,1] neg_hi:[0,1]
	v_mov_b32_e32 v38, v34
	v_pk_add_f32 v[26:27], v[38:39], v[24:25]
	s_nop 0
	v_mov_b32_e32 v30, v27
	v_pk_add_f32 v[30:31], v[26:27], v[30:31]
	s_nop 0
	v_pk_add_f32 v[28:29], v[28:29], v[30:31]
	v_mov_b32_e32 v25, v30
	v_mov_b32_e32 v27, v28
	v_pk_add_f32 v[32:33], v[26:27], v[34:35] neg_lo:[0,1] neg_hi:[0,1]
	s_nop 0
	v_sub_f32_e32 v7, v26, v32
	v_pk_add_f32 v[24:25], v[24:25], v[32:33] neg_lo:[0,1] neg_hi:[0,1]
	v_sub_f32_e32 v7, v34, v7
	v_add_f32_e32 v7, v24, v7
	v_add_f32_e32 v7, v7, v25
	;; [unrolled: 1-line block ×3, first 2 shown]
	v_cndmask_b32_e64 v7, v7, v23, s[10:11]
	v_add_f32_e32 v7, v22, v7
	s_branch .LBB537_17
.LBB537_24:                             ;   in Loop: Header=BB537_7 Depth=2
	s_or_b64 exec, exec, s[24:25]
	s_and_saveexec_b64 s[12:13], vcc
	s_cbranch_execz .LBB537_6
; %bb.25:                               ;   in Loop: Header=BB537_7 Depth=2
	v_cmp_gt_u32_e64 s[10:11], s21, v4
	s_and_saveexec_b64 s[24:25], s[10:11]
	s_cbranch_execz .LBB537_27
; %bb.26:                               ;   in Loop: Header=BB537_7 Depth=2
	ds_read_u16 v7, v3
	v_lshl_add_u64 v[22:23], v[4:5], 1, v[10:11]
	s_waitcnt lgkmcnt(0)
	global_store_short v[22:23], v7, off
.LBB537_27:                             ;   in Loop: Header=BB537_7 Depth=2
	s_or_b64 exec, exec, s[24:25]
	v_cmp_gt_u32_e64 s[10:11], s21, v12
	s_and_b64 exec, exec, s[10:11]
	s_cbranch_execz .LBB537_6
; %bb.28:                               ;   in Loop: Header=BB537_7 Depth=2
	ds_read_u16 v4, v14
	v_mov_b32_e32 v13, v5
	v_lshl_add_u64 v[12:13], v[12:13], 1, v[10:11]
	s_waitcnt lgkmcnt(0)
	global_store_short v[12:13], v4, off
	s_branch .LBB537_6
.LBB537_29:
	s_mov_b64 s[4:5], 0
.LBB537_30:
	s_andn2_b64 vcc, exec, s[4:5]
	s_cbranch_vccnz .LBB537_61
; %bb.31:
	s_load_dword s3, s[0:1], 0x2c
	s_add_u32 s4, s0, 32
	s_mov_b32 s15, 0
	s_addc_u32 s5, s1, 0
	v_mov_b64_e32 v[4:5], s[14:15]
	s_waitcnt lgkmcnt(0)
	s_lshr_b32 s0, s3, 16
	s_mul_hi_u32 s11, s0, s2
	s_mul_i32 s10, s0, s2
	v_cmp_ge_u64_e32 vcc, s[10:11], v[4:5]
	s_cbranch_vccnz .LBB537_61
; %bb.32:
	s_lshl_b32 s12, 1, s22
	s_and_b32 s6, 0xffff, s0
	s_ashr_i32 s13, s12, 31
	s_load_dword s4, s[4:5], 0x0
	s_cmp_lg_u32 s21, 0
	s_cselect_b64 s[2:3], -1, 0
	s_mov_b32 s24, s21
	v_and_b32_e32 v0, 0x3ff, v0
	s_lshl_b64 s[20:21], s[12:13], 1
	v_cndmask_b32_e64 v4, 0, 1, s[2:3]
	v_mov_b32_e32 v3, 0
	v_lshl_add_u32 v19, v0, 1, v18
	s_lshl_b32 s5, s20, 1
	v_cmp_ne_u32_e64 s[2:3], 1, v4
                                        ; implicit-def: $vgpr4
	s_mov_b32 s25, s15
	v_mov_b32_e32 v1, v3
	v_lshl_add_u32 v20, s12, 1, v19
	v_cmp_eq_u32_e64 s[0:1], 0, v0
	v_add3_u32 v21, v18, s5, -2
	s_waitcnt lgkmcnt(0)
	s_mul_i32 s33, s4, s6
	s_add_i32 s22, s22, 1
	s_movk_i32 s34, 0x1f8
	s_mov_b32 s35, 0x3fb8aa3b
	s_mov_b32 s36, 0xc2ce8ed0
	;; [unrolled: 1-line block ×5, first 2 shown]
	v_mov_b32_e32 v22, 0x3ecc95a3
	s_mov_b32 s40, 0x3f317218
	s_mov_b32 s41, 0x33800000
	s_movk_i32 s42, 0x7fff
	v_mov_b32_e32 v23, 0x7f800000
	v_mov_b32_e32 v4, 0x3f317218
	;; [unrolled: 1-line block ×3, first 2 shown]
	s_branch .LBB537_34
.LBB537_33:                             ;   in Loop: Header=BB537_34 Depth=1
	s_add_u32 s10, s10, s33
	s_addc_u32 s11, s11, 0
	v_mov_b64_e32 v[6:7], s[14:15]
	v_cmp_ge_u64_e32 vcc, s[10:11], v[6:7]
	s_cbranch_vccnz .LBB537_61
.LBB537_34:                             ; =>This Loop Header: Depth=1
                                        ;     Child Loop BB537_37 Depth 2
                                        ;       Child Loop BB537_49 Depth 3
	s_and_b64 vcc, exec, s[2:3]
	s_cbranch_vccnz .LBB537_33
; %bb.35:                               ;   in Loop: Header=BB537_34 Depth=1
	v_lshl_add_u64 v[10:11], s[10:11], 0, v[2:3]
	v_mad_u64_u32 v[6:7], s[4:5], v10, s24, 0
	v_mov_b32_e32 v8, v7
	v_mad_u64_u32 v[8:9], s[4:5], v11, s24, v[8:9]
	v_mov_b32_e32 v7, v8
	v_lshlrev_b64 v[8:9], 1, v[6:7]
	v_lshl_add_u64 v[6:7], s[18:19], 0, v[8:9]
	v_lshl_add_u64 v[8:9], s[16:17], 0, v[8:9]
	v_cmp_gt_u64_e64 s[4:5], s[14:15], v[10:11]
	v_cmp_le_u64_e64 s[6:7], s[14:15], v[10:11]
	s_mov_b64 s[26:27], 0
	v_mov_b32_e32 v5, s23
	s_branch .LBB537_37
.LBB537_36:                             ;   in Loop: Header=BB537_37 Depth=2
	s_or_b64 exec, exec, s[8:9]
	ds_read_u16 v5, v21
	s_add_u32 s26, s26, s20
	s_addc_u32 s27, s27, s21
	v_mov_b64_e32 v[10:11], s[24:25]
	v_cmp_ge_u64_e32 vcc, s[26:27], v[10:11]
	s_waitcnt lgkmcnt(0)
	s_barrier
	s_cbranch_vccnz .LBB537_33
.LBB537_37:                             ;   Parent Loop BB537_34 Depth=1
                                        ; =>  This Loop Header: Depth=2
                                        ;       Child Loop BB537_49 Depth 3
	v_lshl_add_u64 v[12:13], s[26:27], 0, v[0:1]
	v_lshl_add_u64 v[10:11], v[12:13], 0, s[12:13]
	s_and_saveexec_b64 s[28:29], s[4:5]
	s_cbranch_execz .LBB537_46
; %bb.38:                               ;   in Loop: Header=BB537_37 Depth=2
	v_cmp_gt_u64_e32 vcc, s[24:25], v[12:13]
	v_mov_b32_e32 v14, s23
	s_and_saveexec_b64 s[8:9], vcc
	s_cbranch_execz .LBB537_40
; %bb.39:                               ;   in Loop: Header=BB537_37 Depth=2
	v_lshl_add_u64 v[14:15], v[12:13], 1, v[6:7]
	global_load_ushort v14, v[14:15], off
.LBB537_40:                             ;   in Loop: Header=BB537_37 Depth=2
	s_or_b64 exec, exec, s[8:9]
	s_waitcnt vmcnt(0)
	ds_write_b16 v19, v14
	v_cmp_gt_u64_e32 vcc, s[24:25], v[10:11]
	v_mov_b32_e32 v14, s23
	s_and_saveexec_b64 s[8:9], vcc
	s_cbranch_execz .LBB537_42
; %bb.41:                               ;   in Loop: Header=BB537_37 Depth=2
	v_lshl_add_u64 v[14:15], v[10:11], 1, v[6:7]
	global_load_ushort v14, v[14:15], off
.LBB537_42:                             ;   in Loop: Header=BB537_37 Depth=2
	s_or_b64 exec, exec, s[8:9]
	s_waitcnt vmcnt(0)
	ds_write_b16 v20, v14
	s_and_b64 exec, exec, s[0:1]
	s_cbranch_execz .LBB537_46
; %bb.43:                               ;   in Loop: Header=BB537_37 Depth=2
	ds_read_u16 v14, v18
	v_lshlrev_b32_e32 v16, 16, v5
	v_max_f32_e32 v17, v16, v16
	v_cmp_u_f32_e64 s[8:9], v16, v16
	s_waitcnt lgkmcnt(0)
	v_lshlrev_b32_e32 v5, 16, v14
	v_max_f32_e32 v14, v5, v5
	v_min_f32_e32 v15, v14, v17
	v_cmp_u_f32_e32 vcc, v5, v5
	v_max_f32_e32 v14, v14, v17
	s_nop 0
	v_cndmask_b32_e32 v15, v15, v5, vcc
	v_cndmask_b32_e32 v14, v14, v5, vcc
	v_cndmask_b32_e64 v15, v15, v16, s[8:9]
	v_cndmask_b32_e64 v14, v14, v16, s[8:9]
	v_cmp_neq_f32_e32 vcc, v15, v14
	v_cmp_class_f32_e64 s[8:9], v15, s34
	s_or_b64 s[30:31], vcc, s[8:9]
	s_and_saveexec_b64 s[8:9], s[30:31]
	s_cbranch_execz .LBB537_45
; %bb.44:                               ;   in Loop: Header=BB537_37 Depth=2
	v_sub_f32_e32 v5, v15, v14
	v_mul_f32_e32 v15, 0x3fb8aa3b, v5
	v_fma_f32 v16, v5, s35, -v15
	v_rndne_f32_e32 v17, v15
	v_fmac_f32_e32 v16, 0x32a5705f, v5
	v_sub_f32_e32 v15, v15, v17
	v_add_f32_e32 v15, v15, v16
	v_cvt_i32_f32_e32 v16, v17
	v_exp_f32_e32 v15, v15
	v_cmp_ngt_f32_e32 vcc, s36, v5
	v_ldexp_f32 v15, v15, v16
	s_nop 0
	v_cndmask_b32_e32 v15, 0, v15, vcc
	v_cmp_nlt_f32_e32 vcc, s37, v5
	s_nop 1
	v_cndmask_b32_e32 v15, v23, v15, vcc
	v_add_f32_e32 v5, 1.0, v15
	v_add_f32_e32 v16, -1.0, v5
	v_sub_f32_e32 v17, v16, v5
	v_add_f32_e32 v17, 1.0, v17
	v_sub_f32_e32 v16, v15, v16
	v_add_f32_e32 v25, v16, v17
	v_frexp_mant_f32_e32 v26, v5
	v_cvt_f64_f32_e32 v[16:17], v5
	v_frexp_exp_i32_f64_e32 v16, v[16:17]
	v_cmp_gt_f32_e32 vcc, s39, v26
	v_cmp_lt_f32_e64 s[30:31], |v15|, s41
	s_nop 0
	v_subbrev_co_u32_e32 v32, vcc, 0, v16, vcc
	v_sub_u32_e32 v16, 0, v32
	v_ldexp_f32 v5, v5, v16
	v_ldexp_f32 v16, v25, v16
	v_add_f32_e32 v25, -1.0, v5
	v_add_f32_e32 v17, 1.0, v25
	v_sub_f32_e32 v17, v5, v17
	v_add_f32_e32 v26, v16, v17
	v_add_f32_e32 v17, 1.0, v5
	v_add_f32_e32 v27, -1.0, v17
	v_sub_f32_e32 v5, v5, v27
	v_add_f32_e32 v5, v16, v5
	v_add_f32_e32 v33, v17, v5
	v_rcp_f32_e32 v34, v33
	v_sub_f32_e32 v16, v17, v33
	v_add_f32_e32 v17, v25, v26
	v_add_f32_e32 v5, v5, v16
	v_sub_f32_e32 v16, v25, v17
	v_mul_f32_e32 v35, v17, v34
	v_add_f32_e32 v25, v26, v16
	v_mul_f32_e32 v26, v33, v35
	v_fma_f32 v28, v35, v33, -v26
	v_fmac_f32_e32 v28, v35, v5
	v_add_f32_e32 v16, v26, v28
	v_sub_f32_e32 v27, v17, v16
	v_pk_add_f32 v[30:31], v[16:17], v[26:27] neg_lo:[0,1] neg_hi:[0,1]
	v_mov_b32_e32 v29, v16
	v_pk_add_f32 v[16:17], v[30:31], v[28:29] neg_lo:[0,1] neg_hi:[0,1]
	v_cmp_eq_f32_e32 vcc, s38, v15
	v_add_f32_e32 v17, v25, v17
	v_add_f32_e32 v16, v16, v17
	;; [unrolled: 1-line block ×3, first 2 shown]
	v_mul_f32_e32 v25, v34, v17
	v_mul_f32_e32 v26, v33, v25
	v_fma_f32 v28, v25, v33, -v26
	v_fmac_f32_e32 v28, v25, v5
	v_sub_f32_e32 v5, v27, v17
	v_add_f32_e32 v5, v16, v5
	v_add_f32_e32 v16, v26, v28
	v_sub_f32_e32 v27, v17, v16
	v_pk_add_f32 v[30:31], v[16:17], v[26:27] neg_lo:[0,1] neg_hi:[0,1]
	v_mov_b32_e32 v29, v16
	v_pk_add_f32 v[16:17], v[30:31], v[28:29] neg_lo:[0,1] neg_hi:[0,1]
	s_or_b64 vcc, vcc, s[30:31]
	v_add_f32_e32 v5, v5, v17
	v_add_f32_e32 v5, v16, v5
	;; [unrolled: 1-line block ×4, first 2 shown]
	v_sub_f32_e32 v16, v17, v35
	v_mul_f32_e32 v5, v34, v5
	v_sub_f32_e32 v16, v25, v16
	v_add_f32_e32 v25, v16, v5
	v_add_f32_e32 v26, v17, v25
	v_cvt_f32_i32_e32 v16, v32
	v_mul_f32_e32 v28, v26, v26
	v_sub_f32_e32 v17, v26, v17
	v_fmamk_f32 v5, v28, 0x3e9b6dac, v22
	v_sub_f32_e32 v17, v25, v17
	v_fmaak_f32 v5, v28, v5, 0x3f2aaada
	v_ldexp_f32 v25, v17, 1
	v_mul_f32_e32 v17, v26, v28
	v_pk_mul_f32 v[28:29], v[16:17], v[4:5]
	v_ldexp_f32 v27, v26, 1
	v_fma_f32 v26, v16, s40, -v28
	v_fmac_f32_e32 v26, 0xb102e308, v16
	v_pk_add_f32 v[16:17], v[28:29], v[26:27]
	v_mov_b32_e32 v30, v28
	v_sub_f32_e32 v5, v17, v27
	v_sub_f32_e32 v5, v29, v5
	v_add_f32_e32 v31, v25, v5
	v_pk_add_f32 v[28:29], v[16:17], v[28:29] neg_lo:[0,1] neg_hi:[0,1]
	v_pk_add_f32 v[32:33], v[16:17], v[30:31]
	v_mov_b32_e32 v27, v16
	v_mov_b32_e32 v29, v33
	v_pk_add_f32 v[34:35], v[26:27], v[28:29] neg_lo:[0,1] neg_hi:[0,1]
	v_pk_add_f32 v[26:27], v[26:27], v[28:29]
	v_mov_b32_e32 v30, v31
	v_mov_b32_e32 v28, v27
	v_pk_add_f32 v[36:37], v[28:29], v[16:17] neg_lo:[0,1] neg_hi:[0,1]
	v_mov_b32_e32 v26, v33
	v_mov_b32_e32 v5, v36
	v_pk_add_f32 v[38:39], v[32:33], v[4:5] neg_lo:[0,1] neg_hi:[0,1]
	v_mov_b32_e32 v32, v17
	v_mov_b32_e32 v33, v36
	;; [unrolled: 1-line block ×3, first 2 shown]
	v_pk_add_f32 v[26:27], v[26:27], v[32:33] neg_lo:[0,1] neg_hi:[0,1]
	v_mov_b32_e32 v31, v16
	v_pk_add_f32 v[16:17], v[30:31], v[26:27] neg_lo:[0,1] neg_hi:[0,1]
	v_mov_b32_e32 v38, v34
	v_pk_add_f32 v[26:27], v[38:39], v[16:17]
	s_nop 0
	v_mov_b32_e32 v30, v27
	v_pk_add_f32 v[30:31], v[26:27], v[30:31]
	s_nop 0
	v_pk_add_f32 v[28:29], v[28:29], v[30:31]
	v_mov_b32_e32 v17, v30
	v_mov_b32_e32 v27, v28
	v_pk_add_f32 v[32:33], v[26:27], v[34:35] neg_lo:[0,1] neg_hi:[0,1]
	s_nop 0
	v_sub_f32_e32 v5, v26, v32
	v_pk_add_f32 v[16:17], v[16:17], v[32:33] neg_lo:[0,1] neg_hi:[0,1]
	v_sub_f32_e32 v5, v34, v5
	v_add_f32_e32 v5, v16, v5
	v_add_f32_e32 v5, v5, v17
	;; [unrolled: 1-line block ×3, first 2 shown]
	v_cndmask_b32_e32 v5, v5, v15, vcc
	v_add_f32_e32 v5, v14, v5
.LBB537_45:                             ;   in Loop: Header=BB537_37 Depth=2
	s_or_b64 exec, exec, s[8:9]
	v_bfe_u32 v14, v5, 16, 1
	v_add3_u32 v14, v5, v14, s42
	v_lshrrev_b32_e32 v14, 16, v14
	v_cmp_o_f32_e32 vcc, v5, v5
	s_nop 1
	v_cndmask_b32_e32 v5, v24, v14, vcc
	ds_write_b16 v18, v5
.LBB537_46:                             ;   in Loop: Header=BB537_37 Depth=2
	s_or_b64 exec, exec, s[28:29]
	s_mov_b64 s[28:29], 0
	v_mov_b32_e32 v5, 0
	s_waitcnt lgkmcnt(0)
	s_barrier
	s_branch .LBB537_49
.LBB537_47:                             ;   in Loop: Header=BB537_49 Depth=3
	s_or_b64 exec, exec, s[8:9]
	v_bfe_u32 v15, v5, 16, 1
	v_add3_u32 v15, v5, v15, s42
	v_lshrrev_b32_e32 v15, 16, v15
	v_cmp_o_f32_e32 vcc, v5, v5
	s_nop 1
	v_cndmask_b32_e32 v5, v24, v15, vcc
	ds_write_b16 v14, v5
.LBB537_48:                             ;   in Loop: Header=BB537_49 Depth=3
	s_or_b64 exec, exec, s[30:31]
	v_cmp_eq_u32_e32 vcc, s22, v25
	s_or_b64 s[28:29], vcc, s[28:29]
	v_mov_b32_e32 v5, v25
	s_waitcnt lgkmcnt(0)
	s_barrier
	s_andn2_b64 exec, exec, s[28:29]
	s_cbranch_execz .LBB537_56
.LBB537_49:                             ;   Parent Loop BB537_34 Depth=1
                                        ;     Parent Loop BB537_37 Depth=2
                                        ; =>    This Inner Loop Header: Depth=3
	v_add_u32_e32 v25, 1, v5
	s_and_saveexec_b64 s[8:9], s[6:7]
	s_xor_b64 s[8:9], exec, s[8:9]
; %bb.50:                               ;   in Loop: Header=BB537_49 Depth=3
	v_add_u32_e32 v25, 1, v5
                                        ; implicit-def: $vgpr5
; %bb.51:                               ;   in Loop: Header=BB537_49 Depth=3
	s_andn2_saveexec_b64 s[30:31], s[8:9]
	s_cbranch_execz .LBB537_48
; %bb.52:                               ;   in Loop: Header=BB537_49 Depth=3
	v_lshlrev_b32_e64 v14, v5, 1
	v_ashrrev_i32_e32 v15, 31, v14
	v_cmp_ge_u64_e32 vcc, v[0:1], v[14:15]
	v_mov_b64_e32 v[16:17], v[0:1]
	s_and_saveexec_b64 s[8:9], vcc
	s_cbranch_execz .LBB537_54
; %bb.53:                               ;   in Loop: Header=BB537_49 Depth=3
	v_cvt_f32_u32_e32 v15, v14
	v_sub_u32_e32 v16, 0, v14
	v_rcp_iflag_f32_e32 v15, v15
	s_nop 0
	v_mul_f32_e32 v15, 0x4f7ffffe, v15
	v_cvt_u32_f32_e32 v15, v15
	v_mul_lo_u32 v16, v16, v15
	v_mul_hi_u32 v16, v15, v16
	v_add_u32_e32 v15, v15, v16
	v_mul_hi_u32 v15, v0, v15
	v_mul_lo_u32 v15, v15, v14
	v_sub_u32_e32 v15, v0, v15
	v_sub_u32_e32 v16, v15, v14
	v_cmp_ge_u32_e32 vcc, v15, v14
	s_nop 1
	v_cndmask_b32_e32 v15, v15, v16, vcc
	v_sub_u32_e32 v16, v15, v14
	v_cmp_ge_u32_e32 vcc, v15, v14
	s_nop 1
	v_cndmask_b32_e32 v16, v15, v16, vcc
.LBB537_54:                             ;   in Loop: Header=BB537_49 Depth=3
	s_or_b64 exec, exec, s[8:9]
	v_lshrrev_b32_e32 v5, v5, v0
	v_lshl_or_b32 v5, v5, v25, v14
	v_lshl_add_u32 v5, v5, 1, v18
	v_lshl_add_u32 v14, v16, 1, v5
	v_add_u32_e32 v5, -2, v5
	ds_read_u16 v15, v14
	ds_read_u16 v16, v5
	s_waitcnt lgkmcnt(1)
	v_lshlrev_b32_e32 v5, 16, v15
	s_waitcnt lgkmcnt(0)
	v_lshlrev_b32_e32 v15, 16, v16
	v_max_f32_e32 v17, v15, v15
	v_max_f32_e32 v26, v5, v5
	v_min_f32_e32 v16, v26, v17
	v_cmp_u_f32_e32 vcc, v5, v5
	v_max_f32_e32 v17, v26, v17
	v_cmp_u_f32_e64 s[8:9], v15, v15
	v_cndmask_b32_e32 v16, v16, v5, vcc
	v_cndmask_b32_e32 v17, v17, v5, vcc
	v_cndmask_b32_e64 v16, v16, v15, s[8:9]
	v_cndmask_b32_e64 v15, v17, v15, s[8:9]
	v_cmp_neq_f32_e32 vcc, v16, v15
	v_cmp_class_f32_e64 s[8:9], v16, s34
	s_or_b64 s[44:45], vcc, s[8:9]
	s_and_saveexec_b64 s[8:9], s[44:45]
	s_cbranch_execz .LBB537_47
; %bb.55:                               ;   in Loop: Header=BB537_49 Depth=3
	v_sub_f32_e32 v5, v16, v15
	v_mul_f32_e32 v16, 0x3fb8aa3b, v5
	v_fma_f32 v17, v5, s35, -v16
	v_rndne_f32_e32 v26, v16
	v_fmac_f32_e32 v17, 0x32a5705f, v5
	v_sub_f32_e32 v16, v16, v26
	v_add_f32_e32 v16, v16, v17
	v_cvt_i32_f32_e32 v17, v26
	v_exp_f32_e32 v16, v16
	v_cmp_ngt_f32_e32 vcc, s36, v5
	v_ldexp_f32 v16, v16, v17
	s_nop 0
	v_cndmask_b32_e32 v16, 0, v16, vcc
	v_cmp_nlt_f32_e32 vcc, s37, v5
	s_nop 1
	v_cndmask_b32_e32 v40, v23, v16, vcc
	v_add_f32_e32 v5, 1.0, v40
	v_add_f32_e32 v16, -1.0, v5
	v_sub_f32_e32 v17, v16, v5
	v_add_f32_e32 v17, 1.0, v17
	v_sub_f32_e32 v16, v40, v16
	v_add_f32_e32 v26, v16, v17
	v_frexp_mant_f32_e32 v27, v5
	v_cvt_f64_f32_e32 v[16:17], v5
	v_frexp_exp_i32_f64_e32 v16, v[16:17]
	v_cmp_gt_f32_e32 vcc, s39, v27
	v_cmp_lt_f32_e64 s[44:45], |v40|, s41
	s_nop 0
	v_subbrev_co_u32_e32 v32, vcc, 0, v16, vcc
	v_sub_u32_e32 v16, 0, v32
	v_ldexp_f32 v5, v5, v16
	v_ldexp_f32 v16, v26, v16
	v_add_f32_e32 v26, -1.0, v5
	v_add_f32_e32 v17, 1.0, v26
	v_sub_f32_e32 v17, v5, v17
	v_add_f32_e32 v27, v16, v17
	v_add_f32_e32 v17, 1.0, v5
	v_add_f32_e32 v28, -1.0, v17
	v_sub_f32_e32 v5, v5, v28
	v_add_f32_e32 v5, v16, v5
	v_add_f32_e32 v33, v17, v5
	v_rcp_f32_e32 v34, v33
	v_sub_f32_e32 v16, v17, v33
	v_add_f32_e32 v17, v26, v27
	v_add_f32_e32 v5, v5, v16
	v_mul_f32_e32 v36, v17, v34
	v_sub_f32_e32 v16, v26, v17
	v_mul_f32_e32 v26, v33, v36
	v_fma_f32 v28, v36, v33, -v26
	v_fmac_f32_e32 v28, v36, v5
	v_add_f32_e32 v35, v27, v16
	v_add_f32_e32 v16, v26, v28
	v_sub_f32_e32 v27, v17, v16
	v_pk_add_f32 v[30:31], v[16:17], v[26:27] neg_lo:[0,1] neg_hi:[0,1]
	v_mov_b32_e32 v29, v16
	v_pk_add_f32 v[16:17], v[30:31], v[28:29] neg_lo:[0,1] neg_hi:[0,1]
	v_cmp_eq_f32_e32 vcc, s38, v40
	v_add_f32_e32 v17, v35, v17
	v_add_f32_e32 v16, v16, v17
	;; [unrolled: 1-line block ×3, first 2 shown]
	v_mul_f32_e32 v35, v34, v17
	v_mul_f32_e32 v26, v33, v35
	v_fma_f32 v28, v35, v33, -v26
	v_fmac_f32_e32 v28, v35, v5
	v_sub_f32_e32 v5, v27, v17
	v_add_f32_e32 v5, v16, v5
	v_add_f32_e32 v16, v26, v28
	v_sub_f32_e32 v27, v17, v16
	v_pk_add_f32 v[30:31], v[16:17], v[26:27] neg_lo:[0,1] neg_hi:[0,1]
	v_mov_b32_e32 v29, v16
	v_pk_add_f32 v[16:17], v[30:31], v[28:29] neg_lo:[0,1] neg_hi:[0,1]
	s_or_b64 vcc, vcc, s[44:45]
	v_add_f32_e32 v5, v5, v17
	v_add_f32_e32 v5, v16, v5
	;; [unrolled: 1-line block ×4, first 2 shown]
	v_sub_f32_e32 v16, v17, v36
	v_mul_f32_e32 v5, v34, v5
	v_sub_f32_e32 v16, v35, v16
	v_add_f32_e32 v26, v16, v5
	v_add_f32_e32 v28, v17, v26
	v_cvt_f32_i32_e32 v16, v32
	v_mul_f32_e32 v29, v28, v28
	v_sub_f32_e32 v17, v28, v17
	v_fmamk_f32 v5, v29, 0x3e9b6dac, v22
	v_sub_f32_e32 v17, v26, v17
	v_fmaak_f32 v5, v29, v5, 0x3f2aaada
	v_ldexp_f32 v30, v17, 1
	v_mul_f32_e32 v17, v28, v29
	v_ldexp_f32 v27, v28, 1
	v_pk_mul_f32 v[28:29], v[16:17], v[4:5]
	s_nop 0
	v_fma_f32 v26, v16, s40, -v28
	v_fmac_f32_e32 v26, 0xb102e308, v16
	v_pk_add_f32 v[16:17], v[28:29], v[26:27]
	s_nop 0
	v_sub_f32_e32 v5, v17, v27
	v_sub_f32_e32 v5, v29, v5
	v_add_f32_e32 v31, v30, v5
	v_mov_b32_e32 v30, v28
	v_pk_add_f32 v[28:29], v[16:17], v[28:29] neg_lo:[0,1] neg_hi:[0,1]
	v_pk_add_f32 v[32:33], v[16:17], v[30:31]
	v_mov_b32_e32 v27, v16
	v_mov_b32_e32 v29, v33
	v_pk_add_f32 v[34:35], v[26:27], v[28:29] neg_lo:[0,1] neg_hi:[0,1]
	v_pk_add_f32 v[26:27], v[26:27], v[28:29]
	v_mov_b32_e32 v30, v31
	v_mov_b32_e32 v28, v27
	v_pk_add_f32 v[36:37], v[28:29], v[16:17] neg_lo:[0,1] neg_hi:[0,1]
	v_mov_b32_e32 v26, v33
	v_mov_b32_e32 v5, v36
	v_pk_add_f32 v[38:39], v[32:33], v[4:5] neg_lo:[0,1] neg_hi:[0,1]
	v_mov_b32_e32 v32, v17
	v_mov_b32_e32 v33, v36
	;; [unrolled: 1-line block ×3, first 2 shown]
	v_pk_add_f32 v[26:27], v[26:27], v[32:33] neg_lo:[0,1] neg_hi:[0,1]
	v_mov_b32_e32 v31, v16
	v_pk_add_f32 v[16:17], v[30:31], v[26:27] neg_lo:[0,1] neg_hi:[0,1]
	v_mov_b32_e32 v38, v34
	v_pk_add_f32 v[26:27], v[38:39], v[16:17]
	s_nop 0
	v_mov_b32_e32 v30, v27
	v_pk_add_f32 v[30:31], v[26:27], v[30:31]
	s_nop 0
	v_pk_add_f32 v[28:29], v[28:29], v[30:31]
	v_mov_b32_e32 v17, v30
	v_mov_b32_e32 v27, v28
	v_pk_add_f32 v[32:33], v[26:27], v[34:35] neg_lo:[0,1] neg_hi:[0,1]
	s_nop 0
	v_sub_f32_e32 v5, v26, v32
	v_pk_add_f32 v[16:17], v[16:17], v[32:33] neg_lo:[0,1] neg_hi:[0,1]
	v_sub_f32_e32 v5, v34, v5
	v_add_f32_e32 v5, v16, v5
	v_add_f32_e32 v5, v5, v17
	;; [unrolled: 1-line block ×3, first 2 shown]
	v_cndmask_b32_e32 v5, v5, v40, vcc
	v_add_f32_e32 v5, v15, v5
	s_branch .LBB537_47
.LBB537_56:                             ;   in Loop: Header=BB537_37 Depth=2
	s_or_b64 exec, exec, s[28:29]
	s_and_saveexec_b64 s[8:9], s[4:5]
	s_cbranch_execz .LBB537_36
; %bb.57:                               ;   in Loop: Header=BB537_37 Depth=2
	v_cmp_gt_u64_e32 vcc, s[24:25], v[12:13]
	s_and_saveexec_b64 s[28:29], vcc
	s_cbranch_execz .LBB537_59
; %bb.58:                               ;   in Loop: Header=BB537_37 Depth=2
	ds_read_u16 v5, v19
	v_lshl_add_u64 v[12:13], v[12:13], 1, v[8:9]
	s_waitcnt lgkmcnt(0)
	global_store_short v[12:13], v5, off
.LBB537_59:                             ;   in Loop: Header=BB537_37 Depth=2
	s_or_b64 exec, exec, s[28:29]
	v_cmp_gt_u64_e32 vcc, s[24:25], v[10:11]
	s_and_b64 exec, exec, vcc
	s_cbranch_execz .LBB537_36
; %bb.60:                               ;   in Loop: Header=BB537_37 Depth=2
	ds_read_u16 v5, v20
	v_lshl_add_u64 v[10:11], v[10:11], 1, v[8:9]
	s_waitcnt lgkmcnt(0)
	global_store_short v[10:11], v5, off
	s_branch .LBB537_36
.LBB537_61:
	s_endpgm
	.section	.rodata,"a",@progbits
	.p2align	6, 0x0
	.amdhsa_kernel _ZN2at6native32tensor_kernel_scan_innermost_dimIN3c108BFloat16EZZZNS0_31launch_logcumsumexp_cuda_kernelERKNS_10TensorBaseES6_lENKUlvE_clEvENKUlvE4_clEvEUlS3_S3_E_EEvPT_PKSA_jjjSA_T0_
		.amdhsa_group_segment_fixed_size 0
		.amdhsa_private_segment_fixed_size 0
		.amdhsa_kernarg_size 288
		.amdhsa_user_sgpr_count 2
		.amdhsa_user_sgpr_dispatch_ptr 0
		.amdhsa_user_sgpr_queue_ptr 0
		.amdhsa_user_sgpr_kernarg_segment_ptr 1
		.amdhsa_user_sgpr_dispatch_id 0
		.amdhsa_user_sgpr_kernarg_preload_length 0
		.amdhsa_user_sgpr_kernarg_preload_offset 0
		.amdhsa_user_sgpr_private_segment_size 0
		.amdhsa_uses_dynamic_stack 0
		.amdhsa_enable_private_segment 0
		.amdhsa_system_sgpr_workgroup_id_x 1
		.amdhsa_system_sgpr_workgroup_id_y 0
		.amdhsa_system_sgpr_workgroup_id_z 0
		.amdhsa_system_sgpr_workgroup_info 0
		.amdhsa_system_vgpr_workitem_id 1
		.amdhsa_next_free_vgpr 41
		.amdhsa_next_free_sgpr 46
		.amdhsa_accum_offset 44
		.amdhsa_reserve_vcc 1
		.amdhsa_float_round_mode_32 0
		.amdhsa_float_round_mode_16_64 0
		.amdhsa_float_denorm_mode_32 3
		.amdhsa_float_denorm_mode_16_64 3
		.amdhsa_dx10_clamp 1
		.amdhsa_ieee_mode 1
		.amdhsa_fp16_overflow 0
		.amdhsa_tg_split 0
		.amdhsa_exception_fp_ieee_invalid_op 0
		.amdhsa_exception_fp_denorm_src 0
		.amdhsa_exception_fp_ieee_div_zero 0
		.amdhsa_exception_fp_ieee_overflow 0
		.amdhsa_exception_fp_ieee_underflow 0
		.amdhsa_exception_fp_ieee_inexact 0
		.amdhsa_exception_int_div_zero 0
	.end_amdhsa_kernel
	.section	.text._ZN2at6native32tensor_kernel_scan_innermost_dimIN3c108BFloat16EZZZNS0_31launch_logcumsumexp_cuda_kernelERKNS_10TensorBaseES6_lENKUlvE_clEvENKUlvE4_clEvEUlS3_S3_E_EEvPT_PKSA_jjjSA_T0_,"axG",@progbits,_ZN2at6native32tensor_kernel_scan_innermost_dimIN3c108BFloat16EZZZNS0_31launch_logcumsumexp_cuda_kernelERKNS_10TensorBaseES6_lENKUlvE_clEvENKUlvE4_clEvEUlS3_S3_E_EEvPT_PKSA_jjjSA_T0_,comdat
.Lfunc_end537:
	.size	_ZN2at6native32tensor_kernel_scan_innermost_dimIN3c108BFloat16EZZZNS0_31launch_logcumsumexp_cuda_kernelERKNS_10TensorBaseES6_lENKUlvE_clEvENKUlvE4_clEvEUlS3_S3_E_EEvPT_PKSA_jjjSA_T0_, .Lfunc_end537-_ZN2at6native32tensor_kernel_scan_innermost_dimIN3c108BFloat16EZZZNS0_31launch_logcumsumexp_cuda_kernelERKNS_10TensorBaseES6_lENKUlvE_clEvENKUlvE4_clEvEUlS3_S3_E_EEvPT_PKSA_jjjSA_T0_
                                        ; -- End function
	.section	.AMDGPU.csdata,"",@progbits
; Kernel info:
; codeLenInByte = 5136
; NumSgprs: 52
; NumVgprs: 41
; NumAgprs: 0
; TotalNumVgprs: 41
; ScratchSize: 0
; MemoryBound: 0
; FloatMode: 240
; IeeeMode: 1
; LDSByteSize: 0 bytes/workgroup (compile time only)
; SGPRBlocks: 6
; VGPRBlocks: 5
; NumSGPRsForWavesPerEU: 52
; NumVGPRsForWavesPerEU: 41
; AccumOffset: 44
; Occupancy: 8
; WaveLimiterHint : 0
; COMPUTE_PGM_RSRC2:SCRATCH_EN: 0
; COMPUTE_PGM_RSRC2:USER_SGPR: 2
; COMPUTE_PGM_RSRC2:TRAP_HANDLER: 0
; COMPUTE_PGM_RSRC2:TGID_X_EN: 1
; COMPUTE_PGM_RSRC2:TGID_Y_EN: 0
; COMPUTE_PGM_RSRC2:TGID_Z_EN: 0
; COMPUTE_PGM_RSRC2:TIDIG_COMP_CNT: 1
; COMPUTE_PGM_RSRC3_GFX90A:ACCUM_OFFSET: 10
; COMPUTE_PGM_RSRC3_GFX90A:TG_SPLIT: 0
	.section	.text._ZN2at6native28tensor_kernel_scan_outer_dimIN3c108BFloat16EjZZZNS0_31launch_logcumsumexp_cuda_kernelERKNS_10TensorBaseES6_lENKUlvE_clEvENKUlvE4_clEvEUlS3_S3_E_EEvPT_PKSA_jjjSA_T1_,"axG",@progbits,_ZN2at6native28tensor_kernel_scan_outer_dimIN3c108BFloat16EjZZZNS0_31launch_logcumsumexp_cuda_kernelERKNS_10TensorBaseES6_lENKUlvE_clEvENKUlvE4_clEvEUlS3_S3_E_EEvPT_PKSA_jjjSA_T1_,comdat
	.globl	_ZN2at6native28tensor_kernel_scan_outer_dimIN3c108BFloat16EjZZZNS0_31launch_logcumsumexp_cuda_kernelERKNS_10TensorBaseES6_lENKUlvE_clEvENKUlvE4_clEvEUlS3_S3_E_EEvPT_PKSA_jjjSA_T1_ ; -- Begin function _ZN2at6native28tensor_kernel_scan_outer_dimIN3c108BFloat16EjZZZNS0_31launch_logcumsumexp_cuda_kernelERKNS_10TensorBaseES6_lENKUlvE_clEvENKUlvE4_clEvEUlS3_S3_E_EEvPT_PKSA_jjjSA_T1_
	.p2align	8
	.type	_ZN2at6native28tensor_kernel_scan_outer_dimIN3c108BFloat16EjZZZNS0_31launch_logcumsumexp_cuda_kernelERKNS_10TensorBaseES6_lENKUlvE_clEvENKUlvE4_clEvEUlS3_S3_E_EEvPT_PKSA_jjjSA_T1_,@function
_ZN2at6native28tensor_kernel_scan_outer_dimIN3c108BFloat16EjZZZNS0_31launch_logcumsumexp_cuda_kernelERKNS_10TensorBaseES6_lENKUlvE_clEvENKUlvE4_clEvEUlS3_S3_E_EEvPT_PKSA_jjjSA_T1_: ; @_ZN2at6native28tensor_kernel_scan_outer_dimIN3c108BFloat16EjZZZNS0_31launch_logcumsumexp_cuda_kernelERKNS_10TensorBaseES6_lENKUlvE_clEvENKUlvE4_clEvEUlS3_S3_E_EEvPT_PKSA_jjjSA_T1_
; %bb.0:
	s_load_dwordx4 s[8:11], s[0:1], 0x10
	s_waitcnt lgkmcnt(0)
	s_cmp_ge_u32 s2, s8
	s_cbranch_scc1 .LBB538_11
; %bb.1:
	s_load_dword s4, s[0:1], 0x2c
	s_load_dwordx4 s[12:15], s[0:1], 0x0
	s_load_dword s28, s[0:1], 0x20
	s_add_u32 s6, s0, 32
	s_addc_u32 s7, s1, 0
	s_waitcnt lgkmcnt(0)
	s_and_b32 s29, s4, 0xffff
	s_mul_i32 s3, s3, s29
	s_cmp_lg_u32 s10, 0
	v_add_u32_e32 v6, s3, v0
	s_mul_i32 s3, s2, s10
	s_cselect_b64 s[4:5], -1, 0
	s_mov_b32 s17, 0
	s_mov_b32 s16, s9
	s_mul_i32 s20, s3, s9
	s_mul_i32 s3, s28, s10
	v_cndmask_b32_e64 v0, 0, 1, s[4:5]
	v_cmp_gt_u32_e64 s[0:1], s9, v6
	s_mul_i32 s3, s3, s9
	s_lshl_b64 s[18:19], s[16:17], 1
	v_cmp_ne_u32_e64 s[4:5], 1, v0
	v_mov_b32_e32 v1, 0
	s_movk_i32 s30, 0x1f8
	s_mov_b32 s31, 0x3fb8aa3b
	s_mov_b32 s33, 0xc2ce8ed0
	;; [unrolled: 1-line block ×5, first 2 shown]
	v_mov_b32_e32 v7, 0x3ecc95a3
	s_mov_b32 s37, 0x3f317218
	s_mov_b32 s38, 0x33800000
	s_movk_i32 s39, 0x7fff
	v_mov_b32_e32 v8, 0x7f800000
	v_mov_b32_e32 v2, 0x3f317218
	;; [unrolled: 1-line block ×3, first 2 shown]
	s_mov_b32 s16, s20
                                        ; implicit-def: $vgpr0
	s_branch .LBB538_3
.LBB538_2:                              ;   in Loop: Header=BB538_3 Depth=1
	s_or_b64 exec, exec, s[20:21]
	s_add_i32 s2, s28, s2
	s_add_i32 s16, s16, s3
	s_cmp_ge_u32 s2, s8
	s_cbranch_scc1 .LBB538_11
.LBB538_3:                              ; =>This Loop Header: Depth=1
                                        ;     Child Loop BB538_6 Depth 2
                                        ;       Child Loop BB538_9 Depth 3
	s_and_saveexec_b64 s[20:21], s[0:1]
	s_cbranch_execz .LBB538_2
; %bb.4:                                ;   in Loop: Header=BB538_3 Depth=1
	s_load_dword s40, s[6:7], 0x4
	s_lshl_b64 s[22:23], s[16:17], 1
	s_mov_b64 s[24:25], 0
	v_mov_b32_e32 v0, v6
	s_waitcnt lgkmcnt(0)
	s_mul_i32 s40, s40, s29
	s_branch .LBB538_6
.LBB538_5:                              ;   in Loop: Header=BB538_6 Depth=2
	v_add_u32_e32 v0, s40, v0
	v_cmp_le_u32_e32 vcc, s9, v0
	s_or_b64 s[24:25], vcc, s[24:25]
	s_andn2_b64 exec, exec, s[24:25]
	s_cbranch_execz .LBB538_2
.LBB538_6:                              ;   Parent Loop BB538_3 Depth=1
                                        ; =>  This Loop Header: Depth=2
                                        ;       Child Loop BB538_9 Depth 3
	s_and_b64 vcc, exec, s[4:5]
	s_cbranch_vccnz .LBB538_5
; %bb.7:                                ;   in Loop: Header=BB538_6 Depth=2
	v_lshl_add_u64 v[4:5], v[0:1], 1, s[22:23]
	v_mov_b32_e32 v3, s11
	s_mov_b32 s41, s10
	s_branch .LBB538_9
.LBB538_8:                              ;   in Loop: Header=BB538_9 Depth=3
	s_or_b64 exec, exec, s[26:27]
	v_bfe_u32 v12, v3, 16, 1
	v_add3_u32 v12, v3, v12, s39
	v_lshrrev_b32_e32 v12, 16, v12
	v_cmp_o_f32_e32 vcc, v3, v3
	s_add_i32 s41, s41, -1
	v_lshl_add_u64 v[10:11], s[12:13], 0, v[4:5]
	v_cndmask_b32_e32 v3, v9, v12, vcc
	s_cmp_eq_u32 s41, 0
	v_lshl_add_u64 v[4:5], v[4:5], 0, s[18:19]
	global_store_short v[10:11], v3, off
	s_cbranch_scc1 .LBB538_5
.LBB538_9:                              ;   Parent Loop BB538_3 Depth=1
                                        ;     Parent Loop BB538_6 Depth=2
                                        ; =>    This Inner Loop Header: Depth=3
	v_lshl_add_u64 v[10:11], s[14:15], 0, v[4:5]
	global_load_ushort v10, v[10:11], off
	v_lshlrev_b32_e32 v3, 16, v3
	v_max_f32_e32 v11, v3, v3
	v_cmp_u_f32_e32 vcc, v3, v3
	s_waitcnt vmcnt(0)
	v_lshlrev_b32_e32 v10, 16, v10
	v_max_f32_e32 v12, v10, v10
	v_min_f32_e32 v13, v11, v12
	v_max_f32_e32 v11, v11, v12
	v_cndmask_b32_e32 v12, v13, v3, vcc
	v_cndmask_b32_e32 v13, v11, v3, vcc
	v_cmp_u_f32_e32 vcc, v10, v10
	s_nop 1
	v_cndmask_b32_e32 v11, v12, v10, vcc
	v_cndmask_b32_e32 v10, v13, v10, vcc
	v_cmp_neq_f32_e32 vcc, v11, v10
	v_cmp_class_f32_e64 s[26:27], v11, s30
	s_or_b64 s[42:43], vcc, s[26:27]
	s_and_saveexec_b64 s[26:27], s[42:43]
	s_cbranch_execz .LBB538_8
; %bb.10:                               ;   in Loop: Header=BB538_9 Depth=3
	v_sub_f32_e32 v3, v11, v10
	v_mul_f32_e32 v11, 0x3fb8aa3b, v3
	v_fma_f32 v12, v3, s31, -v11
	v_rndne_f32_e32 v13, v11
	v_fmac_f32_e32 v12, 0x32a5705f, v3
	v_sub_f32_e32 v11, v11, v13
	v_add_f32_e32 v11, v11, v12
	v_cvt_i32_f32_e32 v12, v13
	v_exp_f32_e32 v11, v11
	v_cmp_ngt_f32_e32 vcc, s33, v3
	v_ldexp_f32 v11, v11, v12
	s_nop 0
	v_cndmask_b32_e32 v11, 0, v11, vcc
	v_cmp_nlt_f32_e32 vcc, s34, v3
	s_nop 1
	v_cndmask_b32_e32 v11, v8, v11, vcc
	v_add_f32_e32 v3, 1.0, v11
	v_add_f32_e32 v12, -1.0, v3
	v_sub_f32_e32 v13, v12, v3
	v_add_f32_e32 v13, 1.0, v13
	v_sub_f32_e32 v12, v11, v12
	v_add_f32_e32 v14, v12, v13
	v_frexp_mant_f32_e32 v15, v3
	v_cvt_f64_f32_e32 v[12:13], v3
	v_frexp_exp_i32_f64_e32 v12, v[12:13]
	v_cmp_gt_f32_e32 vcc, s36, v15
	v_cmp_lt_f32_e64 s[42:43], |v11|, s38
	s_nop 0
	v_subbrev_co_u32_e32 v20, vcc, 0, v12, vcc
	v_sub_u32_e32 v12, 0, v20
	v_ldexp_f32 v3, v3, v12
	v_ldexp_f32 v12, v14, v12
	v_add_f32_e32 v14, -1.0, v3
	v_add_f32_e32 v13, 1.0, v14
	v_sub_f32_e32 v13, v3, v13
	v_add_f32_e32 v15, v12, v13
	v_add_f32_e32 v13, 1.0, v3
	v_add_f32_e32 v16, -1.0, v13
	v_sub_f32_e32 v3, v3, v16
	v_add_f32_e32 v3, v12, v3
	v_add_f32_e32 v21, v13, v3
	v_rcp_f32_e32 v22, v21
	v_sub_f32_e32 v12, v13, v21
	v_add_f32_e32 v13, v14, v15
	v_add_f32_e32 v3, v3, v12
	v_mul_f32_e32 v24, v13, v22
	v_sub_f32_e32 v12, v14, v13
	v_mul_f32_e32 v14, v21, v24
	v_fma_f32 v16, v24, v21, -v14
	v_fmac_f32_e32 v16, v24, v3
	v_add_f32_e32 v23, v15, v12
	v_add_f32_e32 v12, v14, v16
	v_sub_f32_e32 v15, v13, v12
	v_pk_add_f32 v[18:19], v[12:13], v[14:15] neg_lo:[0,1] neg_hi:[0,1]
	v_mov_b32_e32 v17, v12
	v_pk_add_f32 v[12:13], v[18:19], v[16:17] neg_lo:[0,1] neg_hi:[0,1]
	v_cmp_eq_f32_e32 vcc, s35, v11
	v_add_f32_e32 v13, v23, v13
	v_add_f32_e32 v12, v12, v13
	;; [unrolled: 1-line block ×3, first 2 shown]
	v_mul_f32_e32 v23, v22, v13
	v_mul_f32_e32 v14, v21, v23
	v_fma_f32 v16, v23, v21, -v14
	v_fmac_f32_e32 v16, v23, v3
	v_sub_f32_e32 v3, v15, v13
	v_add_f32_e32 v3, v12, v3
	v_add_f32_e32 v12, v14, v16
	v_sub_f32_e32 v15, v13, v12
	v_pk_add_f32 v[18:19], v[12:13], v[14:15] neg_lo:[0,1] neg_hi:[0,1]
	v_mov_b32_e32 v17, v12
	v_pk_add_f32 v[12:13], v[18:19], v[16:17] neg_lo:[0,1] neg_hi:[0,1]
	s_or_b64 vcc, vcc, s[42:43]
	v_add_f32_e32 v3, v3, v13
	v_add_f32_e32 v3, v12, v3
	;; [unrolled: 1-line block ×4, first 2 shown]
	v_sub_f32_e32 v12, v13, v24
	v_mul_f32_e32 v3, v22, v3
	v_sub_f32_e32 v12, v23, v12
	v_add_f32_e32 v14, v12, v3
	v_add_f32_e32 v16, v13, v14
	v_cvt_f32_i32_e32 v12, v20
	v_mul_f32_e32 v17, v16, v16
	v_sub_f32_e32 v13, v16, v13
	v_fmamk_f32 v3, v17, 0x3e9b6dac, v7
	v_sub_f32_e32 v13, v14, v13
	v_fmaak_f32 v3, v17, v3, 0x3f2aaada
	v_ldexp_f32 v18, v13, 1
	v_mul_f32_e32 v13, v16, v17
	v_ldexp_f32 v15, v16, 1
	v_pk_mul_f32 v[16:17], v[12:13], v[2:3]
	s_nop 0
	v_fma_f32 v14, v12, s37, -v16
	v_fmac_f32_e32 v14, 0xb102e308, v12
	v_pk_add_f32 v[12:13], v[16:17], v[14:15]
	s_nop 0
	v_sub_f32_e32 v3, v13, v15
	v_sub_f32_e32 v3, v17, v3
	v_add_f32_e32 v19, v18, v3
	v_mov_b32_e32 v18, v16
	v_pk_add_f32 v[16:17], v[12:13], v[16:17] neg_lo:[0,1] neg_hi:[0,1]
	v_pk_add_f32 v[20:21], v[12:13], v[18:19]
	v_mov_b32_e32 v15, v12
	v_mov_b32_e32 v17, v21
	v_pk_add_f32 v[22:23], v[14:15], v[16:17] neg_lo:[0,1] neg_hi:[0,1]
	v_pk_add_f32 v[14:15], v[14:15], v[16:17]
	v_mov_b32_e32 v18, v19
	v_mov_b32_e32 v16, v15
	v_pk_add_f32 v[24:25], v[16:17], v[12:13] neg_lo:[0,1] neg_hi:[0,1]
	v_mov_b32_e32 v14, v21
	v_mov_b32_e32 v3, v24
	v_pk_add_f32 v[26:27], v[20:21], v[2:3] neg_lo:[0,1] neg_hi:[0,1]
	v_mov_b32_e32 v20, v13
	v_mov_b32_e32 v21, v24
	;; [unrolled: 1-line block ×3, first 2 shown]
	v_pk_add_f32 v[14:15], v[14:15], v[20:21] neg_lo:[0,1] neg_hi:[0,1]
	v_mov_b32_e32 v19, v12
	v_pk_add_f32 v[12:13], v[18:19], v[14:15] neg_lo:[0,1] neg_hi:[0,1]
	v_mov_b32_e32 v26, v22
	v_pk_add_f32 v[14:15], v[26:27], v[12:13]
	s_nop 0
	v_mov_b32_e32 v18, v15
	v_pk_add_f32 v[18:19], v[14:15], v[18:19]
	s_nop 0
	v_pk_add_f32 v[16:17], v[16:17], v[18:19]
	v_mov_b32_e32 v13, v18
	v_mov_b32_e32 v15, v16
	v_pk_add_f32 v[20:21], v[14:15], v[22:23] neg_lo:[0,1] neg_hi:[0,1]
	s_nop 0
	v_sub_f32_e32 v3, v14, v20
	v_pk_add_f32 v[12:13], v[12:13], v[20:21] neg_lo:[0,1] neg_hi:[0,1]
	v_sub_f32_e32 v3, v22, v3
	v_add_f32_e32 v3, v12, v3
	v_add_f32_e32 v3, v3, v13
	;; [unrolled: 1-line block ×3, first 2 shown]
	v_cndmask_b32_e32 v3, v3, v11, vcc
	v_add_f32_e32 v3, v10, v3
	s_branch .LBB538_8
.LBB538_11:
	s_endpgm
	.section	.rodata,"a",@progbits
	.p2align	6, 0x0
	.amdhsa_kernel _ZN2at6native28tensor_kernel_scan_outer_dimIN3c108BFloat16EjZZZNS0_31launch_logcumsumexp_cuda_kernelERKNS_10TensorBaseES6_lENKUlvE_clEvENKUlvE4_clEvEUlS3_S3_E_EEvPT_PKSA_jjjSA_T1_
		.amdhsa_group_segment_fixed_size 0
		.amdhsa_private_segment_fixed_size 0
		.amdhsa_kernarg_size 288
		.amdhsa_user_sgpr_count 2
		.amdhsa_user_sgpr_dispatch_ptr 0
		.amdhsa_user_sgpr_queue_ptr 0
		.amdhsa_user_sgpr_kernarg_segment_ptr 1
		.amdhsa_user_sgpr_dispatch_id 0
		.amdhsa_user_sgpr_kernarg_preload_length 0
		.amdhsa_user_sgpr_kernarg_preload_offset 0
		.amdhsa_user_sgpr_private_segment_size 0
		.amdhsa_uses_dynamic_stack 0
		.amdhsa_enable_private_segment 0
		.amdhsa_system_sgpr_workgroup_id_x 1
		.amdhsa_system_sgpr_workgroup_id_y 1
		.amdhsa_system_sgpr_workgroup_id_z 0
		.amdhsa_system_sgpr_workgroup_info 0
		.amdhsa_system_vgpr_workitem_id 0
		.amdhsa_next_free_vgpr 28
		.amdhsa_next_free_sgpr 44
		.amdhsa_accum_offset 28
		.amdhsa_reserve_vcc 1
		.amdhsa_float_round_mode_32 0
		.amdhsa_float_round_mode_16_64 0
		.amdhsa_float_denorm_mode_32 3
		.amdhsa_float_denorm_mode_16_64 3
		.amdhsa_dx10_clamp 1
		.amdhsa_ieee_mode 1
		.amdhsa_fp16_overflow 0
		.amdhsa_tg_split 0
		.amdhsa_exception_fp_ieee_invalid_op 0
		.amdhsa_exception_fp_denorm_src 0
		.amdhsa_exception_fp_ieee_div_zero 0
		.amdhsa_exception_fp_ieee_overflow 0
		.amdhsa_exception_fp_ieee_underflow 0
		.amdhsa_exception_fp_ieee_inexact 0
		.amdhsa_exception_int_div_zero 0
	.end_amdhsa_kernel
	.section	.text._ZN2at6native28tensor_kernel_scan_outer_dimIN3c108BFloat16EjZZZNS0_31launch_logcumsumexp_cuda_kernelERKNS_10TensorBaseES6_lENKUlvE_clEvENKUlvE4_clEvEUlS3_S3_E_EEvPT_PKSA_jjjSA_T1_,"axG",@progbits,_ZN2at6native28tensor_kernel_scan_outer_dimIN3c108BFloat16EjZZZNS0_31launch_logcumsumexp_cuda_kernelERKNS_10TensorBaseES6_lENKUlvE_clEvENKUlvE4_clEvEUlS3_S3_E_EEvPT_PKSA_jjjSA_T1_,comdat
.Lfunc_end538:
	.size	_ZN2at6native28tensor_kernel_scan_outer_dimIN3c108BFloat16EjZZZNS0_31launch_logcumsumexp_cuda_kernelERKNS_10TensorBaseES6_lENKUlvE_clEvENKUlvE4_clEvEUlS3_S3_E_EEvPT_PKSA_jjjSA_T1_, .Lfunc_end538-_ZN2at6native28tensor_kernel_scan_outer_dimIN3c108BFloat16EjZZZNS0_31launch_logcumsumexp_cuda_kernelERKNS_10TensorBaseES6_lENKUlvE_clEvENKUlvE4_clEvEUlS3_S3_E_EEvPT_PKSA_jjjSA_T1_
                                        ; -- End function
	.section	.AMDGPU.csdata,"",@progbits
; Kernel info:
; codeLenInByte = 1204
; NumSgprs: 50
; NumVgprs: 28
; NumAgprs: 0
; TotalNumVgprs: 28
; ScratchSize: 0
; MemoryBound: 0
; FloatMode: 240
; IeeeMode: 1
; LDSByteSize: 0 bytes/workgroup (compile time only)
; SGPRBlocks: 6
; VGPRBlocks: 3
; NumSGPRsForWavesPerEU: 50
; NumVGPRsForWavesPerEU: 28
; AccumOffset: 28
; Occupancy: 8
; WaveLimiterHint : 0
; COMPUTE_PGM_RSRC2:SCRATCH_EN: 0
; COMPUTE_PGM_RSRC2:USER_SGPR: 2
; COMPUTE_PGM_RSRC2:TRAP_HANDLER: 0
; COMPUTE_PGM_RSRC2:TGID_X_EN: 1
; COMPUTE_PGM_RSRC2:TGID_Y_EN: 1
; COMPUTE_PGM_RSRC2:TGID_Z_EN: 0
; COMPUTE_PGM_RSRC2:TIDIG_COMP_CNT: 0
; COMPUTE_PGM_RSRC3_GFX90A:ACCUM_OFFSET: 6
; COMPUTE_PGM_RSRC3_GFX90A:TG_SPLIT: 0
	.section	.text._ZN2at6native28tensor_kernel_scan_outer_dimIN3c108BFloat16EmZZZNS0_31launch_logcumsumexp_cuda_kernelERKNS_10TensorBaseES6_lENKUlvE_clEvENKUlvE4_clEvEUlS3_S3_E_EEvPT_PKSA_jjjSA_T1_,"axG",@progbits,_ZN2at6native28tensor_kernel_scan_outer_dimIN3c108BFloat16EmZZZNS0_31launch_logcumsumexp_cuda_kernelERKNS_10TensorBaseES6_lENKUlvE_clEvENKUlvE4_clEvEUlS3_S3_E_EEvPT_PKSA_jjjSA_T1_,comdat
	.globl	_ZN2at6native28tensor_kernel_scan_outer_dimIN3c108BFloat16EmZZZNS0_31launch_logcumsumexp_cuda_kernelERKNS_10TensorBaseES6_lENKUlvE_clEvENKUlvE4_clEvEUlS3_S3_E_EEvPT_PKSA_jjjSA_T1_ ; -- Begin function _ZN2at6native28tensor_kernel_scan_outer_dimIN3c108BFloat16EmZZZNS0_31launch_logcumsumexp_cuda_kernelERKNS_10TensorBaseES6_lENKUlvE_clEvENKUlvE4_clEvEUlS3_S3_E_EEvPT_PKSA_jjjSA_T1_
	.p2align	8
	.type	_ZN2at6native28tensor_kernel_scan_outer_dimIN3c108BFloat16EmZZZNS0_31launch_logcumsumexp_cuda_kernelERKNS_10TensorBaseES6_lENKUlvE_clEvENKUlvE4_clEvEUlS3_S3_E_EEvPT_PKSA_jjjSA_T1_,@function
_ZN2at6native28tensor_kernel_scan_outer_dimIN3c108BFloat16EmZZZNS0_31launch_logcumsumexp_cuda_kernelERKNS_10TensorBaseES6_lENKUlvE_clEvENKUlvE4_clEvEUlS3_S3_E_EEvPT_PKSA_jjjSA_T1_: ; @_ZN2at6native28tensor_kernel_scan_outer_dimIN3c108BFloat16EmZZZNS0_31launch_logcumsumexp_cuda_kernelERKNS_10TensorBaseES6_lENKUlvE_clEvENKUlvE4_clEvEUlS3_S3_E_EEvPT_PKSA_jjjSA_T1_
; %bb.0:
	s_load_dwordx4 s[8:11], s[0:1], 0x10
	s_waitcnt lgkmcnt(0)
	s_cmp_ge_u32 s2, s8
	s_cbranch_scc1 .LBB539_11
; %bb.1:
	s_load_dword s4, s[0:1], 0x2c
	s_load_dwordx4 s[12:15], s[0:1], 0x0
	s_load_dword s28, s[0:1], 0x20
	s_add_u32 s6, s0, 32
	s_addc_u32 s7, s1, 0
	s_waitcnt lgkmcnt(0)
	s_and_b32 s29, s4, 0xffff
	s_cmp_lg_u32 s10, 0
	s_mul_i32 s3, s3, s29
	s_cselect_b64 s[20:21], -1, 0
	v_add_u32_e32 v6, s3, v0
	s_mov_b32 s5, 0
	s_mov_b32 s4, s9
	s_mul_hi_u32 s17, s10, s9
	s_mul_i32 s16, s10, s9
	v_cndmask_b32_e64 v0, 0, 1, s[20:21]
	v_cmp_gt_u32_e64 s[0:1], s9, v6
	s_lshl_b64 s[16:17], s[16:17], 1
	s_lshl_b64 s[18:19], s[4:5], 1
	v_cmp_ne_u32_e64 s[4:5], 1, v0
	v_mov_b32_e32 v1, 0
	s_movk_i32 s3, 0x1f8
	s_mov_b32 s30, 0x3fb8aa3b
	s_mov_b32 s31, 0xc2ce8ed0
	;; [unrolled: 1-line block ×5, first 2 shown]
	v_mov_b32_e32 v7, 0x3ecc95a3
	s_mov_b32 s36, 0x3f317218
	s_mov_b32 s37, 0x33800000
	s_movk_i32 s38, 0x7fff
	v_mov_b32_e32 v8, 0x7f800000
	v_mov_b32_e32 v2, 0x3f317218
	;; [unrolled: 1-line block ×3, first 2 shown]
                                        ; implicit-def: $vgpr0
	s_branch .LBB539_3
.LBB539_2:                              ;   in Loop: Header=BB539_3 Depth=1
	s_or_b64 exec, exec, s[20:21]
	s_add_i32 s2, s2, s28
	s_cmp_ge_u32 s2, s8
	s_cbranch_scc1 .LBB539_11
.LBB539_3:                              ; =>This Loop Header: Depth=1
                                        ;     Child Loop BB539_6 Depth 2
                                        ;       Child Loop BB539_9 Depth 3
	s_and_saveexec_b64 s[20:21], s[0:1]
	s_cbranch_execz .LBB539_2
; %bb.4:                                ;   in Loop: Header=BB539_3 Depth=1
	s_load_dword s39, s[6:7], 0x4
	s_mul_i32 s23, s17, s2
	s_mul_hi_u32 s24, s16, s2
	s_mul_i32 s22, s16, s2
	s_add_i32 s23, s24, s23
	s_waitcnt lgkmcnt(0)
	s_mul_i32 s39, s39, s29
	s_mov_b64 s[24:25], 0
	v_mov_b32_e32 v0, v6
	s_branch .LBB539_6
.LBB539_5:                              ;   in Loop: Header=BB539_6 Depth=2
	v_add_u32_e32 v0, s39, v0
	v_cmp_le_u32_e32 vcc, s9, v0
	s_or_b64 s[24:25], vcc, s[24:25]
	s_andn2_b64 exec, exec, s[24:25]
	s_cbranch_execz .LBB539_2
.LBB539_6:                              ;   Parent Loop BB539_3 Depth=1
                                        ; =>  This Loop Header: Depth=2
                                        ;       Child Loop BB539_9 Depth 3
	s_and_b64 vcc, exec, s[4:5]
	s_cbranch_vccnz .LBB539_5
; %bb.7:                                ;   in Loop: Header=BB539_6 Depth=2
	v_lshl_add_u64 v[4:5], v[0:1], 1, s[22:23]
	v_mov_b32_e32 v3, s11
	s_mov_b32 s40, s10
	s_branch .LBB539_9
.LBB539_8:                              ;   in Loop: Header=BB539_9 Depth=3
	s_or_b64 exec, exec, s[26:27]
	v_bfe_u32 v12, v3, 16, 1
	v_add3_u32 v12, v3, v12, s38
	v_lshrrev_b32_e32 v12, 16, v12
	v_cmp_o_f32_e32 vcc, v3, v3
	s_add_i32 s40, s40, -1
	v_lshl_add_u64 v[10:11], s[12:13], 0, v[4:5]
	v_cndmask_b32_e32 v3, v9, v12, vcc
	s_cmp_eq_u32 s40, 0
	v_lshl_add_u64 v[4:5], v[4:5], 0, s[18:19]
	global_store_short v[10:11], v3, off
	s_cbranch_scc1 .LBB539_5
.LBB539_9:                              ;   Parent Loop BB539_3 Depth=1
                                        ;     Parent Loop BB539_6 Depth=2
                                        ; =>    This Inner Loop Header: Depth=3
	v_lshl_add_u64 v[10:11], s[14:15], 0, v[4:5]
	global_load_ushort v10, v[10:11], off
	v_lshlrev_b32_e32 v3, 16, v3
	v_max_f32_e32 v11, v3, v3
	v_cmp_u_f32_e32 vcc, v3, v3
	s_waitcnt vmcnt(0)
	v_lshlrev_b32_e32 v10, 16, v10
	v_max_f32_e32 v12, v10, v10
	v_min_f32_e32 v13, v11, v12
	v_max_f32_e32 v11, v11, v12
	v_cndmask_b32_e32 v12, v13, v3, vcc
	v_cndmask_b32_e32 v13, v11, v3, vcc
	v_cmp_u_f32_e32 vcc, v10, v10
	s_nop 1
	v_cndmask_b32_e32 v11, v12, v10, vcc
	v_cndmask_b32_e32 v10, v13, v10, vcc
	v_cmp_neq_f32_e32 vcc, v11, v10
	v_cmp_class_f32_e64 s[26:27], v11, s3
	s_or_b64 s[42:43], vcc, s[26:27]
	s_and_saveexec_b64 s[26:27], s[42:43]
	s_cbranch_execz .LBB539_8
; %bb.10:                               ;   in Loop: Header=BB539_9 Depth=3
	v_sub_f32_e32 v3, v11, v10
	v_mul_f32_e32 v11, 0x3fb8aa3b, v3
	v_fma_f32 v12, v3, s30, -v11
	v_rndne_f32_e32 v13, v11
	v_fmac_f32_e32 v12, 0x32a5705f, v3
	v_sub_f32_e32 v11, v11, v13
	v_add_f32_e32 v11, v11, v12
	v_cvt_i32_f32_e32 v12, v13
	v_exp_f32_e32 v11, v11
	v_cmp_ngt_f32_e32 vcc, s31, v3
	v_ldexp_f32 v11, v11, v12
	s_nop 0
	v_cndmask_b32_e32 v11, 0, v11, vcc
	v_cmp_nlt_f32_e32 vcc, s33, v3
	s_nop 1
	v_cndmask_b32_e32 v11, v8, v11, vcc
	v_add_f32_e32 v3, 1.0, v11
	v_add_f32_e32 v12, -1.0, v3
	v_sub_f32_e32 v13, v12, v3
	v_add_f32_e32 v13, 1.0, v13
	v_sub_f32_e32 v12, v11, v12
	v_add_f32_e32 v14, v12, v13
	v_frexp_mant_f32_e32 v15, v3
	v_cvt_f64_f32_e32 v[12:13], v3
	v_frexp_exp_i32_f64_e32 v12, v[12:13]
	v_cmp_gt_f32_e32 vcc, s35, v15
	v_cmp_lt_f32_e64 s[42:43], |v11|, s37
	s_nop 0
	v_subbrev_co_u32_e32 v20, vcc, 0, v12, vcc
	v_sub_u32_e32 v12, 0, v20
	v_ldexp_f32 v3, v3, v12
	v_ldexp_f32 v12, v14, v12
	v_add_f32_e32 v14, -1.0, v3
	v_add_f32_e32 v13, 1.0, v14
	v_sub_f32_e32 v13, v3, v13
	v_add_f32_e32 v15, v12, v13
	v_add_f32_e32 v13, 1.0, v3
	v_add_f32_e32 v16, -1.0, v13
	v_sub_f32_e32 v3, v3, v16
	v_add_f32_e32 v3, v12, v3
	v_add_f32_e32 v21, v13, v3
	v_rcp_f32_e32 v22, v21
	v_sub_f32_e32 v12, v13, v21
	v_add_f32_e32 v13, v14, v15
	v_add_f32_e32 v3, v3, v12
	v_mul_f32_e32 v24, v13, v22
	v_sub_f32_e32 v12, v14, v13
	v_mul_f32_e32 v14, v21, v24
	v_fma_f32 v16, v24, v21, -v14
	v_fmac_f32_e32 v16, v24, v3
	v_add_f32_e32 v23, v15, v12
	v_add_f32_e32 v12, v14, v16
	v_sub_f32_e32 v15, v13, v12
	v_pk_add_f32 v[18:19], v[12:13], v[14:15] neg_lo:[0,1] neg_hi:[0,1]
	v_mov_b32_e32 v17, v12
	v_pk_add_f32 v[12:13], v[18:19], v[16:17] neg_lo:[0,1] neg_hi:[0,1]
	v_cmp_eq_f32_e32 vcc, s34, v11
	v_add_f32_e32 v13, v23, v13
	v_add_f32_e32 v12, v12, v13
	;; [unrolled: 1-line block ×3, first 2 shown]
	v_mul_f32_e32 v23, v22, v13
	v_mul_f32_e32 v14, v21, v23
	v_fma_f32 v16, v23, v21, -v14
	v_fmac_f32_e32 v16, v23, v3
	v_sub_f32_e32 v3, v15, v13
	v_add_f32_e32 v3, v12, v3
	v_add_f32_e32 v12, v14, v16
	v_sub_f32_e32 v15, v13, v12
	v_pk_add_f32 v[18:19], v[12:13], v[14:15] neg_lo:[0,1] neg_hi:[0,1]
	v_mov_b32_e32 v17, v12
	v_pk_add_f32 v[12:13], v[18:19], v[16:17] neg_lo:[0,1] neg_hi:[0,1]
	s_or_b64 vcc, vcc, s[42:43]
	v_add_f32_e32 v3, v3, v13
	v_add_f32_e32 v3, v12, v3
	;; [unrolled: 1-line block ×4, first 2 shown]
	v_sub_f32_e32 v12, v13, v24
	v_mul_f32_e32 v3, v22, v3
	v_sub_f32_e32 v12, v23, v12
	v_add_f32_e32 v14, v12, v3
	v_add_f32_e32 v16, v13, v14
	v_cvt_f32_i32_e32 v12, v20
	v_mul_f32_e32 v17, v16, v16
	v_sub_f32_e32 v13, v16, v13
	v_fmamk_f32 v3, v17, 0x3e9b6dac, v7
	v_sub_f32_e32 v13, v14, v13
	v_fmaak_f32 v3, v17, v3, 0x3f2aaada
	v_ldexp_f32 v18, v13, 1
	v_mul_f32_e32 v13, v16, v17
	v_ldexp_f32 v15, v16, 1
	v_pk_mul_f32 v[16:17], v[12:13], v[2:3]
	s_nop 0
	v_fma_f32 v14, v12, s36, -v16
	v_fmac_f32_e32 v14, 0xb102e308, v12
	v_pk_add_f32 v[12:13], v[16:17], v[14:15]
	s_nop 0
	v_sub_f32_e32 v3, v13, v15
	v_sub_f32_e32 v3, v17, v3
	v_add_f32_e32 v19, v18, v3
	v_mov_b32_e32 v18, v16
	v_pk_add_f32 v[16:17], v[12:13], v[16:17] neg_lo:[0,1] neg_hi:[0,1]
	v_pk_add_f32 v[20:21], v[12:13], v[18:19]
	v_mov_b32_e32 v15, v12
	v_mov_b32_e32 v17, v21
	v_pk_add_f32 v[22:23], v[14:15], v[16:17] neg_lo:[0,1] neg_hi:[0,1]
	v_pk_add_f32 v[14:15], v[14:15], v[16:17]
	v_mov_b32_e32 v18, v19
	v_mov_b32_e32 v16, v15
	v_pk_add_f32 v[24:25], v[16:17], v[12:13] neg_lo:[0,1] neg_hi:[0,1]
	v_mov_b32_e32 v14, v21
	v_mov_b32_e32 v3, v24
	v_pk_add_f32 v[26:27], v[20:21], v[2:3] neg_lo:[0,1] neg_hi:[0,1]
	v_mov_b32_e32 v20, v13
	v_mov_b32_e32 v21, v24
	;; [unrolled: 1-line block ×3, first 2 shown]
	v_pk_add_f32 v[14:15], v[14:15], v[20:21] neg_lo:[0,1] neg_hi:[0,1]
	v_mov_b32_e32 v19, v12
	v_pk_add_f32 v[12:13], v[18:19], v[14:15] neg_lo:[0,1] neg_hi:[0,1]
	v_mov_b32_e32 v26, v22
	v_pk_add_f32 v[14:15], v[26:27], v[12:13]
	s_nop 0
	v_mov_b32_e32 v18, v15
	v_pk_add_f32 v[18:19], v[14:15], v[18:19]
	s_nop 0
	v_pk_add_f32 v[16:17], v[16:17], v[18:19]
	v_mov_b32_e32 v13, v18
	v_mov_b32_e32 v15, v16
	v_pk_add_f32 v[20:21], v[14:15], v[22:23] neg_lo:[0,1] neg_hi:[0,1]
	s_nop 0
	v_sub_f32_e32 v3, v14, v20
	v_pk_add_f32 v[12:13], v[12:13], v[20:21] neg_lo:[0,1] neg_hi:[0,1]
	v_sub_f32_e32 v3, v22, v3
	v_add_f32_e32 v3, v12, v3
	v_add_f32_e32 v3, v3, v13
	;; [unrolled: 1-line block ×3, first 2 shown]
	v_cndmask_b32_e32 v3, v3, v11, vcc
	v_add_f32_e32 v3, v10, v3
	s_branch .LBB539_8
.LBB539_11:
	s_endpgm
	.section	.rodata,"a",@progbits
	.p2align	6, 0x0
	.amdhsa_kernel _ZN2at6native28tensor_kernel_scan_outer_dimIN3c108BFloat16EmZZZNS0_31launch_logcumsumexp_cuda_kernelERKNS_10TensorBaseES6_lENKUlvE_clEvENKUlvE4_clEvEUlS3_S3_E_EEvPT_PKSA_jjjSA_T1_
		.amdhsa_group_segment_fixed_size 0
		.amdhsa_private_segment_fixed_size 0
		.amdhsa_kernarg_size 288
		.amdhsa_user_sgpr_count 2
		.amdhsa_user_sgpr_dispatch_ptr 0
		.amdhsa_user_sgpr_queue_ptr 0
		.amdhsa_user_sgpr_kernarg_segment_ptr 1
		.amdhsa_user_sgpr_dispatch_id 0
		.amdhsa_user_sgpr_kernarg_preload_length 0
		.amdhsa_user_sgpr_kernarg_preload_offset 0
		.amdhsa_user_sgpr_private_segment_size 0
		.amdhsa_uses_dynamic_stack 0
		.amdhsa_enable_private_segment 0
		.amdhsa_system_sgpr_workgroup_id_x 1
		.amdhsa_system_sgpr_workgroup_id_y 1
		.amdhsa_system_sgpr_workgroup_id_z 0
		.amdhsa_system_sgpr_workgroup_info 0
		.amdhsa_system_vgpr_workitem_id 0
		.amdhsa_next_free_vgpr 28
		.amdhsa_next_free_sgpr 44
		.amdhsa_accum_offset 28
		.amdhsa_reserve_vcc 1
		.amdhsa_float_round_mode_32 0
		.amdhsa_float_round_mode_16_64 0
		.amdhsa_float_denorm_mode_32 3
		.amdhsa_float_denorm_mode_16_64 3
		.amdhsa_dx10_clamp 1
		.amdhsa_ieee_mode 1
		.amdhsa_fp16_overflow 0
		.amdhsa_tg_split 0
		.amdhsa_exception_fp_ieee_invalid_op 0
		.amdhsa_exception_fp_denorm_src 0
		.amdhsa_exception_fp_ieee_div_zero 0
		.amdhsa_exception_fp_ieee_overflow 0
		.amdhsa_exception_fp_ieee_underflow 0
		.amdhsa_exception_fp_ieee_inexact 0
		.amdhsa_exception_int_div_zero 0
	.end_amdhsa_kernel
	.section	.text._ZN2at6native28tensor_kernel_scan_outer_dimIN3c108BFloat16EmZZZNS0_31launch_logcumsumexp_cuda_kernelERKNS_10TensorBaseES6_lENKUlvE_clEvENKUlvE4_clEvEUlS3_S3_E_EEvPT_PKSA_jjjSA_T1_,"axG",@progbits,_ZN2at6native28tensor_kernel_scan_outer_dimIN3c108BFloat16EmZZZNS0_31launch_logcumsumexp_cuda_kernelERKNS_10TensorBaseES6_lENKUlvE_clEvENKUlvE4_clEvEUlS3_S3_E_EEvPT_PKSA_jjjSA_T1_,comdat
.Lfunc_end539:
	.size	_ZN2at6native28tensor_kernel_scan_outer_dimIN3c108BFloat16EmZZZNS0_31launch_logcumsumexp_cuda_kernelERKNS_10TensorBaseES6_lENKUlvE_clEvENKUlvE4_clEvEUlS3_S3_E_EEvPT_PKSA_jjjSA_T1_, .Lfunc_end539-_ZN2at6native28tensor_kernel_scan_outer_dimIN3c108BFloat16EmZZZNS0_31launch_logcumsumexp_cuda_kernelERKNS_10TensorBaseES6_lENKUlvE_clEvENKUlvE4_clEvEUlS3_S3_E_EEvPT_PKSA_jjjSA_T1_
                                        ; -- End function
	.section	.AMDGPU.csdata,"",@progbits
; Kernel info:
; codeLenInByte = 1204
; NumSgprs: 50
; NumVgprs: 28
; NumAgprs: 0
; TotalNumVgprs: 28
; ScratchSize: 0
; MemoryBound: 0
; FloatMode: 240
; IeeeMode: 1
; LDSByteSize: 0 bytes/workgroup (compile time only)
; SGPRBlocks: 6
; VGPRBlocks: 3
; NumSGPRsForWavesPerEU: 50
; NumVGPRsForWavesPerEU: 28
; AccumOffset: 28
; Occupancy: 8
; WaveLimiterHint : 0
; COMPUTE_PGM_RSRC2:SCRATCH_EN: 0
; COMPUTE_PGM_RSRC2:USER_SGPR: 2
; COMPUTE_PGM_RSRC2:TRAP_HANDLER: 0
; COMPUTE_PGM_RSRC2:TGID_X_EN: 1
; COMPUTE_PGM_RSRC2:TGID_Y_EN: 1
; COMPUTE_PGM_RSRC2:TGID_Z_EN: 0
; COMPUTE_PGM_RSRC2:TIDIG_COMP_CNT: 0
; COMPUTE_PGM_RSRC3_GFX90A:ACCUM_OFFSET: 6
; COMPUTE_PGM_RSRC3_GFX90A:TG_SPLIT: 0
	.text
	.p2alignl 6, 3212836864
	.fill 256, 4, 3212836864
	.type	__hip_cuid_3f577f27273a78c4,@object ; @__hip_cuid_3f577f27273a78c4
	.section	.bss,"aw",@nobits
	.globl	__hip_cuid_3f577f27273a78c4
__hip_cuid_3f577f27273a78c4:
	.byte	0                               ; 0x0
	.size	__hip_cuid_3f577f27273a78c4, 1

	.ident	"AMD clang version 19.0.0git (https://github.com/RadeonOpenCompute/llvm-project roc-6.4.0 25133 c7fe45cf4b819c5991fe208aaa96edf142730f1d)"
	.section	".note.GNU-stack","",@progbits
	.addrsig
	.addrsig_sym __hip_cuid_3f577f27273a78c4
	.amdgpu_metadata
---
amdhsa.kernels:
  - .agpr_count:     0
    .args:
      - .address_space:  global
        .offset:         0
        .size:           8
        .value_kind:     global_buffer
      - .offset:         8
        .size:           4
        .value_kind:     by_value
      - .offset:         12
        .size:           1
        .value_kind:     by_value
      - .offset:         16
        .size:           4
        .value_kind:     by_value
      - .address_space:  global
        .offset:         24
        .size:           8
        .value_kind:     global_buffer
      - .offset:         32
        .size:           4
        .value_kind:     hidden_block_count_x
      - .offset:         36
        .size:           4
        .value_kind:     hidden_block_count_y
      - .offset:         40
        .size:           4
        .value_kind:     hidden_block_count_z
      - .offset:         44
        .size:           2
        .value_kind:     hidden_group_size_x
      - .offset:         46
        .size:           2
        .value_kind:     hidden_group_size_y
      - .offset:         48
        .size:           2
        .value_kind:     hidden_group_size_z
      - .offset:         50
        .size:           2
        .value_kind:     hidden_remainder_x
      - .offset:         52
        .size:           2
        .value_kind:     hidden_remainder_y
      - .offset:         54
        .size:           2
        .value_kind:     hidden_remainder_z
      - .offset:         72
        .size:           8
        .value_kind:     hidden_global_offset_x
      - .offset:         80
        .size:           8
        .value_kind:     hidden_global_offset_y
      - .offset:         88
        .size:           8
        .value_kind:     hidden_global_offset_z
      - .offset:         96
        .size:           2
        .value_kind:     hidden_grid_dims
    .group_segment_fixed_size: 0
    .kernarg_segment_align: 8
    .kernarg_segment_size: 288
    .language:       OpenCL C
    .language_version:
      - 2
      - 0
    .max_flat_workgroup_size: 256
    .name:           _ZN7rocprim17ROCPRIM_400000_NS6detail31init_lookback_scan_state_kernelINS1_19lookback_scan_stateIdLb0ELb1EEENS1_16block_id_wrapperIjLb0EEEEEvT_jT0_jPNS7_10value_typeE
    .private_segment_fixed_size: 0
    .sgpr_count:     19
    .sgpr_spill_count: 0
    .symbol:         _ZN7rocprim17ROCPRIM_400000_NS6detail31init_lookback_scan_state_kernelINS1_19lookback_scan_stateIdLb0ELb1EEENS1_16block_id_wrapperIjLb0EEEEEvT_jT0_jPNS7_10value_typeE.kd
    .uniform_work_group_size: 1
    .uses_dynamic_stack: false
    .vgpr_count:     10
    .vgpr_spill_count: 0
    .wavefront_size: 64
  - .agpr_count:     0
    .args:
      - .offset:         0
        .size:           104
        .value_kind:     by_value
    .group_segment_fixed_size: 0
    .kernarg_segment_align: 8
    .kernarg_segment_size: 104
    .language:       OpenCL C
    .language_version:
      - 2
      - 0
    .max_flat_workgroup_size: 256
    .name:           _ZN7rocprim17ROCPRIM_400000_NS6detail17trampoline_kernelINS0_14default_configENS1_20scan_config_selectorIdEEZZNS1_9scan_implILNS1_25lookback_scan_determinismE0ELb0ELb0ES3_PKdPddZZZN2at6native31launch_logcumsumexp_cuda_kernelERKNSB_10TensorBaseESF_lENKUlvE_clEvENKUlvE_clEvEUlddE_dEEDaPvRmT3_T4_T5_mT6_P12ihipStream_tbENKUlT_T0_E_clISt17integral_constantIbLb0EESW_EEDaSR_SS_EUlSR_E_NS1_11comp_targetILNS1_3genE0ELNS1_11target_archE4294967295ELNS1_3gpuE0ELNS1_3repE0EEENS1_30default_config_static_selectorELNS0_4arch9wavefront6targetE1EEEvT1_
    .private_segment_fixed_size: 0
    .sgpr_count:     6
    .sgpr_spill_count: 0
    .symbol:         _ZN7rocprim17ROCPRIM_400000_NS6detail17trampoline_kernelINS0_14default_configENS1_20scan_config_selectorIdEEZZNS1_9scan_implILNS1_25lookback_scan_determinismE0ELb0ELb0ES3_PKdPddZZZN2at6native31launch_logcumsumexp_cuda_kernelERKNSB_10TensorBaseESF_lENKUlvE_clEvENKUlvE_clEvEUlddE_dEEDaPvRmT3_T4_T5_mT6_P12ihipStream_tbENKUlT_T0_E_clISt17integral_constantIbLb0EESW_EEDaSR_SS_EUlSR_E_NS1_11comp_targetILNS1_3genE0ELNS1_11target_archE4294967295ELNS1_3gpuE0ELNS1_3repE0EEENS1_30default_config_static_selectorELNS0_4arch9wavefront6targetE1EEEvT1_.kd
    .uniform_work_group_size: 1
    .uses_dynamic_stack: false
    .vgpr_count:     0
    .vgpr_spill_count: 0
    .wavefront_size: 64
  - .agpr_count:     0
    .args:
      - .offset:         0
        .size:           104
        .value_kind:     by_value
      - .offset:         104
        .size:           4
        .value_kind:     hidden_block_count_x
      - .offset:         108
        .size:           4
        .value_kind:     hidden_block_count_y
      - .offset:         112
        .size:           4
        .value_kind:     hidden_block_count_z
      - .offset:         116
        .size:           2
        .value_kind:     hidden_group_size_x
      - .offset:         118
        .size:           2
        .value_kind:     hidden_group_size_y
      - .offset:         120
        .size:           2
        .value_kind:     hidden_group_size_z
      - .offset:         122
        .size:           2
        .value_kind:     hidden_remainder_x
      - .offset:         124
        .size:           2
        .value_kind:     hidden_remainder_y
      - .offset:         126
        .size:           2
        .value_kind:     hidden_remainder_z
      - .offset:         144
        .size:           8
        .value_kind:     hidden_global_offset_x
      - .offset:         152
        .size:           8
        .value_kind:     hidden_global_offset_y
      - .offset:         160
        .size:           8
        .value_kind:     hidden_global_offset_z
      - .offset:         168
        .size:           2
        .value_kind:     hidden_grid_dims
    .group_segment_fixed_size: 30720
    .kernarg_segment_align: 8
    .kernarg_segment_size: 360
    .language:       OpenCL C
    .language_version:
      - 2
      - 0
    .max_flat_workgroup_size: 256
    .name:           _ZN7rocprim17ROCPRIM_400000_NS6detail17trampoline_kernelINS0_14default_configENS1_20scan_config_selectorIdEEZZNS1_9scan_implILNS1_25lookback_scan_determinismE0ELb0ELb0ES3_PKdPddZZZN2at6native31launch_logcumsumexp_cuda_kernelERKNSB_10TensorBaseESF_lENKUlvE_clEvENKUlvE_clEvEUlddE_dEEDaPvRmT3_T4_T5_mT6_P12ihipStream_tbENKUlT_T0_E_clISt17integral_constantIbLb0EESW_EEDaSR_SS_EUlSR_E_NS1_11comp_targetILNS1_3genE5ELNS1_11target_archE942ELNS1_3gpuE9ELNS1_3repE0EEENS1_30default_config_static_selectorELNS0_4arch9wavefront6targetE1EEEvT1_
    .private_segment_fixed_size: 120
    .sgpr_count:     88
    .sgpr_spill_count: 0
    .symbol:         _ZN7rocprim17ROCPRIM_400000_NS6detail17trampoline_kernelINS0_14default_configENS1_20scan_config_selectorIdEEZZNS1_9scan_implILNS1_25lookback_scan_determinismE0ELb0ELb0ES3_PKdPddZZZN2at6native31launch_logcumsumexp_cuda_kernelERKNSB_10TensorBaseESF_lENKUlvE_clEvENKUlvE_clEvEUlddE_dEEDaPvRmT3_T4_T5_mT6_P12ihipStream_tbENKUlT_T0_E_clISt17integral_constantIbLb0EESW_EEDaSR_SS_EUlSR_E_NS1_11comp_targetILNS1_3genE5ELNS1_11target_archE942ELNS1_3gpuE9ELNS1_3repE0EEENS1_30default_config_static_selectorELNS0_4arch9wavefront6targetE1EEEvT1_.kd
    .uniform_work_group_size: 1
    .uses_dynamic_stack: false
    .vgpr_count:     248
    .vgpr_spill_count: 0
    .wavefront_size: 64
  - .agpr_count:     0
    .args:
      - .offset:         0
        .size:           104
        .value_kind:     by_value
    .group_segment_fixed_size: 0
    .kernarg_segment_align: 8
    .kernarg_segment_size: 104
    .language:       OpenCL C
    .language_version:
      - 2
      - 0
    .max_flat_workgroup_size: 128
    .name:           _ZN7rocprim17ROCPRIM_400000_NS6detail17trampoline_kernelINS0_14default_configENS1_20scan_config_selectorIdEEZZNS1_9scan_implILNS1_25lookback_scan_determinismE0ELb0ELb0ES3_PKdPddZZZN2at6native31launch_logcumsumexp_cuda_kernelERKNSB_10TensorBaseESF_lENKUlvE_clEvENKUlvE_clEvEUlddE_dEEDaPvRmT3_T4_T5_mT6_P12ihipStream_tbENKUlT_T0_E_clISt17integral_constantIbLb0EESW_EEDaSR_SS_EUlSR_E_NS1_11comp_targetILNS1_3genE4ELNS1_11target_archE910ELNS1_3gpuE8ELNS1_3repE0EEENS1_30default_config_static_selectorELNS0_4arch9wavefront6targetE1EEEvT1_
    .private_segment_fixed_size: 0
    .sgpr_count:     6
    .sgpr_spill_count: 0
    .symbol:         _ZN7rocprim17ROCPRIM_400000_NS6detail17trampoline_kernelINS0_14default_configENS1_20scan_config_selectorIdEEZZNS1_9scan_implILNS1_25lookback_scan_determinismE0ELb0ELb0ES3_PKdPddZZZN2at6native31launch_logcumsumexp_cuda_kernelERKNSB_10TensorBaseESF_lENKUlvE_clEvENKUlvE_clEvEUlddE_dEEDaPvRmT3_T4_T5_mT6_P12ihipStream_tbENKUlT_T0_E_clISt17integral_constantIbLb0EESW_EEDaSR_SS_EUlSR_E_NS1_11comp_targetILNS1_3genE4ELNS1_11target_archE910ELNS1_3gpuE8ELNS1_3repE0EEENS1_30default_config_static_selectorELNS0_4arch9wavefront6targetE1EEEvT1_.kd
    .uniform_work_group_size: 1
    .uses_dynamic_stack: false
    .vgpr_count:     0
    .vgpr_spill_count: 0
    .wavefront_size: 64
  - .agpr_count:     0
    .args:
      - .offset:         0
        .size:           104
        .value_kind:     by_value
    .group_segment_fixed_size: 0
    .kernarg_segment_align: 8
    .kernarg_segment_size: 104
    .language:       OpenCL C
    .language_version:
      - 2
      - 0
    .max_flat_workgroup_size: 256
    .name:           _ZN7rocprim17ROCPRIM_400000_NS6detail17trampoline_kernelINS0_14default_configENS1_20scan_config_selectorIdEEZZNS1_9scan_implILNS1_25lookback_scan_determinismE0ELb0ELb0ES3_PKdPddZZZN2at6native31launch_logcumsumexp_cuda_kernelERKNSB_10TensorBaseESF_lENKUlvE_clEvENKUlvE_clEvEUlddE_dEEDaPvRmT3_T4_T5_mT6_P12ihipStream_tbENKUlT_T0_E_clISt17integral_constantIbLb0EESW_EEDaSR_SS_EUlSR_E_NS1_11comp_targetILNS1_3genE3ELNS1_11target_archE908ELNS1_3gpuE7ELNS1_3repE0EEENS1_30default_config_static_selectorELNS0_4arch9wavefront6targetE1EEEvT1_
    .private_segment_fixed_size: 0
    .sgpr_count:     6
    .sgpr_spill_count: 0
    .symbol:         _ZN7rocprim17ROCPRIM_400000_NS6detail17trampoline_kernelINS0_14default_configENS1_20scan_config_selectorIdEEZZNS1_9scan_implILNS1_25lookback_scan_determinismE0ELb0ELb0ES3_PKdPddZZZN2at6native31launch_logcumsumexp_cuda_kernelERKNSB_10TensorBaseESF_lENKUlvE_clEvENKUlvE_clEvEUlddE_dEEDaPvRmT3_T4_T5_mT6_P12ihipStream_tbENKUlT_T0_E_clISt17integral_constantIbLb0EESW_EEDaSR_SS_EUlSR_E_NS1_11comp_targetILNS1_3genE3ELNS1_11target_archE908ELNS1_3gpuE7ELNS1_3repE0EEENS1_30default_config_static_selectorELNS0_4arch9wavefront6targetE1EEEvT1_.kd
    .uniform_work_group_size: 1
    .uses_dynamic_stack: false
    .vgpr_count:     0
    .vgpr_spill_count: 0
    .wavefront_size: 64
  - .agpr_count:     0
    .args:
      - .offset:         0
        .size:           104
        .value_kind:     by_value
    .group_segment_fixed_size: 0
    .kernarg_segment_align: 8
    .kernarg_segment_size: 104
    .language:       OpenCL C
    .language_version:
      - 2
      - 0
    .max_flat_workgroup_size: 128
    .name:           _ZN7rocprim17ROCPRIM_400000_NS6detail17trampoline_kernelINS0_14default_configENS1_20scan_config_selectorIdEEZZNS1_9scan_implILNS1_25lookback_scan_determinismE0ELb0ELb0ES3_PKdPddZZZN2at6native31launch_logcumsumexp_cuda_kernelERKNSB_10TensorBaseESF_lENKUlvE_clEvENKUlvE_clEvEUlddE_dEEDaPvRmT3_T4_T5_mT6_P12ihipStream_tbENKUlT_T0_E_clISt17integral_constantIbLb0EESW_EEDaSR_SS_EUlSR_E_NS1_11comp_targetILNS1_3genE2ELNS1_11target_archE906ELNS1_3gpuE6ELNS1_3repE0EEENS1_30default_config_static_selectorELNS0_4arch9wavefront6targetE1EEEvT1_
    .private_segment_fixed_size: 0
    .sgpr_count:     6
    .sgpr_spill_count: 0
    .symbol:         _ZN7rocprim17ROCPRIM_400000_NS6detail17trampoline_kernelINS0_14default_configENS1_20scan_config_selectorIdEEZZNS1_9scan_implILNS1_25lookback_scan_determinismE0ELb0ELb0ES3_PKdPddZZZN2at6native31launch_logcumsumexp_cuda_kernelERKNSB_10TensorBaseESF_lENKUlvE_clEvENKUlvE_clEvEUlddE_dEEDaPvRmT3_T4_T5_mT6_P12ihipStream_tbENKUlT_T0_E_clISt17integral_constantIbLb0EESW_EEDaSR_SS_EUlSR_E_NS1_11comp_targetILNS1_3genE2ELNS1_11target_archE906ELNS1_3gpuE6ELNS1_3repE0EEENS1_30default_config_static_selectorELNS0_4arch9wavefront6targetE1EEEvT1_.kd
    .uniform_work_group_size: 1
    .uses_dynamic_stack: false
    .vgpr_count:     0
    .vgpr_spill_count: 0
    .wavefront_size: 64
  - .agpr_count:     0
    .args:
      - .offset:         0
        .size:           104
        .value_kind:     by_value
    .group_segment_fixed_size: 0
    .kernarg_segment_align: 8
    .kernarg_segment_size: 104
    .language:       OpenCL C
    .language_version:
      - 2
      - 0
    .max_flat_workgroup_size: 256
    .name:           _ZN7rocprim17ROCPRIM_400000_NS6detail17trampoline_kernelINS0_14default_configENS1_20scan_config_selectorIdEEZZNS1_9scan_implILNS1_25lookback_scan_determinismE0ELb0ELb0ES3_PKdPddZZZN2at6native31launch_logcumsumexp_cuda_kernelERKNSB_10TensorBaseESF_lENKUlvE_clEvENKUlvE_clEvEUlddE_dEEDaPvRmT3_T4_T5_mT6_P12ihipStream_tbENKUlT_T0_E_clISt17integral_constantIbLb0EESW_EEDaSR_SS_EUlSR_E_NS1_11comp_targetILNS1_3genE10ELNS1_11target_archE1201ELNS1_3gpuE5ELNS1_3repE0EEENS1_30default_config_static_selectorELNS0_4arch9wavefront6targetE1EEEvT1_
    .private_segment_fixed_size: 0
    .sgpr_count:     6
    .sgpr_spill_count: 0
    .symbol:         _ZN7rocprim17ROCPRIM_400000_NS6detail17trampoline_kernelINS0_14default_configENS1_20scan_config_selectorIdEEZZNS1_9scan_implILNS1_25lookback_scan_determinismE0ELb0ELb0ES3_PKdPddZZZN2at6native31launch_logcumsumexp_cuda_kernelERKNSB_10TensorBaseESF_lENKUlvE_clEvENKUlvE_clEvEUlddE_dEEDaPvRmT3_T4_T5_mT6_P12ihipStream_tbENKUlT_T0_E_clISt17integral_constantIbLb0EESW_EEDaSR_SS_EUlSR_E_NS1_11comp_targetILNS1_3genE10ELNS1_11target_archE1201ELNS1_3gpuE5ELNS1_3repE0EEENS1_30default_config_static_selectorELNS0_4arch9wavefront6targetE1EEEvT1_.kd
    .uniform_work_group_size: 1
    .uses_dynamic_stack: false
    .vgpr_count:     0
    .vgpr_spill_count: 0
    .wavefront_size: 64
  - .agpr_count:     0
    .args:
      - .offset:         0
        .size:           104
        .value_kind:     by_value
    .group_segment_fixed_size: 0
    .kernarg_segment_align: 8
    .kernarg_segment_size: 104
    .language:       OpenCL C
    .language_version:
      - 2
      - 0
    .max_flat_workgroup_size: 256
    .name:           _ZN7rocprim17ROCPRIM_400000_NS6detail17trampoline_kernelINS0_14default_configENS1_20scan_config_selectorIdEEZZNS1_9scan_implILNS1_25lookback_scan_determinismE0ELb0ELb0ES3_PKdPddZZZN2at6native31launch_logcumsumexp_cuda_kernelERKNSB_10TensorBaseESF_lENKUlvE_clEvENKUlvE_clEvEUlddE_dEEDaPvRmT3_T4_T5_mT6_P12ihipStream_tbENKUlT_T0_E_clISt17integral_constantIbLb0EESW_EEDaSR_SS_EUlSR_E_NS1_11comp_targetILNS1_3genE10ELNS1_11target_archE1200ELNS1_3gpuE4ELNS1_3repE0EEENS1_30default_config_static_selectorELNS0_4arch9wavefront6targetE1EEEvT1_
    .private_segment_fixed_size: 0
    .sgpr_count:     6
    .sgpr_spill_count: 0
    .symbol:         _ZN7rocprim17ROCPRIM_400000_NS6detail17trampoline_kernelINS0_14default_configENS1_20scan_config_selectorIdEEZZNS1_9scan_implILNS1_25lookback_scan_determinismE0ELb0ELb0ES3_PKdPddZZZN2at6native31launch_logcumsumexp_cuda_kernelERKNSB_10TensorBaseESF_lENKUlvE_clEvENKUlvE_clEvEUlddE_dEEDaPvRmT3_T4_T5_mT6_P12ihipStream_tbENKUlT_T0_E_clISt17integral_constantIbLb0EESW_EEDaSR_SS_EUlSR_E_NS1_11comp_targetILNS1_3genE10ELNS1_11target_archE1200ELNS1_3gpuE4ELNS1_3repE0EEENS1_30default_config_static_selectorELNS0_4arch9wavefront6targetE1EEEvT1_.kd
    .uniform_work_group_size: 1
    .uses_dynamic_stack: false
    .vgpr_count:     0
    .vgpr_spill_count: 0
    .wavefront_size: 64
  - .agpr_count:     0
    .args:
      - .offset:         0
        .size:           104
        .value_kind:     by_value
    .group_segment_fixed_size: 0
    .kernarg_segment_align: 8
    .kernarg_segment_size: 104
    .language:       OpenCL C
    .language_version:
      - 2
      - 0
    .max_flat_workgroup_size: 256
    .name:           _ZN7rocprim17ROCPRIM_400000_NS6detail17trampoline_kernelINS0_14default_configENS1_20scan_config_selectorIdEEZZNS1_9scan_implILNS1_25lookback_scan_determinismE0ELb0ELb0ES3_PKdPddZZZN2at6native31launch_logcumsumexp_cuda_kernelERKNSB_10TensorBaseESF_lENKUlvE_clEvENKUlvE_clEvEUlddE_dEEDaPvRmT3_T4_T5_mT6_P12ihipStream_tbENKUlT_T0_E_clISt17integral_constantIbLb0EESW_EEDaSR_SS_EUlSR_E_NS1_11comp_targetILNS1_3genE9ELNS1_11target_archE1100ELNS1_3gpuE3ELNS1_3repE0EEENS1_30default_config_static_selectorELNS0_4arch9wavefront6targetE1EEEvT1_
    .private_segment_fixed_size: 0
    .sgpr_count:     6
    .sgpr_spill_count: 0
    .symbol:         _ZN7rocprim17ROCPRIM_400000_NS6detail17trampoline_kernelINS0_14default_configENS1_20scan_config_selectorIdEEZZNS1_9scan_implILNS1_25lookback_scan_determinismE0ELb0ELb0ES3_PKdPddZZZN2at6native31launch_logcumsumexp_cuda_kernelERKNSB_10TensorBaseESF_lENKUlvE_clEvENKUlvE_clEvEUlddE_dEEDaPvRmT3_T4_T5_mT6_P12ihipStream_tbENKUlT_T0_E_clISt17integral_constantIbLb0EESW_EEDaSR_SS_EUlSR_E_NS1_11comp_targetILNS1_3genE9ELNS1_11target_archE1100ELNS1_3gpuE3ELNS1_3repE0EEENS1_30default_config_static_selectorELNS0_4arch9wavefront6targetE1EEEvT1_.kd
    .uniform_work_group_size: 1
    .uses_dynamic_stack: false
    .vgpr_count:     0
    .vgpr_spill_count: 0
    .wavefront_size: 64
  - .agpr_count:     0
    .args:
      - .offset:         0
        .size:           104
        .value_kind:     by_value
    .group_segment_fixed_size: 0
    .kernarg_segment_align: 8
    .kernarg_segment_size: 104
    .language:       OpenCL C
    .language_version:
      - 2
      - 0
    .max_flat_workgroup_size: 128
    .name:           _ZN7rocprim17ROCPRIM_400000_NS6detail17trampoline_kernelINS0_14default_configENS1_20scan_config_selectorIdEEZZNS1_9scan_implILNS1_25lookback_scan_determinismE0ELb0ELb0ES3_PKdPddZZZN2at6native31launch_logcumsumexp_cuda_kernelERKNSB_10TensorBaseESF_lENKUlvE_clEvENKUlvE_clEvEUlddE_dEEDaPvRmT3_T4_T5_mT6_P12ihipStream_tbENKUlT_T0_E_clISt17integral_constantIbLb0EESW_EEDaSR_SS_EUlSR_E_NS1_11comp_targetILNS1_3genE8ELNS1_11target_archE1030ELNS1_3gpuE2ELNS1_3repE0EEENS1_30default_config_static_selectorELNS0_4arch9wavefront6targetE1EEEvT1_
    .private_segment_fixed_size: 0
    .sgpr_count:     6
    .sgpr_spill_count: 0
    .symbol:         _ZN7rocprim17ROCPRIM_400000_NS6detail17trampoline_kernelINS0_14default_configENS1_20scan_config_selectorIdEEZZNS1_9scan_implILNS1_25lookback_scan_determinismE0ELb0ELb0ES3_PKdPddZZZN2at6native31launch_logcumsumexp_cuda_kernelERKNSB_10TensorBaseESF_lENKUlvE_clEvENKUlvE_clEvEUlddE_dEEDaPvRmT3_T4_T5_mT6_P12ihipStream_tbENKUlT_T0_E_clISt17integral_constantIbLb0EESW_EEDaSR_SS_EUlSR_E_NS1_11comp_targetILNS1_3genE8ELNS1_11target_archE1030ELNS1_3gpuE2ELNS1_3repE0EEENS1_30default_config_static_selectorELNS0_4arch9wavefront6targetE1EEEvT1_.kd
    .uniform_work_group_size: 1
    .uses_dynamic_stack: false
    .vgpr_count:     0
    .vgpr_spill_count: 0
    .wavefront_size: 64
  - .agpr_count:     0
    .args:
      - .offset:         0
        .size:           40
        .value_kind:     by_value
    .group_segment_fixed_size: 0
    .kernarg_segment_align: 8
    .kernarg_segment_size: 40
    .language:       OpenCL C
    .language_version:
      - 2
      - 0
    .max_flat_workgroup_size: 128
    .name:           _ZN7rocprim17ROCPRIM_400000_NS6detail17trampoline_kernelINS0_14default_configENS1_25transform_config_selectorIdLb1EEEZNS1_14transform_implILb1ES3_S5_PdS7_NS0_8identityIdEEEE10hipError_tT2_T3_mT4_P12ihipStream_tbEUlT_E_NS1_11comp_targetILNS1_3genE0ELNS1_11target_archE4294967295ELNS1_3gpuE0ELNS1_3repE0EEENS1_30default_config_static_selectorELNS0_4arch9wavefront6targetE1EEEvT1_
    .private_segment_fixed_size: 0
    .sgpr_count:     6
    .sgpr_spill_count: 0
    .symbol:         _ZN7rocprim17ROCPRIM_400000_NS6detail17trampoline_kernelINS0_14default_configENS1_25transform_config_selectorIdLb1EEEZNS1_14transform_implILb1ES3_S5_PdS7_NS0_8identityIdEEEE10hipError_tT2_T3_mT4_P12ihipStream_tbEUlT_E_NS1_11comp_targetILNS1_3genE0ELNS1_11target_archE4294967295ELNS1_3gpuE0ELNS1_3repE0EEENS1_30default_config_static_selectorELNS0_4arch9wavefront6targetE1EEEvT1_.kd
    .uniform_work_group_size: 1
    .uses_dynamic_stack: false
    .vgpr_count:     0
    .vgpr_spill_count: 0
    .wavefront_size: 64
  - .agpr_count:     0
    .args:
      - .offset:         0
        .size:           40
        .value_kind:     by_value
    .group_segment_fixed_size: 0
    .kernarg_segment_align: 8
    .kernarg_segment_size: 40
    .language:       OpenCL C
    .language_version:
      - 2
      - 0
    .max_flat_workgroup_size: 1024
    .name:           _ZN7rocprim17ROCPRIM_400000_NS6detail17trampoline_kernelINS0_14default_configENS1_25transform_config_selectorIdLb1EEEZNS1_14transform_implILb1ES3_S5_PdS7_NS0_8identityIdEEEE10hipError_tT2_T3_mT4_P12ihipStream_tbEUlT_E_NS1_11comp_targetILNS1_3genE10ELNS1_11target_archE1201ELNS1_3gpuE5ELNS1_3repE0EEENS1_30default_config_static_selectorELNS0_4arch9wavefront6targetE1EEEvT1_
    .private_segment_fixed_size: 0
    .sgpr_count:     6
    .sgpr_spill_count: 0
    .symbol:         _ZN7rocprim17ROCPRIM_400000_NS6detail17trampoline_kernelINS0_14default_configENS1_25transform_config_selectorIdLb1EEEZNS1_14transform_implILb1ES3_S5_PdS7_NS0_8identityIdEEEE10hipError_tT2_T3_mT4_P12ihipStream_tbEUlT_E_NS1_11comp_targetILNS1_3genE10ELNS1_11target_archE1201ELNS1_3gpuE5ELNS1_3repE0EEENS1_30default_config_static_selectorELNS0_4arch9wavefront6targetE1EEEvT1_.kd
    .uniform_work_group_size: 1
    .uses_dynamic_stack: false
    .vgpr_count:     0
    .vgpr_spill_count: 0
    .wavefront_size: 64
  - .agpr_count:     0
    .args:
      - .offset:         0
        .size:           40
        .value_kind:     by_value
      - .offset:         40
        .size:           4
        .value_kind:     hidden_block_count_x
      - .offset:         44
        .size:           4
        .value_kind:     hidden_block_count_y
      - .offset:         48
        .size:           4
        .value_kind:     hidden_block_count_z
      - .offset:         52
        .size:           2
        .value_kind:     hidden_group_size_x
      - .offset:         54
        .size:           2
        .value_kind:     hidden_group_size_y
      - .offset:         56
        .size:           2
        .value_kind:     hidden_group_size_z
      - .offset:         58
        .size:           2
        .value_kind:     hidden_remainder_x
      - .offset:         60
        .size:           2
        .value_kind:     hidden_remainder_y
      - .offset:         62
        .size:           2
        .value_kind:     hidden_remainder_z
      - .offset:         80
        .size:           8
        .value_kind:     hidden_global_offset_x
      - .offset:         88
        .size:           8
        .value_kind:     hidden_global_offset_y
      - .offset:         96
        .size:           8
        .value_kind:     hidden_global_offset_z
      - .offset:         104
        .size:           2
        .value_kind:     hidden_grid_dims
    .group_segment_fixed_size: 0
    .kernarg_segment_align: 8
    .kernarg_segment_size: 296
    .language:       OpenCL C
    .language_version:
      - 2
      - 0
    .max_flat_workgroup_size: 1024
    .name:           _ZN7rocprim17ROCPRIM_400000_NS6detail17trampoline_kernelINS0_14default_configENS1_25transform_config_selectorIdLb1EEEZNS1_14transform_implILb1ES3_S5_PdS7_NS0_8identityIdEEEE10hipError_tT2_T3_mT4_P12ihipStream_tbEUlT_E_NS1_11comp_targetILNS1_3genE5ELNS1_11target_archE942ELNS1_3gpuE9ELNS1_3repE0EEENS1_30default_config_static_selectorELNS0_4arch9wavefront6targetE1EEEvT1_
    .private_segment_fixed_size: 0
    .sgpr_count:     18
    .sgpr_spill_count: 0
    .symbol:         _ZN7rocprim17ROCPRIM_400000_NS6detail17trampoline_kernelINS0_14default_configENS1_25transform_config_selectorIdLb1EEEZNS1_14transform_implILb1ES3_S5_PdS7_NS0_8identityIdEEEE10hipError_tT2_T3_mT4_P12ihipStream_tbEUlT_E_NS1_11comp_targetILNS1_3genE5ELNS1_11target_archE942ELNS1_3gpuE9ELNS1_3repE0EEENS1_30default_config_static_selectorELNS0_4arch9wavefront6targetE1EEEvT1_.kd
    .uniform_work_group_size: 1
    .uses_dynamic_stack: false
    .vgpr_count:     8
    .vgpr_spill_count: 0
    .wavefront_size: 64
  - .agpr_count:     0
    .args:
      - .offset:         0
        .size:           40
        .value_kind:     by_value
    .group_segment_fixed_size: 0
    .kernarg_segment_align: 8
    .kernarg_segment_size: 40
    .language:       OpenCL C
    .language_version:
      - 2
      - 0
    .max_flat_workgroup_size: 1024
    .name:           _ZN7rocprim17ROCPRIM_400000_NS6detail17trampoline_kernelINS0_14default_configENS1_25transform_config_selectorIdLb1EEEZNS1_14transform_implILb1ES3_S5_PdS7_NS0_8identityIdEEEE10hipError_tT2_T3_mT4_P12ihipStream_tbEUlT_E_NS1_11comp_targetILNS1_3genE4ELNS1_11target_archE910ELNS1_3gpuE8ELNS1_3repE0EEENS1_30default_config_static_selectorELNS0_4arch9wavefront6targetE1EEEvT1_
    .private_segment_fixed_size: 0
    .sgpr_count:     6
    .sgpr_spill_count: 0
    .symbol:         _ZN7rocprim17ROCPRIM_400000_NS6detail17trampoline_kernelINS0_14default_configENS1_25transform_config_selectorIdLb1EEEZNS1_14transform_implILb1ES3_S5_PdS7_NS0_8identityIdEEEE10hipError_tT2_T3_mT4_P12ihipStream_tbEUlT_E_NS1_11comp_targetILNS1_3genE4ELNS1_11target_archE910ELNS1_3gpuE8ELNS1_3repE0EEENS1_30default_config_static_selectorELNS0_4arch9wavefront6targetE1EEEvT1_.kd
    .uniform_work_group_size: 1
    .uses_dynamic_stack: false
    .vgpr_count:     0
    .vgpr_spill_count: 0
    .wavefront_size: 64
  - .agpr_count:     0
    .args:
      - .offset:         0
        .size:           40
        .value_kind:     by_value
    .group_segment_fixed_size: 0
    .kernarg_segment_align: 8
    .kernarg_segment_size: 40
    .language:       OpenCL C
    .language_version:
      - 2
      - 0
    .max_flat_workgroup_size: 128
    .name:           _ZN7rocprim17ROCPRIM_400000_NS6detail17trampoline_kernelINS0_14default_configENS1_25transform_config_selectorIdLb1EEEZNS1_14transform_implILb1ES3_S5_PdS7_NS0_8identityIdEEEE10hipError_tT2_T3_mT4_P12ihipStream_tbEUlT_E_NS1_11comp_targetILNS1_3genE3ELNS1_11target_archE908ELNS1_3gpuE7ELNS1_3repE0EEENS1_30default_config_static_selectorELNS0_4arch9wavefront6targetE1EEEvT1_
    .private_segment_fixed_size: 0
    .sgpr_count:     6
    .sgpr_spill_count: 0
    .symbol:         _ZN7rocprim17ROCPRIM_400000_NS6detail17trampoline_kernelINS0_14default_configENS1_25transform_config_selectorIdLb1EEEZNS1_14transform_implILb1ES3_S5_PdS7_NS0_8identityIdEEEE10hipError_tT2_T3_mT4_P12ihipStream_tbEUlT_E_NS1_11comp_targetILNS1_3genE3ELNS1_11target_archE908ELNS1_3gpuE7ELNS1_3repE0EEENS1_30default_config_static_selectorELNS0_4arch9wavefront6targetE1EEEvT1_.kd
    .uniform_work_group_size: 1
    .uses_dynamic_stack: false
    .vgpr_count:     0
    .vgpr_spill_count: 0
    .wavefront_size: 64
  - .agpr_count:     0
    .args:
      - .offset:         0
        .size:           40
        .value_kind:     by_value
    .group_segment_fixed_size: 0
    .kernarg_segment_align: 8
    .kernarg_segment_size: 40
    .language:       OpenCL C
    .language_version:
      - 2
      - 0
    .max_flat_workgroup_size: 1024
    .name:           _ZN7rocprim17ROCPRIM_400000_NS6detail17trampoline_kernelINS0_14default_configENS1_25transform_config_selectorIdLb1EEEZNS1_14transform_implILb1ES3_S5_PdS7_NS0_8identityIdEEEE10hipError_tT2_T3_mT4_P12ihipStream_tbEUlT_E_NS1_11comp_targetILNS1_3genE2ELNS1_11target_archE906ELNS1_3gpuE6ELNS1_3repE0EEENS1_30default_config_static_selectorELNS0_4arch9wavefront6targetE1EEEvT1_
    .private_segment_fixed_size: 0
    .sgpr_count:     6
    .sgpr_spill_count: 0
    .symbol:         _ZN7rocprim17ROCPRIM_400000_NS6detail17trampoline_kernelINS0_14default_configENS1_25transform_config_selectorIdLb1EEEZNS1_14transform_implILb1ES3_S5_PdS7_NS0_8identityIdEEEE10hipError_tT2_T3_mT4_P12ihipStream_tbEUlT_E_NS1_11comp_targetILNS1_3genE2ELNS1_11target_archE906ELNS1_3gpuE6ELNS1_3repE0EEENS1_30default_config_static_selectorELNS0_4arch9wavefront6targetE1EEEvT1_.kd
    .uniform_work_group_size: 1
    .uses_dynamic_stack: false
    .vgpr_count:     0
    .vgpr_spill_count: 0
    .wavefront_size: 64
  - .agpr_count:     0
    .args:
      - .offset:         0
        .size:           40
        .value_kind:     by_value
    .group_segment_fixed_size: 0
    .kernarg_segment_align: 8
    .kernarg_segment_size: 40
    .language:       OpenCL C
    .language_version:
      - 2
      - 0
    .max_flat_workgroup_size: 1024
    .name:           _ZN7rocprim17ROCPRIM_400000_NS6detail17trampoline_kernelINS0_14default_configENS1_25transform_config_selectorIdLb1EEEZNS1_14transform_implILb1ES3_S5_PdS7_NS0_8identityIdEEEE10hipError_tT2_T3_mT4_P12ihipStream_tbEUlT_E_NS1_11comp_targetILNS1_3genE9ELNS1_11target_archE1100ELNS1_3gpuE3ELNS1_3repE0EEENS1_30default_config_static_selectorELNS0_4arch9wavefront6targetE1EEEvT1_
    .private_segment_fixed_size: 0
    .sgpr_count:     6
    .sgpr_spill_count: 0
    .symbol:         _ZN7rocprim17ROCPRIM_400000_NS6detail17trampoline_kernelINS0_14default_configENS1_25transform_config_selectorIdLb1EEEZNS1_14transform_implILb1ES3_S5_PdS7_NS0_8identityIdEEEE10hipError_tT2_T3_mT4_P12ihipStream_tbEUlT_E_NS1_11comp_targetILNS1_3genE9ELNS1_11target_archE1100ELNS1_3gpuE3ELNS1_3repE0EEENS1_30default_config_static_selectorELNS0_4arch9wavefront6targetE1EEEvT1_.kd
    .uniform_work_group_size: 1
    .uses_dynamic_stack: false
    .vgpr_count:     0
    .vgpr_spill_count: 0
    .wavefront_size: 64
  - .agpr_count:     0
    .args:
      - .offset:         0
        .size:           40
        .value_kind:     by_value
    .group_segment_fixed_size: 0
    .kernarg_segment_align: 8
    .kernarg_segment_size: 40
    .language:       OpenCL C
    .language_version:
      - 2
      - 0
    .max_flat_workgroup_size: 1024
    .name:           _ZN7rocprim17ROCPRIM_400000_NS6detail17trampoline_kernelINS0_14default_configENS1_25transform_config_selectorIdLb1EEEZNS1_14transform_implILb1ES3_S5_PdS7_NS0_8identityIdEEEE10hipError_tT2_T3_mT4_P12ihipStream_tbEUlT_E_NS1_11comp_targetILNS1_3genE8ELNS1_11target_archE1030ELNS1_3gpuE2ELNS1_3repE0EEENS1_30default_config_static_selectorELNS0_4arch9wavefront6targetE1EEEvT1_
    .private_segment_fixed_size: 0
    .sgpr_count:     6
    .sgpr_spill_count: 0
    .symbol:         _ZN7rocprim17ROCPRIM_400000_NS6detail17trampoline_kernelINS0_14default_configENS1_25transform_config_selectorIdLb1EEEZNS1_14transform_implILb1ES3_S5_PdS7_NS0_8identityIdEEEE10hipError_tT2_T3_mT4_P12ihipStream_tbEUlT_E_NS1_11comp_targetILNS1_3genE8ELNS1_11target_archE1030ELNS1_3gpuE2ELNS1_3repE0EEENS1_30default_config_static_selectorELNS0_4arch9wavefront6targetE1EEEvT1_.kd
    .uniform_work_group_size: 1
    .uses_dynamic_stack: false
    .vgpr_count:     0
    .vgpr_spill_count: 0
    .wavefront_size: 64
  - .agpr_count:     0
    .args:
      - .offset:         0
        .size:           40
        .value_kind:     by_value
    .group_segment_fixed_size: 0
    .kernarg_segment_align: 8
    .kernarg_segment_size: 40
    .language:       OpenCL C
    .language_version:
      - 2
      - 0
    .max_flat_workgroup_size: 256
    .name:           _ZN7rocprim17ROCPRIM_400000_NS6detail17trampoline_kernelINS0_14default_configENS1_20scan_config_selectorIdEEZZNS1_9scan_implILNS1_25lookback_scan_determinismE0ELb0ELb0ES3_PKdPddZZZN2at6native31launch_logcumsumexp_cuda_kernelERKNSB_10TensorBaseESF_lENKUlvE_clEvENKUlvE_clEvEUlddE_dEEDaPvRmT3_T4_T5_mT6_P12ihipStream_tbENKUlT_T0_E_clISt17integral_constantIbLb0EESW_EEDaSR_SS_EUlSR_E0_NS1_11comp_targetILNS1_3genE0ELNS1_11target_archE4294967295ELNS1_3gpuE0ELNS1_3repE0EEENS1_30default_config_static_selectorELNS0_4arch9wavefront6targetE1EEEvT1_
    .private_segment_fixed_size: 0
    .sgpr_count:     6
    .sgpr_spill_count: 0
    .symbol:         _ZN7rocprim17ROCPRIM_400000_NS6detail17trampoline_kernelINS0_14default_configENS1_20scan_config_selectorIdEEZZNS1_9scan_implILNS1_25lookback_scan_determinismE0ELb0ELb0ES3_PKdPddZZZN2at6native31launch_logcumsumexp_cuda_kernelERKNSB_10TensorBaseESF_lENKUlvE_clEvENKUlvE_clEvEUlddE_dEEDaPvRmT3_T4_T5_mT6_P12ihipStream_tbENKUlT_T0_E_clISt17integral_constantIbLb0EESW_EEDaSR_SS_EUlSR_E0_NS1_11comp_targetILNS1_3genE0ELNS1_11target_archE4294967295ELNS1_3gpuE0ELNS1_3repE0EEENS1_30default_config_static_selectorELNS0_4arch9wavefront6targetE1EEEvT1_.kd
    .uniform_work_group_size: 1
    .uses_dynamic_stack: false
    .vgpr_count:     0
    .vgpr_spill_count: 0
    .wavefront_size: 64
  - .agpr_count:     0
    .args:
      - .offset:         0
        .size:           40
        .value_kind:     by_value
    .group_segment_fixed_size: 30720
    .kernarg_segment_align: 8
    .kernarg_segment_size: 40
    .language:       OpenCL C
    .language_version:
      - 2
      - 0
    .max_flat_workgroup_size: 256
    .name:           _ZN7rocprim17ROCPRIM_400000_NS6detail17trampoline_kernelINS0_14default_configENS1_20scan_config_selectorIdEEZZNS1_9scan_implILNS1_25lookback_scan_determinismE0ELb0ELb0ES3_PKdPddZZZN2at6native31launch_logcumsumexp_cuda_kernelERKNSB_10TensorBaseESF_lENKUlvE_clEvENKUlvE_clEvEUlddE_dEEDaPvRmT3_T4_T5_mT6_P12ihipStream_tbENKUlT_T0_E_clISt17integral_constantIbLb0EESW_EEDaSR_SS_EUlSR_E0_NS1_11comp_targetILNS1_3genE5ELNS1_11target_archE942ELNS1_3gpuE9ELNS1_3repE0EEENS1_30default_config_static_selectorELNS0_4arch9wavefront6targetE1EEEvT1_
    .private_segment_fixed_size: 0
    .sgpr_count:     84
    .sgpr_spill_count: 0
    .symbol:         _ZN7rocprim17ROCPRIM_400000_NS6detail17trampoline_kernelINS0_14default_configENS1_20scan_config_selectorIdEEZZNS1_9scan_implILNS1_25lookback_scan_determinismE0ELb0ELb0ES3_PKdPddZZZN2at6native31launch_logcumsumexp_cuda_kernelERKNSB_10TensorBaseESF_lENKUlvE_clEvENKUlvE_clEvEUlddE_dEEDaPvRmT3_T4_T5_mT6_P12ihipStream_tbENKUlT_T0_E_clISt17integral_constantIbLb0EESW_EEDaSR_SS_EUlSR_E0_NS1_11comp_targetILNS1_3genE5ELNS1_11target_archE942ELNS1_3gpuE9ELNS1_3repE0EEENS1_30default_config_static_selectorELNS0_4arch9wavefront6targetE1EEEvT1_.kd
    .uniform_work_group_size: 1
    .uses_dynamic_stack: false
    .vgpr_count:     100
    .vgpr_spill_count: 0
    .wavefront_size: 64
  - .agpr_count:     0
    .args:
      - .offset:         0
        .size:           40
        .value_kind:     by_value
    .group_segment_fixed_size: 0
    .kernarg_segment_align: 8
    .kernarg_segment_size: 40
    .language:       OpenCL C
    .language_version:
      - 2
      - 0
    .max_flat_workgroup_size: 128
    .name:           _ZN7rocprim17ROCPRIM_400000_NS6detail17trampoline_kernelINS0_14default_configENS1_20scan_config_selectorIdEEZZNS1_9scan_implILNS1_25lookback_scan_determinismE0ELb0ELb0ES3_PKdPddZZZN2at6native31launch_logcumsumexp_cuda_kernelERKNSB_10TensorBaseESF_lENKUlvE_clEvENKUlvE_clEvEUlddE_dEEDaPvRmT3_T4_T5_mT6_P12ihipStream_tbENKUlT_T0_E_clISt17integral_constantIbLb0EESW_EEDaSR_SS_EUlSR_E0_NS1_11comp_targetILNS1_3genE4ELNS1_11target_archE910ELNS1_3gpuE8ELNS1_3repE0EEENS1_30default_config_static_selectorELNS0_4arch9wavefront6targetE1EEEvT1_
    .private_segment_fixed_size: 0
    .sgpr_count:     6
    .sgpr_spill_count: 0
    .symbol:         _ZN7rocprim17ROCPRIM_400000_NS6detail17trampoline_kernelINS0_14default_configENS1_20scan_config_selectorIdEEZZNS1_9scan_implILNS1_25lookback_scan_determinismE0ELb0ELb0ES3_PKdPddZZZN2at6native31launch_logcumsumexp_cuda_kernelERKNSB_10TensorBaseESF_lENKUlvE_clEvENKUlvE_clEvEUlddE_dEEDaPvRmT3_T4_T5_mT6_P12ihipStream_tbENKUlT_T0_E_clISt17integral_constantIbLb0EESW_EEDaSR_SS_EUlSR_E0_NS1_11comp_targetILNS1_3genE4ELNS1_11target_archE910ELNS1_3gpuE8ELNS1_3repE0EEENS1_30default_config_static_selectorELNS0_4arch9wavefront6targetE1EEEvT1_.kd
    .uniform_work_group_size: 1
    .uses_dynamic_stack: false
    .vgpr_count:     0
    .vgpr_spill_count: 0
    .wavefront_size: 64
  - .agpr_count:     0
    .args:
      - .offset:         0
        .size:           40
        .value_kind:     by_value
    .group_segment_fixed_size: 0
    .kernarg_segment_align: 8
    .kernarg_segment_size: 40
    .language:       OpenCL C
    .language_version:
      - 2
      - 0
    .max_flat_workgroup_size: 256
    .name:           _ZN7rocprim17ROCPRIM_400000_NS6detail17trampoline_kernelINS0_14default_configENS1_20scan_config_selectorIdEEZZNS1_9scan_implILNS1_25lookback_scan_determinismE0ELb0ELb0ES3_PKdPddZZZN2at6native31launch_logcumsumexp_cuda_kernelERKNSB_10TensorBaseESF_lENKUlvE_clEvENKUlvE_clEvEUlddE_dEEDaPvRmT3_T4_T5_mT6_P12ihipStream_tbENKUlT_T0_E_clISt17integral_constantIbLb0EESW_EEDaSR_SS_EUlSR_E0_NS1_11comp_targetILNS1_3genE3ELNS1_11target_archE908ELNS1_3gpuE7ELNS1_3repE0EEENS1_30default_config_static_selectorELNS0_4arch9wavefront6targetE1EEEvT1_
    .private_segment_fixed_size: 0
    .sgpr_count:     6
    .sgpr_spill_count: 0
    .symbol:         _ZN7rocprim17ROCPRIM_400000_NS6detail17trampoline_kernelINS0_14default_configENS1_20scan_config_selectorIdEEZZNS1_9scan_implILNS1_25lookback_scan_determinismE0ELb0ELb0ES3_PKdPddZZZN2at6native31launch_logcumsumexp_cuda_kernelERKNSB_10TensorBaseESF_lENKUlvE_clEvENKUlvE_clEvEUlddE_dEEDaPvRmT3_T4_T5_mT6_P12ihipStream_tbENKUlT_T0_E_clISt17integral_constantIbLb0EESW_EEDaSR_SS_EUlSR_E0_NS1_11comp_targetILNS1_3genE3ELNS1_11target_archE908ELNS1_3gpuE7ELNS1_3repE0EEENS1_30default_config_static_selectorELNS0_4arch9wavefront6targetE1EEEvT1_.kd
    .uniform_work_group_size: 1
    .uses_dynamic_stack: false
    .vgpr_count:     0
    .vgpr_spill_count: 0
    .wavefront_size: 64
  - .agpr_count:     0
    .args:
      - .offset:         0
        .size:           40
        .value_kind:     by_value
    .group_segment_fixed_size: 0
    .kernarg_segment_align: 8
    .kernarg_segment_size: 40
    .language:       OpenCL C
    .language_version:
      - 2
      - 0
    .max_flat_workgroup_size: 128
    .name:           _ZN7rocprim17ROCPRIM_400000_NS6detail17trampoline_kernelINS0_14default_configENS1_20scan_config_selectorIdEEZZNS1_9scan_implILNS1_25lookback_scan_determinismE0ELb0ELb0ES3_PKdPddZZZN2at6native31launch_logcumsumexp_cuda_kernelERKNSB_10TensorBaseESF_lENKUlvE_clEvENKUlvE_clEvEUlddE_dEEDaPvRmT3_T4_T5_mT6_P12ihipStream_tbENKUlT_T0_E_clISt17integral_constantIbLb0EESW_EEDaSR_SS_EUlSR_E0_NS1_11comp_targetILNS1_3genE2ELNS1_11target_archE906ELNS1_3gpuE6ELNS1_3repE0EEENS1_30default_config_static_selectorELNS0_4arch9wavefront6targetE1EEEvT1_
    .private_segment_fixed_size: 0
    .sgpr_count:     6
    .sgpr_spill_count: 0
    .symbol:         _ZN7rocprim17ROCPRIM_400000_NS6detail17trampoline_kernelINS0_14default_configENS1_20scan_config_selectorIdEEZZNS1_9scan_implILNS1_25lookback_scan_determinismE0ELb0ELb0ES3_PKdPddZZZN2at6native31launch_logcumsumexp_cuda_kernelERKNSB_10TensorBaseESF_lENKUlvE_clEvENKUlvE_clEvEUlddE_dEEDaPvRmT3_T4_T5_mT6_P12ihipStream_tbENKUlT_T0_E_clISt17integral_constantIbLb0EESW_EEDaSR_SS_EUlSR_E0_NS1_11comp_targetILNS1_3genE2ELNS1_11target_archE906ELNS1_3gpuE6ELNS1_3repE0EEENS1_30default_config_static_selectorELNS0_4arch9wavefront6targetE1EEEvT1_.kd
    .uniform_work_group_size: 1
    .uses_dynamic_stack: false
    .vgpr_count:     0
    .vgpr_spill_count: 0
    .wavefront_size: 64
  - .agpr_count:     0
    .args:
      - .offset:         0
        .size:           40
        .value_kind:     by_value
    .group_segment_fixed_size: 0
    .kernarg_segment_align: 8
    .kernarg_segment_size: 40
    .language:       OpenCL C
    .language_version:
      - 2
      - 0
    .max_flat_workgroup_size: 256
    .name:           _ZN7rocprim17ROCPRIM_400000_NS6detail17trampoline_kernelINS0_14default_configENS1_20scan_config_selectorIdEEZZNS1_9scan_implILNS1_25lookback_scan_determinismE0ELb0ELb0ES3_PKdPddZZZN2at6native31launch_logcumsumexp_cuda_kernelERKNSB_10TensorBaseESF_lENKUlvE_clEvENKUlvE_clEvEUlddE_dEEDaPvRmT3_T4_T5_mT6_P12ihipStream_tbENKUlT_T0_E_clISt17integral_constantIbLb0EESW_EEDaSR_SS_EUlSR_E0_NS1_11comp_targetILNS1_3genE10ELNS1_11target_archE1201ELNS1_3gpuE5ELNS1_3repE0EEENS1_30default_config_static_selectorELNS0_4arch9wavefront6targetE1EEEvT1_
    .private_segment_fixed_size: 0
    .sgpr_count:     6
    .sgpr_spill_count: 0
    .symbol:         _ZN7rocprim17ROCPRIM_400000_NS6detail17trampoline_kernelINS0_14default_configENS1_20scan_config_selectorIdEEZZNS1_9scan_implILNS1_25lookback_scan_determinismE0ELb0ELb0ES3_PKdPddZZZN2at6native31launch_logcumsumexp_cuda_kernelERKNSB_10TensorBaseESF_lENKUlvE_clEvENKUlvE_clEvEUlddE_dEEDaPvRmT3_T4_T5_mT6_P12ihipStream_tbENKUlT_T0_E_clISt17integral_constantIbLb0EESW_EEDaSR_SS_EUlSR_E0_NS1_11comp_targetILNS1_3genE10ELNS1_11target_archE1201ELNS1_3gpuE5ELNS1_3repE0EEENS1_30default_config_static_selectorELNS0_4arch9wavefront6targetE1EEEvT1_.kd
    .uniform_work_group_size: 1
    .uses_dynamic_stack: false
    .vgpr_count:     0
    .vgpr_spill_count: 0
    .wavefront_size: 64
  - .agpr_count:     0
    .args:
      - .offset:         0
        .size:           40
        .value_kind:     by_value
    .group_segment_fixed_size: 0
    .kernarg_segment_align: 8
    .kernarg_segment_size: 40
    .language:       OpenCL C
    .language_version:
      - 2
      - 0
    .max_flat_workgroup_size: 256
    .name:           _ZN7rocprim17ROCPRIM_400000_NS6detail17trampoline_kernelINS0_14default_configENS1_20scan_config_selectorIdEEZZNS1_9scan_implILNS1_25lookback_scan_determinismE0ELb0ELb0ES3_PKdPddZZZN2at6native31launch_logcumsumexp_cuda_kernelERKNSB_10TensorBaseESF_lENKUlvE_clEvENKUlvE_clEvEUlddE_dEEDaPvRmT3_T4_T5_mT6_P12ihipStream_tbENKUlT_T0_E_clISt17integral_constantIbLb0EESW_EEDaSR_SS_EUlSR_E0_NS1_11comp_targetILNS1_3genE10ELNS1_11target_archE1200ELNS1_3gpuE4ELNS1_3repE0EEENS1_30default_config_static_selectorELNS0_4arch9wavefront6targetE1EEEvT1_
    .private_segment_fixed_size: 0
    .sgpr_count:     6
    .sgpr_spill_count: 0
    .symbol:         _ZN7rocprim17ROCPRIM_400000_NS6detail17trampoline_kernelINS0_14default_configENS1_20scan_config_selectorIdEEZZNS1_9scan_implILNS1_25lookback_scan_determinismE0ELb0ELb0ES3_PKdPddZZZN2at6native31launch_logcumsumexp_cuda_kernelERKNSB_10TensorBaseESF_lENKUlvE_clEvENKUlvE_clEvEUlddE_dEEDaPvRmT3_T4_T5_mT6_P12ihipStream_tbENKUlT_T0_E_clISt17integral_constantIbLb0EESW_EEDaSR_SS_EUlSR_E0_NS1_11comp_targetILNS1_3genE10ELNS1_11target_archE1200ELNS1_3gpuE4ELNS1_3repE0EEENS1_30default_config_static_selectorELNS0_4arch9wavefront6targetE1EEEvT1_.kd
    .uniform_work_group_size: 1
    .uses_dynamic_stack: false
    .vgpr_count:     0
    .vgpr_spill_count: 0
    .wavefront_size: 64
  - .agpr_count:     0
    .args:
      - .offset:         0
        .size:           40
        .value_kind:     by_value
    .group_segment_fixed_size: 0
    .kernarg_segment_align: 8
    .kernarg_segment_size: 40
    .language:       OpenCL C
    .language_version:
      - 2
      - 0
    .max_flat_workgroup_size: 256
    .name:           _ZN7rocprim17ROCPRIM_400000_NS6detail17trampoline_kernelINS0_14default_configENS1_20scan_config_selectorIdEEZZNS1_9scan_implILNS1_25lookback_scan_determinismE0ELb0ELb0ES3_PKdPddZZZN2at6native31launch_logcumsumexp_cuda_kernelERKNSB_10TensorBaseESF_lENKUlvE_clEvENKUlvE_clEvEUlddE_dEEDaPvRmT3_T4_T5_mT6_P12ihipStream_tbENKUlT_T0_E_clISt17integral_constantIbLb0EESW_EEDaSR_SS_EUlSR_E0_NS1_11comp_targetILNS1_3genE9ELNS1_11target_archE1100ELNS1_3gpuE3ELNS1_3repE0EEENS1_30default_config_static_selectorELNS0_4arch9wavefront6targetE1EEEvT1_
    .private_segment_fixed_size: 0
    .sgpr_count:     6
    .sgpr_spill_count: 0
    .symbol:         _ZN7rocprim17ROCPRIM_400000_NS6detail17trampoline_kernelINS0_14default_configENS1_20scan_config_selectorIdEEZZNS1_9scan_implILNS1_25lookback_scan_determinismE0ELb0ELb0ES3_PKdPddZZZN2at6native31launch_logcumsumexp_cuda_kernelERKNSB_10TensorBaseESF_lENKUlvE_clEvENKUlvE_clEvEUlddE_dEEDaPvRmT3_T4_T5_mT6_P12ihipStream_tbENKUlT_T0_E_clISt17integral_constantIbLb0EESW_EEDaSR_SS_EUlSR_E0_NS1_11comp_targetILNS1_3genE9ELNS1_11target_archE1100ELNS1_3gpuE3ELNS1_3repE0EEENS1_30default_config_static_selectorELNS0_4arch9wavefront6targetE1EEEvT1_.kd
    .uniform_work_group_size: 1
    .uses_dynamic_stack: false
    .vgpr_count:     0
    .vgpr_spill_count: 0
    .wavefront_size: 64
  - .agpr_count:     0
    .args:
      - .offset:         0
        .size:           40
        .value_kind:     by_value
    .group_segment_fixed_size: 0
    .kernarg_segment_align: 8
    .kernarg_segment_size: 40
    .language:       OpenCL C
    .language_version:
      - 2
      - 0
    .max_flat_workgroup_size: 128
    .name:           _ZN7rocprim17ROCPRIM_400000_NS6detail17trampoline_kernelINS0_14default_configENS1_20scan_config_selectorIdEEZZNS1_9scan_implILNS1_25lookback_scan_determinismE0ELb0ELb0ES3_PKdPddZZZN2at6native31launch_logcumsumexp_cuda_kernelERKNSB_10TensorBaseESF_lENKUlvE_clEvENKUlvE_clEvEUlddE_dEEDaPvRmT3_T4_T5_mT6_P12ihipStream_tbENKUlT_T0_E_clISt17integral_constantIbLb0EESW_EEDaSR_SS_EUlSR_E0_NS1_11comp_targetILNS1_3genE8ELNS1_11target_archE1030ELNS1_3gpuE2ELNS1_3repE0EEENS1_30default_config_static_selectorELNS0_4arch9wavefront6targetE1EEEvT1_
    .private_segment_fixed_size: 0
    .sgpr_count:     6
    .sgpr_spill_count: 0
    .symbol:         _ZN7rocprim17ROCPRIM_400000_NS6detail17trampoline_kernelINS0_14default_configENS1_20scan_config_selectorIdEEZZNS1_9scan_implILNS1_25lookback_scan_determinismE0ELb0ELb0ES3_PKdPddZZZN2at6native31launch_logcumsumexp_cuda_kernelERKNSB_10TensorBaseESF_lENKUlvE_clEvENKUlvE_clEvEUlddE_dEEDaPvRmT3_T4_T5_mT6_P12ihipStream_tbENKUlT_T0_E_clISt17integral_constantIbLb0EESW_EEDaSR_SS_EUlSR_E0_NS1_11comp_targetILNS1_3genE8ELNS1_11target_archE1030ELNS1_3gpuE2ELNS1_3repE0EEENS1_30default_config_static_selectorELNS0_4arch9wavefront6targetE1EEEvT1_.kd
    .uniform_work_group_size: 1
    .uses_dynamic_stack: false
    .vgpr_count:     0
    .vgpr_spill_count: 0
    .wavefront_size: 64
  - .agpr_count:     0
    .args:
      - .address_space:  global
        .offset:         0
        .size:           8
        .value_kind:     global_buffer
      - .offset:         8
        .size:           4
        .value_kind:     by_value
      - .address_space:  global
        .offset:         16
        .size:           8
        .value_kind:     global_buffer
      - .offset:         24
        .size:           4
        .value_kind:     by_value
      - .address_space:  global
        .offset:         32
        .size:           8
        .value_kind:     global_buffer
      - .offset:         40
        .size:           4
        .value_kind:     hidden_block_count_x
      - .offset:         44
        .size:           4
        .value_kind:     hidden_block_count_y
      - .offset:         48
        .size:           4
        .value_kind:     hidden_block_count_z
      - .offset:         52
        .size:           2
        .value_kind:     hidden_group_size_x
      - .offset:         54
        .size:           2
        .value_kind:     hidden_group_size_y
      - .offset:         56
        .size:           2
        .value_kind:     hidden_group_size_z
      - .offset:         58
        .size:           2
        .value_kind:     hidden_remainder_x
      - .offset:         60
        .size:           2
        .value_kind:     hidden_remainder_y
      - .offset:         62
        .size:           2
        .value_kind:     hidden_remainder_z
      - .offset:         80
        .size:           8
        .value_kind:     hidden_global_offset_x
      - .offset:         88
        .size:           8
        .value_kind:     hidden_global_offset_y
      - .offset:         96
        .size:           8
        .value_kind:     hidden_global_offset_z
      - .offset:         104
        .size:           2
        .value_kind:     hidden_grid_dims
    .group_segment_fixed_size: 0
    .kernarg_segment_align: 8
    .kernarg_segment_size: 296
    .language:       OpenCL C
    .language_version:
      - 2
      - 0
    .max_flat_workgroup_size: 256
    .name:           _ZN7rocprim17ROCPRIM_400000_NS6detail31init_lookback_scan_state_kernelINS1_19lookback_scan_stateIdLb1ELb1EEENS1_16block_id_wrapperIjLb1EEEEEvT_jT0_jPNS7_10value_typeE
    .private_segment_fixed_size: 0
    .sgpr_count:     22
    .sgpr_spill_count: 0
    .symbol:         _ZN7rocprim17ROCPRIM_400000_NS6detail31init_lookback_scan_state_kernelINS1_19lookback_scan_stateIdLb1ELb1EEENS1_16block_id_wrapperIjLb1EEEEEvT_jT0_jPNS7_10value_typeE.kd
    .uniform_work_group_size: 1
    .uses_dynamic_stack: false
    .vgpr_count:     10
    .vgpr_spill_count: 0
    .wavefront_size: 64
  - .agpr_count:     0
    .args:
      - .offset:         0
        .size:           104
        .value_kind:     by_value
    .group_segment_fixed_size: 0
    .kernarg_segment_align: 8
    .kernarg_segment_size: 104
    .language:       OpenCL C
    .language_version:
      - 2
      - 0
    .max_flat_workgroup_size: 256
    .name:           _ZN7rocprim17ROCPRIM_400000_NS6detail17trampoline_kernelINS0_14default_configENS1_20scan_config_selectorIdEEZZNS1_9scan_implILNS1_25lookback_scan_determinismE0ELb0ELb0ES3_PKdPddZZZN2at6native31launch_logcumsumexp_cuda_kernelERKNSB_10TensorBaseESF_lENKUlvE_clEvENKUlvE_clEvEUlddE_dEEDaPvRmT3_T4_T5_mT6_P12ihipStream_tbENKUlT_T0_E_clISt17integral_constantIbLb1EESW_EEDaSR_SS_EUlSR_E_NS1_11comp_targetILNS1_3genE0ELNS1_11target_archE4294967295ELNS1_3gpuE0ELNS1_3repE0EEENS1_30default_config_static_selectorELNS0_4arch9wavefront6targetE1EEEvT1_
    .private_segment_fixed_size: 0
    .sgpr_count:     6
    .sgpr_spill_count: 0
    .symbol:         _ZN7rocprim17ROCPRIM_400000_NS6detail17trampoline_kernelINS0_14default_configENS1_20scan_config_selectorIdEEZZNS1_9scan_implILNS1_25lookback_scan_determinismE0ELb0ELb0ES3_PKdPddZZZN2at6native31launch_logcumsumexp_cuda_kernelERKNSB_10TensorBaseESF_lENKUlvE_clEvENKUlvE_clEvEUlddE_dEEDaPvRmT3_T4_T5_mT6_P12ihipStream_tbENKUlT_T0_E_clISt17integral_constantIbLb1EESW_EEDaSR_SS_EUlSR_E_NS1_11comp_targetILNS1_3genE0ELNS1_11target_archE4294967295ELNS1_3gpuE0ELNS1_3repE0EEENS1_30default_config_static_selectorELNS0_4arch9wavefront6targetE1EEEvT1_.kd
    .uniform_work_group_size: 1
    .uses_dynamic_stack: false
    .vgpr_count:     0
    .vgpr_spill_count: 0
    .wavefront_size: 64
  - .agpr_count:     0
    .args:
      - .offset:         0
        .size:           104
        .value_kind:     by_value
      - .offset:         104
        .size:           4
        .value_kind:     hidden_block_count_x
      - .offset:         108
        .size:           4
        .value_kind:     hidden_block_count_y
      - .offset:         112
        .size:           4
        .value_kind:     hidden_block_count_z
      - .offset:         116
        .size:           2
        .value_kind:     hidden_group_size_x
      - .offset:         118
        .size:           2
        .value_kind:     hidden_group_size_y
      - .offset:         120
        .size:           2
        .value_kind:     hidden_group_size_z
      - .offset:         122
        .size:           2
        .value_kind:     hidden_remainder_x
      - .offset:         124
        .size:           2
        .value_kind:     hidden_remainder_y
      - .offset:         126
        .size:           2
        .value_kind:     hidden_remainder_z
      - .offset:         144
        .size:           8
        .value_kind:     hidden_global_offset_x
      - .offset:         152
        .size:           8
        .value_kind:     hidden_global_offset_y
      - .offset:         160
        .size:           8
        .value_kind:     hidden_global_offset_z
      - .offset:         168
        .size:           2
        .value_kind:     hidden_grid_dims
    .group_segment_fixed_size: 30720
    .kernarg_segment_align: 8
    .kernarg_segment_size: 360
    .language:       OpenCL C
    .language_version:
      - 2
      - 0
    .max_flat_workgroup_size: 256
    .name:           _ZN7rocprim17ROCPRIM_400000_NS6detail17trampoline_kernelINS0_14default_configENS1_20scan_config_selectorIdEEZZNS1_9scan_implILNS1_25lookback_scan_determinismE0ELb0ELb0ES3_PKdPddZZZN2at6native31launch_logcumsumexp_cuda_kernelERKNSB_10TensorBaseESF_lENKUlvE_clEvENKUlvE_clEvEUlddE_dEEDaPvRmT3_T4_T5_mT6_P12ihipStream_tbENKUlT_T0_E_clISt17integral_constantIbLb1EESW_EEDaSR_SS_EUlSR_E_NS1_11comp_targetILNS1_3genE5ELNS1_11target_archE942ELNS1_3gpuE9ELNS1_3repE0EEENS1_30default_config_static_selectorELNS0_4arch9wavefront6targetE1EEEvT1_
    .private_segment_fixed_size: 120
    .sgpr_count:     84
    .sgpr_spill_count: 0
    .symbol:         _ZN7rocprim17ROCPRIM_400000_NS6detail17trampoline_kernelINS0_14default_configENS1_20scan_config_selectorIdEEZZNS1_9scan_implILNS1_25lookback_scan_determinismE0ELb0ELb0ES3_PKdPddZZZN2at6native31launch_logcumsumexp_cuda_kernelERKNSB_10TensorBaseESF_lENKUlvE_clEvENKUlvE_clEvEUlddE_dEEDaPvRmT3_T4_T5_mT6_P12ihipStream_tbENKUlT_T0_E_clISt17integral_constantIbLb1EESW_EEDaSR_SS_EUlSR_E_NS1_11comp_targetILNS1_3genE5ELNS1_11target_archE942ELNS1_3gpuE9ELNS1_3repE0EEENS1_30default_config_static_selectorELNS0_4arch9wavefront6targetE1EEEvT1_.kd
    .uniform_work_group_size: 1
    .uses_dynamic_stack: false
    .vgpr_count:     248
    .vgpr_spill_count: 0
    .wavefront_size: 64
  - .agpr_count:     0
    .args:
      - .offset:         0
        .size:           104
        .value_kind:     by_value
    .group_segment_fixed_size: 0
    .kernarg_segment_align: 8
    .kernarg_segment_size: 104
    .language:       OpenCL C
    .language_version:
      - 2
      - 0
    .max_flat_workgroup_size: 128
    .name:           _ZN7rocprim17ROCPRIM_400000_NS6detail17trampoline_kernelINS0_14default_configENS1_20scan_config_selectorIdEEZZNS1_9scan_implILNS1_25lookback_scan_determinismE0ELb0ELb0ES3_PKdPddZZZN2at6native31launch_logcumsumexp_cuda_kernelERKNSB_10TensorBaseESF_lENKUlvE_clEvENKUlvE_clEvEUlddE_dEEDaPvRmT3_T4_T5_mT6_P12ihipStream_tbENKUlT_T0_E_clISt17integral_constantIbLb1EESW_EEDaSR_SS_EUlSR_E_NS1_11comp_targetILNS1_3genE4ELNS1_11target_archE910ELNS1_3gpuE8ELNS1_3repE0EEENS1_30default_config_static_selectorELNS0_4arch9wavefront6targetE1EEEvT1_
    .private_segment_fixed_size: 0
    .sgpr_count:     6
    .sgpr_spill_count: 0
    .symbol:         _ZN7rocprim17ROCPRIM_400000_NS6detail17trampoline_kernelINS0_14default_configENS1_20scan_config_selectorIdEEZZNS1_9scan_implILNS1_25lookback_scan_determinismE0ELb0ELb0ES3_PKdPddZZZN2at6native31launch_logcumsumexp_cuda_kernelERKNSB_10TensorBaseESF_lENKUlvE_clEvENKUlvE_clEvEUlddE_dEEDaPvRmT3_T4_T5_mT6_P12ihipStream_tbENKUlT_T0_E_clISt17integral_constantIbLb1EESW_EEDaSR_SS_EUlSR_E_NS1_11comp_targetILNS1_3genE4ELNS1_11target_archE910ELNS1_3gpuE8ELNS1_3repE0EEENS1_30default_config_static_selectorELNS0_4arch9wavefront6targetE1EEEvT1_.kd
    .uniform_work_group_size: 1
    .uses_dynamic_stack: false
    .vgpr_count:     0
    .vgpr_spill_count: 0
    .wavefront_size: 64
  - .agpr_count:     0
    .args:
      - .offset:         0
        .size:           104
        .value_kind:     by_value
    .group_segment_fixed_size: 0
    .kernarg_segment_align: 8
    .kernarg_segment_size: 104
    .language:       OpenCL C
    .language_version:
      - 2
      - 0
    .max_flat_workgroup_size: 256
    .name:           _ZN7rocprim17ROCPRIM_400000_NS6detail17trampoline_kernelINS0_14default_configENS1_20scan_config_selectorIdEEZZNS1_9scan_implILNS1_25lookback_scan_determinismE0ELb0ELb0ES3_PKdPddZZZN2at6native31launch_logcumsumexp_cuda_kernelERKNSB_10TensorBaseESF_lENKUlvE_clEvENKUlvE_clEvEUlddE_dEEDaPvRmT3_T4_T5_mT6_P12ihipStream_tbENKUlT_T0_E_clISt17integral_constantIbLb1EESW_EEDaSR_SS_EUlSR_E_NS1_11comp_targetILNS1_3genE3ELNS1_11target_archE908ELNS1_3gpuE7ELNS1_3repE0EEENS1_30default_config_static_selectorELNS0_4arch9wavefront6targetE1EEEvT1_
    .private_segment_fixed_size: 0
    .sgpr_count:     6
    .sgpr_spill_count: 0
    .symbol:         _ZN7rocprim17ROCPRIM_400000_NS6detail17trampoline_kernelINS0_14default_configENS1_20scan_config_selectorIdEEZZNS1_9scan_implILNS1_25lookback_scan_determinismE0ELb0ELb0ES3_PKdPddZZZN2at6native31launch_logcumsumexp_cuda_kernelERKNSB_10TensorBaseESF_lENKUlvE_clEvENKUlvE_clEvEUlddE_dEEDaPvRmT3_T4_T5_mT6_P12ihipStream_tbENKUlT_T0_E_clISt17integral_constantIbLb1EESW_EEDaSR_SS_EUlSR_E_NS1_11comp_targetILNS1_3genE3ELNS1_11target_archE908ELNS1_3gpuE7ELNS1_3repE0EEENS1_30default_config_static_selectorELNS0_4arch9wavefront6targetE1EEEvT1_.kd
    .uniform_work_group_size: 1
    .uses_dynamic_stack: false
    .vgpr_count:     0
    .vgpr_spill_count: 0
    .wavefront_size: 64
  - .agpr_count:     0
    .args:
      - .offset:         0
        .size:           104
        .value_kind:     by_value
    .group_segment_fixed_size: 0
    .kernarg_segment_align: 8
    .kernarg_segment_size: 104
    .language:       OpenCL C
    .language_version:
      - 2
      - 0
    .max_flat_workgroup_size: 128
    .name:           _ZN7rocprim17ROCPRIM_400000_NS6detail17trampoline_kernelINS0_14default_configENS1_20scan_config_selectorIdEEZZNS1_9scan_implILNS1_25lookback_scan_determinismE0ELb0ELb0ES3_PKdPddZZZN2at6native31launch_logcumsumexp_cuda_kernelERKNSB_10TensorBaseESF_lENKUlvE_clEvENKUlvE_clEvEUlddE_dEEDaPvRmT3_T4_T5_mT6_P12ihipStream_tbENKUlT_T0_E_clISt17integral_constantIbLb1EESW_EEDaSR_SS_EUlSR_E_NS1_11comp_targetILNS1_3genE2ELNS1_11target_archE906ELNS1_3gpuE6ELNS1_3repE0EEENS1_30default_config_static_selectorELNS0_4arch9wavefront6targetE1EEEvT1_
    .private_segment_fixed_size: 0
    .sgpr_count:     6
    .sgpr_spill_count: 0
    .symbol:         _ZN7rocprim17ROCPRIM_400000_NS6detail17trampoline_kernelINS0_14default_configENS1_20scan_config_selectorIdEEZZNS1_9scan_implILNS1_25lookback_scan_determinismE0ELb0ELb0ES3_PKdPddZZZN2at6native31launch_logcumsumexp_cuda_kernelERKNSB_10TensorBaseESF_lENKUlvE_clEvENKUlvE_clEvEUlddE_dEEDaPvRmT3_T4_T5_mT6_P12ihipStream_tbENKUlT_T0_E_clISt17integral_constantIbLb1EESW_EEDaSR_SS_EUlSR_E_NS1_11comp_targetILNS1_3genE2ELNS1_11target_archE906ELNS1_3gpuE6ELNS1_3repE0EEENS1_30default_config_static_selectorELNS0_4arch9wavefront6targetE1EEEvT1_.kd
    .uniform_work_group_size: 1
    .uses_dynamic_stack: false
    .vgpr_count:     0
    .vgpr_spill_count: 0
    .wavefront_size: 64
  - .agpr_count:     0
    .args:
      - .offset:         0
        .size:           104
        .value_kind:     by_value
    .group_segment_fixed_size: 0
    .kernarg_segment_align: 8
    .kernarg_segment_size: 104
    .language:       OpenCL C
    .language_version:
      - 2
      - 0
    .max_flat_workgroup_size: 256
    .name:           _ZN7rocprim17ROCPRIM_400000_NS6detail17trampoline_kernelINS0_14default_configENS1_20scan_config_selectorIdEEZZNS1_9scan_implILNS1_25lookback_scan_determinismE0ELb0ELb0ES3_PKdPddZZZN2at6native31launch_logcumsumexp_cuda_kernelERKNSB_10TensorBaseESF_lENKUlvE_clEvENKUlvE_clEvEUlddE_dEEDaPvRmT3_T4_T5_mT6_P12ihipStream_tbENKUlT_T0_E_clISt17integral_constantIbLb1EESW_EEDaSR_SS_EUlSR_E_NS1_11comp_targetILNS1_3genE10ELNS1_11target_archE1201ELNS1_3gpuE5ELNS1_3repE0EEENS1_30default_config_static_selectorELNS0_4arch9wavefront6targetE1EEEvT1_
    .private_segment_fixed_size: 0
    .sgpr_count:     6
    .sgpr_spill_count: 0
    .symbol:         _ZN7rocprim17ROCPRIM_400000_NS6detail17trampoline_kernelINS0_14default_configENS1_20scan_config_selectorIdEEZZNS1_9scan_implILNS1_25lookback_scan_determinismE0ELb0ELb0ES3_PKdPddZZZN2at6native31launch_logcumsumexp_cuda_kernelERKNSB_10TensorBaseESF_lENKUlvE_clEvENKUlvE_clEvEUlddE_dEEDaPvRmT3_T4_T5_mT6_P12ihipStream_tbENKUlT_T0_E_clISt17integral_constantIbLb1EESW_EEDaSR_SS_EUlSR_E_NS1_11comp_targetILNS1_3genE10ELNS1_11target_archE1201ELNS1_3gpuE5ELNS1_3repE0EEENS1_30default_config_static_selectorELNS0_4arch9wavefront6targetE1EEEvT1_.kd
    .uniform_work_group_size: 1
    .uses_dynamic_stack: false
    .vgpr_count:     0
    .vgpr_spill_count: 0
    .wavefront_size: 64
  - .agpr_count:     0
    .args:
      - .offset:         0
        .size:           104
        .value_kind:     by_value
    .group_segment_fixed_size: 0
    .kernarg_segment_align: 8
    .kernarg_segment_size: 104
    .language:       OpenCL C
    .language_version:
      - 2
      - 0
    .max_flat_workgroup_size: 256
    .name:           _ZN7rocprim17ROCPRIM_400000_NS6detail17trampoline_kernelINS0_14default_configENS1_20scan_config_selectorIdEEZZNS1_9scan_implILNS1_25lookback_scan_determinismE0ELb0ELb0ES3_PKdPddZZZN2at6native31launch_logcumsumexp_cuda_kernelERKNSB_10TensorBaseESF_lENKUlvE_clEvENKUlvE_clEvEUlddE_dEEDaPvRmT3_T4_T5_mT6_P12ihipStream_tbENKUlT_T0_E_clISt17integral_constantIbLb1EESW_EEDaSR_SS_EUlSR_E_NS1_11comp_targetILNS1_3genE10ELNS1_11target_archE1200ELNS1_3gpuE4ELNS1_3repE0EEENS1_30default_config_static_selectorELNS0_4arch9wavefront6targetE1EEEvT1_
    .private_segment_fixed_size: 0
    .sgpr_count:     6
    .sgpr_spill_count: 0
    .symbol:         _ZN7rocprim17ROCPRIM_400000_NS6detail17trampoline_kernelINS0_14default_configENS1_20scan_config_selectorIdEEZZNS1_9scan_implILNS1_25lookback_scan_determinismE0ELb0ELb0ES3_PKdPddZZZN2at6native31launch_logcumsumexp_cuda_kernelERKNSB_10TensorBaseESF_lENKUlvE_clEvENKUlvE_clEvEUlddE_dEEDaPvRmT3_T4_T5_mT6_P12ihipStream_tbENKUlT_T0_E_clISt17integral_constantIbLb1EESW_EEDaSR_SS_EUlSR_E_NS1_11comp_targetILNS1_3genE10ELNS1_11target_archE1200ELNS1_3gpuE4ELNS1_3repE0EEENS1_30default_config_static_selectorELNS0_4arch9wavefront6targetE1EEEvT1_.kd
    .uniform_work_group_size: 1
    .uses_dynamic_stack: false
    .vgpr_count:     0
    .vgpr_spill_count: 0
    .wavefront_size: 64
  - .agpr_count:     0
    .args:
      - .offset:         0
        .size:           104
        .value_kind:     by_value
    .group_segment_fixed_size: 0
    .kernarg_segment_align: 8
    .kernarg_segment_size: 104
    .language:       OpenCL C
    .language_version:
      - 2
      - 0
    .max_flat_workgroup_size: 256
    .name:           _ZN7rocprim17ROCPRIM_400000_NS6detail17trampoline_kernelINS0_14default_configENS1_20scan_config_selectorIdEEZZNS1_9scan_implILNS1_25lookback_scan_determinismE0ELb0ELb0ES3_PKdPddZZZN2at6native31launch_logcumsumexp_cuda_kernelERKNSB_10TensorBaseESF_lENKUlvE_clEvENKUlvE_clEvEUlddE_dEEDaPvRmT3_T4_T5_mT6_P12ihipStream_tbENKUlT_T0_E_clISt17integral_constantIbLb1EESW_EEDaSR_SS_EUlSR_E_NS1_11comp_targetILNS1_3genE9ELNS1_11target_archE1100ELNS1_3gpuE3ELNS1_3repE0EEENS1_30default_config_static_selectorELNS0_4arch9wavefront6targetE1EEEvT1_
    .private_segment_fixed_size: 0
    .sgpr_count:     6
    .sgpr_spill_count: 0
    .symbol:         _ZN7rocprim17ROCPRIM_400000_NS6detail17trampoline_kernelINS0_14default_configENS1_20scan_config_selectorIdEEZZNS1_9scan_implILNS1_25lookback_scan_determinismE0ELb0ELb0ES3_PKdPddZZZN2at6native31launch_logcumsumexp_cuda_kernelERKNSB_10TensorBaseESF_lENKUlvE_clEvENKUlvE_clEvEUlddE_dEEDaPvRmT3_T4_T5_mT6_P12ihipStream_tbENKUlT_T0_E_clISt17integral_constantIbLb1EESW_EEDaSR_SS_EUlSR_E_NS1_11comp_targetILNS1_3genE9ELNS1_11target_archE1100ELNS1_3gpuE3ELNS1_3repE0EEENS1_30default_config_static_selectorELNS0_4arch9wavefront6targetE1EEEvT1_.kd
    .uniform_work_group_size: 1
    .uses_dynamic_stack: false
    .vgpr_count:     0
    .vgpr_spill_count: 0
    .wavefront_size: 64
  - .agpr_count:     0
    .args:
      - .offset:         0
        .size:           104
        .value_kind:     by_value
    .group_segment_fixed_size: 0
    .kernarg_segment_align: 8
    .kernarg_segment_size: 104
    .language:       OpenCL C
    .language_version:
      - 2
      - 0
    .max_flat_workgroup_size: 128
    .name:           _ZN7rocprim17ROCPRIM_400000_NS6detail17trampoline_kernelINS0_14default_configENS1_20scan_config_selectorIdEEZZNS1_9scan_implILNS1_25lookback_scan_determinismE0ELb0ELb0ES3_PKdPddZZZN2at6native31launch_logcumsumexp_cuda_kernelERKNSB_10TensorBaseESF_lENKUlvE_clEvENKUlvE_clEvEUlddE_dEEDaPvRmT3_T4_T5_mT6_P12ihipStream_tbENKUlT_T0_E_clISt17integral_constantIbLb1EESW_EEDaSR_SS_EUlSR_E_NS1_11comp_targetILNS1_3genE8ELNS1_11target_archE1030ELNS1_3gpuE2ELNS1_3repE0EEENS1_30default_config_static_selectorELNS0_4arch9wavefront6targetE1EEEvT1_
    .private_segment_fixed_size: 0
    .sgpr_count:     6
    .sgpr_spill_count: 0
    .symbol:         _ZN7rocprim17ROCPRIM_400000_NS6detail17trampoline_kernelINS0_14default_configENS1_20scan_config_selectorIdEEZZNS1_9scan_implILNS1_25lookback_scan_determinismE0ELb0ELb0ES3_PKdPddZZZN2at6native31launch_logcumsumexp_cuda_kernelERKNSB_10TensorBaseESF_lENKUlvE_clEvENKUlvE_clEvEUlddE_dEEDaPvRmT3_T4_T5_mT6_P12ihipStream_tbENKUlT_T0_E_clISt17integral_constantIbLb1EESW_EEDaSR_SS_EUlSR_E_NS1_11comp_targetILNS1_3genE8ELNS1_11target_archE1030ELNS1_3gpuE2ELNS1_3repE0EEENS1_30default_config_static_selectorELNS0_4arch9wavefront6targetE1EEEvT1_.kd
    .uniform_work_group_size: 1
    .uses_dynamic_stack: false
    .vgpr_count:     0
    .vgpr_spill_count: 0
    .wavefront_size: 64
  - .agpr_count:     0
    .args:
      - .offset:         0
        .size:           40
        .value_kind:     by_value
    .group_segment_fixed_size: 0
    .kernarg_segment_align: 8
    .kernarg_segment_size: 40
    .language:       OpenCL C
    .language_version:
      - 2
      - 0
    .max_flat_workgroup_size: 256
    .name:           _ZN7rocprim17ROCPRIM_400000_NS6detail17trampoline_kernelINS0_14default_configENS1_20scan_config_selectorIdEEZZNS1_9scan_implILNS1_25lookback_scan_determinismE0ELb0ELb0ES3_PKdPddZZZN2at6native31launch_logcumsumexp_cuda_kernelERKNSB_10TensorBaseESF_lENKUlvE_clEvENKUlvE_clEvEUlddE_dEEDaPvRmT3_T4_T5_mT6_P12ihipStream_tbENKUlT_T0_E_clISt17integral_constantIbLb1EESW_EEDaSR_SS_EUlSR_E0_NS1_11comp_targetILNS1_3genE0ELNS1_11target_archE4294967295ELNS1_3gpuE0ELNS1_3repE0EEENS1_30default_config_static_selectorELNS0_4arch9wavefront6targetE1EEEvT1_
    .private_segment_fixed_size: 0
    .sgpr_count:     6
    .sgpr_spill_count: 0
    .symbol:         _ZN7rocprim17ROCPRIM_400000_NS6detail17trampoline_kernelINS0_14default_configENS1_20scan_config_selectorIdEEZZNS1_9scan_implILNS1_25lookback_scan_determinismE0ELb0ELb0ES3_PKdPddZZZN2at6native31launch_logcumsumexp_cuda_kernelERKNSB_10TensorBaseESF_lENKUlvE_clEvENKUlvE_clEvEUlddE_dEEDaPvRmT3_T4_T5_mT6_P12ihipStream_tbENKUlT_T0_E_clISt17integral_constantIbLb1EESW_EEDaSR_SS_EUlSR_E0_NS1_11comp_targetILNS1_3genE0ELNS1_11target_archE4294967295ELNS1_3gpuE0ELNS1_3repE0EEENS1_30default_config_static_selectorELNS0_4arch9wavefront6targetE1EEEvT1_.kd
    .uniform_work_group_size: 1
    .uses_dynamic_stack: false
    .vgpr_count:     0
    .vgpr_spill_count: 0
    .wavefront_size: 64
  - .agpr_count:     0
    .args:
      - .offset:         0
        .size:           40
        .value_kind:     by_value
    .group_segment_fixed_size: 30720
    .kernarg_segment_align: 8
    .kernarg_segment_size: 40
    .language:       OpenCL C
    .language_version:
      - 2
      - 0
    .max_flat_workgroup_size: 256
    .name:           _ZN7rocprim17ROCPRIM_400000_NS6detail17trampoline_kernelINS0_14default_configENS1_20scan_config_selectorIdEEZZNS1_9scan_implILNS1_25lookback_scan_determinismE0ELb0ELb0ES3_PKdPddZZZN2at6native31launch_logcumsumexp_cuda_kernelERKNSB_10TensorBaseESF_lENKUlvE_clEvENKUlvE_clEvEUlddE_dEEDaPvRmT3_T4_T5_mT6_P12ihipStream_tbENKUlT_T0_E_clISt17integral_constantIbLb1EESW_EEDaSR_SS_EUlSR_E0_NS1_11comp_targetILNS1_3genE5ELNS1_11target_archE942ELNS1_3gpuE9ELNS1_3repE0EEENS1_30default_config_static_selectorELNS0_4arch9wavefront6targetE1EEEvT1_
    .private_segment_fixed_size: 0
    .sgpr_count:     84
    .sgpr_spill_count: 0
    .symbol:         _ZN7rocprim17ROCPRIM_400000_NS6detail17trampoline_kernelINS0_14default_configENS1_20scan_config_selectorIdEEZZNS1_9scan_implILNS1_25lookback_scan_determinismE0ELb0ELb0ES3_PKdPddZZZN2at6native31launch_logcumsumexp_cuda_kernelERKNSB_10TensorBaseESF_lENKUlvE_clEvENKUlvE_clEvEUlddE_dEEDaPvRmT3_T4_T5_mT6_P12ihipStream_tbENKUlT_T0_E_clISt17integral_constantIbLb1EESW_EEDaSR_SS_EUlSR_E0_NS1_11comp_targetILNS1_3genE5ELNS1_11target_archE942ELNS1_3gpuE9ELNS1_3repE0EEENS1_30default_config_static_selectorELNS0_4arch9wavefront6targetE1EEEvT1_.kd
    .uniform_work_group_size: 1
    .uses_dynamic_stack: false
    .vgpr_count:     100
    .vgpr_spill_count: 0
    .wavefront_size: 64
  - .agpr_count:     0
    .args:
      - .offset:         0
        .size:           40
        .value_kind:     by_value
    .group_segment_fixed_size: 0
    .kernarg_segment_align: 8
    .kernarg_segment_size: 40
    .language:       OpenCL C
    .language_version:
      - 2
      - 0
    .max_flat_workgroup_size: 128
    .name:           _ZN7rocprim17ROCPRIM_400000_NS6detail17trampoline_kernelINS0_14default_configENS1_20scan_config_selectorIdEEZZNS1_9scan_implILNS1_25lookback_scan_determinismE0ELb0ELb0ES3_PKdPddZZZN2at6native31launch_logcumsumexp_cuda_kernelERKNSB_10TensorBaseESF_lENKUlvE_clEvENKUlvE_clEvEUlddE_dEEDaPvRmT3_T4_T5_mT6_P12ihipStream_tbENKUlT_T0_E_clISt17integral_constantIbLb1EESW_EEDaSR_SS_EUlSR_E0_NS1_11comp_targetILNS1_3genE4ELNS1_11target_archE910ELNS1_3gpuE8ELNS1_3repE0EEENS1_30default_config_static_selectorELNS0_4arch9wavefront6targetE1EEEvT1_
    .private_segment_fixed_size: 0
    .sgpr_count:     6
    .sgpr_spill_count: 0
    .symbol:         _ZN7rocprim17ROCPRIM_400000_NS6detail17trampoline_kernelINS0_14default_configENS1_20scan_config_selectorIdEEZZNS1_9scan_implILNS1_25lookback_scan_determinismE0ELb0ELb0ES3_PKdPddZZZN2at6native31launch_logcumsumexp_cuda_kernelERKNSB_10TensorBaseESF_lENKUlvE_clEvENKUlvE_clEvEUlddE_dEEDaPvRmT3_T4_T5_mT6_P12ihipStream_tbENKUlT_T0_E_clISt17integral_constantIbLb1EESW_EEDaSR_SS_EUlSR_E0_NS1_11comp_targetILNS1_3genE4ELNS1_11target_archE910ELNS1_3gpuE8ELNS1_3repE0EEENS1_30default_config_static_selectorELNS0_4arch9wavefront6targetE1EEEvT1_.kd
    .uniform_work_group_size: 1
    .uses_dynamic_stack: false
    .vgpr_count:     0
    .vgpr_spill_count: 0
    .wavefront_size: 64
  - .agpr_count:     0
    .args:
      - .offset:         0
        .size:           40
        .value_kind:     by_value
    .group_segment_fixed_size: 0
    .kernarg_segment_align: 8
    .kernarg_segment_size: 40
    .language:       OpenCL C
    .language_version:
      - 2
      - 0
    .max_flat_workgroup_size: 256
    .name:           _ZN7rocprim17ROCPRIM_400000_NS6detail17trampoline_kernelINS0_14default_configENS1_20scan_config_selectorIdEEZZNS1_9scan_implILNS1_25lookback_scan_determinismE0ELb0ELb0ES3_PKdPddZZZN2at6native31launch_logcumsumexp_cuda_kernelERKNSB_10TensorBaseESF_lENKUlvE_clEvENKUlvE_clEvEUlddE_dEEDaPvRmT3_T4_T5_mT6_P12ihipStream_tbENKUlT_T0_E_clISt17integral_constantIbLb1EESW_EEDaSR_SS_EUlSR_E0_NS1_11comp_targetILNS1_3genE3ELNS1_11target_archE908ELNS1_3gpuE7ELNS1_3repE0EEENS1_30default_config_static_selectorELNS0_4arch9wavefront6targetE1EEEvT1_
    .private_segment_fixed_size: 0
    .sgpr_count:     6
    .sgpr_spill_count: 0
    .symbol:         _ZN7rocprim17ROCPRIM_400000_NS6detail17trampoline_kernelINS0_14default_configENS1_20scan_config_selectorIdEEZZNS1_9scan_implILNS1_25lookback_scan_determinismE0ELb0ELb0ES3_PKdPddZZZN2at6native31launch_logcumsumexp_cuda_kernelERKNSB_10TensorBaseESF_lENKUlvE_clEvENKUlvE_clEvEUlddE_dEEDaPvRmT3_T4_T5_mT6_P12ihipStream_tbENKUlT_T0_E_clISt17integral_constantIbLb1EESW_EEDaSR_SS_EUlSR_E0_NS1_11comp_targetILNS1_3genE3ELNS1_11target_archE908ELNS1_3gpuE7ELNS1_3repE0EEENS1_30default_config_static_selectorELNS0_4arch9wavefront6targetE1EEEvT1_.kd
    .uniform_work_group_size: 1
    .uses_dynamic_stack: false
    .vgpr_count:     0
    .vgpr_spill_count: 0
    .wavefront_size: 64
  - .agpr_count:     0
    .args:
      - .offset:         0
        .size:           40
        .value_kind:     by_value
    .group_segment_fixed_size: 0
    .kernarg_segment_align: 8
    .kernarg_segment_size: 40
    .language:       OpenCL C
    .language_version:
      - 2
      - 0
    .max_flat_workgroup_size: 128
    .name:           _ZN7rocprim17ROCPRIM_400000_NS6detail17trampoline_kernelINS0_14default_configENS1_20scan_config_selectorIdEEZZNS1_9scan_implILNS1_25lookback_scan_determinismE0ELb0ELb0ES3_PKdPddZZZN2at6native31launch_logcumsumexp_cuda_kernelERKNSB_10TensorBaseESF_lENKUlvE_clEvENKUlvE_clEvEUlddE_dEEDaPvRmT3_T4_T5_mT6_P12ihipStream_tbENKUlT_T0_E_clISt17integral_constantIbLb1EESW_EEDaSR_SS_EUlSR_E0_NS1_11comp_targetILNS1_3genE2ELNS1_11target_archE906ELNS1_3gpuE6ELNS1_3repE0EEENS1_30default_config_static_selectorELNS0_4arch9wavefront6targetE1EEEvT1_
    .private_segment_fixed_size: 0
    .sgpr_count:     6
    .sgpr_spill_count: 0
    .symbol:         _ZN7rocprim17ROCPRIM_400000_NS6detail17trampoline_kernelINS0_14default_configENS1_20scan_config_selectorIdEEZZNS1_9scan_implILNS1_25lookback_scan_determinismE0ELb0ELb0ES3_PKdPddZZZN2at6native31launch_logcumsumexp_cuda_kernelERKNSB_10TensorBaseESF_lENKUlvE_clEvENKUlvE_clEvEUlddE_dEEDaPvRmT3_T4_T5_mT6_P12ihipStream_tbENKUlT_T0_E_clISt17integral_constantIbLb1EESW_EEDaSR_SS_EUlSR_E0_NS1_11comp_targetILNS1_3genE2ELNS1_11target_archE906ELNS1_3gpuE6ELNS1_3repE0EEENS1_30default_config_static_selectorELNS0_4arch9wavefront6targetE1EEEvT1_.kd
    .uniform_work_group_size: 1
    .uses_dynamic_stack: false
    .vgpr_count:     0
    .vgpr_spill_count: 0
    .wavefront_size: 64
  - .agpr_count:     0
    .args:
      - .offset:         0
        .size:           40
        .value_kind:     by_value
    .group_segment_fixed_size: 0
    .kernarg_segment_align: 8
    .kernarg_segment_size: 40
    .language:       OpenCL C
    .language_version:
      - 2
      - 0
    .max_flat_workgroup_size: 256
    .name:           _ZN7rocprim17ROCPRIM_400000_NS6detail17trampoline_kernelINS0_14default_configENS1_20scan_config_selectorIdEEZZNS1_9scan_implILNS1_25lookback_scan_determinismE0ELb0ELb0ES3_PKdPddZZZN2at6native31launch_logcumsumexp_cuda_kernelERKNSB_10TensorBaseESF_lENKUlvE_clEvENKUlvE_clEvEUlddE_dEEDaPvRmT3_T4_T5_mT6_P12ihipStream_tbENKUlT_T0_E_clISt17integral_constantIbLb1EESW_EEDaSR_SS_EUlSR_E0_NS1_11comp_targetILNS1_3genE10ELNS1_11target_archE1201ELNS1_3gpuE5ELNS1_3repE0EEENS1_30default_config_static_selectorELNS0_4arch9wavefront6targetE1EEEvT1_
    .private_segment_fixed_size: 0
    .sgpr_count:     6
    .sgpr_spill_count: 0
    .symbol:         _ZN7rocprim17ROCPRIM_400000_NS6detail17trampoline_kernelINS0_14default_configENS1_20scan_config_selectorIdEEZZNS1_9scan_implILNS1_25lookback_scan_determinismE0ELb0ELb0ES3_PKdPddZZZN2at6native31launch_logcumsumexp_cuda_kernelERKNSB_10TensorBaseESF_lENKUlvE_clEvENKUlvE_clEvEUlddE_dEEDaPvRmT3_T4_T5_mT6_P12ihipStream_tbENKUlT_T0_E_clISt17integral_constantIbLb1EESW_EEDaSR_SS_EUlSR_E0_NS1_11comp_targetILNS1_3genE10ELNS1_11target_archE1201ELNS1_3gpuE5ELNS1_3repE0EEENS1_30default_config_static_selectorELNS0_4arch9wavefront6targetE1EEEvT1_.kd
    .uniform_work_group_size: 1
    .uses_dynamic_stack: false
    .vgpr_count:     0
    .vgpr_spill_count: 0
    .wavefront_size: 64
  - .agpr_count:     0
    .args:
      - .offset:         0
        .size:           40
        .value_kind:     by_value
    .group_segment_fixed_size: 0
    .kernarg_segment_align: 8
    .kernarg_segment_size: 40
    .language:       OpenCL C
    .language_version:
      - 2
      - 0
    .max_flat_workgroup_size: 256
    .name:           _ZN7rocprim17ROCPRIM_400000_NS6detail17trampoline_kernelINS0_14default_configENS1_20scan_config_selectorIdEEZZNS1_9scan_implILNS1_25lookback_scan_determinismE0ELb0ELb0ES3_PKdPddZZZN2at6native31launch_logcumsumexp_cuda_kernelERKNSB_10TensorBaseESF_lENKUlvE_clEvENKUlvE_clEvEUlddE_dEEDaPvRmT3_T4_T5_mT6_P12ihipStream_tbENKUlT_T0_E_clISt17integral_constantIbLb1EESW_EEDaSR_SS_EUlSR_E0_NS1_11comp_targetILNS1_3genE10ELNS1_11target_archE1200ELNS1_3gpuE4ELNS1_3repE0EEENS1_30default_config_static_selectorELNS0_4arch9wavefront6targetE1EEEvT1_
    .private_segment_fixed_size: 0
    .sgpr_count:     6
    .sgpr_spill_count: 0
    .symbol:         _ZN7rocprim17ROCPRIM_400000_NS6detail17trampoline_kernelINS0_14default_configENS1_20scan_config_selectorIdEEZZNS1_9scan_implILNS1_25lookback_scan_determinismE0ELb0ELb0ES3_PKdPddZZZN2at6native31launch_logcumsumexp_cuda_kernelERKNSB_10TensorBaseESF_lENKUlvE_clEvENKUlvE_clEvEUlddE_dEEDaPvRmT3_T4_T5_mT6_P12ihipStream_tbENKUlT_T0_E_clISt17integral_constantIbLb1EESW_EEDaSR_SS_EUlSR_E0_NS1_11comp_targetILNS1_3genE10ELNS1_11target_archE1200ELNS1_3gpuE4ELNS1_3repE0EEENS1_30default_config_static_selectorELNS0_4arch9wavefront6targetE1EEEvT1_.kd
    .uniform_work_group_size: 1
    .uses_dynamic_stack: false
    .vgpr_count:     0
    .vgpr_spill_count: 0
    .wavefront_size: 64
  - .agpr_count:     0
    .args:
      - .offset:         0
        .size:           40
        .value_kind:     by_value
    .group_segment_fixed_size: 0
    .kernarg_segment_align: 8
    .kernarg_segment_size: 40
    .language:       OpenCL C
    .language_version:
      - 2
      - 0
    .max_flat_workgroup_size: 256
    .name:           _ZN7rocprim17ROCPRIM_400000_NS6detail17trampoline_kernelINS0_14default_configENS1_20scan_config_selectorIdEEZZNS1_9scan_implILNS1_25lookback_scan_determinismE0ELb0ELb0ES3_PKdPddZZZN2at6native31launch_logcumsumexp_cuda_kernelERKNSB_10TensorBaseESF_lENKUlvE_clEvENKUlvE_clEvEUlddE_dEEDaPvRmT3_T4_T5_mT6_P12ihipStream_tbENKUlT_T0_E_clISt17integral_constantIbLb1EESW_EEDaSR_SS_EUlSR_E0_NS1_11comp_targetILNS1_3genE9ELNS1_11target_archE1100ELNS1_3gpuE3ELNS1_3repE0EEENS1_30default_config_static_selectorELNS0_4arch9wavefront6targetE1EEEvT1_
    .private_segment_fixed_size: 0
    .sgpr_count:     6
    .sgpr_spill_count: 0
    .symbol:         _ZN7rocprim17ROCPRIM_400000_NS6detail17trampoline_kernelINS0_14default_configENS1_20scan_config_selectorIdEEZZNS1_9scan_implILNS1_25lookback_scan_determinismE0ELb0ELb0ES3_PKdPddZZZN2at6native31launch_logcumsumexp_cuda_kernelERKNSB_10TensorBaseESF_lENKUlvE_clEvENKUlvE_clEvEUlddE_dEEDaPvRmT3_T4_T5_mT6_P12ihipStream_tbENKUlT_T0_E_clISt17integral_constantIbLb1EESW_EEDaSR_SS_EUlSR_E0_NS1_11comp_targetILNS1_3genE9ELNS1_11target_archE1100ELNS1_3gpuE3ELNS1_3repE0EEENS1_30default_config_static_selectorELNS0_4arch9wavefront6targetE1EEEvT1_.kd
    .uniform_work_group_size: 1
    .uses_dynamic_stack: false
    .vgpr_count:     0
    .vgpr_spill_count: 0
    .wavefront_size: 64
  - .agpr_count:     0
    .args:
      - .offset:         0
        .size:           40
        .value_kind:     by_value
    .group_segment_fixed_size: 0
    .kernarg_segment_align: 8
    .kernarg_segment_size: 40
    .language:       OpenCL C
    .language_version:
      - 2
      - 0
    .max_flat_workgroup_size: 128
    .name:           _ZN7rocprim17ROCPRIM_400000_NS6detail17trampoline_kernelINS0_14default_configENS1_20scan_config_selectorIdEEZZNS1_9scan_implILNS1_25lookback_scan_determinismE0ELb0ELb0ES3_PKdPddZZZN2at6native31launch_logcumsumexp_cuda_kernelERKNSB_10TensorBaseESF_lENKUlvE_clEvENKUlvE_clEvEUlddE_dEEDaPvRmT3_T4_T5_mT6_P12ihipStream_tbENKUlT_T0_E_clISt17integral_constantIbLb1EESW_EEDaSR_SS_EUlSR_E0_NS1_11comp_targetILNS1_3genE8ELNS1_11target_archE1030ELNS1_3gpuE2ELNS1_3repE0EEENS1_30default_config_static_selectorELNS0_4arch9wavefront6targetE1EEEvT1_
    .private_segment_fixed_size: 0
    .sgpr_count:     6
    .sgpr_spill_count: 0
    .symbol:         _ZN7rocprim17ROCPRIM_400000_NS6detail17trampoline_kernelINS0_14default_configENS1_20scan_config_selectorIdEEZZNS1_9scan_implILNS1_25lookback_scan_determinismE0ELb0ELb0ES3_PKdPddZZZN2at6native31launch_logcumsumexp_cuda_kernelERKNSB_10TensorBaseESF_lENKUlvE_clEvENKUlvE_clEvEUlddE_dEEDaPvRmT3_T4_T5_mT6_P12ihipStream_tbENKUlT_T0_E_clISt17integral_constantIbLb1EESW_EEDaSR_SS_EUlSR_E0_NS1_11comp_targetILNS1_3genE8ELNS1_11target_archE1030ELNS1_3gpuE2ELNS1_3repE0EEENS1_30default_config_static_selectorELNS0_4arch9wavefront6targetE1EEEvT1_.kd
    .uniform_work_group_size: 1
    .uses_dynamic_stack: false
    .vgpr_count:     0
    .vgpr_spill_count: 0
    .wavefront_size: 64
  - .agpr_count:     0
    .args:
      - .address_space:  global
        .offset:         0
        .size:           8
        .value_kind:     global_buffer
      - .offset:         8
        .size:           4
        .value_kind:     by_value
      - .offset:         12
        .size:           1
        .value_kind:     by_value
      - .offset:         16
        .size:           4
        .value_kind:     by_value
      - .address_space:  global
        .offset:         24
        .size:           8
        .value_kind:     global_buffer
      - .offset:         32
        .size:           4
        .value_kind:     hidden_block_count_x
      - .offset:         36
        .size:           4
        .value_kind:     hidden_block_count_y
      - .offset:         40
        .size:           4
        .value_kind:     hidden_block_count_z
      - .offset:         44
        .size:           2
        .value_kind:     hidden_group_size_x
      - .offset:         46
        .size:           2
        .value_kind:     hidden_group_size_y
      - .offset:         48
        .size:           2
        .value_kind:     hidden_group_size_z
      - .offset:         50
        .size:           2
        .value_kind:     hidden_remainder_x
      - .offset:         52
        .size:           2
        .value_kind:     hidden_remainder_y
      - .offset:         54
        .size:           2
        .value_kind:     hidden_remainder_z
      - .offset:         72
        .size:           8
        .value_kind:     hidden_global_offset_x
      - .offset:         80
        .size:           8
        .value_kind:     hidden_global_offset_y
      - .offset:         88
        .size:           8
        .value_kind:     hidden_global_offset_z
      - .offset:         96
        .size:           2
        .value_kind:     hidden_grid_dims
    .group_segment_fixed_size: 0
    .kernarg_segment_align: 8
    .kernarg_segment_size: 288
    .language:       OpenCL C
    .language_version:
      - 2
      - 0
    .max_flat_workgroup_size: 256
    .name:           _ZN7rocprim17ROCPRIM_400000_NS6detail31init_lookback_scan_state_kernelINS1_19lookback_scan_stateIdLb1ELb1EEENS1_16block_id_wrapperIjLb0EEEEEvT_jT0_jPNS7_10value_typeE
    .private_segment_fixed_size: 0
    .sgpr_count:     20
    .sgpr_spill_count: 0
    .symbol:         _ZN7rocprim17ROCPRIM_400000_NS6detail31init_lookback_scan_state_kernelINS1_19lookback_scan_stateIdLb1ELb1EEENS1_16block_id_wrapperIjLb0EEEEEvT_jT0_jPNS7_10value_typeE.kd
    .uniform_work_group_size: 1
    .uses_dynamic_stack: false
    .vgpr_count:     10
    .vgpr_spill_count: 0
    .wavefront_size: 64
  - .agpr_count:     0
    .args:
      - .offset:         0
        .size:           104
        .value_kind:     by_value
    .group_segment_fixed_size: 0
    .kernarg_segment_align: 8
    .kernarg_segment_size: 104
    .language:       OpenCL C
    .language_version:
      - 2
      - 0
    .max_flat_workgroup_size: 256
    .name:           _ZN7rocprim17ROCPRIM_400000_NS6detail17trampoline_kernelINS0_14default_configENS1_20scan_config_selectorIdEEZZNS1_9scan_implILNS1_25lookback_scan_determinismE0ELb0ELb0ES3_PKdPddZZZN2at6native31launch_logcumsumexp_cuda_kernelERKNSB_10TensorBaseESF_lENKUlvE_clEvENKUlvE_clEvEUlddE_dEEDaPvRmT3_T4_T5_mT6_P12ihipStream_tbENKUlT_T0_E_clISt17integral_constantIbLb1EESV_IbLb0EEEEDaSR_SS_EUlSR_E_NS1_11comp_targetILNS1_3genE0ELNS1_11target_archE4294967295ELNS1_3gpuE0ELNS1_3repE0EEENS1_30default_config_static_selectorELNS0_4arch9wavefront6targetE1EEEvT1_
    .private_segment_fixed_size: 0
    .sgpr_count:     6
    .sgpr_spill_count: 0
    .symbol:         _ZN7rocprim17ROCPRIM_400000_NS6detail17trampoline_kernelINS0_14default_configENS1_20scan_config_selectorIdEEZZNS1_9scan_implILNS1_25lookback_scan_determinismE0ELb0ELb0ES3_PKdPddZZZN2at6native31launch_logcumsumexp_cuda_kernelERKNSB_10TensorBaseESF_lENKUlvE_clEvENKUlvE_clEvEUlddE_dEEDaPvRmT3_T4_T5_mT6_P12ihipStream_tbENKUlT_T0_E_clISt17integral_constantIbLb1EESV_IbLb0EEEEDaSR_SS_EUlSR_E_NS1_11comp_targetILNS1_3genE0ELNS1_11target_archE4294967295ELNS1_3gpuE0ELNS1_3repE0EEENS1_30default_config_static_selectorELNS0_4arch9wavefront6targetE1EEEvT1_.kd
    .uniform_work_group_size: 1
    .uses_dynamic_stack: false
    .vgpr_count:     0
    .vgpr_spill_count: 0
    .wavefront_size: 64
  - .agpr_count:     0
    .args:
      - .offset:         0
        .size:           104
        .value_kind:     by_value
      - .offset:         104
        .size:           4
        .value_kind:     hidden_block_count_x
      - .offset:         108
        .size:           4
        .value_kind:     hidden_block_count_y
      - .offset:         112
        .size:           4
        .value_kind:     hidden_block_count_z
      - .offset:         116
        .size:           2
        .value_kind:     hidden_group_size_x
      - .offset:         118
        .size:           2
        .value_kind:     hidden_group_size_y
      - .offset:         120
        .size:           2
        .value_kind:     hidden_group_size_z
      - .offset:         122
        .size:           2
        .value_kind:     hidden_remainder_x
      - .offset:         124
        .size:           2
        .value_kind:     hidden_remainder_y
      - .offset:         126
        .size:           2
        .value_kind:     hidden_remainder_z
      - .offset:         144
        .size:           8
        .value_kind:     hidden_global_offset_x
      - .offset:         152
        .size:           8
        .value_kind:     hidden_global_offset_y
      - .offset:         160
        .size:           8
        .value_kind:     hidden_global_offset_z
      - .offset:         168
        .size:           2
        .value_kind:     hidden_grid_dims
    .group_segment_fixed_size: 30720
    .kernarg_segment_align: 8
    .kernarg_segment_size: 360
    .language:       OpenCL C
    .language_version:
      - 2
      - 0
    .max_flat_workgroup_size: 256
    .name:           _ZN7rocprim17ROCPRIM_400000_NS6detail17trampoline_kernelINS0_14default_configENS1_20scan_config_selectorIdEEZZNS1_9scan_implILNS1_25lookback_scan_determinismE0ELb0ELb0ES3_PKdPddZZZN2at6native31launch_logcumsumexp_cuda_kernelERKNSB_10TensorBaseESF_lENKUlvE_clEvENKUlvE_clEvEUlddE_dEEDaPvRmT3_T4_T5_mT6_P12ihipStream_tbENKUlT_T0_E_clISt17integral_constantIbLb1EESV_IbLb0EEEEDaSR_SS_EUlSR_E_NS1_11comp_targetILNS1_3genE5ELNS1_11target_archE942ELNS1_3gpuE9ELNS1_3repE0EEENS1_30default_config_static_selectorELNS0_4arch9wavefront6targetE1EEEvT1_
    .private_segment_fixed_size: 120
    .sgpr_count:     88
    .sgpr_spill_count: 0
    .symbol:         _ZN7rocprim17ROCPRIM_400000_NS6detail17trampoline_kernelINS0_14default_configENS1_20scan_config_selectorIdEEZZNS1_9scan_implILNS1_25lookback_scan_determinismE0ELb0ELb0ES3_PKdPddZZZN2at6native31launch_logcumsumexp_cuda_kernelERKNSB_10TensorBaseESF_lENKUlvE_clEvENKUlvE_clEvEUlddE_dEEDaPvRmT3_T4_T5_mT6_P12ihipStream_tbENKUlT_T0_E_clISt17integral_constantIbLb1EESV_IbLb0EEEEDaSR_SS_EUlSR_E_NS1_11comp_targetILNS1_3genE5ELNS1_11target_archE942ELNS1_3gpuE9ELNS1_3repE0EEENS1_30default_config_static_selectorELNS0_4arch9wavefront6targetE1EEEvT1_.kd
    .uniform_work_group_size: 1
    .uses_dynamic_stack: false
    .vgpr_count:     248
    .vgpr_spill_count: 0
    .wavefront_size: 64
  - .agpr_count:     0
    .args:
      - .offset:         0
        .size:           104
        .value_kind:     by_value
    .group_segment_fixed_size: 0
    .kernarg_segment_align: 8
    .kernarg_segment_size: 104
    .language:       OpenCL C
    .language_version:
      - 2
      - 0
    .max_flat_workgroup_size: 128
    .name:           _ZN7rocprim17ROCPRIM_400000_NS6detail17trampoline_kernelINS0_14default_configENS1_20scan_config_selectorIdEEZZNS1_9scan_implILNS1_25lookback_scan_determinismE0ELb0ELb0ES3_PKdPddZZZN2at6native31launch_logcumsumexp_cuda_kernelERKNSB_10TensorBaseESF_lENKUlvE_clEvENKUlvE_clEvEUlddE_dEEDaPvRmT3_T4_T5_mT6_P12ihipStream_tbENKUlT_T0_E_clISt17integral_constantIbLb1EESV_IbLb0EEEEDaSR_SS_EUlSR_E_NS1_11comp_targetILNS1_3genE4ELNS1_11target_archE910ELNS1_3gpuE8ELNS1_3repE0EEENS1_30default_config_static_selectorELNS0_4arch9wavefront6targetE1EEEvT1_
    .private_segment_fixed_size: 0
    .sgpr_count:     6
    .sgpr_spill_count: 0
    .symbol:         _ZN7rocprim17ROCPRIM_400000_NS6detail17trampoline_kernelINS0_14default_configENS1_20scan_config_selectorIdEEZZNS1_9scan_implILNS1_25lookback_scan_determinismE0ELb0ELb0ES3_PKdPddZZZN2at6native31launch_logcumsumexp_cuda_kernelERKNSB_10TensorBaseESF_lENKUlvE_clEvENKUlvE_clEvEUlddE_dEEDaPvRmT3_T4_T5_mT6_P12ihipStream_tbENKUlT_T0_E_clISt17integral_constantIbLb1EESV_IbLb0EEEEDaSR_SS_EUlSR_E_NS1_11comp_targetILNS1_3genE4ELNS1_11target_archE910ELNS1_3gpuE8ELNS1_3repE0EEENS1_30default_config_static_selectorELNS0_4arch9wavefront6targetE1EEEvT1_.kd
    .uniform_work_group_size: 1
    .uses_dynamic_stack: false
    .vgpr_count:     0
    .vgpr_spill_count: 0
    .wavefront_size: 64
  - .agpr_count:     0
    .args:
      - .offset:         0
        .size:           104
        .value_kind:     by_value
    .group_segment_fixed_size: 0
    .kernarg_segment_align: 8
    .kernarg_segment_size: 104
    .language:       OpenCL C
    .language_version:
      - 2
      - 0
    .max_flat_workgroup_size: 256
    .name:           _ZN7rocprim17ROCPRIM_400000_NS6detail17trampoline_kernelINS0_14default_configENS1_20scan_config_selectorIdEEZZNS1_9scan_implILNS1_25lookback_scan_determinismE0ELb0ELb0ES3_PKdPddZZZN2at6native31launch_logcumsumexp_cuda_kernelERKNSB_10TensorBaseESF_lENKUlvE_clEvENKUlvE_clEvEUlddE_dEEDaPvRmT3_T4_T5_mT6_P12ihipStream_tbENKUlT_T0_E_clISt17integral_constantIbLb1EESV_IbLb0EEEEDaSR_SS_EUlSR_E_NS1_11comp_targetILNS1_3genE3ELNS1_11target_archE908ELNS1_3gpuE7ELNS1_3repE0EEENS1_30default_config_static_selectorELNS0_4arch9wavefront6targetE1EEEvT1_
    .private_segment_fixed_size: 0
    .sgpr_count:     6
    .sgpr_spill_count: 0
    .symbol:         _ZN7rocprim17ROCPRIM_400000_NS6detail17trampoline_kernelINS0_14default_configENS1_20scan_config_selectorIdEEZZNS1_9scan_implILNS1_25lookback_scan_determinismE0ELb0ELb0ES3_PKdPddZZZN2at6native31launch_logcumsumexp_cuda_kernelERKNSB_10TensorBaseESF_lENKUlvE_clEvENKUlvE_clEvEUlddE_dEEDaPvRmT3_T4_T5_mT6_P12ihipStream_tbENKUlT_T0_E_clISt17integral_constantIbLb1EESV_IbLb0EEEEDaSR_SS_EUlSR_E_NS1_11comp_targetILNS1_3genE3ELNS1_11target_archE908ELNS1_3gpuE7ELNS1_3repE0EEENS1_30default_config_static_selectorELNS0_4arch9wavefront6targetE1EEEvT1_.kd
    .uniform_work_group_size: 1
    .uses_dynamic_stack: false
    .vgpr_count:     0
    .vgpr_spill_count: 0
    .wavefront_size: 64
  - .agpr_count:     0
    .args:
      - .offset:         0
        .size:           104
        .value_kind:     by_value
    .group_segment_fixed_size: 0
    .kernarg_segment_align: 8
    .kernarg_segment_size: 104
    .language:       OpenCL C
    .language_version:
      - 2
      - 0
    .max_flat_workgroup_size: 128
    .name:           _ZN7rocprim17ROCPRIM_400000_NS6detail17trampoline_kernelINS0_14default_configENS1_20scan_config_selectorIdEEZZNS1_9scan_implILNS1_25lookback_scan_determinismE0ELb0ELb0ES3_PKdPddZZZN2at6native31launch_logcumsumexp_cuda_kernelERKNSB_10TensorBaseESF_lENKUlvE_clEvENKUlvE_clEvEUlddE_dEEDaPvRmT3_T4_T5_mT6_P12ihipStream_tbENKUlT_T0_E_clISt17integral_constantIbLb1EESV_IbLb0EEEEDaSR_SS_EUlSR_E_NS1_11comp_targetILNS1_3genE2ELNS1_11target_archE906ELNS1_3gpuE6ELNS1_3repE0EEENS1_30default_config_static_selectorELNS0_4arch9wavefront6targetE1EEEvT1_
    .private_segment_fixed_size: 0
    .sgpr_count:     6
    .sgpr_spill_count: 0
    .symbol:         _ZN7rocprim17ROCPRIM_400000_NS6detail17trampoline_kernelINS0_14default_configENS1_20scan_config_selectorIdEEZZNS1_9scan_implILNS1_25lookback_scan_determinismE0ELb0ELb0ES3_PKdPddZZZN2at6native31launch_logcumsumexp_cuda_kernelERKNSB_10TensorBaseESF_lENKUlvE_clEvENKUlvE_clEvEUlddE_dEEDaPvRmT3_T4_T5_mT6_P12ihipStream_tbENKUlT_T0_E_clISt17integral_constantIbLb1EESV_IbLb0EEEEDaSR_SS_EUlSR_E_NS1_11comp_targetILNS1_3genE2ELNS1_11target_archE906ELNS1_3gpuE6ELNS1_3repE0EEENS1_30default_config_static_selectorELNS0_4arch9wavefront6targetE1EEEvT1_.kd
    .uniform_work_group_size: 1
    .uses_dynamic_stack: false
    .vgpr_count:     0
    .vgpr_spill_count: 0
    .wavefront_size: 64
  - .agpr_count:     0
    .args:
      - .offset:         0
        .size:           104
        .value_kind:     by_value
    .group_segment_fixed_size: 0
    .kernarg_segment_align: 8
    .kernarg_segment_size: 104
    .language:       OpenCL C
    .language_version:
      - 2
      - 0
    .max_flat_workgroup_size: 256
    .name:           _ZN7rocprim17ROCPRIM_400000_NS6detail17trampoline_kernelINS0_14default_configENS1_20scan_config_selectorIdEEZZNS1_9scan_implILNS1_25lookback_scan_determinismE0ELb0ELb0ES3_PKdPddZZZN2at6native31launch_logcumsumexp_cuda_kernelERKNSB_10TensorBaseESF_lENKUlvE_clEvENKUlvE_clEvEUlddE_dEEDaPvRmT3_T4_T5_mT6_P12ihipStream_tbENKUlT_T0_E_clISt17integral_constantIbLb1EESV_IbLb0EEEEDaSR_SS_EUlSR_E_NS1_11comp_targetILNS1_3genE10ELNS1_11target_archE1201ELNS1_3gpuE5ELNS1_3repE0EEENS1_30default_config_static_selectorELNS0_4arch9wavefront6targetE1EEEvT1_
    .private_segment_fixed_size: 0
    .sgpr_count:     6
    .sgpr_spill_count: 0
    .symbol:         _ZN7rocprim17ROCPRIM_400000_NS6detail17trampoline_kernelINS0_14default_configENS1_20scan_config_selectorIdEEZZNS1_9scan_implILNS1_25lookback_scan_determinismE0ELb0ELb0ES3_PKdPddZZZN2at6native31launch_logcumsumexp_cuda_kernelERKNSB_10TensorBaseESF_lENKUlvE_clEvENKUlvE_clEvEUlddE_dEEDaPvRmT3_T4_T5_mT6_P12ihipStream_tbENKUlT_T0_E_clISt17integral_constantIbLb1EESV_IbLb0EEEEDaSR_SS_EUlSR_E_NS1_11comp_targetILNS1_3genE10ELNS1_11target_archE1201ELNS1_3gpuE5ELNS1_3repE0EEENS1_30default_config_static_selectorELNS0_4arch9wavefront6targetE1EEEvT1_.kd
    .uniform_work_group_size: 1
    .uses_dynamic_stack: false
    .vgpr_count:     0
    .vgpr_spill_count: 0
    .wavefront_size: 64
  - .agpr_count:     0
    .args:
      - .offset:         0
        .size:           104
        .value_kind:     by_value
    .group_segment_fixed_size: 0
    .kernarg_segment_align: 8
    .kernarg_segment_size: 104
    .language:       OpenCL C
    .language_version:
      - 2
      - 0
    .max_flat_workgroup_size: 256
    .name:           _ZN7rocprim17ROCPRIM_400000_NS6detail17trampoline_kernelINS0_14default_configENS1_20scan_config_selectorIdEEZZNS1_9scan_implILNS1_25lookback_scan_determinismE0ELb0ELb0ES3_PKdPddZZZN2at6native31launch_logcumsumexp_cuda_kernelERKNSB_10TensorBaseESF_lENKUlvE_clEvENKUlvE_clEvEUlddE_dEEDaPvRmT3_T4_T5_mT6_P12ihipStream_tbENKUlT_T0_E_clISt17integral_constantIbLb1EESV_IbLb0EEEEDaSR_SS_EUlSR_E_NS1_11comp_targetILNS1_3genE10ELNS1_11target_archE1200ELNS1_3gpuE4ELNS1_3repE0EEENS1_30default_config_static_selectorELNS0_4arch9wavefront6targetE1EEEvT1_
    .private_segment_fixed_size: 0
    .sgpr_count:     6
    .sgpr_spill_count: 0
    .symbol:         _ZN7rocprim17ROCPRIM_400000_NS6detail17trampoline_kernelINS0_14default_configENS1_20scan_config_selectorIdEEZZNS1_9scan_implILNS1_25lookback_scan_determinismE0ELb0ELb0ES3_PKdPddZZZN2at6native31launch_logcumsumexp_cuda_kernelERKNSB_10TensorBaseESF_lENKUlvE_clEvENKUlvE_clEvEUlddE_dEEDaPvRmT3_T4_T5_mT6_P12ihipStream_tbENKUlT_T0_E_clISt17integral_constantIbLb1EESV_IbLb0EEEEDaSR_SS_EUlSR_E_NS1_11comp_targetILNS1_3genE10ELNS1_11target_archE1200ELNS1_3gpuE4ELNS1_3repE0EEENS1_30default_config_static_selectorELNS0_4arch9wavefront6targetE1EEEvT1_.kd
    .uniform_work_group_size: 1
    .uses_dynamic_stack: false
    .vgpr_count:     0
    .vgpr_spill_count: 0
    .wavefront_size: 64
  - .agpr_count:     0
    .args:
      - .offset:         0
        .size:           104
        .value_kind:     by_value
    .group_segment_fixed_size: 0
    .kernarg_segment_align: 8
    .kernarg_segment_size: 104
    .language:       OpenCL C
    .language_version:
      - 2
      - 0
    .max_flat_workgroup_size: 256
    .name:           _ZN7rocprim17ROCPRIM_400000_NS6detail17trampoline_kernelINS0_14default_configENS1_20scan_config_selectorIdEEZZNS1_9scan_implILNS1_25lookback_scan_determinismE0ELb0ELb0ES3_PKdPddZZZN2at6native31launch_logcumsumexp_cuda_kernelERKNSB_10TensorBaseESF_lENKUlvE_clEvENKUlvE_clEvEUlddE_dEEDaPvRmT3_T4_T5_mT6_P12ihipStream_tbENKUlT_T0_E_clISt17integral_constantIbLb1EESV_IbLb0EEEEDaSR_SS_EUlSR_E_NS1_11comp_targetILNS1_3genE9ELNS1_11target_archE1100ELNS1_3gpuE3ELNS1_3repE0EEENS1_30default_config_static_selectorELNS0_4arch9wavefront6targetE1EEEvT1_
    .private_segment_fixed_size: 0
    .sgpr_count:     6
    .sgpr_spill_count: 0
    .symbol:         _ZN7rocprim17ROCPRIM_400000_NS6detail17trampoline_kernelINS0_14default_configENS1_20scan_config_selectorIdEEZZNS1_9scan_implILNS1_25lookback_scan_determinismE0ELb0ELb0ES3_PKdPddZZZN2at6native31launch_logcumsumexp_cuda_kernelERKNSB_10TensorBaseESF_lENKUlvE_clEvENKUlvE_clEvEUlddE_dEEDaPvRmT3_T4_T5_mT6_P12ihipStream_tbENKUlT_T0_E_clISt17integral_constantIbLb1EESV_IbLb0EEEEDaSR_SS_EUlSR_E_NS1_11comp_targetILNS1_3genE9ELNS1_11target_archE1100ELNS1_3gpuE3ELNS1_3repE0EEENS1_30default_config_static_selectorELNS0_4arch9wavefront6targetE1EEEvT1_.kd
    .uniform_work_group_size: 1
    .uses_dynamic_stack: false
    .vgpr_count:     0
    .vgpr_spill_count: 0
    .wavefront_size: 64
  - .agpr_count:     0
    .args:
      - .offset:         0
        .size:           104
        .value_kind:     by_value
    .group_segment_fixed_size: 0
    .kernarg_segment_align: 8
    .kernarg_segment_size: 104
    .language:       OpenCL C
    .language_version:
      - 2
      - 0
    .max_flat_workgroup_size: 128
    .name:           _ZN7rocprim17ROCPRIM_400000_NS6detail17trampoline_kernelINS0_14default_configENS1_20scan_config_selectorIdEEZZNS1_9scan_implILNS1_25lookback_scan_determinismE0ELb0ELb0ES3_PKdPddZZZN2at6native31launch_logcumsumexp_cuda_kernelERKNSB_10TensorBaseESF_lENKUlvE_clEvENKUlvE_clEvEUlddE_dEEDaPvRmT3_T4_T5_mT6_P12ihipStream_tbENKUlT_T0_E_clISt17integral_constantIbLb1EESV_IbLb0EEEEDaSR_SS_EUlSR_E_NS1_11comp_targetILNS1_3genE8ELNS1_11target_archE1030ELNS1_3gpuE2ELNS1_3repE0EEENS1_30default_config_static_selectorELNS0_4arch9wavefront6targetE1EEEvT1_
    .private_segment_fixed_size: 0
    .sgpr_count:     6
    .sgpr_spill_count: 0
    .symbol:         _ZN7rocprim17ROCPRIM_400000_NS6detail17trampoline_kernelINS0_14default_configENS1_20scan_config_selectorIdEEZZNS1_9scan_implILNS1_25lookback_scan_determinismE0ELb0ELb0ES3_PKdPddZZZN2at6native31launch_logcumsumexp_cuda_kernelERKNSB_10TensorBaseESF_lENKUlvE_clEvENKUlvE_clEvEUlddE_dEEDaPvRmT3_T4_T5_mT6_P12ihipStream_tbENKUlT_T0_E_clISt17integral_constantIbLb1EESV_IbLb0EEEEDaSR_SS_EUlSR_E_NS1_11comp_targetILNS1_3genE8ELNS1_11target_archE1030ELNS1_3gpuE2ELNS1_3repE0EEENS1_30default_config_static_selectorELNS0_4arch9wavefront6targetE1EEEvT1_.kd
    .uniform_work_group_size: 1
    .uses_dynamic_stack: false
    .vgpr_count:     0
    .vgpr_spill_count: 0
    .wavefront_size: 64
  - .agpr_count:     0
    .args:
      - .offset:         0
        .size:           40
        .value_kind:     by_value
    .group_segment_fixed_size: 0
    .kernarg_segment_align: 8
    .kernarg_segment_size: 40
    .language:       OpenCL C
    .language_version:
      - 2
      - 0
    .max_flat_workgroup_size: 256
    .name:           _ZN7rocprim17ROCPRIM_400000_NS6detail17trampoline_kernelINS0_14default_configENS1_20scan_config_selectorIdEEZZNS1_9scan_implILNS1_25lookback_scan_determinismE0ELb0ELb0ES3_PKdPddZZZN2at6native31launch_logcumsumexp_cuda_kernelERKNSB_10TensorBaseESF_lENKUlvE_clEvENKUlvE_clEvEUlddE_dEEDaPvRmT3_T4_T5_mT6_P12ihipStream_tbENKUlT_T0_E_clISt17integral_constantIbLb1EESV_IbLb0EEEEDaSR_SS_EUlSR_E0_NS1_11comp_targetILNS1_3genE0ELNS1_11target_archE4294967295ELNS1_3gpuE0ELNS1_3repE0EEENS1_30default_config_static_selectorELNS0_4arch9wavefront6targetE1EEEvT1_
    .private_segment_fixed_size: 0
    .sgpr_count:     6
    .sgpr_spill_count: 0
    .symbol:         _ZN7rocprim17ROCPRIM_400000_NS6detail17trampoline_kernelINS0_14default_configENS1_20scan_config_selectorIdEEZZNS1_9scan_implILNS1_25lookback_scan_determinismE0ELb0ELb0ES3_PKdPddZZZN2at6native31launch_logcumsumexp_cuda_kernelERKNSB_10TensorBaseESF_lENKUlvE_clEvENKUlvE_clEvEUlddE_dEEDaPvRmT3_T4_T5_mT6_P12ihipStream_tbENKUlT_T0_E_clISt17integral_constantIbLb1EESV_IbLb0EEEEDaSR_SS_EUlSR_E0_NS1_11comp_targetILNS1_3genE0ELNS1_11target_archE4294967295ELNS1_3gpuE0ELNS1_3repE0EEENS1_30default_config_static_selectorELNS0_4arch9wavefront6targetE1EEEvT1_.kd
    .uniform_work_group_size: 1
    .uses_dynamic_stack: false
    .vgpr_count:     0
    .vgpr_spill_count: 0
    .wavefront_size: 64
  - .agpr_count:     0
    .args:
      - .offset:         0
        .size:           40
        .value_kind:     by_value
    .group_segment_fixed_size: 30720
    .kernarg_segment_align: 8
    .kernarg_segment_size: 40
    .language:       OpenCL C
    .language_version:
      - 2
      - 0
    .max_flat_workgroup_size: 256
    .name:           _ZN7rocprim17ROCPRIM_400000_NS6detail17trampoline_kernelINS0_14default_configENS1_20scan_config_selectorIdEEZZNS1_9scan_implILNS1_25lookback_scan_determinismE0ELb0ELb0ES3_PKdPddZZZN2at6native31launch_logcumsumexp_cuda_kernelERKNSB_10TensorBaseESF_lENKUlvE_clEvENKUlvE_clEvEUlddE_dEEDaPvRmT3_T4_T5_mT6_P12ihipStream_tbENKUlT_T0_E_clISt17integral_constantIbLb1EESV_IbLb0EEEEDaSR_SS_EUlSR_E0_NS1_11comp_targetILNS1_3genE5ELNS1_11target_archE942ELNS1_3gpuE9ELNS1_3repE0EEENS1_30default_config_static_selectorELNS0_4arch9wavefront6targetE1EEEvT1_
    .private_segment_fixed_size: 0
    .sgpr_count:     84
    .sgpr_spill_count: 0
    .symbol:         _ZN7rocprim17ROCPRIM_400000_NS6detail17trampoline_kernelINS0_14default_configENS1_20scan_config_selectorIdEEZZNS1_9scan_implILNS1_25lookback_scan_determinismE0ELb0ELb0ES3_PKdPddZZZN2at6native31launch_logcumsumexp_cuda_kernelERKNSB_10TensorBaseESF_lENKUlvE_clEvENKUlvE_clEvEUlddE_dEEDaPvRmT3_T4_T5_mT6_P12ihipStream_tbENKUlT_T0_E_clISt17integral_constantIbLb1EESV_IbLb0EEEEDaSR_SS_EUlSR_E0_NS1_11comp_targetILNS1_3genE5ELNS1_11target_archE942ELNS1_3gpuE9ELNS1_3repE0EEENS1_30default_config_static_selectorELNS0_4arch9wavefront6targetE1EEEvT1_.kd
    .uniform_work_group_size: 1
    .uses_dynamic_stack: false
    .vgpr_count:     100
    .vgpr_spill_count: 0
    .wavefront_size: 64
  - .agpr_count:     0
    .args:
      - .offset:         0
        .size:           40
        .value_kind:     by_value
    .group_segment_fixed_size: 0
    .kernarg_segment_align: 8
    .kernarg_segment_size: 40
    .language:       OpenCL C
    .language_version:
      - 2
      - 0
    .max_flat_workgroup_size: 128
    .name:           _ZN7rocprim17ROCPRIM_400000_NS6detail17trampoline_kernelINS0_14default_configENS1_20scan_config_selectorIdEEZZNS1_9scan_implILNS1_25lookback_scan_determinismE0ELb0ELb0ES3_PKdPddZZZN2at6native31launch_logcumsumexp_cuda_kernelERKNSB_10TensorBaseESF_lENKUlvE_clEvENKUlvE_clEvEUlddE_dEEDaPvRmT3_T4_T5_mT6_P12ihipStream_tbENKUlT_T0_E_clISt17integral_constantIbLb1EESV_IbLb0EEEEDaSR_SS_EUlSR_E0_NS1_11comp_targetILNS1_3genE4ELNS1_11target_archE910ELNS1_3gpuE8ELNS1_3repE0EEENS1_30default_config_static_selectorELNS0_4arch9wavefront6targetE1EEEvT1_
    .private_segment_fixed_size: 0
    .sgpr_count:     6
    .sgpr_spill_count: 0
    .symbol:         _ZN7rocprim17ROCPRIM_400000_NS6detail17trampoline_kernelINS0_14default_configENS1_20scan_config_selectorIdEEZZNS1_9scan_implILNS1_25lookback_scan_determinismE0ELb0ELb0ES3_PKdPddZZZN2at6native31launch_logcumsumexp_cuda_kernelERKNSB_10TensorBaseESF_lENKUlvE_clEvENKUlvE_clEvEUlddE_dEEDaPvRmT3_T4_T5_mT6_P12ihipStream_tbENKUlT_T0_E_clISt17integral_constantIbLb1EESV_IbLb0EEEEDaSR_SS_EUlSR_E0_NS1_11comp_targetILNS1_3genE4ELNS1_11target_archE910ELNS1_3gpuE8ELNS1_3repE0EEENS1_30default_config_static_selectorELNS0_4arch9wavefront6targetE1EEEvT1_.kd
    .uniform_work_group_size: 1
    .uses_dynamic_stack: false
    .vgpr_count:     0
    .vgpr_spill_count: 0
    .wavefront_size: 64
  - .agpr_count:     0
    .args:
      - .offset:         0
        .size:           40
        .value_kind:     by_value
    .group_segment_fixed_size: 0
    .kernarg_segment_align: 8
    .kernarg_segment_size: 40
    .language:       OpenCL C
    .language_version:
      - 2
      - 0
    .max_flat_workgroup_size: 256
    .name:           _ZN7rocprim17ROCPRIM_400000_NS6detail17trampoline_kernelINS0_14default_configENS1_20scan_config_selectorIdEEZZNS1_9scan_implILNS1_25lookback_scan_determinismE0ELb0ELb0ES3_PKdPddZZZN2at6native31launch_logcumsumexp_cuda_kernelERKNSB_10TensorBaseESF_lENKUlvE_clEvENKUlvE_clEvEUlddE_dEEDaPvRmT3_T4_T5_mT6_P12ihipStream_tbENKUlT_T0_E_clISt17integral_constantIbLb1EESV_IbLb0EEEEDaSR_SS_EUlSR_E0_NS1_11comp_targetILNS1_3genE3ELNS1_11target_archE908ELNS1_3gpuE7ELNS1_3repE0EEENS1_30default_config_static_selectorELNS0_4arch9wavefront6targetE1EEEvT1_
    .private_segment_fixed_size: 0
    .sgpr_count:     6
    .sgpr_spill_count: 0
    .symbol:         _ZN7rocprim17ROCPRIM_400000_NS6detail17trampoline_kernelINS0_14default_configENS1_20scan_config_selectorIdEEZZNS1_9scan_implILNS1_25lookback_scan_determinismE0ELb0ELb0ES3_PKdPddZZZN2at6native31launch_logcumsumexp_cuda_kernelERKNSB_10TensorBaseESF_lENKUlvE_clEvENKUlvE_clEvEUlddE_dEEDaPvRmT3_T4_T5_mT6_P12ihipStream_tbENKUlT_T0_E_clISt17integral_constantIbLb1EESV_IbLb0EEEEDaSR_SS_EUlSR_E0_NS1_11comp_targetILNS1_3genE3ELNS1_11target_archE908ELNS1_3gpuE7ELNS1_3repE0EEENS1_30default_config_static_selectorELNS0_4arch9wavefront6targetE1EEEvT1_.kd
    .uniform_work_group_size: 1
    .uses_dynamic_stack: false
    .vgpr_count:     0
    .vgpr_spill_count: 0
    .wavefront_size: 64
  - .agpr_count:     0
    .args:
      - .offset:         0
        .size:           40
        .value_kind:     by_value
    .group_segment_fixed_size: 0
    .kernarg_segment_align: 8
    .kernarg_segment_size: 40
    .language:       OpenCL C
    .language_version:
      - 2
      - 0
    .max_flat_workgroup_size: 128
    .name:           _ZN7rocprim17ROCPRIM_400000_NS6detail17trampoline_kernelINS0_14default_configENS1_20scan_config_selectorIdEEZZNS1_9scan_implILNS1_25lookback_scan_determinismE0ELb0ELb0ES3_PKdPddZZZN2at6native31launch_logcumsumexp_cuda_kernelERKNSB_10TensorBaseESF_lENKUlvE_clEvENKUlvE_clEvEUlddE_dEEDaPvRmT3_T4_T5_mT6_P12ihipStream_tbENKUlT_T0_E_clISt17integral_constantIbLb1EESV_IbLb0EEEEDaSR_SS_EUlSR_E0_NS1_11comp_targetILNS1_3genE2ELNS1_11target_archE906ELNS1_3gpuE6ELNS1_3repE0EEENS1_30default_config_static_selectorELNS0_4arch9wavefront6targetE1EEEvT1_
    .private_segment_fixed_size: 0
    .sgpr_count:     6
    .sgpr_spill_count: 0
    .symbol:         _ZN7rocprim17ROCPRIM_400000_NS6detail17trampoline_kernelINS0_14default_configENS1_20scan_config_selectorIdEEZZNS1_9scan_implILNS1_25lookback_scan_determinismE0ELb0ELb0ES3_PKdPddZZZN2at6native31launch_logcumsumexp_cuda_kernelERKNSB_10TensorBaseESF_lENKUlvE_clEvENKUlvE_clEvEUlddE_dEEDaPvRmT3_T4_T5_mT6_P12ihipStream_tbENKUlT_T0_E_clISt17integral_constantIbLb1EESV_IbLb0EEEEDaSR_SS_EUlSR_E0_NS1_11comp_targetILNS1_3genE2ELNS1_11target_archE906ELNS1_3gpuE6ELNS1_3repE0EEENS1_30default_config_static_selectorELNS0_4arch9wavefront6targetE1EEEvT1_.kd
    .uniform_work_group_size: 1
    .uses_dynamic_stack: false
    .vgpr_count:     0
    .vgpr_spill_count: 0
    .wavefront_size: 64
  - .agpr_count:     0
    .args:
      - .offset:         0
        .size:           40
        .value_kind:     by_value
    .group_segment_fixed_size: 0
    .kernarg_segment_align: 8
    .kernarg_segment_size: 40
    .language:       OpenCL C
    .language_version:
      - 2
      - 0
    .max_flat_workgroup_size: 256
    .name:           _ZN7rocprim17ROCPRIM_400000_NS6detail17trampoline_kernelINS0_14default_configENS1_20scan_config_selectorIdEEZZNS1_9scan_implILNS1_25lookback_scan_determinismE0ELb0ELb0ES3_PKdPddZZZN2at6native31launch_logcumsumexp_cuda_kernelERKNSB_10TensorBaseESF_lENKUlvE_clEvENKUlvE_clEvEUlddE_dEEDaPvRmT3_T4_T5_mT6_P12ihipStream_tbENKUlT_T0_E_clISt17integral_constantIbLb1EESV_IbLb0EEEEDaSR_SS_EUlSR_E0_NS1_11comp_targetILNS1_3genE10ELNS1_11target_archE1201ELNS1_3gpuE5ELNS1_3repE0EEENS1_30default_config_static_selectorELNS0_4arch9wavefront6targetE1EEEvT1_
    .private_segment_fixed_size: 0
    .sgpr_count:     6
    .sgpr_spill_count: 0
    .symbol:         _ZN7rocprim17ROCPRIM_400000_NS6detail17trampoline_kernelINS0_14default_configENS1_20scan_config_selectorIdEEZZNS1_9scan_implILNS1_25lookback_scan_determinismE0ELb0ELb0ES3_PKdPddZZZN2at6native31launch_logcumsumexp_cuda_kernelERKNSB_10TensorBaseESF_lENKUlvE_clEvENKUlvE_clEvEUlddE_dEEDaPvRmT3_T4_T5_mT6_P12ihipStream_tbENKUlT_T0_E_clISt17integral_constantIbLb1EESV_IbLb0EEEEDaSR_SS_EUlSR_E0_NS1_11comp_targetILNS1_3genE10ELNS1_11target_archE1201ELNS1_3gpuE5ELNS1_3repE0EEENS1_30default_config_static_selectorELNS0_4arch9wavefront6targetE1EEEvT1_.kd
    .uniform_work_group_size: 1
    .uses_dynamic_stack: false
    .vgpr_count:     0
    .vgpr_spill_count: 0
    .wavefront_size: 64
  - .agpr_count:     0
    .args:
      - .offset:         0
        .size:           40
        .value_kind:     by_value
    .group_segment_fixed_size: 0
    .kernarg_segment_align: 8
    .kernarg_segment_size: 40
    .language:       OpenCL C
    .language_version:
      - 2
      - 0
    .max_flat_workgroup_size: 256
    .name:           _ZN7rocprim17ROCPRIM_400000_NS6detail17trampoline_kernelINS0_14default_configENS1_20scan_config_selectorIdEEZZNS1_9scan_implILNS1_25lookback_scan_determinismE0ELb0ELb0ES3_PKdPddZZZN2at6native31launch_logcumsumexp_cuda_kernelERKNSB_10TensorBaseESF_lENKUlvE_clEvENKUlvE_clEvEUlddE_dEEDaPvRmT3_T4_T5_mT6_P12ihipStream_tbENKUlT_T0_E_clISt17integral_constantIbLb1EESV_IbLb0EEEEDaSR_SS_EUlSR_E0_NS1_11comp_targetILNS1_3genE10ELNS1_11target_archE1200ELNS1_3gpuE4ELNS1_3repE0EEENS1_30default_config_static_selectorELNS0_4arch9wavefront6targetE1EEEvT1_
    .private_segment_fixed_size: 0
    .sgpr_count:     6
    .sgpr_spill_count: 0
    .symbol:         _ZN7rocprim17ROCPRIM_400000_NS6detail17trampoline_kernelINS0_14default_configENS1_20scan_config_selectorIdEEZZNS1_9scan_implILNS1_25lookback_scan_determinismE0ELb0ELb0ES3_PKdPddZZZN2at6native31launch_logcumsumexp_cuda_kernelERKNSB_10TensorBaseESF_lENKUlvE_clEvENKUlvE_clEvEUlddE_dEEDaPvRmT3_T4_T5_mT6_P12ihipStream_tbENKUlT_T0_E_clISt17integral_constantIbLb1EESV_IbLb0EEEEDaSR_SS_EUlSR_E0_NS1_11comp_targetILNS1_3genE10ELNS1_11target_archE1200ELNS1_3gpuE4ELNS1_3repE0EEENS1_30default_config_static_selectorELNS0_4arch9wavefront6targetE1EEEvT1_.kd
    .uniform_work_group_size: 1
    .uses_dynamic_stack: false
    .vgpr_count:     0
    .vgpr_spill_count: 0
    .wavefront_size: 64
  - .agpr_count:     0
    .args:
      - .offset:         0
        .size:           40
        .value_kind:     by_value
    .group_segment_fixed_size: 0
    .kernarg_segment_align: 8
    .kernarg_segment_size: 40
    .language:       OpenCL C
    .language_version:
      - 2
      - 0
    .max_flat_workgroup_size: 256
    .name:           _ZN7rocprim17ROCPRIM_400000_NS6detail17trampoline_kernelINS0_14default_configENS1_20scan_config_selectorIdEEZZNS1_9scan_implILNS1_25lookback_scan_determinismE0ELb0ELb0ES3_PKdPddZZZN2at6native31launch_logcumsumexp_cuda_kernelERKNSB_10TensorBaseESF_lENKUlvE_clEvENKUlvE_clEvEUlddE_dEEDaPvRmT3_T4_T5_mT6_P12ihipStream_tbENKUlT_T0_E_clISt17integral_constantIbLb1EESV_IbLb0EEEEDaSR_SS_EUlSR_E0_NS1_11comp_targetILNS1_3genE9ELNS1_11target_archE1100ELNS1_3gpuE3ELNS1_3repE0EEENS1_30default_config_static_selectorELNS0_4arch9wavefront6targetE1EEEvT1_
    .private_segment_fixed_size: 0
    .sgpr_count:     6
    .sgpr_spill_count: 0
    .symbol:         _ZN7rocprim17ROCPRIM_400000_NS6detail17trampoline_kernelINS0_14default_configENS1_20scan_config_selectorIdEEZZNS1_9scan_implILNS1_25lookback_scan_determinismE0ELb0ELb0ES3_PKdPddZZZN2at6native31launch_logcumsumexp_cuda_kernelERKNSB_10TensorBaseESF_lENKUlvE_clEvENKUlvE_clEvEUlddE_dEEDaPvRmT3_T4_T5_mT6_P12ihipStream_tbENKUlT_T0_E_clISt17integral_constantIbLb1EESV_IbLb0EEEEDaSR_SS_EUlSR_E0_NS1_11comp_targetILNS1_3genE9ELNS1_11target_archE1100ELNS1_3gpuE3ELNS1_3repE0EEENS1_30default_config_static_selectorELNS0_4arch9wavefront6targetE1EEEvT1_.kd
    .uniform_work_group_size: 1
    .uses_dynamic_stack: false
    .vgpr_count:     0
    .vgpr_spill_count: 0
    .wavefront_size: 64
  - .agpr_count:     0
    .args:
      - .offset:         0
        .size:           40
        .value_kind:     by_value
    .group_segment_fixed_size: 0
    .kernarg_segment_align: 8
    .kernarg_segment_size: 40
    .language:       OpenCL C
    .language_version:
      - 2
      - 0
    .max_flat_workgroup_size: 128
    .name:           _ZN7rocprim17ROCPRIM_400000_NS6detail17trampoline_kernelINS0_14default_configENS1_20scan_config_selectorIdEEZZNS1_9scan_implILNS1_25lookback_scan_determinismE0ELb0ELb0ES3_PKdPddZZZN2at6native31launch_logcumsumexp_cuda_kernelERKNSB_10TensorBaseESF_lENKUlvE_clEvENKUlvE_clEvEUlddE_dEEDaPvRmT3_T4_T5_mT6_P12ihipStream_tbENKUlT_T0_E_clISt17integral_constantIbLb1EESV_IbLb0EEEEDaSR_SS_EUlSR_E0_NS1_11comp_targetILNS1_3genE8ELNS1_11target_archE1030ELNS1_3gpuE2ELNS1_3repE0EEENS1_30default_config_static_selectorELNS0_4arch9wavefront6targetE1EEEvT1_
    .private_segment_fixed_size: 0
    .sgpr_count:     6
    .sgpr_spill_count: 0
    .symbol:         _ZN7rocprim17ROCPRIM_400000_NS6detail17trampoline_kernelINS0_14default_configENS1_20scan_config_selectorIdEEZZNS1_9scan_implILNS1_25lookback_scan_determinismE0ELb0ELb0ES3_PKdPddZZZN2at6native31launch_logcumsumexp_cuda_kernelERKNSB_10TensorBaseESF_lENKUlvE_clEvENKUlvE_clEvEUlddE_dEEDaPvRmT3_T4_T5_mT6_P12ihipStream_tbENKUlT_T0_E_clISt17integral_constantIbLb1EESV_IbLb0EEEEDaSR_SS_EUlSR_E0_NS1_11comp_targetILNS1_3genE8ELNS1_11target_archE1030ELNS1_3gpuE2ELNS1_3repE0EEENS1_30default_config_static_selectorELNS0_4arch9wavefront6targetE1EEEvT1_.kd
    .uniform_work_group_size: 1
    .uses_dynamic_stack: false
    .vgpr_count:     0
    .vgpr_spill_count: 0
    .wavefront_size: 64
  - .agpr_count:     0
    .args:
      - .address_space:  global
        .offset:         0
        .size:           8
        .value_kind:     global_buffer
      - .offset:         8
        .size:           4
        .value_kind:     by_value
      - .address_space:  global
        .offset:         16
        .size:           8
        .value_kind:     global_buffer
      - .offset:         24
        .size:           4
        .value_kind:     by_value
      - .address_space:  global
        .offset:         32
        .size:           8
        .value_kind:     global_buffer
      - .offset:         40
        .size:           4
        .value_kind:     hidden_block_count_x
      - .offset:         44
        .size:           4
        .value_kind:     hidden_block_count_y
      - .offset:         48
        .size:           4
        .value_kind:     hidden_block_count_z
      - .offset:         52
        .size:           2
        .value_kind:     hidden_group_size_x
      - .offset:         54
        .size:           2
        .value_kind:     hidden_group_size_y
      - .offset:         56
        .size:           2
        .value_kind:     hidden_group_size_z
      - .offset:         58
        .size:           2
        .value_kind:     hidden_remainder_x
      - .offset:         60
        .size:           2
        .value_kind:     hidden_remainder_y
      - .offset:         62
        .size:           2
        .value_kind:     hidden_remainder_z
      - .offset:         80
        .size:           8
        .value_kind:     hidden_global_offset_x
      - .offset:         88
        .size:           8
        .value_kind:     hidden_global_offset_y
      - .offset:         96
        .size:           8
        .value_kind:     hidden_global_offset_z
      - .offset:         104
        .size:           2
        .value_kind:     hidden_grid_dims
    .group_segment_fixed_size: 0
    .kernarg_segment_align: 8
    .kernarg_segment_size: 296
    .language:       OpenCL C
    .language_version:
      - 2
      - 0
    .max_flat_workgroup_size: 256
    .name:           _ZN7rocprim17ROCPRIM_400000_NS6detail31init_lookback_scan_state_kernelINS1_19lookback_scan_stateIdLb0ELb1EEENS1_16block_id_wrapperIjLb1EEEEEvT_jT0_jPNS7_10value_typeE
    .private_segment_fixed_size: 0
    .sgpr_count:     21
    .sgpr_spill_count: 0
    .symbol:         _ZN7rocprim17ROCPRIM_400000_NS6detail31init_lookback_scan_state_kernelINS1_19lookback_scan_stateIdLb0ELb1EEENS1_16block_id_wrapperIjLb1EEEEEvT_jT0_jPNS7_10value_typeE.kd
    .uniform_work_group_size: 1
    .uses_dynamic_stack: false
    .vgpr_count:     10
    .vgpr_spill_count: 0
    .wavefront_size: 64
  - .agpr_count:     0
    .args:
      - .offset:         0
        .size:           104
        .value_kind:     by_value
    .group_segment_fixed_size: 0
    .kernarg_segment_align: 8
    .kernarg_segment_size: 104
    .language:       OpenCL C
    .language_version:
      - 2
      - 0
    .max_flat_workgroup_size: 256
    .name:           _ZN7rocprim17ROCPRIM_400000_NS6detail17trampoline_kernelINS0_14default_configENS1_20scan_config_selectorIdEEZZNS1_9scan_implILNS1_25lookback_scan_determinismE0ELb0ELb0ES3_PKdPddZZZN2at6native31launch_logcumsumexp_cuda_kernelERKNSB_10TensorBaseESF_lENKUlvE_clEvENKUlvE_clEvEUlddE_dEEDaPvRmT3_T4_T5_mT6_P12ihipStream_tbENKUlT_T0_E_clISt17integral_constantIbLb0EESV_IbLb1EEEEDaSR_SS_EUlSR_E_NS1_11comp_targetILNS1_3genE0ELNS1_11target_archE4294967295ELNS1_3gpuE0ELNS1_3repE0EEENS1_30default_config_static_selectorELNS0_4arch9wavefront6targetE1EEEvT1_
    .private_segment_fixed_size: 0
    .sgpr_count:     6
    .sgpr_spill_count: 0
    .symbol:         _ZN7rocprim17ROCPRIM_400000_NS6detail17trampoline_kernelINS0_14default_configENS1_20scan_config_selectorIdEEZZNS1_9scan_implILNS1_25lookback_scan_determinismE0ELb0ELb0ES3_PKdPddZZZN2at6native31launch_logcumsumexp_cuda_kernelERKNSB_10TensorBaseESF_lENKUlvE_clEvENKUlvE_clEvEUlddE_dEEDaPvRmT3_T4_T5_mT6_P12ihipStream_tbENKUlT_T0_E_clISt17integral_constantIbLb0EESV_IbLb1EEEEDaSR_SS_EUlSR_E_NS1_11comp_targetILNS1_3genE0ELNS1_11target_archE4294967295ELNS1_3gpuE0ELNS1_3repE0EEENS1_30default_config_static_selectorELNS0_4arch9wavefront6targetE1EEEvT1_.kd
    .uniform_work_group_size: 1
    .uses_dynamic_stack: false
    .vgpr_count:     0
    .vgpr_spill_count: 0
    .wavefront_size: 64
  - .agpr_count:     0
    .args:
      - .offset:         0
        .size:           104
        .value_kind:     by_value
      - .offset:         104
        .size:           4
        .value_kind:     hidden_block_count_x
      - .offset:         108
        .size:           4
        .value_kind:     hidden_block_count_y
      - .offset:         112
        .size:           4
        .value_kind:     hidden_block_count_z
      - .offset:         116
        .size:           2
        .value_kind:     hidden_group_size_x
      - .offset:         118
        .size:           2
        .value_kind:     hidden_group_size_y
      - .offset:         120
        .size:           2
        .value_kind:     hidden_group_size_z
      - .offset:         122
        .size:           2
        .value_kind:     hidden_remainder_x
      - .offset:         124
        .size:           2
        .value_kind:     hidden_remainder_y
      - .offset:         126
        .size:           2
        .value_kind:     hidden_remainder_z
      - .offset:         144
        .size:           8
        .value_kind:     hidden_global_offset_x
      - .offset:         152
        .size:           8
        .value_kind:     hidden_global_offset_y
      - .offset:         160
        .size:           8
        .value_kind:     hidden_global_offset_z
      - .offset:         168
        .size:           2
        .value_kind:     hidden_grid_dims
    .group_segment_fixed_size: 30720
    .kernarg_segment_align: 8
    .kernarg_segment_size: 360
    .language:       OpenCL C
    .language_version:
      - 2
      - 0
    .max_flat_workgroup_size: 256
    .name:           _ZN7rocprim17ROCPRIM_400000_NS6detail17trampoline_kernelINS0_14default_configENS1_20scan_config_selectorIdEEZZNS1_9scan_implILNS1_25lookback_scan_determinismE0ELb0ELb0ES3_PKdPddZZZN2at6native31launch_logcumsumexp_cuda_kernelERKNSB_10TensorBaseESF_lENKUlvE_clEvENKUlvE_clEvEUlddE_dEEDaPvRmT3_T4_T5_mT6_P12ihipStream_tbENKUlT_T0_E_clISt17integral_constantIbLb0EESV_IbLb1EEEEDaSR_SS_EUlSR_E_NS1_11comp_targetILNS1_3genE5ELNS1_11target_archE942ELNS1_3gpuE9ELNS1_3repE0EEENS1_30default_config_static_selectorELNS0_4arch9wavefront6targetE1EEEvT1_
    .private_segment_fixed_size: 120
    .sgpr_count:     84
    .sgpr_spill_count: 0
    .symbol:         _ZN7rocprim17ROCPRIM_400000_NS6detail17trampoline_kernelINS0_14default_configENS1_20scan_config_selectorIdEEZZNS1_9scan_implILNS1_25lookback_scan_determinismE0ELb0ELb0ES3_PKdPddZZZN2at6native31launch_logcumsumexp_cuda_kernelERKNSB_10TensorBaseESF_lENKUlvE_clEvENKUlvE_clEvEUlddE_dEEDaPvRmT3_T4_T5_mT6_P12ihipStream_tbENKUlT_T0_E_clISt17integral_constantIbLb0EESV_IbLb1EEEEDaSR_SS_EUlSR_E_NS1_11comp_targetILNS1_3genE5ELNS1_11target_archE942ELNS1_3gpuE9ELNS1_3repE0EEENS1_30default_config_static_selectorELNS0_4arch9wavefront6targetE1EEEvT1_.kd
    .uniform_work_group_size: 1
    .uses_dynamic_stack: false
    .vgpr_count:     248
    .vgpr_spill_count: 0
    .wavefront_size: 64
  - .agpr_count:     0
    .args:
      - .offset:         0
        .size:           104
        .value_kind:     by_value
    .group_segment_fixed_size: 0
    .kernarg_segment_align: 8
    .kernarg_segment_size: 104
    .language:       OpenCL C
    .language_version:
      - 2
      - 0
    .max_flat_workgroup_size: 128
    .name:           _ZN7rocprim17ROCPRIM_400000_NS6detail17trampoline_kernelINS0_14default_configENS1_20scan_config_selectorIdEEZZNS1_9scan_implILNS1_25lookback_scan_determinismE0ELb0ELb0ES3_PKdPddZZZN2at6native31launch_logcumsumexp_cuda_kernelERKNSB_10TensorBaseESF_lENKUlvE_clEvENKUlvE_clEvEUlddE_dEEDaPvRmT3_T4_T5_mT6_P12ihipStream_tbENKUlT_T0_E_clISt17integral_constantIbLb0EESV_IbLb1EEEEDaSR_SS_EUlSR_E_NS1_11comp_targetILNS1_3genE4ELNS1_11target_archE910ELNS1_3gpuE8ELNS1_3repE0EEENS1_30default_config_static_selectorELNS0_4arch9wavefront6targetE1EEEvT1_
    .private_segment_fixed_size: 0
    .sgpr_count:     6
    .sgpr_spill_count: 0
    .symbol:         _ZN7rocprim17ROCPRIM_400000_NS6detail17trampoline_kernelINS0_14default_configENS1_20scan_config_selectorIdEEZZNS1_9scan_implILNS1_25lookback_scan_determinismE0ELb0ELb0ES3_PKdPddZZZN2at6native31launch_logcumsumexp_cuda_kernelERKNSB_10TensorBaseESF_lENKUlvE_clEvENKUlvE_clEvEUlddE_dEEDaPvRmT3_T4_T5_mT6_P12ihipStream_tbENKUlT_T0_E_clISt17integral_constantIbLb0EESV_IbLb1EEEEDaSR_SS_EUlSR_E_NS1_11comp_targetILNS1_3genE4ELNS1_11target_archE910ELNS1_3gpuE8ELNS1_3repE0EEENS1_30default_config_static_selectorELNS0_4arch9wavefront6targetE1EEEvT1_.kd
    .uniform_work_group_size: 1
    .uses_dynamic_stack: false
    .vgpr_count:     0
    .vgpr_spill_count: 0
    .wavefront_size: 64
  - .agpr_count:     0
    .args:
      - .offset:         0
        .size:           104
        .value_kind:     by_value
    .group_segment_fixed_size: 0
    .kernarg_segment_align: 8
    .kernarg_segment_size: 104
    .language:       OpenCL C
    .language_version:
      - 2
      - 0
    .max_flat_workgroup_size: 256
    .name:           _ZN7rocprim17ROCPRIM_400000_NS6detail17trampoline_kernelINS0_14default_configENS1_20scan_config_selectorIdEEZZNS1_9scan_implILNS1_25lookback_scan_determinismE0ELb0ELb0ES3_PKdPddZZZN2at6native31launch_logcumsumexp_cuda_kernelERKNSB_10TensorBaseESF_lENKUlvE_clEvENKUlvE_clEvEUlddE_dEEDaPvRmT3_T4_T5_mT6_P12ihipStream_tbENKUlT_T0_E_clISt17integral_constantIbLb0EESV_IbLb1EEEEDaSR_SS_EUlSR_E_NS1_11comp_targetILNS1_3genE3ELNS1_11target_archE908ELNS1_3gpuE7ELNS1_3repE0EEENS1_30default_config_static_selectorELNS0_4arch9wavefront6targetE1EEEvT1_
    .private_segment_fixed_size: 0
    .sgpr_count:     6
    .sgpr_spill_count: 0
    .symbol:         _ZN7rocprim17ROCPRIM_400000_NS6detail17trampoline_kernelINS0_14default_configENS1_20scan_config_selectorIdEEZZNS1_9scan_implILNS1_25lookback_scan_determinismE0ELb0ELb0ES3_PKdPddZZZN2at6native31launch_logcumsumexp_cuda_kernelERKNSB_10TensorBaseESF_lENKUlvE_clEvENKUlvE_clEvEUlddE_dEEDaPvRmT3_T4_T5_mT6_P12ihipStream_tbENKUlT_T0_E_clISt17integral_constantIbLb0EESV_IbLb1EEEEDaSR_SS_EUlSR_E_NS1_11comp_targetILNS1_3genE3ELNS1_11target_archE908ELNS1_3gpuE7ELNS1_3repE0EEENS1_30default_config_static_selectorELNS0_4arch9wavefront6targetE1EEEvT1_.kd
    .uniform_work_group_size: 1
    .uses_dynamic_stack: false
    .vgpr_count:     0
    .vgpr_spill_count: 0
    .wavefront_size: 64
  - .agpr_count:     0
    .args:
      - .offset:         0
        .size:           104
        .value_kind:     by_value
    .group_segment_fixed_size: 0
    .kernarg_segment_align: 8
    .kernarg_segment_size: 104
    .language:       OpenCL C
    .language_version:
      - 2
      - 0
    .max_flat_workgroup_size: 128
    .name:           _ZN7rocprim17ROCPRIM_400000_NS6detail17trampoline_kernelINS0_14default_configENS1_20scan_config_selectorIdEEZZNS1_9scan_implILNS1_25lookback_scan_determinismE0ELb0ELb0ES3_PKdPddZZZN2at6native31launch_logcumsumexp_cuda_kernelERKNSB_10TensorBaseESF_lENKUlvE_clEvENKUlvE_clEvEUlddE_dEEDaPvRmT3_T4_T5_mT6_P12ihipStream_tbENKUlT_T0_E_clISt17integral_constantIbLb0EESV_IbLb1EEEEDaSR_SS_EUlSR_E_NS1_11comp_targetILNS1_3genE2ELNS1_11target_archE906ELNS1_3gpuE6ELNS1_3repE0EEENS1_30default_config_static_selectorELNS0_4arch9wavefront6targetE1EEEvT1_
    .private_segment_fixed_size: 0
    .sgpr_count:     6
    .sgpr_spill_count: 0
    .symbol:         _ZN7rocprim17ROCPRIM_400000_NS6detail17trampoline_kernelINS0_14default_configENS1_20scan_config_selectorIdEEZZNS1_9scan_implILNS1_25lookback_scan_determinismE0ELb0ELb0ES3_PKdPddZZZN2at6native31launch_logcumsumexp_cuda_kernelERKNSB_10TensorBaseESF_lENKUlvE_clEvENKUlvE_clEvEUlddE_dEEDaPvRmT3_T4_T5_mT6_P12ihipStream_tbENKUlT_T0_E_clISt17integral_constantIbLb0EESV_IbLb1EEEEDaSR_SS_EUlSR_E_NS1_11comp_targetILNS1_3genE2ELNS1_11target_archE906ELNS1_3gpuE6ELNS1_3repE0EEENS1_30default_config_static_selectorELNS0_4arch9wavefront6targetE1EEEvT1_.kd
    .uniform_work_group_size: 1
    .uses_dynamic_stack: false
    .vgpr_count:     0
    .vgpr_spill_count: 0
    .wavefront_size: 64
  - .agpr_count:     0
    .args:
      - .offset:         0
        .size:           104
        .value_kind:     by_value
    .group_segment_fixed_size: 0
    .kernarg_segment_align: 8
    .kernarg_segment_size: 104
    .language:       OpenCL C
    .language_version:
      - 2
      - 0
    .max_flat_workgroup_size: 256
    .name:           _ZN7rocprim17ROCPRIM_400000_NS6detail17trampoline_kernelINS0_14default_configENS1_20scan_config_selectorIdEEZZNS1_9scan_implILNS1_25lookback_scan_determinismE0ELb0ELb0ES3_PKdPddZZZN2at6native31launch_logcumsumexp_cuda_kernelERKNSB_10TensorBaseESF_lENKUlvE_clEvENKUlvE_clEvEUlddE_dEEDaPvRmT3_T4_T5_mT6_P12ihipStream_tbENKUlT_T0_E_clISt17integral_constantIbLb0EESV_IbLb1EEEEDaSR_SS_EUlSR_E_NS1_11comp_targetILNS1_3genE10ELNS1_11target_archE1201ELNS1_3gpuE5ELNS1_3repE0EEENS1_30default_config_static_selectorELNS0_4arch9wavefront6targetE1EEEvT1_
    .private_segment_fixed_size: 0
    .sgpr_count:     6
    .sgpr_spill_count: 0
    .symbol:         _ZN7rocprim17ROCPRIM_400000_NS6detail17trampoline_kernelINS0_14default_configENS1_20scan_config_selectorIdEEZZNS1_9scan_implILNS1_25lookback_scan_determinismE0ELb0ELb0ES3_PKdPddZZZN2at6native31launch_logcumsumexp_cuda_kernelERKNSB_10TensorBaseESF_lENKUlvE_clEvENKUlvE_clEvEUlddE_dEEDaPvRmT3_T4_T5_mT6_P12ihipStream_tbENKUlT_T0_E_clISt17integral_constantIbLb0EESV_IbLb1EEEEDaSR_SS_EUlSR_E_NS1_11comp_targetILNS1_3genE10ELNS1_11target_archE1201ELNS1_3gpuE5ELNS1_3repE0EEENS1_30default_config_static_selectorELNS0_4arch9wavefront6targetE1EEEvT1_.kd
    .uniform_work_group_size: 1
    .uses_dynamic_stack: false
    .vgpr_count:     0
    .vgpr_spill_count: 0
    .wavefront_size: 64
  - .agpr_count:     0
    .args:
      - .offset:         0
        .size:           104
        .value_kind:     by_value
    .group_segment_fixed_size: 0
    .kernarg_segment_align: 8
    .kernarg_segment_size: 104
    .language:       OpenCL C
    .language_version:
      - 2
      - 0
    .max_flat_workgroup_size: 256
    .name:           _ZN7rocprim17ROCPRIM_400000_NS6detail17trampoline_kernelINS0_14default_configENS1_20scan_config_selectorIdEEZZNS1_9scan_implILNS1_25lookback_scan_determinismE0ELb0ELb0ES3_PKdPddZZZN2at6native31launch_logcumsumexp_cuda_kernelERKNSB_10TensorBaseESF_lENKUlvE_clEvENKUlvE_clEvEUlddE_dEEDaPvRmT3_T4_T5_mT6_P12ihipStream_tbENKUlT_T0_E_clISt17integral_constantIbLb0EESV_IbLb1EEEEDaSR_SS_EUlSR_E_NS1_11comp_targetILNS1_3genE10ELNS1_11target_archE1200ELNS1_3gpuE4ELNS1_3repE0EEENS1_30default_config_static_selectorELNS0_4arch9wavefront6targetE1EEEvT1_
    .private_segment_fixed_size: 0
    .sgpr_count:     6
    .sgpr_spill_count: 0
    .symbol:         _ZN7rocprim17ROCPRIM_400000_NS6detail17trampoline_kernelINS0_14default_configENS1_20scan_config_selectorIdEEZZNS1_9scan_implILNS1_25lookback_scan_determinismE0ELb0ELb0ES3_PKdPddZZZN2at6native31launch_logcumsumexp_cuda_kernelERKNSB_10TensorBaseESF_lENKUlvE_clEvENKUlvE_clEvEUlddE_dEEDaPvRmT3_T4_T5_mT6_P12ihipStream_tbENKUlT_T0_E_clISt17integral_constantIbLb0EESV_IbLb1EEEEDaSR_SS_EUlSR_E_NS1_11comp_targetILNS1_3genE10ELNS1_11target_archE1200ELNS1_3gpuE4ELNS1_3repE0EEENS1_30default_config_static_selectorELNS0_4arch9wavefront6targetE1EEEvT1_.kd
    .uniform_work_group_size: 1
    .uses_dynamic_stack: false
    .vgpr_count:     0
    .vgpr_spill_count: 0
    .wavefront_size: 64
  - .agpr_count:     0
    .args:
      - .offset:         0
        .size:           104
        .value_kind:     by_value
    .group_segment_fixed_size: 0
    .kernarg_segment_align: 8
    .kernarg_segment_size: 104
    .language:       OpenCL C
    .language_version:
      - 2
      - 0
    .max_flat_workgroup_size: 256
    .name:           _ZN7rocprim17ROCPRIM_400000_NS6detail17trampoline_kernelINS0_14default_configENS1_20scan_config_selectorIdEEZZNS1_9scan_implILNS1_25lookback_scan_determinismE0ELb0ELb0ES3_PKdPddZZZN2at6native31launch_logcumsumexp_cuda_kernelERKNSB_10TensorBaseESF_lENKUlvE_clEvENKUlvE_clEvEUlddE_dEEDaPvRmT3_T4_T5_mT6_P12ihipStream_tbENKUlT_T0_E_clISt17integral_constantIbLb0EESV_IbLb1EEEEDaSR_SS_EUlSR_E_NS1_11comp_targetILNS1_3genE9ELNS1_11target_archE1100ELNS1_3gpuE3ELNS1_3repE0EEENS1_30default_config_static_selectorELNS0_4arch9wavefront6targetE1EEEvT1_
    .private_segment_fixed_size: 0
    .sgpr_count:     6
    .sgpr_spill_count: 0
    .symbol:         _ZN7rocprim17ROCPRIM_400000_NS6detail17trampoline_kernelINS0_14default_configENS1_20scan_config_selectorIdEEZZNS1_9scan_implILNS1_25lookback_scan_determinismE0ELb0ELb0ES3_PKdPddZZZN2at6native31launch_logcumsumexp_cuda_kernelERKNSB_10TensorBaseESF_lENKUlvE_clEvENKUlvE_clEvEUlddE_dEEDaPvRmT3_T4_T5_mT6_P12ihipStream_tbENKUlT_T0_E_clISt17integral_constantIbLb0EESV_IbLb1EEEEDaSR_SS_EUlSR_E_NS1_11comp_targetILNS1_3genE9ELNS1_11target_archE1100ELNS1_3gpuE3ELNS1_3repE0EEENS1_30default_config_static_selectorELNS0_4arch9wavefront6targetE1EEEvT1_.kd
    .uniform_work_group_size: 1
    .uses_dynamic_stack: false
    .vgpr_count:     0
    .vgpr_spill_count: 0
    .wavefront_size: 64
  - .agpr_count:     0
    .args:
      - .offset:         0
        .size:           104
        .value_kind:     by_value
    .group_segment_fixed_size: 0
    .kernarg_segment_align: 8
    .kernarg_segment_size: 104
    .language:       OpenCL C
    .language_version:
      - 2
      - 0
    .max_flat_workgroup_size: 128
    .name:           _ZN7rocprim17ROCPRIM_400000_NS6detail17trampoline_kernelINS0_14default_configENS1_20scan_config_selectorIdEEZZNS1_9scan_implILNS1_25lookback_scan_determinismE0ELb0ELb0ES3_PKdPddZZZN2at6native31launch_logcumsumexp_cuda_kernelERKNSB_10TensorBaseESF_lENKUlvE_clEvENKUlvE_clEvEUlddE_dEEDaPvRmT3_T4_T5_mT6_P12ihipStream_tbENKUlT_T0_E_clISt17integral_constantIbLb0EESV_IbLb1EEEEDaSR_SS_EUlSR_E_NS1_11comp_targetILNS1_3genE8ELNS1_11target_archE1030ELNS1_3gpuE2ELNS1_3repE0EEENS1_30default_config_static_selectorELNS0_4arch9wavefront6targetE1EEEvT1_
    .private_segment_fixed_size: 0
    .sgpr_count:     6
    .sgpr_spill_count: 0
    .symbol:         _ZN7rocprim17ROCPRIM_400000_NS6detail17trampoline_kernelINS0_14default_configENS1_20scan_config_selectorIdEEZZNS1_9scan_implILNS1_25lookback_scan_determinismE0ELb0ELb0ES3_PKdPddZZZN2at6native31launch_logcumsumexp_cuda_kernelERKNSB_10TensorBaseESF_lENKUlvE_clEvENKUlvE_clEvEUlddE_dEEDaPvRmT3_T4_T5_mT6_P12ihipStream_tbENKUlT_T0_E_clISt17integral_constantIbLb0EESV_IbLb1EEEEDaSR_SS_EUlSR_E_NS1_11comp_targetILNS1_3genE8ELNS1_11target_archE1030ELNS1_3gpuE2ELNS1_3repE0EEENS1_30default_config_static_selectorELNS0_4arch9wavefront6targetE1EEEvT1_.kd
    .uniform_work_group_size: 1
    .uses_dynamic_stack: false
    .vgpr_count:     0
    .vgpr_spill_count: 0
    .wavefront_size: 64
  - .agpr_count:     0
    .args:
      - .offset:         0
        .size:           40
        .value_kind:     by_value
    .group_segment_fixed_size: 0
    .kernarg_segment_align: 8
    .kernarg_segment_size: 40
    .language:       OpenCL C
    .language_version:
      - 2
      - 0
    .max_flat_workgroup_size: 256
    .name:           _ZN7rocprim17ROCPRIM_400000_NS6detail17trampoline_kernelINS0_14default_configENS1_20scan_config_selectorIdEEZZNS1_9scan_implILNS1_25lookback_scan_determinismE0ELb0ELb0ES3_PKdPddZZZN2at6native31launch_logcumsumexp_cuda_kernelERKNSB_10TensorBaseESF_lENKUlvE_clEvENKUlvE_clEvEUlddE_dEEDaPvRmT3_T4_T5_mT6_P12ihipStream_tbENKUlT_T0_E_clISt17integral_constantIbLb0EESV_IbLb1EEEEDaSR_SS_EUlSR_E0_NS1_11comp_targetILNS1_3genE0ELNS1_11target_archE4294967295ELNS1_3gpuE0ELNS1_3repE0EEENS1_30default_config_static_selectorELNS0_4arch9wavefront6targetE1EEEvT1_
    .private_segment_fixed_size: 0
    .sgpr_count:     6
    .sgpr_spill_count: 0
    .symbol:         _ZN7rocprim17ROCPRIM_400000_NS6detail17trampoline_kernelINS0_14default_configENS1_20scan_config_selectorIdEEZZNS1_9scan_implILNS1_25lookback_scan_determinismE0ELb0ELb0ES3_PKdPddZZZN2at6native31launch_logcumsumexp_cuda_kernelERKNSB_10TensorBaseESF_lENKUlvE_clEvENKUlvE_clEvEUlddE_dEEDaPvRmT3_T4_T5_mT6_P12ihipStream_tbENKUlT_T0_E_clISt17integral_constantIbLb0EESV_IbLb1EEEEDaSR_SS_EUlSR_E0_NS1_11comp_targetILNS1_3genE0ELNS1_11target_archE4294967295ELNS1_3gpuE0ELNS1_3repE0EEENS1_30default_config_static_selectorELNS0_4arch9wavefront6targetE1EEEvT1_.kd
    .uniform_work_group_size: 1
    .uses_dynamic_stack: false
    .vgpr_count:     0
    .vgpr_spill_count: 0
    .wavefront_size: 64
  - .agpr_count:     0
    .args:
      - .offset:         0
        .size:           40
        .value_kind:     by_value
    .group_segment_fixed_size: 30720
    .kernarg_segment_align: 8
    .kernarg_segment_size: 40
    .language:       OpenCL C
    .language_version:
      - 2
      - 0
    .max_flat_workgroup_size: 256
    .name:           _ZN7rocprim17ROCPRIM_400000_NS6detail17trampoline_kernelINS0_14default_configENS1_20scan_config_selectorIdEEZZNS1_9scan_implILNS1_25lookback_scan_determinismE0ELb0ELb0ES3_PKdPddZZZN2at6native31launch_logcumsumexp_cuda_kernelERKNSB_10TensorBaseESF_lENKUlvE_clEvENKUlvE_clEvEUlddE_dEEDaPvRmT3_T4_T5_mT6_P12ihipStream_tbENKUlT_T0_E_clISt17integral_constantIbLb0EESV_IbLb1EEEEDaSR_SS_EUlSR_E0_NS1_11comp_targetILNS1_3genE5ELNS1_11target_archE942ELNS1_3gpuE9ELNS1_3repE0EEENS1_30default_config_static_selectorELNS0_4arch9wavefront6targetE1EEEvT1_
    .private_segment_fixed_size: 0
    .sgpr_count:     84
    .sgpr_spill_count: 0
    .symbol:         _ZN7rocprim17ROCPRIM_400000_NS6detail17trampoline_kernelINS0_14default_configENS1_20scan_config_selectorIdEEZZNS1_9scan_implILNS1_25lookback_scan_determinismE0ELb0ELb0ES3_PKdPddZZZN2at6native31launch_logcumsumexp_cuda_kernelERKNSB_10TensorBaseESF_lENKUlvE_clEvENKUlvE_clEvEUlddE_dEEDaPvRmT3_T4_T5_mT6_P12ihipStream_tbENKUlT_T0_E_clISt17integral_constantIbLb0EESV_IbLb1EEEEDaSR_SS_EUlSR_E0_NS1_11comp_targetILNS1_3genE5ELNS1_11target_archE942ELNS1_3gpuE9ELNS1_3repE0EEENS1_30default_config_static_selectorELNS0_4arch9wavefront6targetE1EEEvT1_.kd
    .uniform_work_group_size: 1
    .uses_dynamic_stack: false
    .vgpr_count:     100
    .vgpr_spill_count: 0
    .wavefront_size: 64
  - .agpr_count:     0
    .args:
      - .offset:         0
        .size:           40
        .value_kind:     by_value
    .group_segment_fixed_size: 0
    .kernarg_segment_align: 8
    .kernarg_segment_size: 40
    .language:       OpenCL C
    .language_version:
      - 2
      - 0
    .max_flat_workgroup_size: 128
    .name:           _ZN7rocprim17ROCPRIM_400000_NS6detail17trampoline_kernelINS0_14default_configENS1_20scan_config_selectorIdEEZZNS1_9scan_implILNS1_25lookback_scan_determinismE0ELb0ELb0ES3_PKdPddZZZN2at6native31launch_logcumsumexp_cuda_kernelERKNSB_10TensorBaseESF_lENKUlvE_clEvENKUlvE_clEvEUlddE_dEEDaPvRmT3_T4_T5_mT6_P12ihipStream_tbENKUlT_T0_E_clISt17integral_constantIbLb0EESV_IbLb1EEEEDaSR_SS_EUlSR_E0_NS1_11comp_targetILNS1_3genE4ELNS1_11target_archE910ELNS1_3gpuE8ELNS1_3repE0EEENS1_30default_config_static_selectorELNS0_4arch9wavefront6targetE1EEEvT1_
    .private_segment_fixed_size: 0
    .sgpr_count:     6
    .sgpr_spill_count: 0
    .symbol:         _ZN7rocprim17ROCPRIM_400000_NS6detail17trampoline_kernelINS0_14default_configENS1_20scan_config_selectorIdEEZZNS1_9scan_implILNS1_25lookback_scan_determinismE0ELb0ELb0ES3_PKdPddZZZN2at6native31launch_logcumsumexp_cuda_kernelERKNSB_10TensorBaseESF_lENKUlvE_clEvENKUlvE_clEvEUlddE_dEEDaPvRmT3_T4_T5_mT6_P12ihipStream_tbENKUlT_T0_E_clISt17integral_constantIbLb0EESV_IbLb1EEEEDaSR_SS_EUlSR_E0_NS1_11comp_targetILNS1_3genE4ELNS1_11target_archE910ELNS1_3gpuE8ELNS1_3repE0EEENS1_30default_config_static_selectorELNS0_4arch9wavefront6targetE1EEEvT1_.kd
    .uniform_work_group_size: 1
    .uses_dynamic_stack: false
    .vgpr_count:     0
    .vgpr_spill_count: 0
    .wavefront_size: 64
  - .agpr_count:     0
    .args:
      - .offset:         0
        .size:           40
        .value_kind:     by_value
    .group_segment_fixed_size: 0
    .kernarg_segment_align: 8
    .kernarg_segment_size: 40
    .language:       OpenCL C
    .language_version:
      - 2
      - 0
    .max_flat_workgroup_size: 256
    .name:           _ZN7rocprim17ROCPRIM_400000_NS6detail17trampoline_kernelINS0_14default_configENS1_20scan_config_selectorIdEEZZNS1_9scan_implILNS1_25lookback_scan_determinismE0ELb0ELb0ES3_PKdPddZZZN2at6native31launch_logcumsumexp_cuda_kernelERKNSB_10TensorBaseESF_lENKUlvE_clEvENKUlvE_clEvEUlddE_dEEDaPvRmT3_T4_T5_mT6_P12ihipStream_tbENKUlT_T0_E_clISt17integral_constantIbLb0EESV_IbLb1EEEEDaSR_SS_EUlSR_E0_NS1_11comp_targetILNS1_3genE3ELNS1_11target_archE908ELNS1_3gpuE7ELNS1_3repE0EEENS1_30default_config_static_selectorELNS0_4arch9wavefront6targetE1EEEvT1_
    .private_segment_fixed_size: 0
    .sgpr_count:     6
    .sgpr_spill_count: 0
    .symbol:         _ZN7rocprim17ROCPRIM_400000_NS6detail17trampoline_kernelINS0_14default_configENS1_20scan_config_selectorIdEEZZNS1_9scan_implILNS1_25lookback_scan_determinismE0ELb0ELb0ES3_PKdPddZZZN2at6native31launch_logcumsumexp_cuda_kernelERKNSB_10TensorBaseESF_lENKUlvE_clEvENKUlvE_clEvEUlddE_dEEDaPvRmT3_T4_T5_mT6_P12ihipStream_tbENKUlT_T0_E_clISt17integral_constantIbLb0EESV_IbLb1EEEEDaSR_SS_EUlSR_E0_NS1_11comp_targetILNS1_3genE3ELNS1_11target_archE908ELNS1_3gpuE7ELNS1_3repE0EEENS1_30default_config_static_selectorELNS0_4arch9wavefront6targetE1EEEvT1_.kd
    .uniform_work_group_size: 1
    .uses_dynamic_stack: false
    .vgpr_count:     0
    .vgpr_spill_count: 0
    .wavefront_size: 64
  - .agpr_count:     0
    .args:
      - .offset:         0
        .size:           40
        .value_kind:     by_value
    .group_segment_fixed_size: 0
    .kernarg_segment_align: 8
    .kernarg_segment_size: 40
    .language:       OpenCL C
    .language_version:
      - 2
      - 0
    .max_flat_workgroup_size: 128
    .name:           _ZN7rocprim17ROCPRIM_400000_NS6detail17trampoline_kernelINS0_14default_configENS1_20scan_config_selectorIdEEZZNS1_9scan_implILNS1_25lookback_scan_determinismE0ELb0ELb0ES3_PKdPddZZZN2at6native31launch_logcumsumexp_cuda_kernelERKNSB_10TensorBaseESF_lENKUlvE_clEvENKUlvE_clEvEUlddE_dEEDaPvRmT3_T4_T5_mT6_P12ihipStream_tbENKUlT_T0_E_clISt17integral_constantIbLb0EESV_IbLb1EEEEDaSR_SS_EUlSR_E0_NS1_11comp_targetILNS1_3genE2ELNS1_11target_archE906ELNS1_3gpuE6ELNS1_3repE0EEENS1_30default_config_static_selectorELNS0_4arch9wavefront6targetE1EEEvT1_
    .private_segment_fixed_size: 0
    .sgpr_count:     6
    .sgpr_spill_count: 0
    .symbol:         _ZN7rocprim17ROCPRIM_400000_NS6detail17trampoline_kernelINS0_14default_configENS1_20scan_config_selectorIdEEZZNS1_9scan_implILNS1_25lookback_scan_determinismE0ELb0ELb0ES3_PKdPddZZZN2at6native31launch_logcumsumexp_cuda_kernelERKNSB_10TensorBaseESF_lENKUlvE_clEvENKUlvE_clEvEUlddE_dEEDaPvRmT3_T4_T5_mT6_P12ihipStream_tbENKUlT_T0_E_clISt17integral_constantIbLb0EESV_IbLb1EEEEDaSR_SS_EUlSR_E0_NS1_11comp_targetILNS1_3genE2ELNS1_11target_archE906ELNS1_3gpuE6ELNS1_3repE0EEENS1_30default_config_static_selectorELNS0_4arch9wavefront6targetE1EEEvT1_.kd
    .uniform_work_group_size: 1
    .uses_dynamic_stack: false
    .vgpr_count:     0
    .vgpr_spill_count: 0
    .wavefront_size: 64
  - .agpr_count:     0
    .args:
      - .offset:         0
        .size:           40
        .value_kind:     by_value
    .group_segment_fixed_size: 0
    .kernarg_segment_align: 8
    .kernarg_segment_size: 40
    .language:       OpenCL C
    .language_version:
      - 2
      - 0
    .max_flat_workgroup_size: 256
    .name:           _ZN7rocprim17ROCPRIM_400000_NS6detail17trampoline_kernelINS0_14default_configENS1_20scan_config_selectorIdEEZZNS1_9scan_implILNS1_25lookback_scan_determinismE0ELb0ELb0ES3_PKdPddZZZN2at6native31launch_logcumsumexp_cuda_kernelERKNSB_10TensorBaseESF_lENKUlvE_clEvENKUlvE_clEvEUlddE_dEEDaPvRmT3_T4_T5_mT6_P12ihipStream_tbENKUlT_T0_E_clISt17integral_constantIbLb0EESV_IbLb1EEEEDaSR_SS_EUlSR_E0_NS1_11comp_targetILNS1_3genE10ELNS1_11target_archE1201ELNS1_3gpuE5ELNS1_3repE0EEENS1_30default_config_static_selectorELNS0_4arch9wavefront6targetE1EEEvT1_
    .private_segment_fixed_size: 0
    .sgpr_count:     6
    .sgpr_spill_count: 0
    .symbol:         _ZN7rocprim17ROCPRIM_400000_NS6detail17trampoline_kernelINS0_14default_configENS1_20scan_config_selectorIdEEZZNS1_9scan_implILNS1_25lookback_scan_determinismE0ELb0ELb0ES3_PKdPddZZZN2at6native31launch_logcumsumexp_cuda_kernelERKNSB_10TensorBaseESF_lENKUlvE_clEvENKUlvE_clEvEUlddE_dEEDaPvRmT3_T4_T5_mT6_P12ihipStream_tbENKUlT_T0_E_clISt17integral_constantIbLb0EESV_IbLb1EEEEDaSR_SS_EUlSR_E0_NS1_11comp_targetILNS1_3genE10ELNS1_11target_archE1201ELNS1_3gpuE5ELNS1_3repE0EEENS1_30default_config_static_selectorELNS0_4arch9wavefront6targetE1EEEvT1_.kd
    .uniform_work_group_size: 1
    .uses_dynamic_stack: false
    .vgpr_count:     0
    .vgpr_spill_count: 0
    .wavefront_size: 64
  - .agpr_count:     0
    .args:
      - .offset:         0
        .size:           40
        .value_kind:     by_value
    .group_segment_fixed_size: 0
    .kernarg_segment_align: 8
    .kernarg_segment_size: 40
    .language:       OpenCL C
    .language_version:
      - 2
      - 0
    .max_flat_workgroup_size: 256
    .name:           _ZN7rocprim17ROCPRIM_400000_NS6detail17trampoline_kernelINS0_14default_configENS1_20scan_config_selectorIdEEZZNS1_9scan_implILNS1_25lookback_scan_determinismE0ELb0ELb0ES3_PKdPddZZZN2at6native31launch_logcumsumexp_cuda_kernelERKNSB_10TensorBaseESF_lENKUlvE_clEvENKUlvE_clEvEUlddE_dEEDaPvRmT3_T4_T5_mT6_P12ihipStream_tbENKUlT_T0_E_clISt17integral_constantIbLb0EESV_IbLb1EEEEDaSR_SS_EUlSR_E0_NS1_11comp_targetILNS1_3genE10ELNS1_11target_archE1200ELNS1_3gpuE4ELNS1_3repE0EEENS1_30default_config_static_selectorELNS0_4arch9wavefront6targetE1EEEvT1_
    .private_segment_fixed_size: 0
    .sgpr_count:     6
    .sgpr_spill_count: 0
    .symbol:         _ZN7rocprim17ROCPRIM_400000_NS6detail17trampoline_kernelINS0_14default_configENS1_20scan_config_selectorIdEEZZNS1_9scan_implILNS1_25lookback_scan_determinismE0ELb0ELb0ES3_PKdPddZZZN2at6native31launch_logcumsumexp_cuda_kernelERKNSB_10TensorBaseESF_lENKUlvE_clEvENKUlvE_clEvEUlddE_dEEDaPvRmT3_T4_T5_mT6_P12ihipStream_tbENKUlT_T0_E_clISt17integral_constantIbLb0EESV_IbLb1EEEEDaSR_SS_EUlSR_E0_NS1_11comp_targetILNS1_3genE10ELNS1_11target_archE1200ELNS1_3gpuE4ELNS1_3repE0EEENS1_30default_config_static_selectorELNS0_4arch9wavefront6targetE1EEEvT1_.kd
    .uniform_work_group_size: 1
    .uses_dynamic_stack: false
    .vgpr_count:     0
    .vgpr_spill_count: 0
    .wavefront_size: 64
  - .agpr_count:     0
    .args:
      - .offset:         0
        .size:           40
        .value_kind:     by_value
    .group_segment_fixed_size: 0
    .kernarg_segment_align: 8
    .kernarg_segment_size: 40
    .language:       OpenCL C
    .language_version:
      - 2
      - 0
    .max_flat_workgroup_size: 256
    .name:           _ZN7rocprim17ROCPRIM_400000_NS6detail17trampoline_kernelINS0_14default_configENS1_20scan_config_selectorIdEEZZNS1_9scan_implILNS1_25lookback_scan_determinismE0ELb0ELb0ES3_PKdPddZZZN2at6native31launch_logcumsumexp_cuda_kernelERKNSB_10TensorBaseESF_lENKUlvE_clEvENKUlvE_clEvEUlddE_dEEDaPvRmT3_T4_T5_mT6_P12ihipStream_tbENKUlT_T0_E_clISt17integral_constantIbLb0EESV_IbLb1EEEEDaSR_SS_EUlSR_E0_NS1_11comp_targetILNS1_3genE9ELNS1_11target_archE1100ELNS1_3gpuE3ELNS1_3repE0EEENS1_30default_config_static_selectorELNS0_4arch9wavefront6targetE1EEEvT1_
    .private_segment_fixed_size: 0
    .sgpr_count:     6
    .sgpr_spill_count: 0
    .symbol:         _ZN7rocprim17ROCPRIM_400000_NS6detail17trampoline_kernelINS0_14default_configENS1_20scan_config_selectorIdEEZZNS1_9scan_implILNS1_25lookback_scan_determinismE0ELb0ELb0ES3_PKdPddZZZN2at6native31launch_logcumsumexp_cuda_kernelERKNSB_10TensorBaseESF_lENKUlvE_clEvENKUlvE_clEvEUlddE_dEEDaPvRmT3_T4_T5_mT6_P12ihipStream_tbENKUlT_T0_E_clISt17integral_constantIbLb0EESV_IbLb1EEEEDaSR_SS_EUlSR_E0_NS1_11comp_targetILNS1_3genE9ELNS1_11target_archE1100ELNS1_3gpuE3ELNS1_3repE0EEENS1_30default_config_static_selectorELNS0_4arch9wavefront6targetE1EEEvT1_.kd
    .uniform_work_group_size: 1
    .uses_dynamic_stack: false
    .vgpr_count:     0
    .vgpr_spill_count: 0
    .wavefront_size: 64
  - .agpr_count:     0
    .args:
      - .offset:         0
        .size:           40
        .value_kind:     by_value
    .group_segment_fixed_size: 0
    .kernarg_segment_align: 8
    .kernarg_segment_size: 40
    .language:       OpenCL C
    .language_version:
      - 2
      - 0
    .max_flat_workgroup_size: 128
    .name:           _ZN7rocprim17ROCPRIM_400000_NS6detail17trampoline_kernelINS0_14default_configENS1_20scan_config_selectorIdEEZZNS1_9scan_implILNS1_25lookback_scan_determinismE0ELb0ELb0ES3_PKdPddZZZN2at6native31launch_logcumsumexp_cuda_kernelERKNSB_10TensorBaseESF_lENKUlvE_clEvENKUlvE_clEvEUlddE_dEEDaPvRmT3_T4_T5_mT6_P12ihipStream_tbENKUlT_T0_E_clISt17integral_constantIbLb0EESV_IbLb1EEEEDaSR_SS_EUlSR_E0_NS1_11comp_targetILNS1_3genE8ELNS1_11target_archE1030ELNS1_3gpuE2ELNS1_3repE0EEENS1_30default_config_static_selectorELNS0_4arch9wavefront6targetE1EEEvT1_
    .private_segment_fixed_size: 0
    .sgpr_count:     6
    .sgpr_spill_count: 0
    .symbol:         _ZN7rocprim17ROCPRIM_400000_NS6detail17trampoline_kernelINS0_14default_configENS1_20scan_config_selectorIdEEZZNS1_9scan_implILNS1_25lookback_scan_determinismE0ELb0ELb0ES3_PKdPddZZZN2at6native31launch_logcumsumexp_cuda_kernelERKNSB_10TensorBaseESF_lENKUlvE_clEvENKUlvE_clEvEUlddE_dEEDaPvRmT3_T4_T5_mT6_P12ihipStream_tbENKUlT_T0_E_clISt17integral_constantIbLb0EESV_IbLb1EEEEDaSR_SS_EUlSR_E0_NS1_11comp_targetILNS1_3genE8ELNS1_11target_archE1030ELNS1_3gpuE2ELNS1_3repE0EEENS1_30default_config_static_selectorELNS0_4arch9wavefront6targetE1EEEvT1_.kd
    .uniform_work_group_size: 1
    .uses_dynamic_stack: false
    .vgpr_count:     0
    .vgpr_spill_count: 0
    .wavefront_size: 64
  - .agpr_count:     0
    .args:
      - .address_space:  global
        .offset:         0
        .size:           8
        .value_kind:     global_buffer
      - .address_space:  global
        .offset:         8
        .size:           8
        .value_kind:     global_buffer
      - .offset:         16
        .size:           4
        .value_kind:     by_value
      - .offset:         20
        .size:           4
        .value_kind:     by_value
      - .offset:         24
        .size:           4
        .value_kind:     by_value
      - .offset:         32
        .size:           8
        .value_kind:     by_value
      - .offset:         40
        .size:           1
        .value_kind:     by_value
      - .offset:         48
        .size:           4
        .value_kind:     hidden_block_count_x
      - .offset:         52
        .size:           4
        .value_kind:     hidden_block_count_y
      - .offset:         56
        .size:           4
        .value_kind:     hidden_block_count_z
      - .offset:         60
        .size:           2
        .value_kind:     hidden_group_size_x
      - .offset:         62
        .size:           2
        .value_kind:     hidden_group_size_y
      - .offset:         64
        .size:           2
        .value_kind:     hidden_group_size_z
      - .offset:         66
        .size:           2
        .value_kind:     hidden_remainder_x
      - .offset:         68
        .size:           2
        .value_kind:     hidden_remainder_y
      - .offset:         70
        .size:           2
        .value_kind:     hidden_remainder_z
      - .offset:         88
        .size:           8
        .value_kind:     hidden_global_offset_x
      - .offset:         96
        .size:           8
        .value_kind:     hidden_global_offset_y
      - .offset:         104
        .size:           8
        .value_kind:     hidden_global_offset_z
      - .offset:         112
        .size:           2
        .value_kind:     hidden_grid_dims
      - .offset:         168
        .size:           4
        .value_kind:     hidden_dynamic_lds_size
    .group_segment_fixed_size: 0
    .kernarg_segment_align: 8
    .kernarg_segment_size: 304
    .language:       OpenCL C
    .language_version:
      - 2
      - 0
    .max_flat_workgroup_size: 1024
    .name:           _ZN2at6native32tensor_kernel_scan_innermost_dimIdZZZNS0_31launch_logcumsumexp_cuda_kernelERKNS_10TensorBaseES4_lENKUlvE_clEvENKUlvE_clEvEUlddE_EEvPT_PKS8_jjjS8_T0_
    .private_segment_fixed_size: 0
    .sgpr_count:     66
    .sgpr_spill_count: 0
    .symbol:         _ZN2at6native32tensor_kernel_scan_innermost_dimIdZZZNS0_31launch_logcumsumexp_cuda_kernelERKNS_10TensorBaseES4_lENKUlvE_clEvENKUlvE_clEvEUlddE_EEvPT_PKS8_jjjS8_T0_.kd
    .uniform_work_group_size: 1
    .uses_dynamic_stack: false
    .vgpr_count:     76
    .vgpr_spill_count: 0
    .wavefront_size: 64
  - .agpr_count:     0
    .args:
      - .address_space:  global
        .offset:         0
        .size:           8
        .value_kind:     global_buffer
      - .address_space:  global
        .offset:         8
        .size:           8
        .value_kind:     global_buffer
      - .offset:         16
        .size:           4
        .value_kind:     by_value
      - .offset:         20
        .size:           4
        .value_kind:     by_value
      - .offset:         24
        .size:           4
        .value_kind:     by_value
      - .offset:         32
        .size:           8
        .value_kind:     by_value
      - .offset:         40
        .size:           1
        .value_kind:     by_value
      - .offset:         48
        .size:           4
        .value_kind:     hidden_block_count_x
      - .offset:         52
        .size:           4
        .value_kind:     hidden_block_count_y
      - .offset:         56
        .size:           4
        .value_kind:     hidden_block_count_z
      - .offset:         60
        .size:           2
        .value_kind:     hidden_group_size_x
      - .offset:         62
        .size:           2
        .value_kind:     hidden_group_size_y
      - .offset:         64
        .size:           2
        .value_kind:     hidden_group_size_z
      - .offset:         66
        .size:           2
        .value_kind:     hidden_remainder_x
      - .offset:         68
        .size:           2
        .value_kind:     hidden_remainder_y
      - .offset:         70
        .size:           2
        .value_kind:     hidden_remainder_z
      - .offset:         88
        .size:           8
        .value_kind:     hidden_global_offset_x
      - .offset:         96
        .size:           8
        .value_kind:     hidden_global_offset_y
      - .offset:         104
        .size:           8
        .value_kind:     hidden_global_offset_z
      - .offset:         112
        .size:           2
        .value_kind:     hidden_grid_dims
    .group_segment_fixed_size: 0
    .kernarg_segment_align: 8
    .kernarg_segment_size: 304
    .language:       OpenCL C
    .language_version:
      - 2
      - 0
    .max_flat_workgroup_size: 1024
    .name:           _ZN2at6native28tensor_kernel_scan_outer_dimIdjZZZNS0_31launch_logcumsumexp_cuda_kernelERKNS_10TensorBaseES4_lENKUlvE_clEvENKUlvE_clEvEUlddE_EEvPT_PKS8_jjjS8_T1_
    .private_segment_fixed_size: 0
    .sgpr_count:     65
    .sgpr_spill_count: 0
    .symbol:         _ZN2at6native28tensor_kernel_scan_outer_dimIdjZZZNS0_31launch_logcumsumexp_cuda_kernelERKNS_10TensorBaseES4_lENKUlvE_clEvENKUlvE_clEvEUlddE_EEvPT_PKS8_jjjS8_T1_.kd
    .uniform_work_group_size: 1
    .uses_dynamic_stack: false
    .vgpr_count:     62
    .vgpr_spill_count: 0
    .wavefront_size: 64
  - .agpr_count:     0
    .args:
      - .address_space:  global
        .offset:         0
        .size:           8
        .value_kind:     global_buffer
      - .address_space:  global
        .offset:         8
        .size:           8
        .value_kind:     global_buffer
      - .offset:         16
        .size:           4
        .value_kind:     by_value
      - .offset:         20
        .size:           4
        .value_kind:     by_value
      - .offset:         24
        .size:           4
        .value_kind:     by_value
      - .offset:         32
        .size:           8
        .value_kind:     by_value
      - .offset:         40
        .size:           1
        .value_kind:     by_value
      - .offset:         48
        .size:           4
        .value_kind:     hidden_block_count_x
      - .offset:         52
        .size:           4
        .value_kind:     hidden_block_count_y
      - .offset:         56
        .size:           4
        .value_kind:     hidden_block_count_z
      - .offset:         60
        .size:           2
        .value_kind:     hidden_group_size_x
      - .offset:         62
        .size:           2
        .value_kind:     hidden_group_size_y
      - .offset:         64
        .size:           2
        .value_kind:     hidden_group_size_z
      - .offset:         66
        .size:           2
        .value_kind:     hidden_remainder_x
      - .offset:         68
        .size:           2
        .value_kind:     hidden_remainder_y
      - .offset:         70
        .size:           2
        .value_kind:     hidden_remainder_z
      - .offset:         88
        .size:           8
        .value_kind:     hidden_global_offset_x
      - .offset:         96
        .size:           8
        .value_kind:     hidden_global_offset_y
      - .offset:         104
        .size:           8
        .value_kind:     hidden_global_offset_z
      - .offset:         112
        .size:           2
        .value_kind:     hidden_grid_dims
    .group_segment_fixed_size: 0
    .kernarg_segment_align: 8
    .kernarg_segment_size: 304
    .language:       OpenCL C
    .language_version:
      - 2
      - 0
    .max_flat_workgroup_size: 1024
    .name:           _ZN2at6native28tensor_kernel_scan_outer_dimIdmZZZNS0_31launch_logcumsumexp_cuda_kernelERKNS_10TensorBaseES4_lENKUlvE_clEvENKUlvE_clEvEUlddE_EEvPT_PKS8_jjjS8_T1_
    .private_segment_fixed_size: 0
    .sgpr_count:     64
    .sgpr_spill_count: 0
    .symbol:         _ZN2at6native28tensor_kernel_scan_outer_dimIdmZZZNS0_31launch_logcumsumexp_cuda_kernelERKNS_10TensorBaseES4_lENKUlvE_clEvENKUlvE_clEvEUlddE_EEvPT_PKS8_jjjS8_T1_.kd
    .uniform_work_group_size: 1
    .uses_dynamic_stack: false
    .vgpr_count:     62
    .vgpr_spill_count: 0
    .wavefront_size: 64
  - .agpr_count:     0
    .args:
      - .address_space:  global
        .offset:         0
        .size:           8
        .value_kind:     global_buffer
      - .offset:         8
        .size:           4
        .value_kind:     by_value
      - .offset:         12
        .size:           1
        .value_kind:     by_value
      - .offset:         16
        .size:           4
        .value_kind:     by_value
      - .address_space:  global
        .offset:         24
        .size:           8
        .value_kind:     global_buffer
      - .offset:         32
        .size:           4
        .value_kind:     hidden_block_count_x
      - .offset:         36
        .size:           4
        .value_kind:     hidden_block_count_y
      - .offset:         40
        .size:           4
        .value_kind:     hidden_block_count_z
      - .offset:         44
        .size:           2
        .value_kind:     hidden_group_size_x
      - .offset:         46
        .size:           2
        .value_kind:     hidden_group_size_y
      - .offset:         48
        .size:           2
        .value_kind:     hidden_group_size_z
      - .offset:         50
        .size:           2
        .value_kind:     hidden_remainder_x
      - .offset:         52
        .size:           2
        .value_kind:     hidden_remainder_y
      - .offset:         54
        .size:           2
        .value_kind:     hidden_remainder_z
      - .offset:         72
        .size:           8
        .value_kind:     hidden_global_offset_x
      - .offset:         80
        .size:           8
        .value_kind:     hidden_global_offset_y
      - .offset:         88
        .size:           8
        .value_kind:     hidden_global_offset_z
      - .offset:         96
        .size:           2
        .value_kind:     hidden_grid_dims
    .group_segment_fixed_size: 0
    .kernarg_segment_align: 8
    .kernarg_segment_size: 288
    .language:       OpenCL C
    .language_version:
      - 2
      - 0
    .max_flat_workgroup_size: 256
    .name:           _ZN7rocprim17ROCPRIM_400000_NS6detail31init_lookback_scan_state_kernelINS1_19lookback_scan_stateIfLb0ELb1EEENS1_16block_id_wrapperIjLb0EEEEEvT_jT0_jPNS7_10value_typeE
    .private_segment_fixed_size: 0
    .sgpr_count:     15
    .sgpr_spill_count: 0
    .symbol:         _ZN7rocprim17ROCPRIM_400000_NS6detail31init_lookback_scan_state_kernelINS1_19lookback_scan_stateIfLb0ELb1EEENS1_16block_id_wrapperIjLb0EEEEEvT_jT0_jPNS7_10value_typeE.kd
    .uniform_work_group_size: 1
    .uses_dynamic_stack: false
    .vgpr_count:     6
    .vgpr_spill_count: 0
    .wavefront_size: 64
  - .agpr_count:     0
    .args:
      - .offset:         0
        .size:           96
        .value_kind:     by_value
    .group_segment_fixed_size: 0
    .kernarg_segment_align: 8
    .kernarg_segment_size: 96
    .language:       OpenCL C
    .language_version:
      - 2
      - 0
    .max_flat_workgroup_size: 256
    .name:           _ZN7rocprim17ROCPRIM_400000_NS6detail17trampoline_kernelINS0_14default_configENS1_20scan_config_selectorIfEEZZNS1_9scan_implILNS1_25lookback_scan_determinismE0ELb0ELb0ES3_PKfPffZZZN2at6native31launch_logcumsumexp_cuda_kernelERKNSB_10TensorBaseESF_lENKUlvE_clEvENKUlvE0_clEvEUlffE_fEEDaPvRmT3_T4_T5_mT6_P12ihipStream_tbENKUlT_T0_E_clISt17integral_constantIbLb0EESW_EEDaSR_SS_EUlSR_E_NS1_11comp_targetILNS1_3genE0ELNS1_11target_archE4294967295ELNS1_3gpuE0ELNS1_3repE0EEENS1_30default_config_static_selectorELNS0_4arch9wavefront6targetE1EEEvT1_
    .private_segment_fixed_size: 0
    .sgpr_count:     6
    .sgpr_spill_count: 0
    .symbol:         _ZN7rocprim17ROCPRIM_400000_NS6detail17trampoline_kernelINS0_14default_configENS1_20scan_config_selectorIfEEZZNS1_9scan_implILNS1_25lookback_scan_determinismE0ELb0ELb0ES3_PKfPffZZZN2at6native31launch_logcumsumexp_cuda_kernelERKNSB_10TensorBaseESF_lENKUlvE_clEvENKUlvE0_clEvEUlffE_fEEDaPvRmT3_T4_T5_mT6_P12ihipStream_tbENKUlT_T0_E_clISt17integral_constantIbLb0EESW_EEDaSR_SS_EUlSR_E_NS1_11comp_targetILNS1_3genE0ELNS1_11target_archE4294967295ELNS1_3gpuE0ELNS1_3repE0EEENS1_30default_config_static_selectorELNS0_4arch9wavefront6targetE1EEEvT1_.kd
    .uniform_work_group_size: 1
    .uses_dynamic_stack: false
    .vgpr_count:     0
    .vgpr_spill_count: 0
    .wavefront_size: 64
  - .agpr_count:     0
    .args:
      - .offset:         0
        .size:           96
        .value_kind:     by_value
      - .offset:         96
        .size:           4
        .value_kind:     hidden_block_count_x
      - .offset:         100
        .size:           4
        .value_kind:     hidden_block_count_y
      - .offset:         104
        .size:           4
        .value_kind:     hidden_block_count_z
      - .offset:         108
        .size:           2
        .value_kind:     hidden_group_size_x
      - .offset:         110
        .size:           2
        .value_kind:     hidden_group_size_y
      - .offset:         112
        .size:           2
        .value_kind:     hidden_group_size_z
      - .offset:         114
        .size:           2
        .value_kind:     hidden_remainder_x
      - .offset:         116
        .size:           2
        .value_kind:     hidden_remainder_y
      - .offset:         118
        .size:           2
        .value_kind:     hidden_remainder_z
      - .offset:         136
        .size:           8
        .value_kind:     hidden_global_offset_x
      - .offset:         144
        .size:           8
        .value_kind:     hidden_global_offset_y
      - .offset:         152
        .size:           8
        .value_kind:     hidden_global_offset_z
      - .offset:         160
        .size:           2
        .value_kind:     hidden_grid_dims
    .group_segment_fixed_size: 24576
    .kernarg_segment_align: 8
    .kernarg_segment_size: 352
    .language:       OpenCL C
    .language_version:
      - 2
      - 0
    .max_flat_workgroup_size: 256
    .name:           _ZN7rocprim17ROCPRIM_400000_NS6detail17trampoline_kernelINS0_14default_configENS1_20scan_config_selectorIfEEZZNS1_9scan_implILNS1_25lookback_scan_determinismE0ELb0ELb0ES3_PKfPffZZZN2at6native31launch_logcumsumexp_cuda_kernelERKNSB_10TensorBaseESF_lENKUlvE_clEvENKUlvE0_clEvEUlffE_fEEDaPvRmT3_T4_T5_mT6_P12ihipStream_tbENKUlT_T0_E_clISt17integral_constantIbLb0EESW_EEDaSR_SS_EUlSR_E_NS1_11comp_targetILNS1_3genE5ELNS1_11target_archE942ELNS1_3gpuE9ELNS1_3repE0EEENS1_30default_config_static_selectorELNS0_4arch9wavefront6targetE1EEEvT1_
    .private_segment_fixed_size: 120
    .sgpr_count:     84
    .sgpr_spill_count: 0
    .symbol:         _ZN7rocprim17ROCPRIM_400000_NS6detail17trampoline_kernelINS0_14default_configENS1_20scan_config_selectorIfEEZZNS1_9scan_implILNS1_25lookback_scan_determinismE0ELb0ELb0ES3_PKfPffZZZN2at6native31launch_logcumsumexp_cuda_kernelERKNSB_10TensorBaseESF_lENKUlvE_clEvENKUlvE0_clEvEUlffE_fEEDaPvRmT3_T4_T5_mT6_P12ihipStream_tbENKUlT_T0_E_clISt17integral_constantIbLb0EESW_EEDaSR_SS_EUlSR_E_NS1_11comp_targetILNS1_3genE5ELNS1_11target_archE942ELNS1_3gpuE9ELNS1_3repE0EEENS1_30default_config_static_selectorELNS0_4arch9wavefront6targetE1EEEvT1_.kd
    .uniform_work_group_size: 1
    .uses_dynamic_stack: false
    .vgpr_count:     184
    .vgpr_spill_count: 0
    .wavefront_size: 64
  - .agpr_count:     0
    .args:
      - .offset:         0
        .size:           96
        .value_kind:     by_value
    .group_segment_fixed_size: 0
    .kernarg_segment_align: 8
    .kernarg_segment_size: 96
    .language:       OpenCL C
    .language_version:
      - 2
      - 0
    .max_flat_workgroup_size: 128
    .name:           _ZN7rocprim17ROCPRIM_400000_NS6detail17trampoline_kernelINS0_14default_configENS1_20scan_config_selectorIfEEZZNS1_9scan_implILNS1_25lookback_scan_determinismE0ELb0ELb0ES3_PKfPffZZZN2at6native31launch_logcumsumexp_cuda_kernelERKNSB_10TensorBaseESF_lENKUlvE_clEvENKUlvE0_clEvEUlffE_fEEDaPvRmT3_T4_T5_mT6_P12ihipStream_tbENKUlT_T0_E_clISt17integral_constantIbLb0EESW_EEDaSR_SS_EUlSR_E_NS1_11comp_targetILNS1_3genE4ELNS1_11target_archE910ELNS1_3gpuE8ELNS1_3repE0EEENS1_30default_config_static_selectorELNS0_4arch9wavefront6targetE1EEEvT1_
    .private_segment_fixed_size: 0
    .sgpr_count:     6
    .sgpr_spill_count: 0
    .symbol:         _ZN7rocprim17ROCPRIM_400000_NS6detail17trampoline_kernelINS0_14default_configENS1_20scan_config_selectorIfEEZZNS1_9scan_implILNS1_25lookback_scan_determinismE0ELb0ELb0ES3_PKfPffZZZN2at6native31launch_logcumsumexp_cuda_kernelERKNSB_10TensorBaseESF_lENKUlvE_clEvENKUlvE0_clEvEUlffE_fEEDaPvRmT3_T4_T5_mT6_P12ihipStream_tbENKUlT_T0_E_clISt17integral_constantIbLb0EESW_EEDaSR_SS_EUlSR_E_NS1_11comp_targetILNS1_3genE4ELNS1_11target_archE910ELNS1_3gpuE8ELNS1_3repE0EEENS1_30default_config_static_selectorELNS0_4arch9wavefront6targetE1EEEvT1_.kd
    .uniform_work_group_size: 1
    .uses_dynamic_stack: false
    .vgpr_count:     0
    .vgpr_spill_count: 0
    .wavefront_size: 64
  - .agpr_count:     0
    .args:
      - .offset:         0
        .size:           96
        .value_kind:     by_value
    .group_segment_fixed_size: 0
    .kernarg_segment_align: 8
    .kernarg_segment_size: 96
    .language:       OpenCL C
    .language_version:
      - 2
      - 0
    .max_flat_workgroup_size: 256
    .name:           _ZN7rocprim17ROCPRIM_400000_NS6detail17trampoline_kernelINS0_14default_configENS1_20scan_config_selectorIfEEZZNS1_9scan_implILNS1_25lookback_scan_determinismE0ELb0ELb0ES3_PKfPffZZZN2at6native31launch_logcumsumexp_cuda_kernelERKNSB_10TensorBaseESF_lENKUlvE_clEvENKUlvE0_clEvEUlffE_fEEDaPvRmT3_T4_T5_mT6_P12ihipStream_tbENKUlT_T0_E_clISt17integral_constantIbLb0EESW_EEDaSR_SS_EUlSR_E_NS1_11comp_targetILNS1_3genE3ELNS1_11target_archE908ELNS1_3gpuE7ELNS1_3repE0EEENS1_30default_config_static_selectorELNS0_4arch9wavefront6targetE1EEEvT1_
    .private_segment_fixed_size: 0
    .sgpr_count:     6
    .sgpr_spill_count: 0
    .symbol:         _ZN7rocprim17ROCPRIM_400000_NS6detail17trampoline_kernelINS0_14default_configENS1_20scan_config_selectorIfEEZZNS1_9scan_implILNS1_25lookback_scan_determinismE0ELb0ELb0ES3_PKfPffZZZN2at6native31launch_logcumsumexp_cuda_kernelERKNSB_10TensorBaseESF_lENKUlvE_clEvENKUlvE0_clEvEUlffE_fEEDaPvRmT3_T4_T5_mT6_P12ihipStream_tbENKUlT_T0_E_clISt17integral_constantIbLb0EESW_EEDaSR_SS_EUlSR_E_NS1_11comp_targetILNS1_3genE3ELNS1_11target_archE908ELNS1_3gpuE7ELNS1_3repE0EEENS1_30default_config_static_selectorELNS0_4arch9wavefront6targetE1EEEvT1_.kd
    .uniform_work_group_size: 1
    .uses_dynamic_stack: false
    .vgpr_count:     0
    .vgpr_spill_count: 0
    .wavefront_size: 64
  - .agpr_count:     0
    .args:
      - .offset:         0
        .size:           96
        .value_kind:     by_value
    .group_segment_fixed_size: 0
    .kernarg_segment_align: 8
    .kernarg_segment_size: 96
    .language:       OpenCL C
    .language_version:
      - 2
      - 0
    .max_flat_workgroup_size: 256
    .name:           _ZN7rocprim17ROCPRIM_400000_NS6detail17trampoline_kernelINS0_14default_configENS1_20scan_config_selectorIfEEZZNS1_9scan_implILNS1_25lookback_scan_determinismE0ELb0ELb0ES3_PKfPffZZZN2at6native31launch_logcumsumexp_cuda_kernelERKNSB_10TensorBaseESF_lENKUlvE_clEvENKUlvE0_clEvEUlffE_fEEDaPvRmT3_T4_T5_mT6_P12ihipStream_tbENKUlT_T0_E_clISt17integral_constantIbLb0EESW_EEDaSR_SS_EUlSR_E_NS1_11comp_targetILNS1_3genE2ELNS1_11target_archE906ELNS1_3gpuE6ELNS1_3repE0EEENS1_30default_config_static_selectorELNS0_4arch9wavefront6targetE1EEEvT1_
    .private_segment_fixed_size: 0
    .sgpr_count:     6
    .sgpr_spill_count: 0
    .symbol:         _ZN7rocprim17ROCPRIM_400000_NS6detail17trampoline_kernelINS0_14default_configENS1_20scan_config_selectorIfEEZZNS1_9scan_implILNS1_25lookback_scan_determinismE0ELb0ELb0ES3_PKfPffZZZN2at6native31launch_logcumsumexp_cuda_kernelERKNSB_10TensorBaseESF_lENKUlvE_clEvENKUlvE0_clEvEUlffE_fEEDaPvRmT3_T4_T5_mT6_P12ihipStream_tbENKUlT_T0_E_clISt17integral_constantIbLb0EESW_EEDaSR_SS_EUlSR_E_NS1_11comp_targetILNS1_3genE2ELNS1_11target_archE906ELNS1_3gpuE6ELNS1_3repE0EEENS1_30default_config_static_selectorELNS0_4arch9wavefront6targetE1EEEvT1_.kd
    .uniform_work_group_size: 1
    .uses_dynamic_stack: false
    .vgpr_count:     0
    .vgpr_spill_count: 0
    .wavefront_size: 64
  - .agpr_count:     0
    .args:
      - .offset:         0
        .size:           96
        .value_kind:     by_value
    .group_segment_fixed_size: 0
    .kernarg_segment_align: 8
    .kernarg_segment_size: 96
    .language:       OpenCL C
    .language_version:
      - 2
      - 0
    .max_flat_workgroup_size: 256
    .name:           _ZN7rocprim17ROCPRIM_400000_NS6detail17trampoline_kernelINS0_14default_configENS1_20scan_config_selectorIfEEZZNS1_9scan_implILNS1_25lookback_scan_determinismE0ELb0ELb0ES3_PKfPffZZZN2at6native31launch_logcumsumexp_cuda_kernelERKNSB_10TensorBaseESF_lENKUlvE_clEvENKUlvE0_clEvEUlffE_fEEDaPvRmT3_T4_T5_mT6_P12ihipStream_tbENKUlT_T0_E_clISt17integral_constantIbLb0EESW_EEDaSR_SS_EUlSR_E_NS1_11comp_targetILNS1_3genE10ELNS1_11target_archE1201ELNS1_3gpuE5ELNS1_3repE0EEENS1_30default_config_static_selectorELNS0_4arch9wavefront6targetE1EEEvT1_
    .private_segment_fixed_size: 0
    .sgpr_count:     6
    .sgpr_spill_count: 0
    .symbol:         _ZN7rocprim17ROCPRIM_400000_NS6detail17trampoline_kernelINS0_14default_configENS1_20scan_config_selectorIfEEZZNS1_9scan_implILNS1_25lookback_scan_determinismE0ELb0ELb0ES3_PKfPffZZZN2at6native31launch_logcumsumexp_cuda_kernelERKNSB_10TensorBaseESF_lENKUlvE_clEvENKUlvE0_clEvEUlffE_fEEDaPvRmT3_T4_T5_mT6_P12ihipStream_tbENKUlT_T0_E_clISt17integral_constantIbLb0EESW_EEDaSR_SS_EUlSR_E_NS1_11comp_targetILNS1_3genE10ELNS1_11target_archE1201ELNS1_3gpuE5ELNS1_3repE0EEENS1_30default_config_static_selectorELNS0_4arch9wavefront6targetE1EEEvT1_.kd
    .uniform_work_group_size: 1
    .uses_dynamic_stack: false
    .vgpr_count:     0
    .vgpr_spill_count: 0
    .wavefront_size: 64
  - .agpr_count:     0
    .args:
      - .offset:         0
        .size:           96
        .value_kind:     by_value
    .group_segment_fixed_size: 0
    .kernarg_segment_align: 8
    .kernarg_segment_size: 96
    .language:       OpenCL C
    .language_version:
      - 2
      - 0
    .max_flat_workgroup_size: 256
    .name:           _ZN7rocprim17ROCPRIM_400000_NS6detail17trampoline_kernelINS0_14default_configENS1_20scan_config_selectorIfEEZZNS1_9scan_implILNS1_25lookback_scan_determinismE0ELb0ELb0ES3_PKfPffZZZN2at6native31launch_logcumsumexp_cuda_kernelERKNSB_10TensorBaseESF_lENKUlvE_clEvENKUlvE0_clEvEUlffE_fEEDaPvRmT3_T4_T5_mT6_P12ihipStream_tbENKUlT_T0_E_clISt17integral_constantIbLb0EESW_EEDaSR_SS_EUlSR_E_NS1_11comp_targetILNS1_3genE10ELNS1_11target_archE1200ELNS1_3gpuE4ELNS1_3repE0EEENS1_30default_config_static_selectorELNS0_4arch9wavefront6targetE1EEEvT1_
    .private_segment_fixed_size: 0
    .sgpr_count:     6
    .sgpr_spill_count: 0
    .symbol:         _ZN7rocprim17ROCPRIM_400000_NS6detail17trampoline_kernelINS0_14default_configENS1_20scan_config_selectorIfEEZZNS1_9scan_implILNS1_25lookback_scan_determinismE0ELb0ELb0ES3_PKfPffZZZN2at6native31launch_logcumsumexp_cuda_kernelERKNSB_10TensorBaseESF_lENKUlvE_clEvENKUlvE0_clEvEUlffE_fEEDaPvRmT3_T4_T5_mT6_P12ihipStream_tbENKUlT_T0_E_clISt17integral_constantIbLb0EESW_EEDaSR_SS_EUlSR_E_NS1_11comp_targetILNS1_3genE10ELNS1_11target_archE1200ELNS1_3gpuE4ELNS1_3repE0EEENS1_30default_config_static_selectorELNS0_4arch9wavefront6targetE1EEEvT1_.kd
    .uniform_work_group_size: 1
    .uses_dynamic_stack: false
    .vgpr_count:     0
    .vgpr_spill_count: 0
    .wavefront_size: 64
  - .agpr_count:     0
    .args:
      - .offset:         0
        .size:           96
        .value_kind:     by_value
    .group_segment_fixed_size: 0
    .kernarg_segment_align: 8
    .kernarg_segment_size: 96
    .language:       OpenCL C
    .language_version:
      - 2
      - 0
    .max_flat_workgroup_size: 256
    .name:           _ZN7rocprim17ROCPRIM_400000_NS6detail17trampoline_kernelINS0_14default_configENS1_20scan_config_selectorIfEEZZNS1_9scan_implILNS1_25lookback_scan_determinismE0ELb0ELb0ES3_PKfPffZZZN2at6native31launch_logcumsumexp_cuda_kernelERKNSB_10TensorBaseESF_lENKUlvE_clEvENKUlvE0_clEvEUlffE_fEEDaPvRmT3_T4_T5_mT6_P12ihipStream_tbENKUlT_T0_E_clISt17integral_constantIbLb0EESW_EEDaSR_SS_EUlSR_E_NS1_11comp_targetILNS1_3genE9ELNS1_11target_archE1100ELNS1_3gpuE3ELNS1_3repE0EEENS1_30default_config_static_selectorELNS0_4arch9wavefront6targetE1EEEvT1_
    .private_segment_fixed_size: 0
    .sgpr_count:     6
    .sgpr_spill_count: 0
    .symbol:         _ZN7rocprim17ROCPRIM_400000_NS6detail17trampoline_kernelINS0_14default_configENS1_20scan_config_selectorIfEEZZNS1_9scan_implILNS1_25lookback_scan_determinismE0ELb0ELb0ES3_PKfPffZZZN2at6native31launch_logcumsumexp_cuda_kernelERKNSB_10TensorBaseESF_lENKUlvE_clEvENKUlvE0_clEvEUlffE_fEEDaPvRmT3_T4_T5_mT6_P12ihipStream_tbENKUlT_T0_E_clISt17integral_constantIbLb0EESW_EEDaSR_SS_EUlSR_E_NS1_11comp_targetILNS1_3genE9ELNS1_11target_archE1100ELNS1_3gpuE3ELNS1_3repE0EEENS1_30default_config_static_selectorELNS0_4arch9wavefront6targetE1EEEvT1_.kd
    .uniform_work_group_size: 1
    .uses_dynamic_stack: false
    .vgpr_count:     0
    .vgpr_spill_count: 0
    .wavefront_size: 64
  - .agpr_count:     0
    .args:
      - .offset:         0
        .size:           96
        .value_kind:     by_value
    .group_segment_fixed_size: 0
    .kernarg_segment_align: 8
    .kernarg_segment_size: 96
    .language:       OpenCL C
    .language_version:
      - 2
      - 0
    .max_flat_workgroup_size: 64
    .name:           _ZN7rocprim17ROCPRIM_400000_NS6detail17trampoline_kernelINS0_14default_configENS1_20scan_config_selectorIfEEZZNS1_9scan_implILNS1_25lookback_scan_determinismE0ELb0ELb0ES3_PKfPffZZZN2at6native31launch_logcumsumexp_cuda_kernelERKNSB_10TensorBaseESF_lENKUlvE_clEvENKUlvE0_clEvEUlffE_fEEDaPvRmT3_T4_T5_mT6_P12ihipStream_tbENKUlT_T0_E_clISt17integral_constantIbLb0EESW_EEDaSR_SS_EUlSR_E_NS1_11comp_targetILNS1_3genE8ELNS1_11target_archE1030ELNS1_3gpuE2ELNS1_3repE0EEENS1_30default_config_static_selectorELNS0_4arch9wavefront6targetE1EEEvT1_
    .private_segment_fixed_size: 0
    .sgpr_count:     6
    .sgpr_spill_count: 0
    .symbol:         _ZN7rocprim17ROCPRIM_400000_NS6detail17trampoline_kernelINS0_14default_configENS1_20scan_config_selectorIfEEZZNS1_9scan_implILNS1_25lookback_scan_determinismE0ELb0ELb0ES3_PKfPffZZZN2at6native31launch_logcumsumexp_cuda_kernelERKNSB_10TensorBaseESF_lENKUlvE_clEvENKUlvE0_clEvEUlffE_fEEDaPvRmT3_T4_T5_mT6_P12ihipStream_tbENKUlT_T0_E_clISt17integral_constantIbLb0EESW_EEDaSR_SS_EUlSR_E_NS1_11comp_targetILNS1_3genE8ELNS1_11target_archE1030ELNS1_3gpuE2ELNS1_3repE0EEENS1_30default_config_static_selectorELNS0_4arch9wavefront6targetE1EEEvT1_.kd
    .uniform_work_group_size: 1
    .uses_dynamic_stack: false
    .vgpr_count:     0
    .vgpr_spill_count: 0
    .wavefront_size: 64
  - .agpr_count:     0
    .args:
      - .offset:         0
        .size:           40
        .value_kind:     by_value
    .group_segment_fixed_size: 0
    .kernarg_segment_align: 8
    .kernarg_segment_size: 40
    .language:       OpenCL C
    .language_version:
      - 2
      - 0
    .max_flat_workgroup_size: 128
    .name:           _ZN7rocprim17ROCPRIM_400000_NS6detail17trampoline_kernelINS0_14default_configENS1_25transform_config_selectorIfLb1EEEZNS1_14transform_implILb1ES3_S5_PfS7_NS0_8identityIfEEEE10hipError_tT2_T3_mT4_P12ihipStream_tbEUlT_E_NS1_11comp_targetILNS1_3genE0ELNS1_11target_archE4294967295ELNS1_3gpuE0ELNS1_3repE0EEENS1_30default_config_static_selectorELNS0_4arch9wavefront6targetE1EEEvT1_
    .private_segment_fixed_size: 0
    .sgpr_count:     6
    .sgpr_spill_count: 0
    .symbol:         _ZN7rocprim17ROCPRIM_400000_NS6detail17trampoline_kernelINS0_14default_configENS1_25transform_config_selectorIfLb1EEEZNS1_14transform_implILb1ES3_S5_PfS7_NS0_8identityIfEEEE10hipError_tT2_T3_mT4_P12ihipStream_tbEUlT_E_NS1_11comp_targetILNS1_3genE0ELNS1_11target_archE4294967295ELNS1_3gpuE0ELNS1_3repE0EEENS1_30default_config_static_selectorELNS0_4arch9wavefront6targetE1EEEvT1_.kd
    .uniform_work_group_size: 1
    .uses_dynamic_stack: false
    .vgpr_count:     0
    .vgpr_spill_count: 0
    .wavefront_size: 64
  - .agpr_count:     0
    .args:
      - .offset:         0
        .size:           40
        .value_kind:     by_value
    .group_segment_fixed_size: 0
    .kernarg_segment_align: 8
    .kernarg_segment_size: 40
    .language:       OpenCL C
    .language_version:
      - 2
      - 0
    .max_flat_workgroup_size: 1024
    .name:           _ZN7rocprim17ROCPRIM_400000_NS6detail17trampoline_kernelINS0_14default_configENS1_25transform_config_selectorIfLb1EEEZNS1_14transform_implILb1ES3_S5_PfS7_NS0_8identityIfEEEE10hipError_tT2_T3_mT4_P12ihipStream_tbEUlT_E_NS1_11comp_targetILNS1_3genE10ELNS1_11target_archE1201ELNS1_3gpuE5ELNS1_3repE0EEENS1_30default_config_static_selectorELNS0_4arch9wavefront6targetE1EEEvT1_
    .private_segment_fixed_size: 0
    .sgpr_count:     6
    .sgpr_spill_count: 0
    .symbol:         _ZN7rocprim17ROCPRIM_400000_NS6detail17trampoline_kernelINS0_14default_configENS1_25transform_config_selectorIfLb1EEEZNS1_14transform_implILb1ES3_S5_PfS7_NS0_8identityIfEEEE10hipError_tT2_T3_mT4_P12ihipStream_tbEUlT_E_NS1_11comp_targetILNS1_3genE10ELNS1_11target_archE1201ELNS1_3gpuE5ELNS1_3repE0EEENS1_30default_config_static_selectorELNS0_4arch9wavefront6targetE1EEEvT1_.kd
    .uniform_work_group_size: 1
    .uses_dynamic_stack: false
    .vgpr_count:     0
    .vgpr_spill_count: 0
    .wavefront_size: 64
  - .agpr_count:     0
    .args:
      - .offset:         0
        .size:           40
        .value_kind:     by_value
      - .offset:         40
        .size:           4
        .value_kind:     hidden_block_count_x
      - .offset:         44
        .size:           4
        .value_kind:     hidden_block_count_y
      - .offset:         48
        .size:           4
        .value_kind:     hidden_block_count_z
      - .offset:         52
        .size:           2
        .value_kind:     hidden_group_size_x
      - .offset:         54
        .size:           2
        .value_kind:     hidden_group_size_y
      - .offset:         56
        .size:           2
        .value_kind:     hidden_group_size_z
      - .offset:         58
        .size:           2
        .value_kind:     hidden_remainder_x
      - .offset:         60
        .size:           2
        .value_kind:     hidden_remainder_y
      - .offset:         62
        .size:           2
        .value_kind:     hidden_remainder_z
      - .offset:         80
        .size:           8
        .value_kind:     hidden_global_offset_x
      - .offset:         88
        .size:           8
        .value_kind:     hidden_global_offset_y
      - .offset:         96
        .size:           8
        .value_kind:     hidden_global_offset_z
      - .offset:         104
        .size:           2
        .value_kind:     hidden_grid_dims
    .group_segment_fixed_size: 0
    .kernarg_segment_align: 8
    .kernarg_segment_size: 296
    .language:       OpenCL C
    .language_version:
      - 2
      - 0
    .max_flat_workgroup_size: 256
    .name:           _ZN7rocprim17ROCPRIM_400000_NS6detail17trampoline_kernelINS0_14default_configENS1_25transform_config_selectorIfLb1EEEZNS1_14transform_implILb1ES3_S5_PfS7_NS0_8identityIfEEEE10hipError_tT2_T3_mT4_P12ihipStream_tbEUlT_E_NS1_11comp_targetILNS1_3genE5ELNS1_11target_archE942ELNS1_3gpuE9ELNS1_3repE0EEENS1_30default_config_static_selectorELNS0_4arch9wavefront6targetE1EEEvT1_
    .private_segment_fixed_size: 0
    .sgpr_count:     24
    .sgpr_spill_count: 0
    .symbol:         _ZN7rocprim17ROCPRIM_400000_NS6detail17trampoline_kernelINS0_14default_configENS1_25transform_config_selectorIfLb1EEEZNS1_14transform_implILb1ES3_S5_PfS7_NS0_8identityIfEEEE10hipError_tT2_T3_mT4_P12ihipStream_tbEUlT_E_NS1_11comp_targetILNS1_3genE5ELNS1_11target_archE942ELNS1_3gpuE9ELNS1_3repE0EEENS1_30default_config_static_selectorELNS0_4arch9wavefront6targetE1EEEvT1_.kd
    .uniform_work_group_size: 1
    .uses_dynamic_stack: false
    .vgpr_count:     7
    .vgpr_spill_count: 0
    .wavefront_size: 64
  - .agpr_count:     0
    .args:
      - .offset:         0
        .size:           40
        .value_kind:     by_value
    .group_segment_fixed_size: 0
    .kernarg_segment_align: 8
    .kernarg_segment_size: 40
    .language:       OpenCL C
    .language_version:
      - 2
      - 0
    .max_flat_workgroup_size: 1024
    .name:           _ZN7rocprim17ROCPRIM_400000_NS6detail17trampoline_kernelINS0_14default_configENS1_25transform_config_selectorIfLb1EEEZNS1_14transform_implILb1ES3_S5_PfS7_NS0_8identityIfEEEE10hipError_tT2_T3_mT4_P12ihipStream_tbEUlT_E_NS1_11comp_targetILNS1_3genE4ELNS1_11target_archE910ELNS1_3gpuE8ELNS1_3repE0EEENS1_30default_config_static_selectorELNS0_4arch9wavefront6targetE1EEEvT1_
    .private_segment_fixed_size: 0
    .sgpr_count:     6
    .sgpr_spill_count: 0
    .symbol:         _ZN7rocprim17ROCPRIM_400000_NS6detail17trampoline_kernelINS0_14default_configENS1_25transform_config_selectorIfLb1EEEZNS1_14transform_implILb1ES3_S5_PfS7_NS0_8identityIfEEEE10hipError_tT2_T3_mT4_P12ihipStream_tbEUlT_E_NS1_11comp_targetILNS1_3genE4ELNS1_11target_archE910ELNS1_3gpuE8ELNS1_3repE0EEENS1_30default_config_static_selectorELNS0_4arch9wavefront6targetE1EEEvT1_.kd
    .uniform_work_group_size: 1
    .uses_dynamic_stack: false
    .vgpr_count:     0
    .vgpr_spill_count: 0
    .wavefront_size: 64
  - .agpr_count:     0
    .args:
      - .offset:         0
        .size:           40
        .value_kind:     by_value
    .group_segment_fixed_size: 0
    .kernarg_segment_align: 8
    .kernarg_segment_size: 40
    .language:       OpenCL C
    .language_version:
      - 2
      - 0
    .max_flat_workgroup_size: 128
    .name:           _ZN7rocprim17ROCPRIM_400000_NS6detail17trampoline_kernelINS0_14default_configENS1_25transform_config_selectorIfLb1EEEZNS1_14transform_implILb1ES3_S5_PfS7_NS0_8identityIfEEEE10hipError_tT2_T3_mT4_P12ihipStream_tbEUlT_E_NS1_11comp_targetILNS1_3genE3ELNS1_11target_archE908ELNS1_3gpuE7ELNS1_3repE0EEENS1_30default_config_static_selectorELNS0_4arch9wavefront6targetE1EEEvT1_
    .private_segment_fixed_size: 0
    .sgpr_count:     6
    .sgpr_spill_count: 0
    .symbol:         _ZN7rocprim17ROCPRIM_400000_NS6detail17trampoline_kernelINS0_14default_configENS1_25transform_config_selectorIfLb1EEEZNS1_14transform_implILb1ES3_S5_PfS7_NS0_8identityIfEEEE10hipError_tT2_T3_mT4_P12ihipStream_tbEUlT_E_NS1_11comp_targetILNS1_3genE3ELNS1_11target_archE908ELNS1_3gpuE7ELNS1_3repE0EEENS1_30default_config_static_selectorELNS0_4arch9wavefront6targetE1EEEvT1_.kd
    .uniform_work_group_size: 1
    .uses_dynamic_stack: false
    .vgpr_count:     0
    .vgpr_spill_count: 0
    .wavefront_size: 64
  - .agpr_count:     0
    .args:
      - .offset:         0
        .size:           40
        .value_kind:     by_value
    .group_segment_fixed_size: 0
    .kernarg_segment_align: 8
    .kernarg_segment_size: 40
    .language:       OpenCL C
    .language_version:
      - 2
      - 0
    .max_flat_workgroup_size: 1024
    .name:           _ZN7rocprim17ROCPRIM_400000_NS6detail17trampoline_kernelINS0_14default_configENS1_25transform_config_selectorIfLb1EEEZNS1_14transform_implILb1ES3_S5_PfS7_NS0_8identityIfEEEE10hipError_tT2_T3_mT4_P12ihipStream_tbEUlT_E_NS1_11comp_targetILNS1_3genE2ELNS1_11target_archE906ELNS1_3gpuE6ELNS1_3repE0EEENS1_30default_config_static_selectorELNS0_4arch9wavefront6targetE1EEEvT1_
    .private_segment_fixed_size: 0
    .sgpr_count:     6
    .sgpr_spill_count: 0
    .symbol:         _ZN7rocprim17ROCPRIM_400000_NS6detail17trampoline_kernelINS0_14default_configENS1_25transform_config_selectorIfLb1EEEZNS1_14transform_implILb1ES3_S5_PfS7_NS0_8identityIfEEEE10hipError_tT2_T3_mT4_P12ihipStream_tbEUlT_E_NS1_11comp_targetILNS1_3genE2ELNS1_11target_archE906ELNS1_3gpuE6ELNS1_3repE0EEENS1_30default_config_static_selectorELNS0_4arch9wavefront6targetE1EEEvT1_.kd
    .uniform_work_group_size: 1
    .uses_dynamic_stack: false
    .vgpr_count:     0
    .vgpr_spill_count: 0
    .wavefront_size: 64
  - .agpr_count:     0
    .args:
      - .offset:         0
        .size:           40
        .value_kind:     by_value
    .group_segment_fixed_size: 0
    .kernarg_segment_align: 8
    .kernarg_segment_size: 40
    .language:       OpenCL C
    .language_version:
      - 2
      - 0
    .max_flat_workgroup_size: 1024
    .name:           _ZN7rocprim17ROCPRIM_400000_NS6detail17trampoline_kernelINS0_14default_configENS1_25transform_config_selectorIfLb1EEEZNS1_14transform_implILb1ES3_S5_PfS7_NS0_8identityIfEEEE10hipError_tT2_T3_mT4_P12ihipStream_tbEUlT_E_NS1_11comp_targetILNS1_3genE9ELNS1_11target_archE1100ELNS1_3gpuE3ELNS1_3repE0EEENS1_30default_config_static_selectorELNS0_4arch9wavefront6targetE1EEEvT1_
    .private_segment_fixed_size: 0
    .sgpr_count:     6
    .sgpr_spill_count: 0
    .symbol:         _ZN7rocprim17ROCPRIM_400000_NS6detail17trampoline_kernelINS0_14default_configENS1_25transform_config_selectorIfLb1EEEZNS1_14transform_implILb1ES3_S5_PfS7_NS0_8identityIfEEEE10hipError_tT2_T3_mT4_P12ihipStream_tbEUlT_E_NS1_11comp_targetILNS1_3genE9ELNS1_11target_archE1100ELNS1_3gpuE3ELNS1_3repE0EEENS1_30default_config_static_selectorELNS0_4arch9wavefront6targetE1EEEvT1_.kd
    .uniform_work_group_size: 1
    .uses_dynamic_stack: false
    .vgpr_count:     0
    .vgpr_spill_count: 0
    .wavefront_size: 64
  - .agpr_count:     0
    .args:
      - .offset:         0
        .size:           40
        .value_kind:     by_value
    .group_segment_fixed_size: 0
    .kernarg_segment_align: 8
    .kernarg_segment_size: 40
    .language:       OpenCL C
    .language_version:
      - 2
      - 0
    .max_flat_workgroup_size: 1024
    .name:           _ZN7rocprim17ROCPRIM_400000_NS6detail17trampoline_kernelINS0_14default_configENS1_25transform_config_selectorIfLb1EEEZNS1_14transform_implILb1ES3_S5_PfS7_NS0_8identityIfEEEE10hipError_tT2_T3_mT4_P12ihipStream_tbEUlT_E_NS1_11comp_targetILNS1_3genE8ELNS1_11target_archE1030ELNS1_3gpuE2ELNS1_3repE0EEENS1_30default_config_static_selectorELNS0_4arch9wavefront6targetE1EEEvT1_
    .private_segment_fixed_size: 0
    .sgpr_count:     6
    .sgpr_spill_count: 0
    .symbol:         _ZN7rocprim17ROCPRIM_400000_NS6detail17trampoline_kernelINS0_14default_configENS1_25transform_config_selectorIfLb1EEEZNS1_14transform_implILb1ES3_S5_PfS7_NS0_8identityIfEEEE10hipError_tT2_T3_mT4_P12ihipStream_tbEUlT_E_NS1_11comp_targetILNS1_3genE8ELNS1_11target_archE1030ELNS1_3gpuE2ELNS1_3repE0EEENS1_30default_config_static_selectorELNS0_4arch9wavefront6targetE1EEEvT1_.kd
    .uniform_work_group_size: 1
    .uses_dynamic_stack: false
    .vgpr_count:     0
    .vgpr_spill_count: 0
    .wavefront_size: 64
  - .agpr_count:     0
    .args:
      - .offset:         0
        .size:           32
        .value_kind:     by_value
    .group_segment_fixed_size: 0
    .kernarg_segment_align: 8
    .kernarg_segment_size: 32
    .language:       OpenCL C
    .language_version:
      - 2
      - 0
    .max_flat_workgroup_size: 256
    .name:           _ZN7rocprim17ROCPRIM_400000_NS6detail17trampoline_kernelINS0_14default_configENS1_20scan_config_selectorIfEEZZNS1_9scan_implILNS1_25lookback_scan_determinismE0ELb0ELb0ES3_PKfPffZZZN2at6native31launch_logcumsumexp_cuda_kernelERKNSB_10TensorBaseESF_lENKUlvE_clEvENKUlvE0_clEvEUlffE_fEEDaPvRmT3_T4_T5_mT6_P12ihipStream_tbENKUlT_T0_E_clISt17integral_constantIbLb0EESW_EEDaSR_SS_EUlSR_E0_NS1_11comp_targetILNS1_3genE0ELNS1_11target_archE4294967295ELNS1_3gpuE0ELNS1_3repE0EEENS1_30default_config_static_selectorELNS0_4arch9wavefront6targetE1EEEvT1_
    .private_segment_fixed_size: 0
    .sgpr_count:     6
    .sgpr_spill_count: 0
    .symbol:         _ZN7rocprim17ROCPRIM_400000_NS6detail17trampoline_kernelINS0_14default_configENS1_20scan_config_selectorIfEEZZNS1_9scan_implILNS1_25lookback_scan_determinismE0ELb0ELb0ES3_PKfPffZZZN2at6native31launch_logcumsumexp_cuda_kernelERKNSB_10TensorBaseESF_lENKUlvE_clEvENKUlvE0_clEvEUlffE_fEEDaPvRmT3_T4_T5_mT6_P12ihipStream_tbENKUlT_T0_E_clISt17integral_constantIbLb0EESW_EEDaSR_SS_EUlSR_E0_NS1_11comp_targetILNS1_3genE0ELNS1_11target_archE4294967295ELNS1_3gpuE0ELNS1_3repE0EEENS1_30default_config_static_selectorELNS0_4arch9wavefront6targetE1EEEvT1_.kd
    .uniform_work_group_size: 1
    .uses_dynamic_stack: false
    .vgpr_count:     0
    .vgpr_spill_count: 0
    .wavefront_size: 64
  - .agpr_count:     0
    .args:
      - .offset:         0
        .size:           32
        .value_kind:     by_value
    .group_segment_fixed_size: 24576
    .kernarg_segment_align: 8
    .kernarg_segment_size: 32
    .language:       OpenCL C
    .language_version:
      - 2
      - 0
    .max_flat_workgroup_size: 256
    .name:           _ZN7rocprim17ROCPRIM_400000_NS6detail17trampoline_kernelINS0_14default_configENS1_20scan_config_selectorIfEEZZNS1_9scan_implILNS1_25lookback_scan_determinismE0ELb0ELb0ES3_PKfPffZZZN2at6native31launch_logcumsumexp_cuda_kernelERKNSB_10TensorBaseESF_lENKUlvE_clEvENKUlvE0_clEvEUlffE_fEEDaPvRmT3_T4_T5_mT6_P12ihipStream_tbENKUlT_T0_E_clISt17integral_constantIbLb0EESW_EEDaSR_SS_EUlSR_E0_NS1_11comp_targetILNS1_3genE5ELNS1_11target_archE942ELNS1_3gpuE9ELNS1_3repE0EEENS1_30default_config_static_selectorELNS0_4arch9wavefront6targetE1EEEvT1_
    .private_segment_fixed_size: 0
    .sgpr_count:     106
    .sgpr_spill_count: 10
    .symbol:         _ZN7rocprim17ROCPRIM_400000_NS6detail17trampoline_kernelINS0_14default_configENS1_20scan_config_selectorIfEEZZNS1_9scan_implILNS1_25lookback_scan_determinismE0ELb0ELb0ES3_PKfPffZZZN2at6native31launch_logcumsumexp_cuda_kernelERKNSB_10TensorBaseESF_lENKUlvE_clEvENKUlvE0_clEvEUlffE_fEEDaPvRmT3_T4_T5_mT6_P12ihipStream_tbENKUlT_T0_E_clISt17integral_constantIbLb0EESW_EEDaSR_SS_EUlSR_E0_NS1_11comp_targetILNS1_3genE5ELNS1_11target_archE942ELNS1_3gpuE9ELNS1_3repE0EEENS1_30default_config_static_selectorELNS0_4arch9wavefront6targetE1EEEvT1_.kd
    .uniform_work_group_size: 1
    .uses_dynamic_stack: false
    .vgpr_count:     78
    .vgpr_spill_count: 0
    .wavefront_size: 64
  - .agpr_count:     0
    .args:
      - .offset:         0
        .size:           32
        .value_kind:     by_value
    .group_segment_fixed_size: 0
    .kernarg_segment_align: 8
    .kernarg_segment_size: 32
    .language:       OpenCL C
    .language_version:
      - 2
      - 0
    .max_flat_workgroup_size: 128
    .name:           _ZN7rocprim17ROCPRIM_400000_NS6detail17trampoline_kernelINS0_14default_configENS1_20scan_config_selectorIfEEZZNS1_9scan_implILNS1_25lookback_scan_determinismE0ELb0ELb0ES3_PKfPffZZZN2at6native31launch_logcumsumexp_cuda_kernelERKNSB_10TensorBaseESF_lENKUlvE_clEvENKUlvE0_clEvEUlffE_fEEDaPvRmT3_T4_T5_mT6_P12ihipStream_tbENKUlT_T0_E_clISt17integral_constantIbLb0EESW_EEDaSR_SS_EUlSR_E0_NS1_11comp_targetILNS1_3genE4ELNS1_11target_archE910ELNS1_3gpuE8ELNS1_3repE0EEENS1_30default_config_static_selectorELNS0_4arch9wavefront6targetE1EEEvT1_
    .private_segment_fixed_size: 0
    .sgpr_count:     6
    .sgpr_spill_count: 0
    .symbol:         _ZN7rocprim17ROCPRIM_400000_NS6detail17trampoline_kernelINS0_14default_configENS1_20scan_config_selectorIfEEZZNS1_9scan_implILNS1_25lookback_scan_determinismE0ELb0ELb0ES3_PKfPffZZZN2at6native31launch_logcumsumexp_cuda_kernelERKNSB_10TensorBaseESF_lENKUlvE_clEvENKUlvE0_clEvEUlffE_fEEDaPvRmT3_T4_T5_mT6_P12ihipStream_tbENKUlT_T0_E_clISt17integral_constantIbLb0EESW_EEDaSR_SS_EUlSR_E0_NS1_11comp_targetILNS1_3genE4ELNS1_11target_archE910ELNS1_3gpuE8ELNS1_3repE0EEENS1_30default_config_static_selectorELNS0_4arch9wavefront6targetE1EEEvT1_.kd
    .uniform_work_group_size: 1
    .uses_dynamic_stack: false
    .vgpr_count:     0
    .vgpr_spill_count: 0
    .wavefront_size: 64
  - .agpr_count:     0
    .args:
      - .offset:         0
        .size:           32
        .value_kind:     by_value
    .group_segment_fixed_size: 0
    .kernarg_segment_align: 8
    .kernarg_segment_size: 32
    .language:       OpenCL C
    .language_version:
      - 2
      - 0
    .max_flat_workgroup_size: 256
    .name:           _ZN7rocprim17ROCPRIM_400000_NS6detail17trampoline_kernelINS0_14default_configENS1_20scan_config_selectorIfEEZZNS1_9scan_implILNS1_25lookback_scan_determinismE0ELb0ELb0ES3_PKfPffZZZN2at6native31launch_logcumsumexp_cuda_kernelERKNSB_10TensorBaseESF_lENKUlvE_clEvENKUlvE0_clEvEUlffE_fEEDaPvRmT3_T4_T5_mT6_P12ihipStream_tbENKUlT_T0_E_clISt17integral_constantIbLb0EESW_EEDaSR_SS_EUlSR_E0_NS1_11comp_targetILNS1_3genE3ELNS1_11target_archE908ELNS1_3gpuE7ELNS1_3repE0EEENS1_30default_config_static_selectorELNS0_4arch9wavefront6targetE1EEEvT1_
    .private_segment_fixed_size: 0
    .sgpr_count:     6
    .sgpr_spill_count: 0
    .symbol:         _ZN7rocprim17ROCPRIM_400000_NS6detail17trampoline_kernelINS0_14default_configENS1_20scan_config_selectorIfEEZZNS1_9scan_implILNS1_25lookback_scan_determinismE0ELb0ELb0ES3_PKfPffZZZN2at6native31launch_logcumsumexp_cuda_kernelERKNSB_10TensorBaseESF_lENKUlvE_clEvENKUlvE0_clEvEUlffE_fEEDaPvRmT3_T4_T5_mT6_P12ihipStream_tbENKUlT_T0_E_clISt17integral_constantIbLb0EESW_EEDaSR_SS_EUlSR_E0_NS1_11comp_targetILNS1_3genE3ELNS1_11target_archE908ELNS1_3gpuE7ELNS1_3repE0EEENS1_30default_config_static_selectorELNS0_4arch9wavefront6targetE1EEEvT1_.kd
    .uniform_work_group_size: 1
    .uses_dynamic_stack: false
    .vgpr_count:     0
    .vgpr_spill_count: 0
    .wavefront_size: 64
  - .agpr_count:     0
    .args:
      - .offset:         0
        .size:           32
        .value_kind:     by_value
    .group_segment_fixed_size: 0
    .kernarg_segment_align: 8
    .kernarg_segment_size: 32
    .language:       OpenCL C
    .language_version:
      - 2
      - 0
    .max_flat_workgroup_size: 256
    .name:           _ZN7rocprim17ROCPRIM_400000_NS6detail17trampoline_kernelINS0_14default_configENS1_20scan_config_selectorIfEEZZNS1_9scan_implILNS1_25lookback_scan_determinismE0ELb0ELb0ES3_PKfPffZZZN2at6native31launch_logcumsumexp_cuda_kernelERKNSB_10TensorBaseESF_lENKUlvE_clEvENKUlvE0_clEvEUlffE_fEEDaPvRmT3_T4_T5_mT6_P12ihipStream_tbENKUlT_T0_E_clISt17integral_constantIbLb0EESW_EEDaSR_SS_EUlSR_E0_NS1_11comp_targetILNS1_3genE2ELNS1_11target_archE906ELNS1_3gpuE6ELNS1_3repE0EEENS1_30default_config_static_selectorELNS0_4arch9wavefront6targetE1EEEvT1_
    .private_segment_fixed_size: 0
    .sgpr_count:     6
    .sgpr_spill_count: 0
    .symbol:         _ZN7rocprim17ROCPRIM_400000_NS6detail17trampoline_kernelINS0_14default_configENS1_20scan_config_selectorIfEEZZNS1_9scan_implILNS1_25lookback_scan_determinismE0ELb0ELb0ES3_PKfPffZZZN2at6native31launch_logcumsumexp_cuda_kernelERKNSB_10TensorBaseESF_lENKUlvE_clEvENKUlvE0_clEvEUlffE_fEEDaPvRmT3_T4_T5_mT6_P12ihipStream_tbENKUlT_T0_E_clISt17integral_constantIbLb0EESW_EEDaSR_SS_EUlSR_E0_NS1_11comp_targetILNS1_3genE2ELNS1_11target_archE906ELNS1_3gpuE6ELNS1_3repE0EEENS1_30default_config_static_selectorELNS0_4arch9wavefront6targetE1EEEvT1_.kd
    .uniform_work_group_size: 1
    .uses_dynamic_stack: false
    .vgpr_count:     0
    .vgpr_spill_count: 0
    .wavefront_size: 64
  - .agpr_count:     0
    .args:
      - .offset:         0
        .size:           32
        .value_kind:     by_value
    .group_segment_fixed_size: 0
    .kernarg_segment_align: 8
    .kernarg_segment_size: 32
    .language:       OpenCL C
    .language_version:
      - 2
      - 0
    .max_flat_workgroup_size: 256
    .name:           _ZN7rocprim17ROCPRIM_400000_NS6detail17trampoline_kernelINS0_14default_configENS1_20scan_config_selectorIfEEZZNS1_9scan_implILNS1_25lookback_scan_determinismE0ELb0ELb0ES3_PKfPffZZZN2at6native31launch_logcumsumexp_cuda_kernelERKNSB_10TensorBaseESF_lENKUlvE_clEvENKUlvE0_clEvEUlffE_fEEDaPvRmT3_T4_T5_mT6_P12ihipStream_tbENKUlT_T0_E_clISt17integral_constantIbLb0EESW_EEDaSR_SS_EUlSR_E0_NS1_11comp_targetILNS1_3genE10ELNS1_11target_archE1201ELNS1_3gpuE5ELNS1_3repE0EEENS1_30default_config_static_selectorELNS0_4arch9wavefront6targetE1EEEvT1_
    .private_segment_fixed_size: 0
    .sgpr_count:     6
    .sgpr_spill_count: 0
    .symbol:         _ZN7rocprim17ROCPRIM_400000_NS6detail17trampoline_kernelINS0_14default_configENS1_20scan_config_selectorIfEEZZNS1_9scan_implILNS1_25lookback_scan_determinismE0ELb0ELb0ES3_PKfPffZZZN2at6native31launch_logcumsumexp_cuda_kernelERKNSB_10TensorBaseESF_lENKUlvE_clEvENKUlvE0_clEvEUlffE_fEEDaPvRmT3_T4_T5_mT6_P12ihipStream_tbENKUlT_T0_E_clISt17integral_constantIbLb0EESW_EEDaSR_SS_EUlSR_E0_NS1_11comp_targetILNS1_3genE10ELNS1_11target_archE1201ELNS1_3gpuE5ELNS1_3repE0EEENS1_30default_config_static_selectorELNS0_4arch9wavefront6targetE1EEEvT1_.kd
    .uniform_work_group_size: 1
    .uses_dynamic_stack: false
    .vgpr_count:     0
    .vgpr_spill_count: 0
    .wavefront_size: 64
  - .agpr_count:     0
    .args:
      - .offset:         0
        .size:           32
        .value_kind:     by_value
    .group_segment_fixed_size: 0
    .kernarg_segment_align: 8
    .kernarg_segment_size: 32
    .language:       OpenCL C
    .language_version:
      - 2
      - 0
    .max_flat_workgroup_size: 256
    .name:           _ZN7rocprim17ROCPRIM_400000_NS6detail17trampoline_kernelINS0_14default_configENS1_20scan_config_selectorIfEEZZNS1_9scan_implILNS1_25lookback_scan_determinismE0ELb0ELb0ES3_PKfPffZZZN2at6native31launch_logcumsumexp_cuda_kernelERKNSB_10TensorBaseESF_lENKUlvE_clEvENKUlvE0_clEvEUlffE_fEEDaPvRmT3_T4_T5_mT6_P12ihipStream_tbENKUlT_T0_E_clISt17integral_constantIbLb0EESW_EEDaSR_SS_EUlSR_E0_NS1_11comp_targetILNS1_3genE10ELNS1_11target_archE1200ELNS1_3gpuE4ELNS1_3repE0EEENS1_30default_config_static_selectorELNS0_4arch9wavefront6targetE1EEEvT1_
    .private_segment_fixed_size: 0
    .sgpr_count:     6
    .sgpr_spill_count: 0
    .symbol:         _ZN7rocprim17ROCPRIM_400000_NS6detail17trampoline_kernelINS0_14default_configENS1_20scan_config_selectorIfEEZZNS1_9scan_implILNS1_25lookback_scan_determinismE0ELb0ELb0ES3_PKfPffZZZN2at6native31launch_logcumsumexp_cuda_kernelERKNSB_10TensorBaseESF_lENKUlvE_clEvENKUlvE0_clEvEUlffE_fEEDaPvRmT3_T4_T5_mT6_P12ihipStream_tbENKUlT_T0_E_clISt17integral_constantIbLb0EESW_EEDaSR_SS_EUlSR_E0_NS1_11comp_targetILNS1_3genE10ELNS1_11target_archE1200ELNS1_3gpuE4ELNS1_3repE0EEENS1_30default_config_static_selectorELNS0_4arch9wavefront6targetE1EEEvT1_.kd
    .uniform_work_group_size: 1
    .uses_dynamic_stack: false
    .vgpr_count:     0
    .vgpr_spill_count: 0
    .wavefront_size: 64
  - .agpr_count:     0
    .args:
      - .offset:         0
        .size:           32
        .value_kind:     by_value
    .group_segment_fixed_size: 0
    .kernarg_segment_align: 8
    .kernarg_segment_size: 32
    .language:       OpenCL C
    .language_version:
      - 2
      - 0
    .max_flat_workgroup_size: 256
    .name:           _ZN7rocprim17ROCPRIM_400000_NS6detail17trampoline_kernelINS0_14default_configENS1_20scan_config_selectorIfEEZZNS1_9scan_implILNS1_25lookback_scan_determinismE0ELb0ELb0ES3_PKfPffZZZN2at6native31launch_logcumsumexp_cuda_kernelERKNSB_10TensorBaseESF_lENKUlvE_clEvENKUlvE0_clEvEUlffE_fEEDaPvRmT3_T4_T5_mT6_P12ihipStream_tbENKUlT_T0_E_clISt17integral_constantIbLb0EESW_EEDaSR_SS_EUlSR_E0_NS1_11comp_targetILNS1_3genE9ELNS1_11target_archE1100ELNS1_3gpuE3ELNS1_3repE0EEENS1_30default_config_static_selectorELNS0_4arch9wavefront6targetE1EEEvT1_
    .private_segment_fixed_size: 0
    .sgpr_count:     6
    .sgpr_spill_count: 0
    .symbol:         _ZN7rocprim17ROCPRIM_400000_NS6detail17trampoline_kernelINS0_14default_configENS1_20scan_config_selectorIfEEZZNS1_9scan_implILNS1_25lookback_scan_determinismE0ELb0ELb0ES3_PKfPffZZZN2at6native31launch_logcumsumexp_cuda_kernelERKNSB_10TensorBaseESF_lENKUlvE_clEvENKUlvE0_clEvEUlffE_fEEDaPvRmT3_T4_T5_mT6_P12ihipStream_tbENKUlT_T0_E_clISt17integral_constantIbLb0EESW_EEDaSR_SS_EUlSR_E0_NS1_11comp_targetILNS1_3genE9ELNS1_11target_archE1100ELNS1_3gpuE3ELNS1_3repE0EEENS1_30default_config_static_selectorELNS0_4arch9wavefront6targetE1EEEvT1_.kd
    .uniform_work_group_size: 1
    .uses_dynamic_stack: false
    .vgpr_count:     0
    .vgpr_spill_count: 0
    .wavefront_size: 64
  - .agpr_count:     0
    .args:
      - .offset:         0
        .size:           32
        .value_kind:     by_value
    .group_segment_fixed_size: 0
    .kernarg_segment_align: 8
    .kernarg_segment_size: 32
    .language:       OpenCL C
    .language_version:
      - 2
      - 0
    .max_flat_workgroup_size: 64
    .name:           _ZN7rocprim17ROCPRIM_400000_NS6detail17trampoline_kernelINS0_14default_configENS1_20scan_config_selectorIfEEZZNS1_9scan_implILNS1_25lookback_scan_determinismE0ELb0ELb0ES3_PKfPffZZZN2at6native31launch_logcumsumexp_cuda_kernelERKNSB_10TensorBaseESF_lENKUlvE_clEvENKUlvE0_clEvEUlffE_fEEDaPvRmT3_T4_T5_mT6_P12ihipStream_tbENKUlT_T0_E_clISt17integral_constantIbLb0EESW_EEDaSR_SS_EUlSR_E0_NS1_11comp_targetILNS1_3genE8ELNS1_11target_archE1030ELNS1_3gpuE2ELNS1_3repE0EEENS1_30default_config_static_selectorELNS0_4arch9wavefront6targetE1EEEvT1_
    .private_segment_fixed_size: 0
    .sgpr_count:     6
    .sgpr_spill_count: 0
    .symbol:         _ZN7rocprim17ROCPRIM_400000_NS6detail17trampoline_kernelINS0_14default_configENS1_20scan_config_selectorIfEEZZNS1_9scan_implILNS1_25lookback_scan_determinismE0ELb0ELb0ES3_PKfPffZZZN2at6native31launch_logcumsumexp_cuda_kernelERKNSB_10TensorBaseESF_lENKUlvE_clEvENKUlvE0_clEvEUlffE_fEEDaPvRmT3_T4_T5_mT6_P12ihipStream_tbENKUlT_T0_E_clISt17integral_constantIbLb0EESW_EEDaSR_SS_EUlSR_E0_NS1_11comp_targetILNS1_3genE8ELNS1_11target_archE1030ELNS1_3gpuE2ELNS1_3repE0EEENS1_30default_config_static_selectorELNS0_4arch9wavefront6targetE1EEEvT1_.kd
    .uniform_work_group_size: 1
    .uses_dynamic_stack: false
    .vgpr_count:     0
    .vgpr_spill_count: 0
    .wavefront_size: 64
  - .agpr_count:     0
    .args:
      - .address_space:  global
        .offset:         0
        .size:           8
        .value_kind:     global_buffer
      - .offset:         8
        .size:           4
        .value_kind:     by_value
      - .address_space:  global
        .offset:         16
        .size:           8
        .value_kind:     global_buffer
      - .offset:         24
        .size:           4
        .value_kind:     by_value
      - .address_space:  global
        .offset:         32
        .size:           8
        .value_kind:     global_buffer
      - .offset:         40
        .size:           4
        .value_kind:     hidden_block_count_x
      - .offset:         44
        .size:           4
        .value_kind:     hidden_block_count_y
      - .offset:         48
        .size:           4
        .value_kind:     hidden_block_count_z
      - .offset:         52
        .size:           2
        .value_kind:     hidden_group_size_x
      - .offset:         54
        .size:           2
        .value_kind:     hidden_group_size_y
      - .offset:         56
        .size:           2
        .value_kind:     hidden_group_size_z
      - .offset:         58
        .size:           2
        .value_kind:     hidden_remainder_x
      - .offset:         60
        .size:           2
        .value_kind:     hidden_remainder_y
      - .offset:         62
        .size:           2
        .value_kind:     hidden_remainder_z
      - .offset:         80
        .size:           8
        .value_kind:     hidden_global_offset_x
      - .offset:         88
        .size:           8
        .value_kind:     hidden_global_offset_y
      - .offset:         96
        .size:           8
        .value_kind:     hidden_global_offset_z
      - .offset:         104
        .size:           2
        .value_kind:     hidden_grid_dims
    .group_segment_fixed_size: 0
    .kernarg_segment_align: 8
    .kernarg_segment_size: 296
    .language:       OpenCL C
    .language_version:
      - 2
      - 0
    .max_flat_workgroup_size: 256
    .name:           _ZN7rocprim17ROCPRIM_400000_NS6detail31init_lookback_scan_state_kernelINS1_19lookback_scan_stateIfLb1ELb1EEENS1_16block_id_wrapperIjLb1EEEEEvT_jT0_jPNS7_10value_typeE
    .private_segment_fixed_size: 0
    .sgpr_count:     20
    .sgpr_spill_count: 0
    .symbol:         _ZN7rocprim17ROCPRIM_400000_NS6detail31init_lookback_scan_state_kernelINS1_19lookback_scan_stateIfLb1ELb1EEENS1_16block_id_wrapperIjLb1EEEEEvT_jT0_jPNS7_10value_typeE.kd
    .uniform_work_group_size: 1
    .uses_dynamic_stack: false
    .vgpr_count:     6
    .vgpr_spill_count: 0
    .wavefront_size: 64
  - .agpr_count:     0
    .args:
      - .offset:         0
        .size:           96
        .value_kind:     by_value
    .group_segment_fixed_size: 0
    .kernarg_segment_align: 8
    .kernarg_segment_size: 96
    .language:       OpenCL C
    .language_version:
      - 2
      - 0
    .max_flat_workgroup_size: 256
    .name:           _ZN7rocprim17ROCPRIM_400000_NS6detail17trampoline_kernelINS0_14default_configENS1_20scan_config_selectorIfEEZZNS1_9scan_implILNS1_25lookback_scan_determinismE0ELb0ELb0ES3_PKfPffZZZN2at6native31launch_logcumsumexp_cuda_kernelERKNSB_10TensorBaseESF_lENKUlvE_clEvENKUlvE0_clEvEUlffE_fEEDaPvRmT3_T4_T5_mT6_P12ihipStream_tbENKUlT_T0_E_clISt17integral_constantIbLb1EESW_EEDaSR_SS_EUlSR_E_NS1_11comp_targetILNS1_3genE0ELNS1_11target_archE4294967295ELNS1_3gpuE0ELNS1_3repE0EEENS1_30default_config_static_selectorELNS0_4arch9wavefront6targetE1EEEvT1_
    .private_segment_fixed_size: 0
    .sgpr_count:     6
    .sgpr_spill_count: 0
    .symbol:         _ZN7rocprim17ROCPRIM_400000_NS6detail17trampoline_kernelINS0_14default_configENS1_20scan_config_selectorIfEEZZNS1_9scan_implILNS1_25lookback_scan_determinismE0ELb0ELb0ES3_PKfPffZZZN2at6native31launch_logcumsumexp_cuda_kernelERKNSB_10TensorBaseESF_lENKUlvE_clEvENKUlvE0_clEvEUlffE_fEEDaPvRmT3_T4_T5_mT6_P12ihipStream_tbENKUlT_T0_E_clISt17integral_constantIbLb1EESW_EEDaSR_SS_EUlSR_E_NS1_11comp_targetILNS1_3genE0ELNS1_11target_archE4294967295ELNS1_3gpuE0ELNS1_3repE0EEENS1_30default_config_static_selectorELNS0_4arch9wavefront6targetE1EEEvT1_.kd
    .uniform_work_group_size: 1
    .uses_dynamic_stack: false
    .vgpr_count:     0
    .vgpr_spill_count: 0
    .wavefront_size: 64
  - .agpr_count:     0
    .args:
      - .offset:         0
        .size:           96
        .value_kind:     by_value
      - .offset:         96
        .size:           4
        .value_kind:     hidden_block_count_x
      - .offset:         100
        .size:           4
        .value_kind:     hidden_block_count_y
      - .offset:         104
        .size:           4
        .value_kind:     hidden_block_count_z
      - .offset:         108
        .size:           2
        .value_kind:     hidden_group_size_x
      - .offset:         110
        .size:           2
        .value_kind:     hidden_group_size_y
      - .offset:         112
        .size:           2
        .value_kind:     hidden_group_size_z
      - .offset:         114
        .size:           2
        .value_kind:     hidden_remainder_x
      - .offset:         116
        .size:           2
        .value_kind:     hidden_remainder_y
      - .offset:         118
        .size:           2
        .value_kind:     hidden_remainder_z
      - .offset:         136
        .size:           8
        .value_kind:     hidden_global_offset_x
      - .offset:         144
        .size:           8
        .value_kind:     hidden_global_offset_y
      - .offset:         152
        .size:           8
        .value_kind:     hidden_global_offset_z
      - .offset:         160
        .size:           2
        .value_kind:     hidden_grid_dims
    .group_segment_fixed_size: 24576
    .kernarg_segment_align: 8
    .kernarg_segment_size: 352
    .language:       OpenCL C
    .language_version:
      - 2
      - 0
    .max_flat_workgroup_size: 256
    .name:           _ZN7rocprim17ROCPRIM_400000_NS6detail17trampoline_kernelINS0_14default_configENS1_20scan_config_selectorIfEEZZNS1_9scan_implILNS1_25lookback_scan_determinismE0ELb0ELb0ES3_PKfPffZZZN2at6native31launch_logcumsumexp_cuda_kernelERKNSB_10TensorBaseESF_lENKUlvE_clEvENKUlvE0_clEvEUlffE_fEEDaPvRmT3_T4_T5_mT6_P12ihipStream_tbENKUlT_T0_E_clISt17integral_constantIbLb1EESW_EEDaSR_SS_EUlSR_E_NS1_11comp_targetILNS1_3genE5ELNS1_11target_archE942ELNS1_3gpuE9ELNS1_3repE0EEENS1_30default_config_static_selectorELNS0_4arch9wavefront6targetE1EEEvT1_
    .private_segment_fixed_size: 120
    .sgpr_count:     80
    .sgpr_spill_count: 0
    .symbol:         _ZN7rocprim17ROCPRIM_400000_NS6detail17trampoline_kernelINS0_14default_configENS1_20scan_config_selectorIfEEZZNS1_9scan_implILNS1_25lookback_scan_determinismE0ELb0ELb0ES3_PKfPffZZZN2at6native31launch_logcumsumexp_cuda_kernelERKNSB_10TensorBaseESF_lENKUlvE_clEvENKUlvE0_clEvEUlffE_fEEDaPvRmT3_T4_T5_mT6_P12ihipStream_tbENKUlT_T0_E_clISt17integral_constantIbLb1EESW_EEDaSR_SS_EUlSR_E_NS1_11comp_targetILNS1_3genE5ELNS1_11target_archE942ELNS1_3gpuE9ELNS1_3repE0EEENS1_30default_config_static_selectorELNS0_4arch9wavefront6targetE1EEEvT1_.kd
    .uniform_work_group_size: 1
    .uses_dynamic_stack: false
    .vgpr_count:     196
    .vgpr_spill_count: 0
    .wavefront_size: 64
  - .agpr_count:     0
    .args:
      - .offset:         0
        .size:           96
        .value_kind:     by_value
    .group_segment_fixed_size: 0
    .kernarg_segment_align: 8
    .kernarg_segment_size: 96
    .language:       OpenCL C
    .language_version:
      - 2
      - 0
    .max_flat_workgroup_size: 128
    .name:           _ZN7rocprim17ROCPRIM_400000_NS6detail17trampoline_kernelINS0_14default_configENS1_20scan_config_selectorIfEEZZNS1_9scan_implILNS1_25lookback_scan_determinismE0ELb0ELb0ES3_PKfPffZZZN2at6native31launch_logcumsumexp_cuda_kernelERKNSB_10TensorBaseESF_lENKUlvE_clEvENKUlvE0_clEvEUlffE_fEEDaPvRmT3_T4_T5_mT6_P12ihipStream_tbENKUlT_T0_E_clISt17integral_constantIbLb1EESW_EEDaSR_SS_EUlSR_E_NS1_11comp_targetILNS1_3genE4ELNS1_11target_archE910ELNS1_3gpuE8ELNS1_3repE0EEENS1_30default_config_static_selectorELNS0_4arch9wavefront6targetE1EEEvT1_
    .private_segment_fixed_size: 0
    .sgpr_count:     6
    .sgpr_spill_count: 0
    .symbol:         _ZN7rocprim17ROCPRIM_400000_NS6detail17trampoline_kernelINS0_14default_configENS1_20scan_config_selectorIfEEZZNS1_9scan_implILNS1_25lookback_scan_determinismE0ELb0ELb0ES3_PKfPffZZZN2at6native31launch_logcumsumexp_cuda_kernelERKNSB_10TensorBaseESF_lENKUlvE_clEvENKUlvE0_clEvEUlffE_fEEDaPvRmT3_T4_T5_mT6_P12ihipStream_tbENKUlT_T0_E_clISt17integral_constantIbLb1EESW_EEDaSR_SS_EUlSR_E_NS1_11comp_targetILNS1_3genE4ELNS1_11target_archE910ELNS1_3gpuE8ELNS1_3repE0EEENS1_30default_config_static_selectorELNS0_4arch9wavefront6targetE1EEEvT1_.kd
    .uniform_work_group_size: 1
    .uses_dynamic_stack: false
    .vgpr_count:     0
    .vgpr_spill_count: 0
    .wavefront_size: 64
  - .agpr_count:     0
    .args:
      - .offset:         0
        .size:           96
        .value_kind:     by_value
    .group_segment_fixed_size: 0
    .kernarg_segment_align: 8
    .kernarg_segment_size: 96
    .language:       OpenCL C
    .language_version:
      - 2
      - 0
    .max_flat_workgroup_size: 256
    .name:           _ZN7rocprim17ROCPRIM_400000_NS6detail17trampoline_kernelINS0_14default_configENS1_20scan_config_selectorIfEEZZNS1_9scan_implILNS1_25lookback_scan_determinismE0ELb0ELb0ES3_PKfPffZZZN2at6native31launch_logcumsumexp_cuda_kernelERKNSB_10TensorBaseESF_lENKUlvE_clEvENKUlvE0_clEvEUlffE_fEEDaPvRmT3_T4_T5_mT6_P12ihipStream_tbENKUlT_T0_E_clISt17integral_constantIbLb1EESW_EEDaSR_SS_EUlSR_E_NS1_11comp_targetILNS1_3genE3ELNS1_11target_archE908ELNS1_3gpuE7ELNS1_3repE0EEENS1_30default_config_static_selectorELNS0_4arch9wavefront6targetE1EEEvT1_
    .private_segment_fixed_size: 0
    .sgpr_count:     6
    .sgpr_spill_count: 0
    .symbol:         _ZN7rocprim17ROCPRIM_400000_NS6detail17trampoline_kernelINS0_14default_configENS1_20scan_config_selectorIfEEZZNS1_9scan_implILNS1_25lookback_scan_determinismE0ELb0ELb0ES3_PKfPffZZZN2at6native31launch_logcumsumexp_cuda_kernelERKNSB_10TensorBaseESF_lENKUlvE_clEvENKUlvE0_clEvEUlffE_fEEDaPvRmT3_T4_T5_mT6_P12ihipStream_tbENKUlT_T0_E_clISt17integral_constantIbLb1EESW_EEDaSR_SS_EUlSR_E_NS1_11comp_targetILNS1_3genE3ELNS1_11target_archE908ELNS1_3gpuE7ELNS1_3repE0EEENS1_30default_config_static_selectorELNS0_4arch9wavefront6targetE1EEEvT1_.kd
    .uniform_work_group_size: 1
    .uses_dynamic_stack: false
    .vgpr_count:     0
    .vgpr_spill_count: 0
    .wavefront_size: 64
  - .agpr_count:     0
    .args:
      - .offset:         0
        .size:           96
        .value_kind:     by_value
    .group_segment_fixed_size: 0
    .kernarg_segment_align: 8
    .kernarg_segment_size: 96
    .language:       OpenCL C
    .language_version:
      - 2
      - 0
    .max_flat_workgroup_size: 256
    .name:           _ZN7rocprim17ROCPRIM_400000_NS6detail17trampoline_kernelINS0_14default_configENS1_20scan_config_selectorIfEEZZNS1_9scan_implILNS1_25lookback_scan_determinismE0ELb0ELb0ES3_PKfPffZZZN2at6native31launch_logcumsumexp_cuda_kernelERKNSB_10TensorBaseESF_lENKUlvE_clEvENKUlvE0_clEvEUlffE_fEEDaPvRmT3_T4_T5_mT6_P12ihipStream_tbENKUlT_T0_E_clISt17integral_constantIbLb1EESW_EEDaSR_SS_EUlSR_E_NS1_11comp_targetILNS1_3genE2ELNS1_11target_archE906ELNS1_3gpuE6ELNS1_3repE0EEENS1_30default_config_static_selectorELNS0_4arch9wavefront6targetE1EEEvT1_
    .private_segment_fixed_size: 0
    .sgpr_count:     6
    .sgpr_spill_count: 0
    .symbol:         _ZN7rocprim17ROCPRIM_400000_NS6detail17trampoline_kernelINS0_14default_configENS1_20scan_config_selectorIfEEZZNS1_9scan_implILNS1_25lookback_scan_determinismE0ELb0ELb0ES3_PKfPffZZZN2at6native31launch_logcumsumexp_cuda_kernelERKNSB_10TensorBaseESF_lENKUlvE_clEvENKUlvE0_clEvEUlffE_fEEDaPvRmT3_T4_T5_mT6_P12ihipStream_tbENKUlT_T0_E_clISt17integral_constantIbLb1EESW_EEDaSR_SS_EUlSR_E_NS1_11comp_targetILNS1_3genE2ELNS1_11target_archE906ELNS1_3gpuE6ELNS1_3repE0EEENS1_30default_config_static_selectorELNS0_4arch9wavefront6targetE1EEEvT1_.kd
    .uniform_work_group_size: 1
    .uses_dynamic_stack: false
    .vgpr_count:     0
    .vgpr_spill_count: 0
    .wavefront_size: 64
  - .agpr_count:     0
    .args:
      - .offset:         0
        .size:           96
        .value_kind:     by_value
    .group_segment_fixed_size: 0
    .kernarg_segment_align: 8
    .kernarg_segment_size: 96
    .language:       OpenCL C
    .language_version:
      - 2
      - 0
    .max_flat_workgroup_size: 256
    .name:           _ZN7rocprim17ROCPRIM_400000_NS6detail17trampoline_kernelINS0_14default_configENS1_20scan_config_selectorIfEEZZNS1_9scan_implILNS1_25lookback_scan_determinismE0ELb0ELb0ES3_PKfPffZZZN2at6native31launch_logcumsumexp_cuda_kernelERKNSB_10TensorBaseESF_lENKUlvE_clEvENKUlvE0_clEvEUlffE_fEEDaPvRmT3_T4_T5_mT6_P12ihipStream_tbENKUlT_T0_E_clISt17integral_constantIbLb1EESW_EEDaSR_SS_EUlSR_E_NS1_11comp_targetILNS1_3genE10ELNS1_11target_archE1201ELNS1_3gpuE5ELNS1_3repE0EEENS1_30default_config_static_selectorELNS0_4arch9wavefront6targetE1EEEvT1_
    .private_segment_fixed_size: 0
    .sgpr_count:     6
    .sgpr_spill_count: 0
    .symbol:         _ZN7rocprim17ROCPRIM_400000_NS6detail17trampoline_kernelINS0_14default_configENS1_20scan_config_selectorIfEEZZNS1_9scan_implILNS1_25lookback_scan_determinismE0ELb0ELb0ES3_PKfPffZZZN2at6native31launch_logcumsumexp_cuda_kernelERKNSB_10TensorBaseESF_lENKUlvE_clEvENKUlvE0_clEvEUlffE_fEEDaPvRmT3_T4_T5_mT6_P12ihipStream_tbENKUlT_T0_E_clISt17integral_constantIbLb1EESW_EEDaSR_SS_EUlSR_E_NS1_11comp_targetILNS1_3genE10ELNS1_11target_archE1201ELNS1_3gpuE5ELNS1_3repE0EEENS1_30default_config_static_selectorELNS0_4arch9wavefront6targetE1EEEvT1_.kd
    .uniform_work_group_size: 1
    .uses_dynamic_stack: false
    .vgpr_count:     0
    .vgpr_spill_count: 0
    .wavefront_size: 64
  - .agpr_count:     0
    .args:
      - .offset:         0
        .size:           96
        .value_kind:     by_value
    .group_segment_fixed_size: 0
    .kernarg_segment_align: 8
    .kernarg_segment_size: 96
    .language:       OpenCL C
    .language_version:
      - 2
      - 0
    .max_flat_workgroup_size: 256
    .name:           _ZN7rocprim17ROCPRIM_400000_NS6detail17trampoline_kernelINS0_14default_configENS1_20scan_config_selectorIfEEZZNS1_9scan_implILNS1_25lookback_scan_determinismE0ELb0ELb0ES3_PKfPffZZZN2at6native31launch_logcumsumexp_cuda_kernelERKNSB_10TensorBaseESF_lENKUlvE_clEvENKUlvE0_clEvEUlffE_fEEDaPvRmT3_T4_T5_mT6_P12ihipStream_tbENKUlT_T0_E_clISt17integral_constantIbLb1EESW_EEDaSR_SS_EUlSR_E_NS1_11comp_targetILNS1_3genE10ELNS1_11target_archE1200ELNS1_3gpuE4ELNS1_3repE0EEENS1_30default_config_static_selectorELNS0_4arch9wavefront6targetE1EEEvT1_
    .private_segment_fixed_size: 0
    .sgpr_count:     6
    .sgpr_spill_count: 0
    .symbol:         _ZN7rocprim17ROCPRIM_400000_NS6detail17trampoline_kernelINS0_14default_configENS1_20scan_config_selectorIfEEZZNS1_9scan_implILNS1_25lookback_scan_determinismE0ELb0ELb0ES3_PKfPffZZZN2at6native31launch_logcumsumexp_cuda_kernelERKNSB_10TensorBaseESF_lENKUlvE_clEvENKUlvE0_clEvEUlffE_fEEDaPvRmT3_T4_T5_mT6_P12ihipStream_tbENKUlT_T0_E_clISt17integral_constantIbLb1EESW_EEDaSR_SS_EUlSR_E_NS1_11comp_targetILNS1_3genE10ELNS1_11target_archE1200ELNS1_3gpuE4ELNS1_3repE0EEENS1_30default_config_static_selectorELNS0_4arch9wavefront6targetE1EEEvT1_.kd
    .uniform_work_group_size: 1
    .uses_dynamic_stack: false
    .vgpr_count:     0
    .vgpr_spill_count: 0
    .wavefront_size: 64
  - .agpr_count:     0
    .args:
      - .offset:         0
        .size:           96
        .value_kind:     by_value
    .group_segment_fixed_size: 0
    .kernarg_segment_align: 8
    .kernarg_segment_size: 96
    .language:       OpenCL C
    .language_version:
      - 2
      - 0
    .max_flat_workgroup_size: 256
    .name:           _ZN7rocprim17ROCPRIM_400000_NS6detail17trampoline_kernelINS0_14default_configENS1_20scan_config_selectorIfEEZZNS1_9scan_implILNS1_25lookback_scan_determinismE0ELb0ELb0ES3_PKfPffZZZN2at6native31launch_logcumsumexp_cuda_kernelERKNSB_10TensorBaseESF_lENKUlvE_clEvENKUlvE0_clEvEUlffE_fEEDaPvRmT3_T4_T5_mT6_P12ihipStream_tbENKUlT_T0_E_clISt17integral_constantIbLb1EESW_EEDaSR_SS_EUlSR_E_NS1_11comp_targetILNS1_3genE9ELNS1_11target_archE1100ELNS1_3gpuE3ELNS1_3repE0EEENS1_30default_config_static_selectorELNS0_4arch9wavefront6targetE1EEEvT1_
    .private_segment_fixed_size: 0
    .sgpr_count:     6
    .sgpr_spill_count: 0
    .symbol:         _ZN7rocprim17ROCPRIM_400000_NS6detail17trampoline_kernelINS0_14default_configENS1_20scan_config_selectorIfEEZZNS1_9scan_implILNS1_25lookback_scan_determinismE0ELb0ELb0ES3_PKfPffZZZN2at6native31launch_logcumsumexp_cuda_kernelERKNSB_10TensorBaseESF_lENKUlvE_clEvENKUlvE0_clEvEUlffE_fEEDaPvRmT3_T4_T5_mT6_P12ihipStream_tbENKUlT_T0_E_clISt17integral_constantIbLb1EESW_EEDaSR_SS_EUlSR_E_NS1_11comp_targetILNS1_3genE9ELNS1_11target_archE1100ELNS1_3gpuE3ELNS1_3repE0EEENS1_30default_config_static_selectorELNS0_4arch9wavefront6targetE1EEEvT1_.kd
    .uniform_work_group_size: 1
    .uses_dynamic_stack: false
    .vgpr_count:     0
    .vgpr_spill_count: 0
    .wavefront_size: 64
  - .agpr_count:     0
    .args:
      - .offset:         0
        .size:           96
        .value_kind:     by_value
    .group_segment_fixed_size: 0
    .kernarg_segment_align: 8
    .kernarg_segment_size: 96
    .language:       OpenCL C
    .language_version:
      - 2
      - 0
    .max_flat_workgroup_size: 64
    .name:           _ZN7rocprim17ROCPRIM_400000_NS6detail17trampoline_kernelINS0_14default_configENS1_20scan_config_selectorIfEEZZNS1_9scan_implILNS1_25lookback_scan_determinismE0ELb0ELb0ES3_PKfPffZZZN2at6native31launch_logcumsumexp_cuda_kernelERKNSB_10TensorBaseESF_lENKUlvE_clEvENKUlvE0_clEvEUlffE_fEEDaPvRmT3_T4_T5_mT6_P12ihipStream_tbENKUlT_T0_E_clISt17integral_constantIbLb1EESW_EEDaSR_SS_EUlSR_E_NS1_11comp_targetILNS1_3genE8ELNS1_11target_archE1030ELNS1_3gpuE2ELNS1_3repE0EEENS1_30default_config_static_selectorELNS0_4arch9wavefront6targetE1EEEvT1_
    .private_segment_fixed_size: 0
    .sgpr_count:     6
    .sgpr_spill_count: 0
    .symbol:         _ZN7rocprim17ROCPRIM_400000_NS6detail17trampoline_kernelINS0_14default_configENS1_20scan_config_selectorIfEEZZNS1_9scan_implILNS1_25lookback_scan_determinismE0ELb0ELb0ES3_PKfPffZZZN2at6native31launch_logcumsumexp_cuda_kernelERKNSB_10TensorBaseESF_lENKUlvE_clEvENKUlvE0_clEvEUlffE_fEEDaPvRmT3_T4_T5_mT6_P12ihipStream_tbENKUlT_T0_E_clISt17integral_constantIbLb1EESW_EEDaSR_SS_EUlSR_E_NS1_11comp_targetILNS1_3genE8ELNS1_11target_archE1030ELNS1_3gpuE2ELNS1_3repE0EEENS1_30default_config_static_selectorELNS0_4arch9wavefront6targetE1EEEvT1_.kd
    .uniform_work_group_size: 1
    .uses_dynamic_stack: false
    .vgpr_count:     0
    .vgpr_spill_count: 0
    .wavefront_size: 64
  - .agpr_count:     0
    .args:
      - .offset:         0
        .size:           32
        .value_kind:     by_value
    .group_segment_fixed_size: 0
    .kernarg_segment_align: 8
    .kernarg_segment_size: 32
    .language:       OpenCL C
    .language_version:
      - 2
      - 0
    .max_flat_workgroup_size: 256
    .name:           _ZN7rocprim17ROCPRIM_400000_NS6detail17trampoline_kernelINS0_14default_configENS1_20scan_config_selectorIfEEZZNS1_9scan_implILNS1_25lookback_scan_determinismE0ELb0ELb0ES3_PKfPffZZZN2at6native31launch_logcumsumexp_cuda_kernelERKNSB_10TensorBaseESF_lENKUlvE_clEvENKUlvE0_clEvEUlffE_fEEDaPvRmT3_T4_T5_mT6_P12ihipStream_tbENKUlT_T0_E_clISt17integral_constantIbLb1EESW_EEDaSR_SS_EUlSR_E0_NS1_11comp_targetILNS1_3genE0ELNS1_11target_archE4294967295ELNS1_3gpuE0ELNS1_3repE0EEENS1_30default_config_static_selectorELNS0_4arch9wavefront6targetE1EEEvT1_
    .private_segment_fixed_size: 0
    .sgpr_count:     6
    .sgpr_spill_count: 0
    .symbol:         _ZN7rocprim17ROCPRIM_400000_NS6detail17trampoline_kernelINS0_14default_configENS1_20scan_config_selectorIfEEZZNS1_9scan_implILNS1_25lookback_scan_determinismE0ELb0ELb0ES3_PKfPffZZZN2at6native31launch_logcumsumexp_cuda_kernelERKNSB_10TensorBaseESF_lENKUlvE_clEvENKUlvE0_clEvEUlffE_fEEDaPvRmT3_T4_T5_mT6_P12ihipStream_tbENKUlT_T0_E_clISt17integral_constantIbLb1EESW_EEDaSR_SS_EUlSR_E0_NS1_11comp_targetILNS1_3genE0ELNS1_11target_archE4294967295ELNS1_3gpuE0ELNS1_3repE0EEENS1_30default_config_static_selectorELNS0_4arch9wavefront6targetE1EEEvT1_.kd
    .uniform_work_group_size: 1
    .uses_dynamic_stack: false
    .vgpr_count:     0
    .vgpr_spill_count: 0
    .wavefront_size: 64
  - .agpr_count:     0
    .args:
      - .offset:         0
        .size:           32
        .value_kind:     by_value
    .group_segment_fixed_size: 24576
    .kernarg_segment_align: 8
    .kernarg_segment_size: 32
    .language:       OpenCL C
    .language_version:
      - 2
      - 0
    .max_flat_workgroup_size: 256
    .name:           _ZN7rocprim17ROCPRIM_400000_NS6detail17trampoline_kernelINS0_14default_configENS1_20scan_config_selectorIfEEZZNS1_9scan_implILNS1_25lookback_scan_determinismE0ELb0ELb0ES3_PKfPffZZZN2at6native31launch_logcumsumexp_cuda_kernelERKNSB_10TensorBaseESF_lENKUlvE_clEvENKUlvE0_clEvEUlffE_fEEDaPvRmT3_T4_T5_mT6_P12ihipStream_tbENKUlT_T0_E_clISt17integral_constantIbLb1EESW_EEDaSR_SS_EUlSR_E0_NS1_11comp_targetILNS1_3genE5ELNS1_11target_archE942ELNS1_3gpuE9ELNS1_3repE0EEENS1_30default_config_static_selectorELNS0_4arch9wavefront6targetE1EEEvT1_
    .private_segment_fixed_size: 0
    .sgpr_count:     106
    .sgpr_spill_count: 10
    .symbol:         _ZN7rocprim17ROCPRIM_400000_NS6detail17trampoline_kernelINS0_14default_configENS1_20scan_config_selectorIfEEZZNS1_9scan_implILNS1_25lookback_scan_determinismE0ELb0ELb0ES3_PKfPffZZZN2at6native31launch_logcumsumexp_cuda_kernelERKNSB_10TensorBaseESF_lENKUlvE_clEvENKUlvE0_clEvEUlffE_fEEDaPvRmT3_T4_T5_mT6_P12ihipStream_tbENKUlT_T0_E_clISt17integral_constantIbLb1EESW_EEDaSR_SS_EUlSR_E0_NS1_11comp_targetILNS1_3genE5ELNS1_11target_archE942ELNS1_3gpuE9ELNS1_3repE0EEENS1_30default_config_static_selectorELNS0_4arch9wavefront6targetE1EEEvT1_.kd
    .uniform_work_group_size: 1
    .uses_dynamic_stack: false
    .vgpr_count:     78
    .vgpr_spill_count: 0
    .wavefront_size: 64
  - .agpr_count:     0
    .args:
      - .offset:         0
        .size:           32
        .value_kind:     by_value
    .group_segment_fixed_size: 0
    .kernarg_segment_align: 8
    .kernarg_segment_size: 32
    .language:       OpenCL C
    .language_version:
      - 2
      - 0
    .max_flat_workgroup_size: 128
    .name:           _ZN7rocprim17ROCPRIM_400000_NS6detail17trampoline_kernelINS0_14default_configENS1_20scan_config_selectorIfEEZZNS1_9scan_implILNS1_25lookback_scan_determinismE0ELb0ELb0ES3_PKfPffZZZN2at6native31launch_logcumsumexp_cuda_kernelERKNSB_10TensorBaseESF_lENKUlvE_clEvENKUlvE0_clEvEUlffE_fEEDaPvRmT3_T4_T5_mT6_P12ihipStream_tbENKUlT_T0_E_clISt17integral_constantIbLb1EESW_EEDaSR_SS_EUlSR_E0_NS1_11comp_targetILNS1_3genE4ELNS1_11target_archE910ELNS1_3gpuE8ELNS1_3repE0EEENS1_30default_config_static_selectorELNS0_4arch9wavefront6targetE1EEEvT1_
    .private_segment_fixed_size: 0
    .sgpr_count:     6
    .sgpr_spill_count: 0
    .symbol:         _ZN7rocprim17ROCPRIM_400000_NS6detail17trampoline_kernelINS0_14default_configENS1_20scan_config_selectorIfEEZZNS1_9scan_implILNS1_25lookback_scan_determinismE0ELb0ELb0ES3_PKfPffZZZN2at6native31launch_logcumsumexp_cuda_kernelERKNSB_10TensorBaseESF_lENKUlvE_clEvENKUlvE0_clEvEUlffE_fEEDaPvRmT3_T4_T5_mT6_P12ihipStream_tbENKUlT_T0_E_clISt17integral_constantIbLb1EESW_EEDaSR_SS_EUlSR_E0_NS1_11comp_targetILNS1_3genE4ELNS1_11target_archE910ELNS1_3gpuE8ELNS1_3repE0EEENS1_30default_config_static_selectorELNS0_4arch9wavefront6targetE1EEEvT1_.kd
    .uniform_work_group_size: 1
    .uses_dynamic_stack: false
    .vgpr_count:     0
    .vgpr_spill_count: 0
    .wavefront_size: 64
  - .agpr_count:     0
    .args:
      - .offset:         0
        .size:           32
        .value_kind:     by_value
    .group_segment_fixed_size: 0
    .kernarg_segment_align: 8
    .kernarg_segment_size: 32
    .language:       OpenCL C
    .language_version:
      - 2
      - 0
    .max_flat_workgroup_size: 256
    .name:           _ZN7rocprim17ROCPRIM_400000_NS6detail17trampoline_kernelINS0_14default_configENS1_20scan_config_selectorIfEEZZNS1_9scan_implILNS1_25lookback_scan_determinismE0ELb0ELb0ES3_PKfPffZZZN2at6native31launch_logcumsumexp_cuda_kernelERKNSB_10TensorBaseESF_lENKUlvE_clEvENKUlvE0_clEvEUlffE_fEEDaPvRmT3_T4_T5_mT6_P12ihipStream_tbENKUlT_T0_E_clISt17integral_constantIbLb1EESW_EEDaSR_SS_EUlSR_E0_NS1_11comp_targetILNS1_3genE3ELNS1_11target_archE908ELNS1_3gpuE7ELNS1_3repE0EEENS1_30default_config_static_selectorELNS0_4arch9wavefront6targetE1EEEvT1_
    .private_segment_fixed_size: 0
    .sgpr_count:     6
    .sgpr_spill_count: 0
    .symbol:         _ZN7rocprim17ROCPRIM_400000_NS6detail17trampoline_kernelINS0_14default_configENS1_20scan_config_selectorIfEEZZNS1_9scan_implILNS1_25lookback_scan_determinismE0ELb0ELb0ES3_PKfPffZZZN2at6native31launch_logcumsumexp_cuda_kernelERKNSB_10TensorBaseESF_lENKUlvE_clEvENKUlvE0_clEvEUlffE_fEEDaPvRmT3_T4_T5_mT6_P12ihipStream_tbENKUlT_T0_E_clISt17integral_constantIbLb1EESW_EEDaSR_SS_EUlSR_E0_NS1_11comp_targetILNS1_3genE3ELNS1_11target_archE908ELNS1_3gpuE7ELNS1_3repE0EEENS1_30default_config_static_selectorELNS0_4arch9wavefront6targetE1EEEvT1_.kd
    .uniform_work_group_size: 1
    .uses_dynamic_stack: false
    .vgpr_count:     0
    .vgpr_spill_count: 0
    .wavefront_size: 64
  - .agpr_count:     0
    .args:
      - .offset:         0
        .size:           32
        .value_kind:     by_value
    .group_segment_fixed_size: 0
    .kernarg_segment_align: 8
    .kernarg_segment_size: 32
    .language:       OpenCL C
    .language_version:
      - 2
      - 0
    .max_flat_workgroup_size: 256
    .name:           _ZN7rocprim17ROCPRIM_400000_NS6detail17trampoline_kernelINS0_14default_configENS1_20scan_config_selectorIfEEZZNS1_9scan_implILNS1_25lookback_scan_determinismE0ELb0ELb0ES3_PKfPffZZZN2at6native31launch_logcumsumexp_cuda_kernelERKNSB_10TensorBaseESF_lENKUlvE_clEvENKUlvE0_clEvEUlffE_fEEDaPvRmT3_T4_T5_mT6_P12ihipStream_tbENKUlT_T0_E_clISt17integral_constantIbLb1EESW_EEDaSR_SS_EUlSR_E0_NS1_11comp_targetILNS1_3genE2ELNS1_11target_archE906ELNS1_3gpuE6ELNS1_3repE0EEENS1_30default_config_static_selectorELNS0_4arch9wavefront6targetE1EEEvT1_
    .private_segment_fixed_size: 0
    .sgpr_count:     6
    .sgpr_spill_count: 0
    .symbol:         _ZN7rocprim17ROCPRIM_400000_NS6detail17trampoline_kernelINS0_14default_configENS1_20scan_config_selectorIfEEZZNS1_9scan_implILNS1_25lookback_scan_determinismE0ELb0ELb0ES3_PKfPffZZZN2at6native31launch_logcumsumexp_cuda_kernelERKNSB_10TensorBaseESF_lENKUlvE_clEvENKUlvE0_clEvEUlffE_fEEDaPvRmT3_T4_T5_mT6_P12ihipStream_tbENKUlT_T0_E_clISt17integral_constantIbLb1EESW_EEDaSR_SS_EUlSR_E0_NS1_11comp_targetILNS1_3genE2ELNS1_11target_archE906ELNS1_3gpuE6ELNS1_3repE0EEENS1_30default_config_static_selectorELNS0_4arch9wavefront6targetE1EEEvT1_.kd
    .uniform_work_group_size: 1
    .uses_dynamic_stack: false
    .vgpr_count:     0
    .vgpr_spill_count: 0
    .wavefront_size: 64
  - .agpr_count:     0
    .args:
      - .offset:         0
        .size:           32
        .value_kind:     by_value
    .group_segment_fixed_size: 0
    .kernarg_segment_align: 8
    .kernarg_segment_size: 32
    .language:       OpenCL C
    .language_version:
      - 2
      - 0
    .max_flat_workgroup_size: 256
    .name:           _ZN7rocprim17ROCPRIM_400000_NS6detail17trampoline_kernelINS0_14default_configENS1_20scan_config_selectorIfEEZZNS1_9scan_implILNS1_25lookback_scan_determinismE0ELb0ELb0ES3_PKfPffZZZN2at6native31launch_logcumsumexp_cuda_kernelERKNSB_10TensorBaseESF_lENKUlvE_clEvENKUlvE0_clEvEUlffE_fEEDaPvRmT3_T4_T5_mT6_P12ihipStream_tbENKUlT_T0_E_clISt17integral_constantIbLb1EESW_EEDaSR_SS_EUlSR_E0_NS1_11comp_targetILNS1_3genE10ELNS1_11target_archE1201ELNS1_3gpuE5ELNS1_3repE0EEENS1_30default_config_static_selectorELNS0_4arch9wavefront6targetE1EEEvT1_
    .private_segment_fixed_size: 0
    .sgpr_count:     6
    .sgpr_spill_count: 0
    .symbol:         _ZN7rocprim17ROCPRIM_400000_NS6detail17trampoline_kernelINS0_14default_configENS1_20scan_config_selectorIfEEZZNS1_9scan_implILNS1_25lookback_scan_determinismE0ELb0ELb0ES3_PKfPffZZZN2at6native31launch_logcumsumexp_cuda_kernelERKNSB_10TensorBaseESF_lENKUlvE_clEvENKUlvE0_clEvEUlffE_fEEDaPvRmT3_T4_T5_mT6_P12ihipStream_tbENKUlT_T0_E_clISt17integral_constantIbLb1EESW_EEDaSR_SS_EUlSR_E0_NS1_11comp_targetILNS1_3genE10ELNS1_11target_archE1201ELNS1_3gpuE5ELNS1_3repE0EEENS1_30default_config_static_selectorELNS0_4arch9wavefront6targetE1EEEvT1_.kd
    .uniform_work_group_size: 1
    .uses_dynamic_stack: false
    .vgpr_count:     0
    .vgpr_spill_count: 0
    .wavefront_size: 64
  - .agpr_count:     0
    .args:
      - .offset:         0
        .size:           32
        .value_kind:     by_value
    .group_segment_fixed_size: 0
    .kernarg_segment_align: 8
    .kernarg_segment_size: 32
    .language:       OpenCL C
    .language_version:
      - 2
      - 0
    .max_flat_workgroup_size: 256
    .name:           _ZN7rocprim17ROCPRIM_400000_NS6detail17trampoline_kernelINS0_14default_configENS1_20scan_config_selectorIfEEZZNS1_9scan_implILNS1_25lookback_scan_determinismE0ELb0ELb0ES3_PKfPffZZZN2at6native31launch_logcumsumexp_cuda_kernelERKNSB_10TensorBaseESF_lENKUlvE_clEvENKUlvE0_clEvEUlffE_fEEDaPvRmT3_T4_T5_mT6_P12ihipStream_tbENKUlT_T0_E_clISt17integral_constantIbLb1EESW_EEDaSR_SS_EUlSR_E0_NS1_11comp_targetILNS1_3genE10ELNS1_11target_archE1200ELNS1_3gpuE4ELNS1_3repE0EEENS1_30default_config_static_selectorELNS0_4arch9wavefront6targetE1EEEvT1_
    .private_segment_fixed_size: 0
    .sgpr_count:     6
    .sgpr_spill_count: 0
    .symbol:         _ZN7rocprim17ROCPRIM_400000_NS6detail17trampoline_kernelINS0_14default_configENS1_20scan_config_selectorIfEEZZNS1_9scan_implILNS1_25lookback_scan_determinismE0ELb0ELb0ES3_PKfPffZZZN2at6native31launch_logcumsumexp_cuda_kernelERKNSB_10TensorBaseESF_lENKUlvE_clEvENKUlvE0_clEvEUlffE_fEEDaPvRmT3_T4_T5_mT6_P12ihipStream_tbENKUlT_T0_E_clISt17integral_constantIbLb1EESW_EEDaSR_SS_EUlSR_E0_NS1_11comp_targetILNS1_3genE10ELNS1_11target_archE1200ELNS1_3gpuE4ELNS1_3repE0EEENS1_30default_config_static_selectorELNS0_4arch9wavefront6targetE1EEEvT1_.kd
    .uniform_work_group_size: 1
    .uses_dynamic_stack: false
    .vgpr_count:     0
    .vgpr_spill_count: 0
    .wavefront_size: 64
  - .agpr_count:     0
    .args:
      - .offset:         0
        .size:           32
        .value_kind:     by_value
    .group_segment_fixed_size: 0
    .kernarg_segment_align: 8
    .kernarg_segment_size: 32
    .language:       OpenCL C
    .language_version:
      - 2
      - 0
    .max_flat_workgroup_size: 256
    .name:           _ZN7rocprim17ROCPRIM_400000_NS6detail17trampoline_kernelINS0_14default_configENS1_20scan_config_selectorIfEEZZNS1_9scan_implILNS1_25lookback_scan_determinismE0ELb0ELb0ES3_PKfPffZZZN2at6native31launch_logcumsumexp_cuda_kernelERKNSB_10TensorBaseESF_lENKUlvE_clEvENKUlvE0_clEvEUlffE_fEEDaPvRmT3_T4_T5_mT6_P12ihipStream_tbENKUlT_T0_E_clISt17integral_constantIbLb1EESW_EEDaSR_SS_EUlSR_E0_NS1_11comp_targetILNS1_3genE9ELNS1_11target_archE1100ELNS1_3gpuE3ELNS1_3repE0EEENS1_30default_config_static_selectorELNS0_4arch9wavefront6targetE1EEEvT1_
    .private_segment_fixed_size: 0
    .sgpr_count:     6
    .sgpr_spill_count: 0
    .symbol:         _ZN7rocprim17ROCPRIM_400000_NS6detail17trampoline_kernelINS0_14default_configENS1_20scan_config_selectorIfEEZZNS1_9scan_implILNS1_25lookback_scan_determinismE0ELb0ELb0ES3_PKfPffZZZN2at6native31launch_logcumsumexp_cuda_kernelERKNSB_10TensorBaseESF_lENKUlvE_clEvENKUlvE0_clEvEUlffE_fEEDaPvRmT3_T4_T5_mT6_P12ihipStream_tbENKUlT_T0_E_clISt17integral_constantIbLb1EESW_EEDaSR_SS_EUlSR_E0_NS1_11comp_targetILNS1_3genE9ELNS1_11target_archE1100ELNS1_3gpuE3ELNS1_3repE0EEENS1_30default_config_static_selectorELNS0_4arch9wavefront6targetE1EEEvT1_.kd
    .uniform_work_group_size: 1
    .uses_dynamic_stack: false
    .vgpr_count:     0
    .vgpr_spill_count: 0
    .wavefront_size: 64
  - .agpr_count:     0
    .args:
      - .offset:         0
        .size:           32
        .value_kind:     by_value
    .group_segment_fixed_size: 0
    .kernarg_segment_align: 8
    .kernarg_segment_size: 32
    .language:       OpenCL C
    .language_version:
      - 2
      - 0
    .max_flat_workgroup_size: 64
    .name:           _ZN7rocprim17ROCPRIM_400000_NS6detail17trampoline_kernelINS0_14default_configENS1_20scan_config_selectorIfEEZZNS1_9scan_implILNS1_25lookback_scan_determinismE0ELb0ELb0ES3_PKfPffZZZN2at6native31launch_logcumsumexp_cuda_kernelERKNSB_10TensorBaseESF_lENKUlvE_clEvENKUlvE0_clEvEUlffE_fEEDaPvRmT3_T4_T5_mT6_P12ihipStream_tbENKUlT_T0_E_clISt17integral_constantIbLb1EESW_EEDaSR_SS_EUlSR_E0_NS1_11comp_targetILNS1_3genE8ELNS1_11target_archE1030ELNS1_3gpuE2ELNS1_3repE0EEENS1_30default_config_static_selectorELNS0_4arch9wavefront6targetE1EEEvT1_
    .private_segment_fixed_size: 0
    .sgpr_count:     6
    .sgpr_spill_count: 0
    .symbol:         _ZN7rocprim17ROCPRIM_400000_NS6detail17trampoline_kernelINS0_14default_configENS1_20scan_config_selectorIfEEZZNS1_9scan_implILNS1_25lookback_scan_determinismE0ELb0ELb0ES3_PKfPffZZZN2at6native31launch_logcumsumexp_cuda_kernelERKNSB_10TensorBaseESF_lENKUlvE_clEvENKUlvE0_clEvEUlffE_fEEDaPvRmT3_T4_T5_mT6_P12ihipStream_tbENKUlT_T0_E_clISt17integral_constantIbLb1EESW_EEDaSR_SS_EUlSR_E0_NS1_11comp_targetILNS1_3genE8ELNS1_11target_archE1030ELNS1_3gpuE2ELNS1_3repE0EEENS1_30default_config_static_selectorELNS0_4arch9wavefront6targetE1EEEvT1_.kd
    .uniform_work_group_size: 1
    .uses_dynamic_stack: false
    .vgpr_count:     0
    .vgpr_spill_count: 0
    .wavefront_size: 64
  - .agpr_count:     0
    .args:
      - .address_space:  global
        .offset:         0
        .size:           8
        .value_kind:     global_buffer
      - .offset:         8
        .size:           4
        .value_kind:     by_value
      - .offset:         12
        .size:           1
        .value_kind:     by_value
      - .offset:         16
        .size:           4
        .value_kind:     by_value
      - .address_space:  global
        .offset:         24
        .size:           8
        .value_kind:     global_buffer
      - .offset:         32
        .size:           4
        .value_kind:     hidden_block_count_x
      - .offset:         36
        .size:           4
        .value_kind:     hidden_block_count_y
      - .offset:         40
        .size:           4
        .value_kind:     hidden_block_count_z
      - .offset:         44
        .size:           2
        .value_kind:     hidden_group_size_x
      - .offset:         46
        .size:           2
        .value_kind:     hidden_group_size_y
      - .offset:         48
        .size:           2
        .value_kind:     hidden_group_size_z
      - .offset:         50
        .size:           2
        .value_kind:     hidden_remainder_x
      - .offset:         52
        .size:           2
        .value_kind:     hidden_remainder_y
      - .offset:         54
        .size:           2
        .value_kind:     hidden_remainder_z
      - .offset:         72
        .size:           8
        .value_kind:     hidden_global_offset_x
      - .offset:         80
        .size:           8
        .value_kind:     hidden_global_offset_y
      - .offset:         88
        .size:           8
        .value_kind:     hidden_global_offset_z
      - .offset:         96
        .size:           2
        .value_kind:     hidden_grid_dims
    .group_segment_fixed_size: 0
    .kernarg_segment_align: 8
    .kernarg_segment_size: 288
    .language:       OpenCL C
    .language_version:
      - 2
      - 0
    .max_flat_workgroup_size: 256
    .name:           _ZN7rocprim17ROCPRIM_400000_NS6detail31init_lookback_scan_state_kernelINS1_19lookback_scan_stateIfLb1ELb1EEENS1_16block_id_wrapperIjLb0EEEEEvT_jT0_jPNS7_10value_typeE
    .private_segment_fixed_size: 0
    .sgpr_count:     18
    .sgpr_spill_count: 0
    .symbol:         _ZN7rocprim17ROCPRIM_400000_NS6detail31init_lookback_scan_state_kernelINS1_19lookback_scan_stateIfLb1ELb1EEENS1_16block_id_wrapperIjLb0EEEEEvT_jT0_jPNS7_10value_typeE.kd
    .uniform_work_group_size: 1
    .uses_dynamic_stack: false
    .vgpr_count:     6
    .vgpr_spill_count: 0
    .wavefront_size: 64
  - .agpr_count:     0
    .args:
      - .offset:         0
        .size:           96
        .value_kind:     by_value
    .group_segment_fixed_size: 0
    .kernarg_segment_align: 8
    .kernarg_segment_size: 96
    .language:       OpenCL C
    .language_version:
      - 2
      - 0
    .max_flat_workgroup_size: 256
    .name:           _ZN7rocprim17ROCPRIM_400000_NS6detail17trampoline_kernelINS0_14default_configENS1_20scan_config_selectorIfEEZZNS1_9scan_implILNS1_25lookback_scan_determinismE0ELb0ELb0ES3_PKfPffZZZN2at6native31launch_logcumsumexp_cuda_kernelERKNSB_10TensorBaseESF_lENKUlvE_clEvENKUlvE0_clEvEUlffE_fEEDaPvRmT3_T4_T5_mT6_P12ihipStream_tbENKUlT_T0_E_clISt17integral_constantIbLb1EESV_IbLb0EEEEDaSR_SS_EUlSR_E_NS1_11comp_targetILNS1_3genE0ELNS1_11target_archE4294967295ELNS1_3gpuE0ELNS1_3repE0EEENS1_30default_config_static_selectorELNS0_4arch9wavefront6targetE1EEEvT1_
    .private_segment_fixed_size: 0
    .sgpr_count:     6
    .sgpr_spill_count: 0
    .symbol:         _ZN7rocprim17ROCPRIM_400000_NS6detail17trampoline_kernelINS0_14default_configENS1_20scan_config_selectorIfEEZZNS1_9scan_implILNS1_25lookback_scan_determinismE0ELb0ELb0ES3_PKfPffZZZN2at6native31launch_logcumsumexp_cuda_kernelERKNSB_10TensorBaseESF_lENKUlvE_clEvENKUlvE0_clEvEUlffE_fEEDaPvRmT3_T4_T5_mT6_P12ihipStream_tbENKUlT_T0_E_clISt17integral_constantIbLb1EESV_IbLb0EEEEDaSR_SS_EUlSR_E_NS1_11comp_targetILNS1_3genE0ELNS1_11target_archE4294967295ELNS1_3gpuE0ELNS1_3repE0EEENS1_30default_config_static_selectorELNS0_4arch9wavefront6targetE1EEEvT1_.kd
    .uniform_work_group_size: 1
    .uses_dynamic_stack: false
    .vgpr_count:     0
    .vgpr_spill_count: 0
    .wavefront_size: 64
  - .agpr_count:     0
    .args:
      - .offset:         0
        .size:           96
        .value_kind:     by_value
      - .offset:         96
        .size:           4
        .value_kind:     hidden_block_count_x
      - .offset:         100
        .size:           4
        .value_kind:     hidden_block_count_y
      - .offset:         104
        .size:           4
        .value_kind:     hidden_block_count_z
      - .offset:         108
        .size:           2
        .value_kind:     hidden_group_size_x
      - .offset:         110
        .size:           2
        .value_kind:     hidden_group_size_y
      - .offset:         112
        .size:           2
        .value_kind:     hidden_group_size_z
      - .offset:         114
        .size:           2
        .value_kind:     hidden_remainder_x
      - .offset:         116
        .size:           2
        .value_kind:     hidden_remainder_y
      - .offset:         118
        .size:           2
        .value_kind:     hidden_remainder_z
      - .offset:         136
        .size:           8
        .value_kind:     hidden_global_offset_x
      - .offset:         144
        .size:           8
        .value_kind:     hidden_global_offset_y
      - .offset:         152
        .size:           8
        .value_kind:     hidden_global_offset_z
      - .offset:         160
        .size:           2
        .value_kind:     hidden_grid_dims
    .group_segment_fixed_size: 24576
    .kernarg_segment_align: 8
    .kernarg_segment_size: 352
    .language:       OpenCL C
    .language_version:
      - 2
      - 0
    .max_flat_workgroup_size: 256
    .name:           _ZN7rocprim17ROCPRIM_400000_NS6detail17trampoline_kernelINS0_14default_configENS1_20scan_config_selectorIfEEZZNS1_9scan_implILNS1_25lookback_scan_determinismE0ELb0ELb0ES3_PKfPffZZZN2at6native31launch_logcumsumexp_cuda_kernelERKNSB_10TensorBaseESF_lENKUlvE_clEvENKUlvE0_clEvEUlffE_fEEDaPvRmT3_T4_T5_mT6_P12ihipStream_tbENKUlT_T0_E_clISt17integral_constantIbLb1EESV_IbLb0EEEEDaSR_SS_EUlSR_E_NS1_11comp_targetILNS1_3genE5ELNS1_11target_archE942ELNS1_3gpuE9ELNS1_3repE0EEENS1_30default_config_static_selectorELNS0_4arch9wavefront6targetE1EEEvT1_
    .private_segment_fixed_size: 120
    .sgpr_count:     84
    .sgpr_spill_count: 0
    .symbol:         _ZN7rocprim17ROCPRIM_400000_NS6detail17trampoline_kernelINS0_14default_configENS1_20scan_config_selectorIfEEZZNS1_9scan_implILNS1_25lookback_scan_determinismE0ELb0ELb0ES3_PKfPffZZZN2at6native31launch_logcumsumexp_cuda_kernelERKNSB_10TensorBaseESF_lENKUlvE_clEvENKUlvE0_clEvEUlffE_fEEDaPvRmT3_T4_T5_mT6_P12ihipStream_tbENKUlT_T0_E_clISt17integral_constantIbLb1EESV_IbLb0EEEEDaSR_SS_EUlSR_E_NS1_11comp_targetILNS1_3genE5ELNS1_11target_archE942ELNS1_3gpuE9ELNS1_3repE0EEENS1_30default_config_static_selectorELNS0_4arch9wavefront6targetE1EEEvT1_.kd
    .uniform_work_group_size: 1
    .uses_dynamic_stack: false
    .vgpr_count:     184
    .vgpr_spill_count: 0
    .wavefront_size: 64
  - .agpr_count:     0
    .args:
      - .offset:         0
        .size:           96
        .value_kind:     by_value
    .group_segment_fixed_size: 0
    .kernarg_segment_align: 8
    .kernarg_segment_size: 96
    .language:       OpenCL C
    .language_version:
      - 2
      - 0
    .max_flat_workgroup_size: 128
    .name:           _ZN7rocprim17ROCPRIM_400000_NS6detail17trampoline_kernelINS0_14default_configENS1_20scan_config_selectorIfEEZZNS1_9scan_implILNS1_25lookback_scan_determinismE0ELb0ELb0ES3_PKfPffZZZN2at6native31launch_logcumsumexp_cuda_kernelERKNSB_10TensorBaseESF_lENKUlvE_clEvENKUlvE0_clEvEUlffE_fEEDaPvRmT3_T4_T5_mT6_P12ihipStream_tbENKUlT_T0_E_clISt17integral_constantIbLb1EESV_IbLb0EEEEDaSR_SS_EUlSR_E_NS1_11comp_targetILNS1_3genE4ELNS1_11target_archE910ELNS1_3gpuE8ELNS1_3repE0EEENS1_30default_config_static_selectorELNS0_4arch9wavefront6targetE1EEEvT1_
    .private_segment_fixed_size: 0
    .sgpr_count:     6
    .sgpr_spill_count: 0
    .symbol:         _ZN7rocprim17ROCPRIM_400000_NS6detail17trampoline_kernelINS0_14default_configENS1_20scan_config_selectorIfEEZZNS1_9scan_implILNS1_25lookback_scan_determinismE0ELb0ELb0ES3_PKfPffZZZN2at6native31launch_logcumsumexp_cuda_kernelERKNSB_10TensorBaseESF_lENKUlvE_clEvENKUlvE0_clEvEUlffE_fEEDaPvRmT3_T4_T5_mT6_P12ihipStream_tbENKUlT_T0_E_clISt17integral_constantIbLb1EESV_IbLb0EEEEDaSR_SS_EUlSR_E_NS1_11comp_targetILNS1_3genE4ELNS1_11target_archE910ELNS1_3gpuE8ELNS1_3repE0EEENS1_30default_config_static_selectorELNS0_4arch9wavefront6targetE1EEEvT1_.kd
    .uniform_work_group_size: 1
    .uses_dynamic_stack: false
    .vgpr_count:     0
    .vgpr_spill_count: 0
    .wavefront_size: 64
  - .agpr_count:     0
    .args:
      - .offset:         0
        .size:           96
        .value_kind:     by_value
    .group_segment_fixed_size: 0
    .kernarg_segment_align: 8
    .kernarg_segment_size: 96
    .language:       OpenCL C
    .language_version:
      - 2
      - 0
    .max_flat_workgroup_size: 256
    .name:           _ZN7rocprim17ROCPRIM_400000_NS6detail17trampoline_kernelINS0_14default_configENS1_20scan_config_selectorIfEEZZNS1_9scan_implILNS1_25lookback_scan_determinismE0ELb0ELb0ES3_PKfPffZZZN2at6native31launch_logcumsumexp_cuda_kernelERKNSB_10TensorBaseESF_lENKUlvE_clEvENKUlvE0_clEvEUlffE_fEEDaPvRmT3_T4_T5_mT6_P12ihipStream_tbENKUlT_T0_E_clISt17integral_constantIbLb1EESV_IbLb0EEEEDaSR_SS_EUlSR_E_NS1_11comp_targetILNS1_3genE3ELNS1_11target_archE908ELNS1_3gpuE7ELNS1_3repE0EEENS1_30default_config_static_selectorELNS0_4arch9wavefront6targetE1EEEvT1_
    .private_segment_fixed_size: 0
    .sgpr_count:     6
    .sgpr_spill_count: 0
    .symbol:         _ZN7rocprim17ROCPRIM_400000_NS6detail17trampoline_kernelINS0_14default_configENS1_20scan_config_selectorIfEEZZNS1_9scan_implILNS1_25lookback_scan_determinismE0ELb0ELb0ES3_PKfPffZZZN2at6native31launch_logcumsumexp_cuda_kernelERKNSB_10TensorBaseESF_lENKUlvE_clEvENKUlvE0_clEvEUlffE_fEEDaPvRmT3_T4_T5_mT6_P12ihipStream_tbENKUlT_T0_E_clISt17integral_constantIbLb1EESV_IbLb0EEEEDaSR_SS_EUlSR_E_NS1_11comp_targetILNS1_3genE3ELNS1_11target_archE908ELNS1_3gpuE7ELNS1_3repE0EEENS1_30default_config_static_selectorELNS0_4arch9wavefront6targetE1EEEvT1_.kd
    .uniform_work_group_size: 1
    .uses_dynamic_stack: false
    .vgpr_count:     0
    .vgpr_spill_count: 0
    .wavefront_size: 64
  - .agpr_count:     0
    .args:
      - .offset:         0
        .size:           96
        .value_kind:     by_value
    .group_segment_fixed_size: 0
    .kernarg_segment_align: 8
    .kernarg_segment_size: 96
    .language:       OpenCL C
    .language_version:
      - 2
      - 0
    .max_flat_workgroup_size: 256
    .name:           _ZN7rocprim17ROCPRIM_400000_NS6detail17trampoline_kernelINS0_14default_configENS1_20scan_config_selectorIfEEZZNS1_9scan_implILNS1_25lookback_scan_determinismE0ELb0ELb0ES3_PKfPffZZZN2at6native31launch_logcumsumexp_cuda_kernelERKNSB_10TensorBaseESF_lENKUlvE_clEvENKUlvE0_clEvEUlffE_fEEDaPvRmT3_T4_T5_mT6_P12ihipStream_tbENKUlT_T0_E_clISt17integral_constantIbLb1EESV_IbLb0EEEEDaSR_SS_EUlSR_E_NS1_11comp_targetILNS1_3genE2ELNS1_11target_archE906ELNS1_3gpuE6ELNS1_3repE0EEENS1_30default_config_static_selectorELNS0_4arch9wavefront6targetE1EEEvT1_
    .private_segment_fixed_size: 0
    .sgpr_count:     6
    .sgpr_spill_count: 0
    .symbol:         _ZN7rocprim17ROCPRIM_400000_NS6detail17trampoline_kernelINS0_14default_configENS1_20scan_config_selectorIfEEZZNS1_9scan_implILNS1_25lookback_scan_determinismE0ELb0ELb0ES3_PKfPffZZZN2at6native31launch_logcumsumexp_cuda_kernelERKNSB_10TensorBaseESF_lENKUlvE_clEvENKUlvE0_clEvEUlffE_fEEDaPvRmT3_T4_T5_mT6_P12ihipStream_tbENKUlT_T0_E_clISt17integral_constantIbLb1EESV_IbLb0EEEEDaSR_SS_EUlSR_E_NS1_11comp_targetILNS1_3genE2ELNS1_11target_archE906ELNS1_3gpuE6ELNS1_3repE0EEENS1_30default_config_static_selectorELNS0_4arch9wavefront6targetE1EEEvT1_.kd
    .uniform_work_group_size: 1
    .uses_dynamic_stack: false
    .vgpr_count:     0
    .vgpr_spill_count: 0
    .wavefront_size: 64
  - .agpr_count:     0
    .args:
      - .offset:         0
        .size:           96
        .value_kind:     by_value
    .group_segment_fixed_size: 0
    .kernarg_segment_align: 8
    .kernarg_segment_size: 96
    .language:       OpenCL C
    .language_version:
      - 2
      - 0
    .max_flat_workgroup_size: 256
    .name:           _ZN7rocprim17ROCPRIM_400000_NS6detail17trampoline_kernelINS0_14default_configENS1_20scan_config_selectorIfEEZZNS1_9scan_implILNS1_25lookback_scan_determinismE0ELb0ELb0ES3_PKfPffZZZN2at6native31launch_logcumsumexp_cuda_kernelERKNSB_10TensorBaseESF_lENKUlvE_clEvENKUlvE0_clEvEUlffE_fEEDaPvRmT3_T4_T5_mT6_P12ihipStream_tbENKUlT_T0_E_clISt17integral_constantIbLb1EESV_IbLb0EEEEDaSR_SS_EUlSR_E_NS1_11comp_targetILNS1_3genE10ELNS1_11target_archE1201ELNS1_3gpuE5ELNS1_3repE0EEENS1_30default_config_static_selectorELNS0_4arch9wavefront6targetE1EEEvT1_
    .private_segment_fixed_size: 0
    .sgpr_count:     6
    .sgpr_spill_count: 0
    .symbol:         _ZN7rocprim17ROCPRIM_400000_NS6detail17trampoline_kernelINS0_14default_configENS1_20scan_config_selectorIfEEZZNS1_9scan_implILNS1_25lookback_scan_determinismE0ELb0ELb0ES3_PKfPffZZZN2at6native31launch_logcumsumexp_cuda_kernelERKNSB_10TensorBaseESF_lENKUlvE_clEvENKUlvE0_clEvEUlffE_fEEDaPvRmT3_T4_T5_mT6_P12ihipStream_tbENKUlT_T0_E_clISt17integral_constantIbLb1EESV_IbLb0EEEEDaSR_SS_EUlSR_E_NS1_11comp_targetILNS1_3genE10ELNS1_11target_archE1201ELNS1_3gpuE5ELNS1_3repE0EEENS1_30default_config_static_selectorELNS0_4arch9wavefront6targetE1EEEvT1_.kd
    .uniform_work_group_size: 1
    .uses_dynamic_stack: false
    .vgpr_count:     0
    .vgpr_spill_count: 0
    .wavefront_size: 64
  - .agpr_count:     0
    .args:
      - .offset:         0
        .size:           96
        .value_kind:     by_value
    .group_segment_fixed_size: 0
    .kernarg_segment_align: 8
    .kernarg_segment_size: 96
    .language:       OpenCL C
    .language_version:
      - 2
      - 0
    .max_flat_workgroup_size: 256
    .name:           _ZN7rocprim17ROCPRIM_400000_NS6detail17trampoline_kernelINS0_14default_configENS1_20scan_config_selectorIfEEZZNS1_9scan_implILNS1_25lookback_scan_determinismE0ELb0ELb0ES3_PKfPffZZZN2at6native31launch_logcumsumexp_cuda_kernelERKNSB_10TensorBaseESF_lENKUlvE_clEvENKUlvE0_clEvEUlffE_fEEDaPvRmT3_T4_T5_mT6_P12ihipStream_tbENKUlT_T0_E_clISt17integral_constantIbLb1EESV_IbLb0EEEEDaSR_SS_EUlSR_E_NS1_11comp_targetILNS1_3genE10ELNS1_11target_archE1200ELNS1_3gpuE4ELNS1_3repE0EEENS1_30default_config_static_selectorELNS0_4arch9wavefront6targetE1EEEvT1_
    .private_segment_fixed_size: 0
    .sgpr_count:     6
    .sgpr_spill_count: 0
    .symbol:         _ZN7rocprim17ROCPRIM_400000_NS6detail17trampoline_kernelINS0_14default_configENS1_20scan_config_selectorIfEEZZNS1_9scan_implILNS1_25lookback_scan_determinismE0ELb0ELb0ES3_PKfPffZZZN2at6native31launch_logcumsumexp_cuda_kernelERKNSB_10TensorBaseESF_lENKUlvE_clEvENKUlvE0_clEvEUlffE_fEEDaPvRmT3_T4_T5_mT6_P12ihipStream_tbENKUlT_T0_E_clISt17integral_constantIbLb1EESV_IbLb0EEEEDaSR_SS_EUlSR_E_NS1_11comp_targetILNS1_3genE10ELNS1_11target_archE1200ELNS1_3gpuE4ELNS1_3repE0EEENS1_30default_config_static_selectorELNS0_4arch9wavefront6targetE1EEEvT1_.kd
    .uniform_work_group_size: 1
    .uses_dynamic_stack: false
    .vgpr_count:     0
    .vgpr_spill_count: 0
    .wavefront_size: 64
  - .agpr_count:     0
    .args:
      - .offset:         0
        .size:           96
        .value_kind:     by_value
    .group_segment_fixed_size: 0
    .kernarg_segment_align: 8
    .kernarg_segment_size: 96
    .language:       OpenCL C
    .language_version:
      - 2
      - 0
    .max_flat_workgroup_size: 256
    .name:           _ZN7rocprim17ROCPRIM_400000_NS6detail17trampoline_kernelINS0_14default_configENS1_20scan_config_selectorIfEEZZNS1_9scan_implILNS1_25lookback_scan_determinismE0ELb0ELb0ES3_PKfPffZZZN2at6native31launch_logcumsumexp_cuda_kernelERKNSB_10TensorBaseESF_lENKUlvE_clEvENKUlvE0_clEvEUlffE_fEEDaPvRmT3_T4_T5_mT6_P12ihipStream_tbENKUlT_T0_E_clISt17integral_constantIbLb1EESV_IbLb0EEEEDaSR_SS_EUlSR_E_NS1_11comp_targetILNS1_3genE9ELNS1_11target_archE1100ELNS1_3gpuE3ELNS1_3repE0EEENS1_30default_config_static_selectorELNS0_4arch9wavefront6targetE1EEEvT1_
    .private_segment_fixed_size: 0
    .sgpr_count:     6
    .sgpr_spill_count: 0
    .symbol:         _ZN7rocprim17ROCPRIM_400000_NS6detail17trampoline_kernelINS0_14default_configENS1_20scan_config_selectorIfEEZZNS1_9scan_implILNS1_25lookback_scan_determinismE0ELb0ELb0ES3_PKfPffZZZN2at6native31launch_logcumsumexp_cuda_kernelERKNSB_10TensorBaseESF_lENKUlvE_clEvENKUlvE0_clEvEUlffE_fEEDaPvRmT3_T4_T5_mT6_P12ihipStream_tbENKUlT_T0_E_clISt17integral_constantIbLb1EESV_IbLb0EEEEDaSR_SS_EUlSR_E_NS1_11comp_targetILNS1_3genE9ELNS1_11target_archE1100ELNS1_3gpuE3ELNS1_3repE0EEENS1_30default_config_static_selectorELNS0_4arch9wavefront6targetE1EEEvT1_.kd
    .uniform_work_group_size: 1
    .uses_dynamic_stack: false
    .vgpr_count:     0
    .vgpr_spill_count: 0
    .wavefront_size: 64
  - .agpr_count:     0
    .args:
      - .offset:         0
        .size:           96
        .value_kind:     by_value
    .group_segment_fixed_size: 0
    .kernarg_segment_align: 8
    .kernarg_segment_size: 96
    .language:       OpenCL C
    .language_version:
      - 2
      - 0
    .max_flat_workgroup_size: 64
    .name:           _ZN7rocprim17ROCPRIM_400000_NS6detail17trampoline_kernelINS0_14default_configENS1_20scan_config_selectorIfEEZZNS1_9scan_implILNS1_25lookback_scan_determinismE0ELb0ELb0ES3_PKfPffZZZN2at6native31launch_logcumsumexp_cuda_kernelERKNSB_10TensorBaseESF_lENKUlvE_clEvENKUlvE0_clEvEUlffE_fEEDaPvRmT3_T4_T5_mT6_P12ihipStream_tbENKUlT_T0_E_clISt17integral_constantIbLb1EESV_IbLb0EEEEDaSR_SS_EUlSR_E_NS1_11comp_targetILNS1_3genE8ELNS1_11target_archE1030ELNS1_3gpuE2ELNS1_3repE0EEENS1_30default_config_static_selectorELNS0_4arch9wavefront6targetE1EEEvT1_
    .private_segment_fixed_size: 0
    .sgpr_count:     6
    .sgpr_spill_count: 0
    .symbol:         _ZN7rocprim17ROCPRIM_400000_NS6detail17trampoline_kernelINS0_14default_configENS1_20scan_config_selectorIfEEZZNS1_9scan_implILNS1_25lookback_scan_determinismE0ELb0ELb0ES3_PKfPffZZZN2at6native31launch_logcumsumexp_cuda_kernelERKNSB_10TensorBaseESF_lENKUlvE_clEvENKUlvE0_clEvEUlffE_fEEDaPvRmT3_T4_T5_mT6_P12ihipStream_tbENKUlT_T0_E_clISt17integral_constantIbLb1EESV_IbLb0EEEEDaSR_SS_EUlSR_E_NS1_11comp_targetILNS1_3genE8ELNS1_11target_archE1030ELNS1_3gpuE2ELNS1_3repE0EEENS1_30default_config_static_selectorELNS0_4arch9wavefront6targetE1EEEvT1_.kd
    .uniform_work_group_size: 1
    .uses_dynamic_stack: false
    .vgpr_count:     0
    .vgpr_spill_count: 0
    .wavefront_size: 64
  - .agpr_count:     0
    .args:
      - .offset:         0
        .size:           32
        .value_kind:     by_value
    .group_segment_fixed_size: 0
    .kernarg_segment_align: 8
    .kernarg_segment_size: 32
    .language:       OpenCL C
    .language_version:
      - 2
      - 0
    .max_flat_workgroup_size: 256
    .name:           _ZN7rocprim17ROCPRIM_400000_NS6detail17trampoline_kernelINS0_14default_configENS1_20scan_config_selectorIfEEZZNS1_9scan_implILNS1_25lookback_scan_determinismE0ELb0ELb0ES3_PKfPffZZZN2at6native31launch_logcumsumexp_cuda_kernelERKNSB_10TensorBaseESF_lENKUlvE_clEvENKUlvE0_clEvEUlffE_fEEDaPvRmT3_T4_T5_mT6_P12ihipStream_tbENKUlT_T0_E_clISt17integral_constantIbLb1EESV_IbLb0EEEEDaSR_SS_EUlSR_E0_NS1_11comp_targetILNS1_3genE0ELNS1_11target_archE4294967295ELNS1_3gpuE0ELNS1_3repE0EEENS1_30default_config_static_selectorELNS0_4arch9wavefront6targetE1EEEvT1_
    .private_segment_fixed_size: 0
    .sgpr_count:     6
    .sgpr_spill_count: 0
    .symbol:         _ZN7rocprim17ROCPRIM_400000_NS6detail17trampoline_kernelINS0_14default_configENS1_20scan_config_selectorIfEEZZNS1_9scan_implILNS1_25lookback_scan_determinismE0ELb0ELb0ES3_PKfPffZZZN2at6native31launch_logcumsumexp_cuda_kernelERKNSB_10TensorBaseESF_lENKUlvE_clEvENKUlvE0_clEvEUlffE_fEEDaPvRmT3_T4_T5_mT6_P12ihipStream_tbENKUlT_T0_E_clISt17integral_constantIbLb1EESV_IbLb0EEEEDaSR_SS_EUlSR_E0_NS1_11comp_targetILNS1_3genE0ELNS1_11target_archE4294967295ELNS1_3gpuE0ELNS1_3repE0EEENS1_30default_config_static_selectorELNS0_4arch9wavefront6targetE1EEEvT1_.kd
    .uniform_work_group_size: 1
    .uses_dynamic_stack: false
    .vgpr_count:     0
    .vgpr_spill_count: 0
    .wavefront_size: 64
  - .agpr_count:     0
    .args:
      - .offset:         0
        .size:           32
        .value_kind:     by_value
    .group_segment_fixed_size: 24576
    .kernarg_segment_align: 8
    .kernarg_segment_size: 32
    .language:       OpenCL C
    .language_version:
      - 2
      - 0
    .max_flat_workgroup_size: 256
    .name:           _ZN7rocprim17ROCPRIM_400000_NS6detail17trampoline_kernelINS0_14default_configENS1_20scan_config_selectorIfEEZZNS1_9scan_implILNS1_25lookback_scan_determinismE0ELb0ELb0ES3_PKfPffZZZN2at6native31launch_logcumsumexp_cuda_kernelERKNSB_10TensorBaseESF_lENKUlvE_clEvENKUlvE0_clEvEUlffE_fEEDaPvRmT3_T4_T5_mT6_P12ihipStream_tbENKUlT_T0_E_clISt17integral_constantIbLb1EESV_IbLb0EEEEDaSR_SS_EUlSR_E0_NS1_11comp_targetILNS1_3genE5ELNS1_11target_archE942ELNS1_3gpuE9ELNS1_3repE0EEENS1_30default_config_static_selectorELNS0_4arch9wavefront6targetE1EEEvT1_
    .private_segment_fixed_size: 0
    .sgpr_count:     106
    .sgpr_spill_count: 10
    .symbol:         _ZN7rocprim17ROCPRIM_400000_NS6detail17trampoline_kernelINS0_14default_configENS1_20scan_config_selectorIfEEZZNS1_9scan_implILNS1_25lookback_scan_determinismE0ELb0ELb0ES3_PKfPffZZZN2at6native31launch_logcumsumexp_cuda_kernelERKNSB_10TensorBaseESF_lENKUlvE_clEvENKUlvE0_clEvEUlffE_fEEDaPvRmT3_T4_T5_mT6_P12ihipStream_tbENKUlT_T0_E_clISt17integral_constantIbLb1EESV_IbLb0EEEEDaSR_SS_EUlSR_E0_NS1_11comp_targetILNS1_3genE5ELNS1_11target_archE942ELNS1_3gpuE9ELNS1_3repE0EEENS1_30default_config_static_selectorELNS0_4arch9wavefront6targetE1EEEvT1_.kd
    .uniform_work_group_size: 1
    .uses_dynamic_stack: false
    .vgpr_count:     78
    .vgpr_spill_count: 0
    .wavefront_size: 64
  - .agpr_count:     0
    .args:
      - .offset:         0
        .size:           32
        .value_kind:     by_value
    .group_segment_fixed_size: 0
    .kernarg_segment_align: 8
    .kernarg_segment_size: 32
    .language:       OpenCL C
    .language_version:
      - 2
      - 0
    .max_flat_workgroup_size: 128
    .name:           _ZN7rocprim17ROCPRIM_400000_NS6detail17trampoline_kernelINS0_14default_configENS1_20scan_config_selectorIfEEZZNS1_9scan_implILNS1_25lookback_scan_determinismE0ELb0ELb0ES3_PKfPffZZZN2at6native31launch_logcumsumexp_cuda_kernelERKNSB_10TensorBaseESF_lENKUlvE_clEvENKUlvE0_clEvEUlffE_fEEDaPvRmT3_T4_T5_mT6_P12ihipStream_tbENKUlT_T0_E_clISt17integral_constantIbLb1EESV_IbLb0EEEEDaSR_SS_EUlSR_E0_NS1_11comp_targetILNS1_3genE4ELNS1_11target_archE910ELNS1_3gpuE8ELNS1_3repE0EEENS1_30default_config_static_selectorELNS0_4arch9wavefront6targetE1EEEvT1_
    .private_segment_fixed_size: 0
    .sgpr_count:     6
    .sgpr_spill_count: 0
    .symbol:         _ZN7rocprim17ROCPRIM_400000_NS6detail17trampoline_kernelINS0_14default_configENS1_20scan_config_selectorIfEEZZNS1_9scan_implILNS1_25lookback_scan_determinismE0ELb0ELb0ES3_PKfPffZZZN2at6native31launch_logcumsumexp_cuda_kernelERKNSB_10TensorBaseESF_lENKUlvE_clEvENKUlvE0_clEvEUlffE_fEEDaPvRmT3_T4_T5_mT6_P12ihipStream_tbENKUlT_T0_E_clISt17integral_constantIbLb1EESV_IbLb0EEEEDaSR_SS_EUlSR_E0_NS1_11comp_targetILNS1_3genE4ELNS1_11target_archE910ELNS1_3gpuE8ELNS1_3repE0EEENS1_30default_config_static_selectorELNS0_4arch9wavefront6targetE1EEEvT1_.kd
    .uniform_work_group_size: 1
    .uses_dynamic_stack: false
    .vgpr_count:     0
    .vgpr_spill_count: 0
    .wavefront_size: 64
  - .agpr_count:     0
    .args:
      - .offset:         0
        .size:           32
        .value_kind:     by_value
    .group_segment_fixed_size: 0
    .kernarg_segment_align: 8
    .kernarg_segment_size: 32
    .language:       OpenCL C
    .language_version:
      - 2
      - 0
    .max_flat_workgroup_size: 256
    .name:           _ZN7rocprim17ROCPRIM_400000_NS6detail17trampoline_kernelINS0_14default_configENS1_20scan_config_selectorIfEEZZNS1_9scan_implILNS1_25lookback_scan_determinismE0ELb0ELb0ES3_PKfPffZZZN2at6native31launch_logcumsumexp_cuda_kernelERKNSB_10TensorBaseESF_lENKUlvE_clEvENKUlvE0_clEvEUlffE_fEEDaPvRmT3_T4_T5_mT6_P12ihipStream_tbENKUlT_T0_E_clISt17integral_constantIbLb1EESV_IbLb0EEEEDaSR_SS_EUlSR_E0_NS1_11comp_targetILNS1_3genE3ELNS1_11target_archE908ELNS1_3gpuE7ELNS1_3repE0EEENS1_30default_config_static_selectorELNS0_4arch9wavefront6targetE1EEEvT1_
    .private_segment_fixed_size: 0
    .sgpr_count:     6
    .sgpr_spill_count: 0
    .symbol:         _ZN7rocprim17ROCPRIM_400000_NS6detail17trampoline_kernelINS0_14default_configENS1_20scan_config_selectorIfEEZZNS1_9scan_implILNS1_25lookback_scan_determinismE0ELb0ELb0ES3_PKfPffZZZN2at6native31launch_logcumsumexp_cuda_kernelERKNSB_10TensorBaseESF_lENKUlvE_clEvENKUlvE0_clEvEUlffE_fEEDaPvRmT3_T4_T5_mT6_P12ihipStream_tbENKUlT_T0_E_clISt17integral_constantIbLb1EESV_IbLb0EEEEDaSR_SS_EUlSR_E0_NS1_11comp_targetILNS1_3genE3ELNS1_11target_archE908ELNS1_3gpuE7ELNS1_3repE0EEENS1_30default_config_static_selectorELNS0_4arch9wavefront6targetE1EEEvT1_.kd
    .uniform_work_group_size: 1
    .uses_dynamic_stack: false
    .vgpr_count:     0
    .vgpr_spill_count: 0
    .wavefront_size: 64
  - .agpr_count:     0
    .args:
      - .offset:         0
        .size:           32
        .value_kind:     by_value
    .group_segment_fixed_size: 0
    .kernarg_segment_align: 8
    .kernarg_segment_size: 32
    .language:       OpenCL C
    .language_version:
      - 2
      - 0
    .max_flat_workgroup_size: 256
    .name:           _ZN7rocprim17ROCPRIM_400000_NS6detail17trampoline_kernelINS0_14default_configENS1_20scan_config_selectorIfEEZZNS1_9scan_implILNS1_25lookback_scan_determinismE0ELb0ELb0ES3_PKfPffZZZN2at6native31launch_logcumsumexp_cuda_kernelERKNSB_10TensorBaseESF_lENKUlvE_clEvENKUlvE0_clEvEUlffE_fEEDaPvRmT3_T4_T5_mT6_P12ihipStream_tbENKUlT_T0_E_clISt17integral_constantIbLb1EESV_IbLb0EEEEDaSR_SS_EUlSR_E0_NS1_11comp_targetILNS1_3genE2ELNS1_11target_archE906ELNS1_3gpuE6ELNS1_3repE0EEENS1_30default_config_static_selectorELNS0_4arch9wavefront6targetE1EEEvT1_
    .private_segment_fixed_size: 0
    .sgpr_count:     6
    .sgpr_spill_count: 0
    .symbol:         _ZN7rocprim17ROCPRIM_400000_NS6detail17trampoline_kernelINS0_14default_configENS1_20scan_config_selectorIfEEZZNS1_9scan_implILNS1_25lookback_scan_determinismE0ELb0ELb0ES3_PKfPffZZZN2at6native31launch_logcumsumexp_cuda_kernelERKNSB_10TensorBaseESF_lENKUlvE_clEvENKUlvE0_clEvEUlffE_fEEDaPvRmT3_T4_T5_mT6_P12ihipStream_tbENKUlT_T0_E_clISt17integral_constantIbLb1EESV_IbLb0EEEEDaSR_SS_EUlSR_E0_NS1_11comp_targetILNS1_3genE2ELNS1_11target_archE906ELNS1_3gpuE6ELNS1_3repE0EEENS1_30default_config_static_selectorELNS0_4arch9wavefront6targetE1EEEvT1_.kd
    .uniform_work_group_size: 1
    .uses_dynamic_stack: false
    .vgpr_count:     0
    .vgpr_spill_count: 0
    .wavefront_size: 64
  - .agpr_count:     0
    .args:
      - .offset:         0
        .size:           32
        .value_kind:     by_value
    .group_segment_fixed_size: 0
    .kernarg_segment_align: 8
    .kernarg_segment_size: 32
    .language:       OpenCL C
    .language_version:
      - 2
      - 0
    .max_flat_workgroup_size: 256
    .name:           _ZN7rocprim17ROCPRIM_400000_NS6detail17trampoline_kernelINS0_14default_configENS1_20scan_config_selectorIfEEZZNS1_9scan_implILNS1_25lookback_scan_determinismE0ELb0ELb0ES3_PKfPffZZZN2at6native31launch_logcumsumexp_cuda_kernelERKNSB_10TensorBaseESF_lENKUlvE_clEvENKUlvE0_clEvEUlffE_fEEDaPvRmT3_T4_T5_mT6_P12ihipStream_tbENKUlT_T0_E_clISt17integral_constantIbLb1EESV_IbLb0EEEEDaSR_SS_EUlSR_E0_NS1_11comp_targetILNS1_3genE10ELNS1_11target_archE1201ELNS1_3gpuE5ELNS1_3repE0EEENS1_30default_config_static_selectorELNS0_4arch9wavefront6targetE1EEEvT1_
    .private_segment_fixed_size: 0
    .sgpr_count:     6
    .sgpr_spill_count: 0
    .symbol:         _ZN7rocprim17ROCPRIM_400000_NS6detail17trampoline_kernelINS0_14default_configENS1_20scan_config_selectorIfEEZZNS1_9scan_implILNS1_25lookback_scan_determinismE0ELb0ELb0ES3_PKfPffZZZN2at6native31launch_logcumsumexp_cuda_kernelERKNSB_10TensorBaseESF_lENKUlvE_clEvENKUlvE0_clEvEUlffE_fEEDaPvRmT3_T4_T5_mT6_P12ihipStream_tbENKUlT_T0_E_clISt17integral_constantIbLb1EESV_IbLb0EEEEDaSR_SS_EUlSR_E0_NS1_11comp_targetILNS1_3genE10ELNS1_11target_archE1201ELNS1_3gpuE5ELNS1_3repE0EEENS1_30default_config_static_selectorELNS0_4arch9wavefront6targetE1EEEvT1_.kd
    .uniform_work_group_size: 1
    .uses_dynamic_stack: false
    .vgpr_count:     0
    .vgpr_spill_count: 0
    .wavefront_size: 64
  - .agpr_count:     0
    .args:
      - .offset:         0
        .size:           32
        .value_kind:     by_value
    .group_segment_fixed_size: 0
    .kernarg_segment_align: 8
    .kernarg_segment_size: 32
    .language:       OpenCL C
    .language_version:
      - 2
      - 0
    .max_flat_workgroup_size: 256
    .name:           _ZN7rocprim17ROCPRIM_400000_NS6detail17trampoline_kernelINS0_14default_configENS1_20scan_config_selectorIfEEZZNS1_9scan_implILNS1_25lookback_scan_determinismE0ELb0ELb0ES3_PKfPffZZZN2at6native31launch_logcumsumexp_cuda_kernelERKNSB_10TensorBaseESF_lENKUlvE_clEvENKUlvE0_clEvEUlffE_fEEDaPvRmT3_T4_T5_mT6_P12ihipStream_tbENKUlT_T0_E_clISt17integral_constantIbLb1EESV_IbLb0EEEEDaSR_SS_EUlSR_E0_NS1_11comp_targetILNS1_3genE10ELNS1_11target_archE1200ELNS1_3gpuE4ELNS1_3repE0EEENS1_30default_config_static_selectorELNS0_4arch9wavefront6targetE1EEEvT1_
    .private_segment_fixed_size: 0
    .sgpr_count:     6
    .sgpr_spill_count: 0
    .symbol:         _ZN7rocprim17ROCPRIM_400000_NS6detail17trampoline_kernelINS0_14default_configENS1_20scan_config_selectorIfEEZZNS1_9scan_implILNS1_25lookback_scan_determinismE0ELb0ELb0ES3_PKfPffZZZN2at6native31launch_logcumsumexp_cuda_kernelERKNSB_10TensorBaseESF_lENKUlvE_clEvENKUlvE0_clEvEUlffE_fEEDaPvRmT3_T4_T5_mT6_P12ihipStream_tbENKUlT_T0_E_clISt17integral_constantIbLb1EESV_IbLb0EEEEDaSR_SS_EUlSR_E0_NS1_11comp_targetILNS1_3genE10ELNS1_11target_archE1200ELNS1_3gpuE4ELNS1_3repE0EEENS1_30default_config_static_selectorELNS0_4arch9wavefront6targetE1EEEvT1_.kd
    .uniform_work_group_size: 1
    .uses_dynamic_stack: false
    .vgpr_count:     0
    .vgpr_spill_count: 0
    .wavefront_size: 64
  - .agpr_count:     0
    .args:
      - .offset:         0
        .size:           32
        .value_kind:     by_value
    .group_segment_fixed_size: 0
    .kernarg_segment_align: 8
    .kernarg_segment_size: 32
    .language:       OpenCL C
    .language_version:
      - 2
      - 0
    .max_flat_workgroup_size: 256
    .name:           _ZN7rocprim17ROCPRIM_400000_NS6detail17trampoline_kernelINS0_14default_configENS1_20scan_config_selectorIfEEZZNS1_9scan_implILNS1_25lookback_scan_determinismE0ELb0ELb0ES3_PKfPffZZZN2at6native31launch_logcumsumexp_cuda_kernelERKNSB_10TensorBaseESF_lENKUlvE_clEvENKUlvE0_clEvEUlffE_fEEDaPvRmT3_T4_T5_mT6_P12ihipStream_tbENKUlT_T0_E_clISt17integral_constantIbLb1EESV_IbLb0EEEEDaSR_SS_EUlSR_E0_NS1_11comp_targetILNS1_3genE9ELNS1_11target_archE1100ELNS1_3gpuE3ELNS1_3repE0EEENS1_30default_config_static_selectorELNS0_4arch9wavefront6targetE1EEEvT1_
    .private_segment_fixed_size: 0
    .sgpr_count:     6
    .sgpr_spill_count: 0
    .symbol:         _ZN7rocprim17ROCPRIM_400000_NS6detail17trampoline_kernelINS0_14default_configENS1_20scan_config_selectorIfEEZZNS1_9scan_implILNS1_25lookback_scan_determinismE0ELb0ELb0ES3_PKfPffZZZN2at6native31launch_logcumsumexp_cuda_kernelERKNSB_10TensorBaseESF_lENKUlvE_clEvENKUlvE0_clEvEUlffE_fEEDaPvRmT3_T4_T5_mT6_P12ihipStream_tbENKUlT_T0_E_clISt17integral_constantIbLb1EESV_IbLb0EEEEDaSR_SS_EUlSR_E0_NS1_11comp_targetILNS1_3genE9ELNS1_11target_archE1100ELNS1_3gpuE3ELNS1_3repE0EEENS1_30default_config_static_selectorELNS0_4arch9wavefront6targetE1EEEvT1_.kd
    .uniform_work_group_size: 1
    .uses_dynamic_stack: false
    .vgpr_count:     0
    .vgpr_spill_count: 0
    .wavefront_size: 64
  - .agpr_count:     0
    .args:
      - .offset:         0
        .size:           32
        .value_kind:     by_value
    .group_segment_fixed_size: 0
    .kernarg_segment_align: 8
    .kernarg_segment_size: 32
    .language:       OpenCL C
    .language_version:
      - 2
      - 0
    .max_flat_workgroup_size: 64
    .name:           _ZN7rocprim17ROCPRIM_400000_NS6detail17trampoline_kernelINS0_14default_configENS1_20scan_config_selectorIfEEZZNS1_9scan_implILNS1_25lookback_scan_determinismE0ELb0ELb0ES3_PKfPffZZZN2at6native31launch_logcumsumexp_cuda_kernelERKNSB_10TensorBaseESF_lENKUlvE_clEvENKUlvE0_clEvEUlffE_fEEDaPvRmT3_T4_T5_mT6_P12ihipStream_tbENKUlT_T0_E_clISt17integral_constantIbLb1EESV_IbLb0EEEEDaSR_SS_EUlSR_E0_NS1_11comp_targetILNS1_3genE8ELNS1_11target_archE1030ELNS1_3gpuE2ELNS1_3repE0EEENS1_30default_config_static_selectorELNS0_4arch9wavefront6targetE1EEEvT1_
    .private_segment_fixed_size: 0
    .sgpr_count:     6
    .sgpr_spill_count: 0
    .symbol:         _ZN7rocprim17ROCPRIM_400000_NS6detail17trampoline_kernelINS0_14default_configENS1_20scan_config_selectorIfEEZZNS1_9scan_implILNS1_25lookback_scan_determinismE0ELb0ELb0ES3_PKfPffZZZN2at6native31launch_logcumsumexp_cuda_kernelERKNSB_10TensorBaseESF_lENKUlvE_clEvENKUlvE0_clEvEUlffE_fEEDaPvRmT3_T4_T5_mT6_P12ihipStream_tbENKUlT_T0_E_clISt17integral_constantIbLb1EESV_IbLb0EEEEDaSR_SS_EUlSR_E0_NS1_11comp_targetILNS1_3genE8ELNS1_11target_archE1030ELNS1_3gpuE2ELNS1_3repE0EEENS1_30default_config_static_selectorELNS0_4arch9wavefront6targetE1EEEvT1_.kd
    .uniform_work_group_size: 1
    .uses_dynamic_stack: false
    .vgpr_count:     0
    .vgpr_spill_count: 0
    .wavefront_size: 64
  - .agpr_count:     0
    .args:
      - .address_space:  global
        .offset:         0
        .size:           8
        .value_kind:     global_buffer
      - .offset:         8
        .size:           4
        .value_kind:     by_value
      - .address_space:  global
        .offset:         16
        .size:           8
        .value_kind:     global_buffer
      - .offset:         24
        .size:           4
        .value_kind:     by_value
      - .address_space:  global
        .offset:         32
        .size:           8
        .value_kind:     global_buffer
      - .offset:         40
        .size:           4
        .value_kind:     hidden_block_count_x
      - .offset:         44
        .size:           4
        .value_kind:     hidden_block_count_y
      - .offset:         48
        .size:           4
        .value_kind:     hidden_block_count_z
      - .offset:         52
        .size:           2
        .value_kind:     hidden_group_size_x
      - .offset:         54
        .size:           2
        .value_kind:     hidden_group_size_y
      - .offset:         56
        .size:           2
        .value_kind:     hidden_group_size_z
      - .offset:         58
        .size:           2
        .value_kind:     hidden_remainder_x
      - .offset:         60
        .size:           2
        .value_kind:     hidden_remainder_y
      - .offset:         62
        .size:           2
        .value_kind:     hidden_remainder_z
      - .offset:         80
        .size:           8
        .value_kind:     hidden_global_offset_x
      - .offset:         88
        .size:           8
        .value_kind:     hidden_global_offset_y
      - .offset:         96
        .size:           8
        .value_kind:     hidden_global_offset_z
      - .offset:         104
        .size:           2
        .value_kind:     hidden_grid_dims
    .group_segment_fixed_size: 0
    .kernarg_segment_align: 8
    .kernarg_segment_size: 296
    .language:       OpenCL C
    .language_version:
      - 2
      - 0
    .max_flat_workgroup_size: 256
    .name:           _ZN7rocprim17ROCPRIM_400000_NS6detail31init_lookback_scan_state_kernelINS1_19lookback_scan_stateIfLb0ELb1EEENS1_16block_id_wrapperIjLb1EEEEEvT_jT0_jPNS7_10value_typeE
    .private_segment_fixed_size: 0
    .sgpr_count:     17
    .sgpr_spill_count: 0
    .symbol:         _ZN7rocprim17ROCPRIM_400000_NS6detail31init_lookback_scan_state_kernelINS1_19lookback_scan_stateIfLb0ELb1EEENS1_16block_id_wrapperIjLb1EEEEEvT_jT0_jPNS7_10value_typeE.kd
    .uniform_work_group_size: 1
    .uses_dynamic_stack: false
    .vgpr_count:     6
    .vgpr_spill_count: 0
    .wavefront_size: 64
  - .agpr_count:     0
    .args:
      - .offset:         0
        .size:           96
        .value_kind:     by_value
    .group_segment_fixed_size: 0
    .kernarg_segment_align: 8
    .kernarg_segment_size: 96
    .language:       OpenCL C
    .language_version:
      - 2
      - 0
    .max_flat_workgroup_size: 256
    .name:           _ZN7rocprim17ROCPRIM_400000_NS6detail17trampoline_kernelINS0_14default_configENS1_20scan_config_selectorIfEEZZNS1_9scan_implILNS1_25lookback_scan_determinismE0ELb0ELb0ES3_PKfPffZZZN2at6native31launch_logcumsumexp_cuda_kernelERKNSB_10TensorBaseESF_lENKUlvE_clEvENKUlvE0_clEvEUlffE_fEEDaPvRmT3_T4_T5_mT6_P12ihipStream_tbENKUlT_T0_E_clISt17integral_constantIbLb0EESV_IbLb1EEEEDaSR_SS_EUlSR_E_NS1_11comp_targetILNS1_3genE0ELNS1_11target_archE4294967295ELNS1_3gpuE0ELNS1_3repE0EEENS1_30default_config_static_selectorELNS0_4arch9wavefront6targetE1EEEvT1_
    .private_segment_fixed_size: 0
    .sgpr_count:     6
    .sgpr_spill_count: 0
    .symbol:         _ZN7rocprim17ROCPRIM_400000_NS6detail17trampoline_kernelINS0_14default_configENS1_20scan_config_selectorIfEEZZNS1_9scan_implILNS1_25lookback_scan_determinismE0ELb0ELb0ES3_PKfPffZZZN2at6native31launch_logcumsumexp_cuda_kernelERKNSB_10TensorBaseESF_lENKUlvE_clEvENKUlvE0_clEvEUlffE_fEEDaPvRmT3_T4_T5_mT6_P12ihipStream_tbENKUlT_T0_E_clISt17integral_constantIbLb0EESV_IbLb1EEEEDaSR_SS_EUlSR_E_NS1_11comp_targetILNS1_3genE0ELNS1_11target_archE4294967295ELNS1_3gpuE0ELNS1_3repE0EEENS1_30default_config_static_selectorELNS0_4arch9wavefront6targetE1EEEvT1_.kd
    .uniform_work_group_size: 1
    .uses_dynamic_stack: false
    .vgpr_count:     0
    .vgpr_spill_count: 0
    .wavefront_size: 64
  - .agpr_count:     0
    .args:
      - .offset:         0
        .size:           96
        .value_kind:     by_value
      - .offset:         96
        .size:           4
        .value_kind:     hidden_block_count_x
      - .offset:         100
        .size:           4
        .value_kind:     hidden_block_count_y
      - .offset:         104
        .size:           4
        .value_kind:     hidden_block_count_z
      - .offset:         108
        .size:           2
        .value_kind:     hidden_group_size_x
      - .offset:         110
        .size:           2
        .value_kind:     hidden_group_size_y
      - .offset:         112
        .size:           2
        .value_kind:     hidden_group_size_z
      - .offset:         114
        .size:           2
        .value_kind:     hidden_remainder_x
      - .offset:         116
        .size:           2
        .value_kind:     hidden_remainder_y
      - .offset:         118
        .size:           2
        .value_kind:     hidden_remainder_z
      - .offset:         136
        .size:           8
        .value_kind:     hidden_global_offset_x
      - .offset:         144
        .size:           8
        .value_kind:     hidden_global_offset_y
      - .offset:         152
        .size:           8
        .value_kind:     hidden_global_offset_z
      - .offset:         160
        .size:           2
        .value_kind:     hidden_grid_dims
    .group_segment_fixed_size: 24576
    .kernarg_segment_align: 8
    .kernarg_segment_size: 352
    .language:       OpenCL C
    .language_version:
      - 2
      - 0
    .max_flat_workgroup_size: 256
    .name:           _ZN7rocprim17ROCPRIM_400000_NS6detail17trampoline_kernelINS0_14default_configENS1_20scan_config_selectorIfEEZZNS1_9scan_implILNS1_25lookback_scan_determinismE0ELb0ELb0ES3_PKfPffZZZN2at6native31launch_logcumsumexp_cuda_kernelERKNSB_10TensorBaseESF_lENKUlvE_clEvENKUlvE0_clEvEUlffE_fEEDaPvRmT3_T4_T5_mT6_P12ihipStream_tbENKUlT_T0_E_clISt17integral_constantIbLb0EESV_IbLb1EEEEDaSR_SS_EUlSR_E_NS1_11comp_targetILNS1_3genE5ELNS1_11target_archE942ELNS1_3gpuE9ELNS1_3repE0EEENS1_30default_config_static_selectorELNS0_4arch9wavefront6targetE1EEEvT1_
    .private_segment_fixed_size: 120
    .sgpr_count:     80
    .sgpr_spill_count: 0
    .symbol:         _ZN7rocprim17ROCPRIM_400000_NS6detail17trampoline_kernelINS0_14default_configENS1_20scan_config_selectorIfEEZZNS1_9scan_implILNS1_25lookback_scan_determinismE0ELb0ELb0ES3_PKfPffZZZN2at6native31launch_logcumsumexp_cuda_kernelERKNSB_10TensorBaseESF_lENKUlvE_clEvENKUlvE0_clEvEUlffE_fEEDaPvRmT3_T4_T5_mT6_P12ihipStream_tbENKUlT_T0_E_clISt17integral_constantIbLb0EESV_IbLb1EEEEDaSR_SS_EUlSR_E_NS1_11comp_targetILNS1_3genE5ELNS1_11target_archE942ELNS1_3gpuE9ELNS1_3repE0EEENS1_30default_config_static_selectorELNS0_4arch9wavefront6targetE1EEEvT1_.kd
    .uniform_work_group_size: 1
    .uses_dynamic_stack: false
    .vgpr_count:     196
    .vgpr_spill_count: 0
    .wavefront_size: 64
  - .agpr_count:     0
    .args:
      - .offset:         0
        .size:           96
        .value_kind:     by_value
    .group_segment_fixed_size: 0
    .kernarg_segment_align: 8
    .kernarg_segment_size: 96
    .language:       OpenCL C
    .language_version:
      - 2
      - 0
    .max_flat_workgroup_size: 128
    .name:           _ZN7rocprim17ROCPRIM_400000_NS6detail17trampoline_kernelINS0_14default_configENS1_20scan_config_selectorIfEEZZNS1_9scan_implILNS1_25lookback_scan_determinismE0ELb0ELb0ES3_PKfPffZZZN2at6native31launch_logcumsumexp_cuda_kernelERKNSB_10TensorBaseESF_lENKUlvE_clEvENKUlvE0_clEvEUlffE_fEEDaPvRmT3_T4_T5_mT6_P12ihipStream_tbENKUlT_T0_E_clISt17integral_constantIbLb0EESV_IbLb1EEEEDaSR_SS_EUlSR_E_NS1_11comp_targetILNS1_3genE4ELNS1_11target_archE910ELNS1_3gpuE8ELNS1_3repE0EEENS1_30default_config_static_selectorELNS0_4arch9wavefront6targetE1EEEvT1_
    .private_segment_fixed_size: 0
    .sgpr_count:     6
    .sgpr_spill_count: 0
    .symbol:         _ZN7rocprim17ROCPRIM_400000_NS6detail17trampoline_kernelINS0_14default_configENS1_20scan_config_selectorIfEEZZNS1_9scan_implILNS1_25lookback_scan_determinismE0ELb0ELb0ES3_PKfPffZZZN2at6native31launch_logcumsumexp_cuda_kernelERKNSB_10TensorBaseESF_lENKUlvE_clEvENKUlvE0_clEvEUlffE_fEEDaPvRmT3_T4_T5_mT6_P12ihipStream_tbENKUlT_T0_E_clISt17integral_constantIbLb0EESV_IbLb1EEEEDaSR_SS_EUlSR_E_NS1_11comp_targetILNS1_3genE4ELNS1_11target_archE910ELNS1_3gpuE8ELNS1_3repE0EEENS1_30default_config_static_selectorELNS0_4arch9wavefront6targetE1EEEvT1_.kd
    .uniform_work_group_size: 1
    .uses_dynamic_stack: false
    .vgpr_count:     0
    .vgpr_spill_count: 0
    .wavefront_size: 64
  - .agpr_count:     0
    .args:
      - .offset:         0
        .size:           96
        .value_kind:     by_value
    .group_segment_fixed_size: 0
    .kernarg_segment_align: 8
    .kernarg_segment_size: 96
    .language:       OpenCL C
    .language_version:
      - 2
      - 0
    .max_flat_workgroup_size: 256
    .name:           _ZN7rocprim17ROCPRIM_400000_NS6detail17trampoline_kernelINS0_14default_configENS1_20scan_config_selectorIfEEZZNS1_9scan_implILNS1_25lookback_scan_determinismE0ELb0ELb0ES3_PKfPffZZZN2at6native31launch_logcumsumexp_cuda_kernelERKNSB_10TensorBaseESF_lENKUlvE_clEvENKUlvE0_clEvEUlffE_fEEDaPvRmT3_T4_T5_mT6_P12ihipStream_tbENKUlT_T0_E_clISt17integral_constantIbLb0EESV_IbLb1EEEEDaSR_SS_EUlSR_E_NS1_11comp_targetILNS1_3genE3ELNS1_11target_archE908ELNS1_3gpuE7ELNS1_3repE0EEENS1_30default_config_static_selectorELNS0_4arch9wavefront6targetE1EEEvT1_
    .private_segment_fixed_size: 0
    .sgpr_count:     6
    .sgpr_spill_count: 0
    .symbol:         _ZN7rocprim17ROCPRIM_400000_NS6detail17trampoline_kernelINS0_14default_configENS1_20scan_config_selectorIfEEZZNS1_9scan_implILNS1_25lookback_scan_determinismE0ELb0ELb0ES3_PKfPffZZZN2at6native31launch_logcumsumexp_cuda_kernelERKNSB_10TensorBaseESF_lENKUlvE_clEvENKUlvE0_clEvEUlffE_fEEDaPvRmT3_T4_T5_mT6_P12ihipStream_tbENKUlT_T0_E_clISt17integral_constantIbLb0EESV_IbLb1EEEEDaSR_SS_EUlSR_E_NS1_11comp_targetILNS1_3genE3ELNS1_11target_archE908ELNS1_3gpuE7ELNS1_3repE0EEENS1_30default_config_static_selectorELNS0_4arch9wavefront6targetE1EEEvT1_.kd
    .uniform_work_group_size: 1
    .uses_dynamic_stack: false
    .vgpr_count:     0
    .vgpr_spill_count: 0
    .wavefront_size: 64
  - .agpr_count:     0
    .args:
      - .offset:         0
        .size:           96
        .value_kind:     by_value
    .group_segment_fixed_size: 0
    .kernarg_segment_align: 8
    .kernarg_segment_size: 96
    .language:       OpenCL C
    .language_version:
      - 2
      - 0
    .max_flat_workgroup_size: 256
    .name:           _ZN7rocprim17ROCPRIM_400000_NS6detail17trampoline_kernelINS0_14default_configENS1_20scan_config_selectorIfEEZZNS1_9scan_implILNS1_25lookback_scan_determinismE0ELb0ELb0ES3_PKfPffZZZN2at6native31launch_logcumsumexp_cuda_kernelERKNSB_10TensorBaseESF_lENKUlvE_clEvENKUlvE0_clEvEUlffE_fEEDaPvRmT3_T4_T5_mT6_P12ihipStream_tbENKUlT_T0_E_clISt17integral_constantIbLb0EESV_IbLb1EEEEDaSR_SS_EUlSR_E_NS1_11comp_targetILNS1_3genE2ELNS1_11target_archE906ELNS1_3gpuE6ELNS1_3repE0EEENS1_30default_config_static_selectorELNS0_4arch9wavefront6targetE1EEEvT1_
    .private_segment_fixed_size: 0
    .sgpr_count:     6
    .sgpr_spill_count: 0
    .symbol:         _ZN7rocprim17ROCPRIM_400000_NS6detail17trampoline_kernelINS0_14default_configENS1_20scan_config_selectorIfEEZZNS1_9scan_implILNS1_25lookback_scan_determinismE0ELb0ELb0ES3_PKfPffZZZN2at6native31launch_logcumsumexp_cuda_kernelERKNSB_10TensorBaseESF_lENKUlvE_clEvENKUlvE0_clEvEUlffE_fEEDaPvRmT3_T4_T5_mT6_P12ihipStream_tbENKUlT_T0_E_clISt17integral_constantIbLb0EESV_IbLb1EEEEDaSR_SS_EUlSR_E_NS1_11comp_targetILNS1_3genE2ELNS1_11target_archE906ELNS1_3gpuE6ELNS1_3repE0EEENS1_30default_config_static_selectorELNS0_4arch9wavefront6targetE1EEEvT1_.kd
    .uniform_work_group_size: 1
    .uses_dynamic_stack: false
    .vgpr_count:     0
    .vgpr_spill_count: 0
    .wavefront_size: 64
  - .agpr_count:     0
    .args:
      - .offset:         0
        .size:           96
        .value_kind:     by_value
    .group_segment_fixed_size: 0
    .kernarg_segment_align: 8
    .kernarg_segment_size: 96
    .language:       OpenCL C
    .language_version:
      - 2
      - 0
    .max_flat_workgroup_size: 256
    .name:           _ZN7rocprim17ROCPRIM_400000_NS6detail17trampoline_kernelINS0_14default_configENS1_20scan_config_selectorIfEEZZNS1_9scan_implILNS1_25lookback_scan_determinismE0ELb0ELb0ES3_PKfPffZZZN2at6native31launch_logcumsumexp_cuda_kernelERKNSB_10TensorBaseESF_lENKUlvE_clEvENKUlvE0_clEvEUlffE_fEEDaPvRmT3_T4_T5_mT6_P12ihipStream_tbENKUlT_T0_E_clISt17integral_constantIbLb0EESV_IbLb1EEEEDaSR_SS_EUlSR_E_NS1_11comp_targetILNS1_3genE10ELNS1_11target_archE1201ELNS1_3gpuE5ELNS1_3repE0EEENS1_30default_config_static_selectorELNS0_4arch9wavefront6targetE1EEEvT1_
    .private_segment_fixed_size: 0
    .sgpr_count:     6
    .sgpr_spill_count: 0
    .symbol:         _ZN7rocprim17ROCPRIM_400000_NS6detail17trampoline_kernelINS0_14default_configENS1_20scan_config_selectorIfEEZZNS1_9scan_implILNS1_25lookback_scan_determinismE0ELb0ELb0ES3_PKfPffZZZN2at6native31launch_logcumsumexp_cuda_kernelERKNSB_10TensorBaseESF_lENKUlvE_clEvENKUlvE0_clEvEUlffE_fEEDaPvRmT3_T4_T5_mT6_P12ihipStream_tbENKUlT_T0_E_clISt17integral_constantIbLb0EESV_IbLb1EEEEDaSR_SS_EUlSR_E_NS1_11comp_targetILNS1_3genE10ELNS1_11target_archE1201ELNS1_3gpuE5ELNS1_3repE0EEENS1_30default_config_static_selectorELNS0_4arch9wavefront6targetE1EEEvT1_.kd
    .uniform_work_group_size: 1
    .uses_dynamic_stack: false
    .vgpr_count:     0
    .vgpr_spill_count: 0
    .wavefront_size: 64
  - .agpr_count:     0
    .args:
      - .offset:         0
        .size:           96
        .value_kind:     by_value
    .group_segment_fixed_size: 0
    .kernarg_segment_align: 8
    .kernarg_segment_size: 96
    .language:       OpenCL C
    .language_version:
      - 2
      - 0
    .max_flat_workgroup_size: 256
    .name:           _ZN7rocprim17ROCPRIM_400000_NS6detail17trampoline_kernelINS0_14default_configENS1_20scan_config_selectorIfEEZZNS1_9scan_implILNS1_25lookback_scan_determinismE0ELb0ELb0ES3_PKfPffZZZN2at6native31launch_logcumsumexp_cuda_kernelERKNSB_10TensorBaseESF_lENKUlvE_clEvENKUlvE0_clEvEUlffE_fEEDaPvRmT3_T4_T5_mT6_P12ihipStream_tbENKUlT_T0_E_clISt17integral_constantIbLb0EESV_IbLb1EEEEDaSR_SS_EUlSR_E_NS1_11comp_targetILNS1_3genE10ELNS1_11target_archE1200ELNS1_3gpuE4ELNS1_3repE0EEENS1_30default_config_static_selectorELNS0_4arch9wavefront6targetE1EEEvT1_
    .private_segment_fixed_size: 0
    .sgpr_count:     6
    .sgpr_spill_count: 0
    .symbol:         _ZN7rocprim17ROCPRIM_400000_NS6detail17trampoline_kernelINS0_14default_configENS1_20scan_config_selectorIfEEZZNS1_9scan_implILNS1_25lookback_scan_determinismE0ELb0ELb0ES3_PKfPffZZZN2at6native31launch_logcumsumexp_cuda_kernelERKNSB_10TensorBaseESF_lENKUlvE_clEvENKUlvE0_clEvEUlffE_fEEDaPvRmT3_T4_T5_mT6_P12ihipStream_tbENKUlT_T0_E_clISt17integral_constantIbLb0EESV_IbLb1EEEEDaSR_SS_EUlSR_E_NS1_11comp_targetILNS1_3genE10ELNS1_11target_archE1200ELNS1_3gpuE4ELNS1_3repE0EEENS1_30default_config_static_selectorELNS0_4arch9wavefront6targetE1EEEvT1_.kd
    .uniform_work_group_size: 1
    .uses_dynamic_stack: false
    .vgpr_count:     0
    .vgpr_spill_count: 0
    .wavefront_size: 64
  - .agpr_count:     0
    .args:
      - .offset:         0
        .size:           96
        .value_kind:     by_value
    .group_segment_fixed_size: 0
    .kernarg_segment_align: 8
    .kernarg_segment_size: 96
    .language:       OpenCL C
    .language_version:
      - 2
      - 0
    .max_flat_workgroup_size: 256
    .name:           _ZN7rocprim17ROCPRIM_400000_NS6detail17trampoline_kernelINS0_14default_configENS1_20scan_config_selectorIfEEZZNS1_9scan_implILNS1_25lookback_scan_determinismE0ELb0ELb0ES3_PKfPffZZZN2at6native31launch_logcumsumexp_cuda_kernelERKNSB_10TensorBaseESF_lENKUlvE_clEvENKUlvE0_clEvEUlffE_fEEDaPvRmT3_T4_T5_mT6_P12ihipStream_tbENKUlT_T0_E_clISt17integral_constantIbLb0EESV_IbLb1EEEEDaSR_SS_EUlSR_E_NS1_11comp_targetILNS1_3genE9ELNS1_11target_archE1100ELNS1_3gpuE3ELNS1_3repE0EEENS1_30default_config_static_selectorELNS0_4arch9wavefront6targetE1EEEvT1_
    .private_segment_fixed_size: 0
    .sgpr_count:     6
    .sgpr_spill_count: 0
    .symbol:         _ZN7rocprim17ROCPRIM_400000_NS6detail17trampoline_kernelINS0_14default_configENS1_20scan_config_selectorIfEEZZNS1_9scan_implILNS1_25lookback_scan_determinismE0ELb0ELb0ES3_PKfPffZZZN2at6native31launch_logcumsumexp_cuda_kernelERKNSB_10TensorBaseESF_lENKUlvE_clEvENKUlvE0_clEvEUlffE_fEEDaPvRmT3_T4_T5_mT6_P12ihipStream_tbENKUlT_T0_E_clISt17integral_constantIbLb0EESV_IbLb1EEEEDaSR_SS_EUlSR_E_NS1_11comp_targetILNS1_3genE9ELNS1_11target_archE1100ELNS1_3gpuE3ELNS1_3repE0EEENS1_30default_config_static_selectorELNS0_4arch9wavefront6targetE1EEEvT1_.kd
    .uniform_work_group_size: 1
    .uses_dynamic_stack: false
    .vgpr_count:     0
    .vgpr_spill_count: 0
    .wavefront_size: 64
  - .agpr_count:     0
    .args:
      - .offset:         0
        .size:           96
        .value_kind:     by_value
    .group_segment_fixed_size: 0
    .kernarg_segment_align: 8
    .kernarg_segment_size: 96
    .language:       OpenCL C
    .language_version:
      - 2
      - 0
    .max_flat_workgroup_size: 64
    .name:           _ZN7rocprim17ROCPRIM_400000_NS6detail17trampoline_kernelINS0_14default_configENS1_20scan_config_selectorIfEEZZNS1_9scan_implILNS1_25lookback_scan_determinismE0ELb0ELb0ES3_PKfPffZZZN2at6native31launch_logcumsumexp_cuda_kernelERKNSB_10TensorBaseESF_lENKUlvE_clEvENKUlvE0_clEvEUlffE_fEEDaPvRmT3_T4_T5_mT6_P12ihipStream_tbENKUlT_T0_E_clISt17integral_constantIbLb0EESV_IbLb1EEEEDaSR_SS_EUlSR_E_NS1_11comp_targetILNS1_3genE8ELNS1_11target_archE1030ELNS1_3gpuE2ELNS1_3repE0EEENS1_30default_config_static_selectorELNS0_4arch9wavefront6targetE1EEEvT1_
    .private_segment_fixed_size: 0
    .sgpr_count:     6
    .sgpr_spill_count: 0
    .symbol:         _ZN7rocprim17ROCPRIM_400000_NS6detail17trampoline_kernelINS0_14default_configENS1_20scan_config_selectorIfEEZZNS1_9scan_implILNS1_25lookback_scan_determinismE0ELb0ELb0ES3_PKfPffZZZN2at6native31launch_logcumsumexp_cuda_kernelERKNSB_10TensorBaseESF_lENKUlvE_clEvENKUlvE0_clEvEUlffE_fEEDaPvRmT3_T4_T5_mT6_P12ihipStream_tbENKUlT_T0_E_clISt17integral_constantIbLb0EESV_IbLb1EEEEDaSR_SS_EUlSR_E_NS1_11comp_targetILNS1_3genE8ELNS1_11target_archE1030ELNS1_3gpuE2ELNS1_3repE0EEENS1_30default_config_static_selectorELNS0_4arch9wavefront6targetE1EEEvT1_.kd
    .uniform_work_group_size: 1
    .uses_dynamic_stack: false
    .vgpr_count:     0
    .vgpr_spill_count: 0
    .wavefront_size: 64
  - .agpr_count:     0
    .args:
      - .offset:         0
        .size:           32
        .value_kind:     by_value
    .group_segment_fixed_size: 0
    .kernarg_segment_align: 8
    .kernarg_segment_size: 32
    .language:       OpenCL C
    .language_version:
      - 2
      - 0
    .max_flat_workgroup_size: 256
    .name:           _ZN7rocprim17ROCPRIM_400000_NS6detail17trampoline_kernelINS0_14default_configENS1_20scan_config_selectorIfEEZZNS1_9scan_implILNS1_25lookback_scan_determinismE0ELb0ELb0ES3_PKfPffZZZN2at6native31launch_logcumsumexp_cuda_kernelERKNSB_10TensorBaseESF_lENKUlvE_clEvENKUlvE0_clEvEUlffE_fEEDaPvRmT3_T4_T5_mT6_P12ihipStream_tbENKUlT_T0_E_clISt17integral_constantIbLb0EESV_IbLb1EEEEDaSR_SS_EUlSR_E0_NS1_11comp_targetILNS1_3genE0ELNS1_11target_archE4294967295ELNS1_3gpuE0ELNS1_3repE0EEENS1_30default_config_static_selectorELNS0_4arch9wavefront6targetE1EEEvT1_
    .private_segment_fixed_size: 0
    .sgpr_count:     6
    .sgpr_spill_count: 0
    .symbol:         _ZN7rocprim17ROCPRIM_400000_NS6detail17trampoline_kernelINS0_14default_configENS1_20scan_config_selectorIfEEZZNS1_9scan_implILNS1_25lookback_scan_determinismE0ELb0ELb0ES3_PKfPffZZZN2at6native31launch_logcumsumexp_cuda_kernelERKNSB_10TensorBaseESF_lENKUlvE_clEvENKUlvE0_clEvEUlffE_fEEDaPvRmT3_T4_T5_mT6_P12ihipStream_tbENKUlT_T0_E_clISt17integral_constantIbLb0EESV_IbLb1EEEEDaSR_SS_EUlSR_E0_NS1_11comp_targetILNS1_3genE0ELNS1_11target_archE4294967295ELNS1_3gpuE0ELNS1_3repE0EEENS1_30default_config_static_selectorELNS0_4arch9wavefront6targetE1EEEvT1_.kd
    .uniform_work_group_size: 1
    .uses_dynamic_stack: false
    .vgpr_count:     0
    .vgpr_spill_count: 0
    .wavefront_size: 64
  - .agpr_count:     0
    .args:
      - .offset:         0
        .size:           32
        .value_kind:     by_value
    .group_segment_fixed_size: 24576
    .kernarg_segment_align: 8
    .kernarg_segment_size: 32
    .language:       OpenCL C
    .language_version:
      - 2
      - 0
    .max_flat_workgroup_size: 256
    .name:           _ZN7rocprim17ROCPRIM_400000_NS6detail17trampoline_kernelINS0_14default_configENS1_20scan_config_selectorIfEEZZNS1_9scan_implILNS1_25lookback_scan_determinismE0ELb0ELb0ES3_PKfPffZZZN2at6native31launch_logcumsumexp_cuda_kernelERKNSB_10TensorBaseESF_lENKUlvE_clEvENKUlvE0_clEvEUlffE_fEEDaPvRmT3_T4_T5_mT6_P12ihipStream_tbENKUlT_T0_E_clISt17integral_constantIbLb0EESV_IbLb1EEEEDaSR_SS_EUlSR_E0_NS1_11comp_targetILNS1_3genE5ELNS1_11target_archE942ELNS1_3gpuE9ELNS1_3repE0EEENS1_30default_config_static_selectorELNS0_4arch9wavefront6targetE1EEEvT1_
    .private_segment_fixed_size: 0
    .sgpr_count:     106
    .sgpr_spill_count: 10
    .symbol:         _ZN7rocprim17ROCPRIM_400000_NS6detail17trampoline_kernelINS0_14default_configENS1_20scan_config_selectorIfEEZZNS1_9scan_implILNS1_25lookback_scan_determinismE0ELb0ELb0ES3_PKfPffZZZN2at6native31launch_logcumsumexp_cuda_kernelERKNSB_10TensorBaseESF_lENKUlvE_clEvENKUlvE0_clEvEUlffE_fEEDaPvRmT3_T4_T5_mT6_P12ihipStream_tbENKUlT_T0_E_clISt17integral_constantIbLb0EESV_IbLb1EEEEDaSR_SS_EUlSR_E0_NS1_11comp_targetILNS1_3genE5ELNS1_11target_archE942ELNS1_3gpuE9ELNS1_3repE0EEENS1_30default_config_static_selectorELNS0_4arch9wavefront6targetE1EEEvT1_.kd
    .uniform_work_group_size: 1
    .uses_dynamic_stack: false
    .vgpr_count:     78
    .vgpr_spill_count: 0
    .wavefront_size: 64
  - .agpr_count:     0
    .args:
      - .offset:         0
        .size:           32
        .value_kind:     by_value
    .group_segment_fixed_size: 0
    .kernarg_segment_align: 8
    .kernarg_segment_size: 32
    .language:       OpenCL C
    .language_version:
      - 2
      - 0
    .max_flat_workgroup_size: 128
    .name:           _ZN7rocprim17ROCPRIM_400000_NS6detail17trampoline_kernelINS0_14default_configENS1_20scan_config_selectorIfEEZZNS1_9scan_implILNS1_25lookback_scan_determinismE0ELb0ELb0ES3_PKfPffZZZN2at6native31launch_logcumsumexp_cuda_kernelERKNSB_10TensorBaseESF_lENKUlvE_clEvENKUlvE0_clEvEUlffE_fEEDaPvRmT3_T4_T5_mT6_P12ihipStream_tbENKUlT_T0_E_clISt17integral_constantIbLb0EESV_IbLb1EEEEDaSR_SS_EUlSR_E0_NS1_11comp_targetILNS1_3genE4ELNS1_11target_archE910ELNS1_3gpuE8ELNS1_3repE0EEENS1_30default_config_static_selectorELNS0_4arch9wavefront6targetE1EEEvT1_
    .private_segment_fixed_size: 0
    .sgpr_count:     6
    .sgpr_spill_count: 0
    .symbol:         _ZN7rocprim17ROCPRIM_400000_NS6detail17trampoline_kernelINS0_14default_configENS1_20scan_config_selectorIfEEZZNS1_9scan_implILNS1_25lookback_scan_determinismE0ELb0ELb0ES3_PKfPffZZZN2at6native31launch_logcumsumexp_cuda_kernelERKNSB_10TensorBaseESF_lENKUlvE_clEvENKUlvE0_clEvEUlffE_fEEDaPvRmT3_T4_T5_mT6_P12ihipStream_tbENKUlT_T0_E_clISt17integral_constantIbLb0EESV_IbLb1EEEEDaSR_SS_EUlSR_E0_NS1_11comp_targetILNS1_3genE4ELNS1_11target_archE910ELNS1_3gpuE8ELNS1_3repE0EEENS1_30default_config_static_selectorELNS0_4arch9wavefront6targetE1EEEvT1_.kd
    .uniform_work_group_size: 1
    .uses_dynamic_stack: false
    .vgpr_count:     0
    .vgpr_spill_count: 0
    .wavefront_size: 64
  - .agpr_count:     0
    .args:
      - .offset:         0
        .size:           32
        .value_kind:     by_value
    .group_segment_fixed_size: 0
    .kernarg_segment_align: 8
    .kernarg_segment_size: 32
    .language:       OpenCL C
    .language_version:
      - 2
      - 0
    .max_flat_workgroup_size: 256
    .name:           _ZN7rocprim17ROCPRIM_400000_NS6detail17trampoline_kernelINS0_14default_configENS1_20scan_config_selectorIfEEZZNS1_9scan_implILNS1_25lookback_scan_determinismE0ELb0ELb0ES3_PKfPffZZZN2at6native31launch_logcumsumexp_cuda_kernelERKNSB_10TensorBaseESF_lENKUlvE_clEvENKUlvE0_clEvEUlffE_fEEDaPvRmT3_T4_T5_mT6_P12ihipStream_tbENKUlT_T0_E_clISt17integral_constantIbLb0EESV_IbLb1EEEEDaSR_SS_EUlSR_E0_NS1_11comp_targetILNS1_3genE3ELNS1_11target_archE908ELNS1_3gpuE7ELNS1_3repE0EEENS1_30default_config_static_selectorELNS0_4arch9wavefront6targetE1EEEvT1_
    .private_segment_fixed_size: 0
    .sgpr_count:     6
    .sgpr_spill_count: 0
    .symbol:         _ZN7rocprim17ROCPRIM_400000_NS6detail17trampoline_kernelINS0_14default_configENS1_20scan_config_selectorIfEEZZNS1_9scan_implILNS1_25lookback_scan_determinismE0ELb0ELb0ES3_PKfPffZZZN2at6native31launch_logcumsumexp_cuda_kernelERKNSB_10TensorBaseESF_lENKUlvE_clEvENKUlvE0_clEvEUlffE_fEEDaPvRmT3_T4_T5_mT6_P12ihipStream_tbENKUlT_T0_E_clISt17integral_constantIbLb0EESV_IbLb1EEEEDaSR_SS_EUlSR_E0_NS1_11comp_targetILNS1_3genE3ELNS1_11target_archE908ELNS1_3gpuE7ELNS1_3repE0EEENS1_30default_config_static_selectorELNS0_4arch9wavefront6targetE1EEEvT1_.kd
    .uniform_work_group_size: 1
    .uses_dynamic_stack: false
    .vgpr_count:     0
    .vgpr_spill_count: 0
    .wavefront_size: 64
  - .agpr_count:     0
    .args:
      - .offset:         0
        .size:           32
        .value_kind:     by_value
    .group_segment_fixed_size: 0
    .kernarg_segment_align: 8
    .kernarg_segment_size: 32
    .language:       OpenCL C
    .language_version:
      - 2
      - 0
    .max_flat_workgroup_size: 256
    .name:           _ZN7rocprim17ROCPRIM_400000_NS6detail17trampoline_kernelINS0_14default_configENS1_20scan_config_selectorIfEEZZNS1_9scan_implILNS1_25lookback_scan_determinismE0ELb0ELb0ES3_PKfPffZZZN2at6native31launch_logcumsumexp_cuda_kernelERKNSB_10TensorBaseESF_lENKUlvE_clEvENKUlvE0_clEvEUlffE_fEEDaPvRmT3_T4_T5_mT6_P12ihipStream_tbENKUlT_T0_E_clISt17integral_constantIbLb0EESV_IbLb1EEEEDaSR_SS_EUlSR_E0_NS1_11comp_targetILNS1_3genE2ELNS1_11target_archE906ELNS1_3gpuE6ELNS1_3repE0EEENS1_30default_config_static_selectorELNS0_4arch9wavefront6targetE1EEEvT1_
    .private_segment_fixed_size: 0
    .sgpr_count:     6
    .sgpr_spill_count: 0
    .symbol:         _ZN7rocprim17ROCPRIM_400000_NS6detail17trampoline_kernelINS0_14default_configENS1_20scan_config_selectorIfEEZZNS1_9scan_implILNS1_25lookback_scan_determinismE0ELb0ELb0ES3_PKfPffZZZN2at6native31launch_logcumsumexp_cuda_kernelERKNSB_10TensorBaseESF_lENKUlvE_clEvENKUlvE0_clEvEUlffE_fEEDaPvRmT3_T4_T5_mT6_P12ihipStream_tbENKUlT_T0_E_clISt17integral_constantIbLb0EESV_IbLb1EEEEDaSR_SS_EUlSR_E0_NS1_11comp_targetILNS1_3genE2ELNS1_11target_archE906ELNS1_3gpuE6ELNS1_3repE0EEENS1_30default_config_static_selectorELNS0_4arch9wavefront6targetE1EEEvT1_.kd
    .uniform_work_group_size: 1
    .uses_dynamic_stack: false
    .vgpr_count:     0
    .vgpr_spill_count: 0
    .wavefront_size: 64
  - .agpr_count:     0
    .args:
      - .offset:         0
        .size:           32
        .value_kind:     by_value
    .group_segment_fixed_size: 0
    .kernarg_segment_align: 8
    .kernarg_segment_size: 32
    .language:       OpenCL C
    .language_version:
      - 2
      - 0
    .max_flat_workgroup_size: 256
    .name:           _ZN7rocprim17ROCPRIM_400000_NS6detail17trampoline_kernelINS0_14default_configENS1_20scan_config_selectorIfEEZZNS1_9scan_implILNS1_25lookback_scan_determinismE0ELb0ELb0ES3_PKfPffZZZN2at6native31launch_logcumsumexp_cuda_kernelERKNSB_10TensorBaseESF_lENKUlvE_clEvENKUlvE0_clEvEUlffE_fEEDaPvRmT3_T4_T5_mT6_P12ihipStream_tbENKUlT_T0_E_clISt17integral_constantIbLb0EESV_IbLb1EEEEDaSR_SS_EUlSR_E0_NS1_11comp_targetILNS1_3genE10ELNS1_11target_archE1201ELNS1_3gpuE5ELNS1_3repE0EEENS1_30default_config_static_selectorELNS0_4arch9wavefront6targetE1EEEvT1_
    .private_segment_fixed_size: 0
    .sgpr_count:     6
    .sgpr_spill_count: 0
    .symbol:         _ZN7rocprim17ROCPRIM_400000_NS6detail17trampoline_kernelINS0_14default_configENS1_20scan_config_selectorIfEEZZNS1_9scan_implILNS1_25lookback_scan_determinismE0ELb0ELb0ES3_PKfPffZZZN2at6native31launch_logcumsumexp_cuda_kernelERKNSB_10TensorBaseESF_lENKUlvE_clEvENKUlvE0_clEvEUlffE_fEEDaPvRmT3_T4_T5_mT6_P12ihipStream_tbENKUlT_T0_E_clISt17integral_constantIbLb0EESV_IbLb1EEEEDaSR_SS_EUlSR_E0_NS1_11comp_targetILNS1_3genE10ELNS1_11target_archE1201ELNS1_3gpuE5ELNS1_3repE0EEENS1_30default_config_static_selectorELNS0_4arch9wavefront6targetE1EEEvT1_.kd
    .uniform_work_group_size: 1
    .uses_dynamic_stack: false
    .vgpr_count:     0
    .vgpr_spill_count: 0
    .wavefront_size: 64
  - .agpr_count:     0
    .args:
      - .offset:         0
        .size:           32
        .value_kind:     by_value
    .group_segment_fixed_size: 0
    .kernarg_segment_align: 8
    .kernarg_segment_size: 32
    .language:       OpenCL C
    .language_version:
      - 2
      - 0
    .max_flat_workgroup_size: 256
    .name:           _ZN7rocprim17ROCPRIM_400000_NS6detail17trampoline_kernelINS0_14default_configENS1_20scan_config_selectorIfEEZZNS1_9scan_implILNS1_25lookback_scan_determinismE0ELb0ELb0ES3_PKfPffZZZN2at6native31launch_logcumsumexp_cuda_kernelERKNSB_10TensorBaseESF_lENKUlvE_clEvENKUlvE0_clEvEUlffE_fEEDaPvRmT3_T4_T5_mT6_P12ihipStream_tbENKUlT_T0_E_clISt17integral_constantIbLb0EESV_IbLb1EEEEDaSR_SS_EUlSR_E0_NS1_11comp_targetILNS1_3genE10ELNS1_11target_archE1200ELNS1_3gpuE4ELNS1_3repE0EEENS1_30default_config_static_selectorELNS0_4arch9wavefront6targetE1EEEvT1_
    .private_segment_fixed_size: 0
    .sgpr_count:     6
    .sgpr_spill_count: 0
    .symbol:         _ZN7rocprim17ROCPRIM_400000_NS6detail17trampoline_kernelINS0_14default_configENS1_20scan_config_selectorIfEEZZNS1_9scan_implILNS1_25lookback_scan_determinismE0ELb0ELb0ES3_PKfPffZZZN2at6native31launch_logcumsumexp_cuda_kernelERKNSB_10TensorBaseESF_lENKUlvE_clEvENKUlvE0_clEvEUlffE_fEEDaPvRmT3_T4_T5_mT6_P12ihipStream_tbENKUlT_T0_E_clISt17integral_constantIbLb0EESV_IbLb1EEEEDaSR_SS_EUlSR_E0_NS1_11comp_targetILNS1_3genE10ELNS1_11target_archE1200ELNS1_3gpuE4ELNS1_3repE0EEENS1_30default_config_static_selectorELNS0_4arch9wavefront6targetE1EEEvT1_.kd
    .uniform_work_group_size: 1
    .uses_dynamic_stack: false
    .vgpr_count:     0
    .vgpr_spill_count: 0
    .wavefront_size: 64
  - .agpr_count:     0
    .args:
      - .offset:         0
        .size:           32
        .value_kind:     by_value
    .group_segment_fixed_size: 0
    .kernarg_segment_align: 8
    .kernarg_segment_size: 32
    .language:       OpenCL C
    .language_version:
      - 2
      - 0
    .max_flat_workgroup_size: 256
    .name:           _ZN7rocprim17ROCPRIM_400000_NS6detail17trampoline_kernelINS0_14default_configENS1_20scan_config_selectorIfEEZZNS1_9scan_implILNS1_25lookback_scan_determinismE0ELb0ELb0ES3_PKfPffZZZN2at6native31launch_logcumsumexp_cuda_kernelERKNSB_10TensorBaseESF_lENKUlvE_clEvENKUlvE0_clEvEUlffE_fEEDaPvRmT3_T4_T5_mT6_P12ihipStream_tbENKUlT_T0_E_clISt17integral_constantIbLb0EESV_IbLb1EEEEDaSR_SS_EUlSR_E0_NS1_11comp_targetILNS1_3genE9ELNS1_11target_archE1100ELNS1_3gpuE3ELNS1_3repE0EEENS1_30default_config_static_selectorELNS0_4arch9wavefront6targetE1EEEvT1_
    .private_segment_fixed_size: 0
    .sgpr_count:     6
    .sgpr_spill_count: 0
    .symbol:         _ZN7rocprim17ROCPRIM_400000_NS6detail17trampoline_kernelINS0_14default_configENS1_20scan_config_selectorIfEEZZNS1_9scan_implILNS1_25lookback_scan_determinismE0ELb0ELb0ES3_PKfPffZZZN2at6native31launch_logcumsumexp_cuda_kernelERKNSB_10TensorBaseESF_lENKUlvE_clEvENKUlvE0_clEvEUlffE_fEEDaPvRmT3_T4_T5_mT6_P12ihipStream_tbENKUlT_T0_E_clISt17integral_constantIbLb0EESV_IbLb1EEEEDaSR_SS_EUlSR_E0_NS1_11comp_targetILNS1_3genE9ELNS1_11target_archE1100ELNS1_3gpuE3ELNS1_3repE0EEENS1_30default_config_static_selectorELNS0_4arch9wavefront6targetE1EEEvT1_.kd
    .uniform_work_group_size: 1
    .uses_dynamic_stack: false
    .vgpr_count:     0
    .vgpr_spill_count: 0
    .wavefront_size: 64
  - .agpr_count:     0
    .args:
      - .offset:         0
        .size:           32
        .value_kind:     by_value
    .group_segment_fixed_size: 0
    .kernarg_segment_align: 8
    .kernarg_segment_size: 32
    .language:       OpenCL C
    .language_version:
      - 2
      - 0
    .max_flat_workgroup_size: 64
    .name:           _ZN7rocprim17ROCPRIM_400000_NS6detail17trampoline_kernelINS0_14default_configENS1_20scan_config_selectorIfEEZZNS1_9scan_implILNS1_25lookback_scan_determinismE0ELb0ELb0ES3_PKfPffZZZN2at6native31launch_logcumsumexp_cuda_kernelERKNSB_10TensorBaseESF_lENKUlvE_clEvENKUlvE0_clEvEUlffE_fEEDaPvRmT3_T4_T5_mT6_P12ihipStream_tbENKUlT_T0_E_clISt17integral_constantIbLb0EESV_IbLb1EEEEDaSR_SS_EUlSR_E0_NS1_11comp_targetILNS1_3genE8ELNS1_11target_archE1030ELNS1_3gpuE2ELNS1_3repE0EEENS1_30default_config_static_selectorELNS0_4arch9wavefront6targetE1EEEvT1_
    .private_segment_fixed_size: 0
    .sgpr_count:     6
    .sgpr_spill_count: 0
    .symbol:         _ZN7rocprim17ROCPRIM_400000_NS6detail17trampoline_kernelINS0_14default_configENS1_20scan_config_selectorIfEEZZNS1_9scan_implILNS1_25lookback_scan_determinismE0ELb0ELb0ES3_PKfPffZZZN2at6native31launch_logcumsumexp_cuda_kernelERKNSB_10TensorBaseESF_lENKUlvE_clEvENKUlvE0_clEvEUlffE_fEEDaPvRmT3_T4_T5_mT6_P12ihipStream_tbENKUlT_T0_E_clISt17integral_constantIbLb0EESV_IbLb1EEEEDaSR_SS_EUlSR_E0_NS1_11comp_targetILNS1_3genE8ELNS1_11target_archE1030ELNS1_3gpuE2ELNS1_3repE0EEENS1_30default_config_static_selectorELNS0_4arch9wavefront6targetE1EEEvT1_.kd
    .uniform_work_group_size: 1
    .uses_dynamic_stack: false
    .vgpr_count:     0
    .vgpr_spill_count: 0
    .wavefront_size: 64
  - .agpr_count:     0
    .args:
      - .address_space:  global
        .offset:         0
        .size:           8
        .value_kind:     global_buffer
      - .address_space:  global
        .offset:         8
        .size:           8
        .value_kind:     global_buffer
      - .offset:         16
        .size:           4
        .value_kind:     by_value
      - .offset:         20
        .size:           4
        .value_kind:     by_value
      - .offset:         24
        .size:           4
        .value_kind:     by_value
      - .offset:         28
        .size:           4
        .value_kind:     by_value
      - .offset:         32
        .size:           1
        .value_kind:     by_value
      - .offset:         40
        .size:           4
        .value_kind:     hidden_block_count_x
      - .offset:         44
        .size:           4
        .value_kind:     hidden_block_count_y
      - .offset:         48
        .size:           4
        .value_kind:     hidden_block_count_z
      - .offset:         52
        .size:           2
        .value_kind:     hidden_group_size_x
      - .offset:         54
        .size:           2
        .value_kind:     hidden_group_size_y
      - .offset:         56
        .size:           2
        .value_kind:     hidden_group_size_z
      - .offset:         58
        .size:           2
        .value_kind:     hidden_remainder_x
      - .offset:         60
        .size:           2
        .value_kind:     hidden_remainder_y
      - .offset:         62
        .size:           2
        .value_kind:     hidden_remainder_z
      - .offset:         80
        .size:           8
        .value_kind:     hidden_global_offset_x
      - .offset:         88
        .size:           8
        .value_kind:     hidden_global_offset_y
      - .offset:         96
        .size:           8
        .value_kind:     hidden_global_offset_z
      - .offset:         104
        .size:           2
        .value_kind:     hidden_grid_dims
      - .offset:         160
        .size:           4
        .value_kind:     hidden_dynamic_lds_size
    .group_segment_fixed_size: 0
    .kernarg_segment_align: 8
    .kernarg_segment_size: 296
    .language:       OpenCL C
    .language_version:
      - 2
      - 0
    .max_flat_workgroup_size: 1024
    .name:           _ZN2at6native32tensor_kernel_scan_innermost_dimIfZZZNS0_31launch_logcumsumexp_cuda_kernelERKNS_10TensorBaseES4_lENKUlvE_clEvENKUlvE0_clEvEUlffE_EEvPT_PKS8_jjjS8_T0_
    .private_segment_fixed_size: 0
    .sgpr_count:     50
    .sgpr_spill_count: 0
    .symbol:         _ZN2at6native32tensor_kernel_scan_innermost_dimIfZZZNS0_31launch_logcumsumexp_cuda_kernelERKNS_10TensorBaseES4_lENKUlvE_clEvENKUlvE0_clEvEUlffE_EEvPT_PKS8_jjjS8_T0_.kd
    .uniform_work_group_size: 1
    .uses_dynamic_stack: false
    .vgpr_count:     40
    .vgpr_spill_count: 0
    .wavefront_size: 64
  - .agpr_count:     0
    .args:
      - .address_space:  global
        .offset:         0
        .size:           8
        .value_kind:     global_buffer
      - .address_space:  global
        .offset:         8
        .size:           8
        .value_kind:     global_buffer
      - .offset:         16
        .size:           4
        .value_kind:     by_value
      - .offset:         20
        .size:           4
        .value_kind:     by_value
      - .offset:         24
        .size:           4
        .value_kind:     by_value
      - .offset:         28
        .size:           4
        .value_kind:     by_value
      - .offset:         32
        .size:           1
        .value_kind:     by_value
      - .offset:         40
        .size:           4
        .value_kind:     hidden_block_count_x
      - .offset:         44
        .size:           4
        .value_kind:     hidden_block_count_y
      - .offset:         48
        .size:           4
        .value_kind:     hidden_block_count_z
      - .offset:         52
        .size:           2
        .value_kind:     hidden_group_size_x
      - .offset:         54
        .size:           2
        .value_kind:     hidden_group_size_y
      - .offset:         56
        .size:           2
        .value_kind:     hidden_group_size_z
      - .offset:         58
        .size:           2
        .value_kind:     hidden_remainder_x
      - .offset:         60
        .size:           2
        .value_kind:     hidden_remainder_y
      - .offset:         62
        .size:           2
        .value_kind:     hidden_remainder_z
      - .offset:         80
        .size:           8
        .value_kind:     hidden_global_offset_x
      - .offset:         88
        .size:           8
        .value_kind:     hidden_global_offset_y
      - .offset:         96
        .size:           8
        .value_kind:     hidden_global_offset_z
      - .offset:         104
        .size:           2
        .value_kind:     hidden_grid_dims
    .group_segment_fixed_size: 0
    .kernarg_segment_align: 8
    .kernarg_segment_size: 296
    .language:       OpenCL C
    .language_version:
      - 2
      - 0
    .max_flat_workgroup_size: 1024
    .name:           _ZN2at6native28tensor_kernel_scan_outer_dimIfjZZZNS0_31launch_logcumsumexp_cuda_kernelERKNS_10TensorBaseES4_lENKUlvE_clEvENKUlvE0_clEvEUlffE_EEvPT_PKS8_jjjS8_T1_
    .private_segment_fixed_size: 0
    .sgpr_count:     50
    .sgpr_spill_count: 0
    .symbol:         _ZN2at6native28tensor_kernel_scan_outer_dimIfjZZZNS0_31launch_logcumsumexp_cuda_kernelERKNS_10TensorBaseES4_lENKUlvE_clEvENKUlvE0_clEvEUlffE_EEvPT_PKS8_jjjS8_T1_.kd
    .uniform_work_group_size: 1
    .uses_dynamic_stack: false
    .vgpr_count:     27
    .vgpr_spill_count: 0
    .wavefront_size: 64
  - .agpr_count:     0
    .args:
      - .address_space:  global
        .offset:         0
        .size:           8
        .value_kind:     global_buffer
      - .address_space:  global
        .offset:         8
        .size:           8
        .value_kind:     global_buffer
      - .offset:         16
        .size:           4
        .value_kind:     by_value
      - .offset:         20
        .size:           4
        .value_kind:     by_value
      - .offset:         24
        .size:           4
        .value_kind:     by_value
      - .offset:         28
        .size:           4
        .value_kind:     by_value
      - .offset:         32
        .size:           1
        .value_kind:     by_value
      - .offset:         40
        .size:           4
        .value_kind:     hidden_block_count_x
      - .offset:         44
        .size:           4
        .value_kind:     hidden_block_count_y
      - .offset:         48
        .size:           4
        .value_kind:     hidden_block_count_z
      - .offset:         52
        .size:           2
        .value_kind:     hidden_group_size_x
      - .offset:         54
        .size:           2
        .value_kind:     hidden_group_size_y
      - .offset:         56
        .size:           2
        .value_kind:     hidden_group_size_z
      - .offset:         58
        .size:           2
        .value_kind:     hidden_remainder_x
      - .offset:         60
        .size:           2
        .value_kind:     hidden_remainder_y
      - .offset:         62
        .size:           2
        .value_kind:     hidden_remainder_z
      - .offset:         80
        .size:           8
        .value_kind:     hidden_global_offset_x
      - .offset:         88
        .size:           8
        .value_kind:     hidden_global_offset_y
      - .offset:         96
        .size:           8
        .value_kind:     hidden_global_offset_z
      - .offset:         104
        .size:           2
        .value_kind:     hidden_grid_dims
    .group_segment_fixed_size: 0
    .kernarg_segment_align: 8
    .kernarg_segment_size: 296
    .language:       OpenCL C
    .language_version:
      - 2
      - 0
    .max_flat_workgroup_size: 1024
    .name:           _ZN2at6native28tensor_kernel_scan_outer_dimIfmZZZNS0_31launch_logcumsumexp_cuda_kernelERKNS_10TensorBaseES4_lENKUlvE_clEvENKUlvE0_clEvEUlffE_EEvPT_PKS8_jjjS8_T1_
    .private_segment_fixed_size: 0
    .sgpr_count:     48
    .sgpr_spill_count: 0
    .symbol:         _ZN2at6native28tensor_kernel_scan_outer_dimIfmZZZNS0_31launch_logcumsumexp_cuda_kernelERKNS_10TensorBaseES4_lENKUlvE_clEvENKUlvE0_clEvEUlffE_EEvPT_PKS8_jjjS8_T1_.kd
    .uniform_work_group_size: 1
    .uses_dynamic_stack: false
    .vgpr_count:     27
    .vgpr_spill_count: 0
    .wavefront_size: 64
  - .agpr_count:     0
    .args:
      - .offset:         0
        .size:           24
        .value_kind:     by_value
      - .offset:         24
        .size:           4
        .value_kind:     by_value
      - .offset:         28
        .size:           1
        .value_kind:     by_value
      - .offset:         32
        .size:           4
        .value_kind:     by_value
      - .address_space:  global
        .offset:         40
        .size:           8
        .value_kind:     global_buffer
      - .offset:         48
        .size:           4
        .value_kind:     hidden_block_count_x
      - .offset:         52
        .size:           4
        .value_kind:     hidden_block_count_y
      - .offset:         56
        .size:           4
        .value_kind:     hidden_block_count_z
      - .offset:         60
        .size:           2
        .value_kind:     hidden_group_size_x
      - .offset:         62
        .size:           2
        .value_kind:     hidden_group_size_y
      - .offset:         64
        .size:           2
        .value_kind:     hidden_group_size_z
      - .offset:         66
        .size:           2
        .value_kind:     hidden_remainder_x
      - .offset:         68
        .size:           2
        .value_kind:     hidden_remainder_y
      - .offset:         70
        .size:           2
        .value_kind:     hidden_remainder_z
      - .offset:         88
        .size:           8
        .value_kind:     hidden_global_offset_x
      - .offset:         96
        .size:           8
        .value_kind:     hidden_global_offset_y
      - .offset:         104
        .size:           8
        .value_kind:     hidden_global_offset_z
      - .offset:         112
        .size:           2
        .value_kind:     hidden_grid_dims
    .group_segment_fixed_size: 0
    .kernarg_segment_align: 8
    .kernarg_segment_size: 304
    .language:       OpenCL C
    .language_version:
      - 2
      - 0
    .max_flat_workgroup_size: 256
    .name:           _ZN7rocprim17ROCPRIM_400000_NS6detail31init_lookback_scan_state_kernelINS1_19lookback_scan_stateIN3c107complexIdEELb0ELb0EEENS1_16block_id_wrapperIjLb0EEEEEvT_jT0_jPNSA_10value_typeE
    .private_segment_fixed_size: 0
    .sgpr_count:     22
    .sgpr_spill_count: 0
    .symbol:         _ZN7rocprim17ROCPRIM_400000_NS6detail31init_lookback_scan_state_kernelINS1_19lookback_scan_stateIN3c107complexIdEELb0ELb0EEENS1_16block_id_wrapperIjLb0EEEEEvT_jT0_jPNSA_10value_typeE.kd
    .uniform_work_group_size: 1
    .uses_dynamic_stack: false
    .vgpr_count:     6
    .vgpr_spill_count: 0
    .wavefront_size: 64
  - .agpr_count:     0
    .args:
      - .offset:         0
        .size:           128
        .value_kind:     by_value
    .group_segment_fixed_size: 0
    .kernarg_segment_align: 16
    .kernarg_segment_size: 128
    .language:       OpenCL C
    .language_version:
      - 2
      - 0
    .max_flat_workgroup_size: 128
    .name:           _ZN7rocprim17ROCPRIM_400000_NS6detail17trampoline_kernelINS0_14default_configENS1_20scan_config_selectorIN3c107complexIdEEEEZZNS1_9scan_implILNS1_25lookback_scan_determinismE0ELb0ELb0ES3_PKS7_PS7_S7_ZZZN2at6native31launch_logcumsumexp_cuda_kernelERKNSE_10TensorBaseESI_lENKUlvE_clEvENKUlvE1_clEvEUlS7_S7_E_S7_EEDaPvRmT3_T4_T5_mT6_P12ihipStream_tbENKUlT_T0_E_clISt17integral_constantIbLb0EESZ_EEDaSU_SV_EUlSU_E_NS1_11comp_targetILNS1_3genE0ELNS1_11target_archE4294967295ELNS1_3gpuE0ELNS1_3repE0EEENS1_30default_config_static_selectorELNS0_4arch9wavefront6targetE1EEEvT1_
    .private_segment_fixed_size: 0
    .sgpr_count:     6
    .sgpr_spill_count: 0
    .symbol:         _ZN7rocprim17ROCPRIM_400000_NS6detail17trampoline_kernelINS0_14default_configENS1_20scan_config_selectorIN3c107complexIdEEEEZZNS1_9scan_implILNS1_25lookback_scan_determinismE0ELb0ELb0ES3_PKS7_PS7_S7_ZZZN2at6native31launch_logcumsumexp_cuda_kernelERKNSE_10TensorBaseESI_lENKUlvE_clEvENKUlvE1_clEvEUlS7_S7_E_S7_EEDaPvRmT3_T4_T5_mT6_P12ihipStream_tbENKUlT_T0_E_clISt17integral_constantIbLb0EESZ_EEDaSU_SV_EUlSU_E_NS1_11comp_targetILNS1_3genE0ELNS1_11target_archE4294967295ELNS1_3gpuE0ELNS1_3repE0EEENS1_30default_config_static_selectorELNS0_4arch9wavefront6targetE1EEEvT1_.kd
    .uniform_work_group_size: 1
    .uses_dynamic_stack: false
    .vgpr_count:     0
    .vgpr_spill_count: 0
    .wavefront_size: 64
  - .agpr_count:     0
    .args:
      - .offset:         0
        .size:           128
        .value_kind:     by_value
    .group_segment_fixed_size: 57344
    .kernarg_segment_align: 16
    .kernarg_segment_size: 128
    .language:       OpenCL C
    .language_version:
      - 2
      - 0
    .max_flat_workgroup_size: 256
    .name:           _ZN7rocprim17ROCPRIM_400000_NS6detail17trampoline_kernelINS0_14default_configENS1_20scan_config_selectorIN3c107complexIdEEEEZZNS1_9scan_implILNS1_25lookback_scan_determinismE0ELb0ELb0ES3_PKS7_PS7_S7_ZZZN2at6native31launch_logcumsumexp_cuda_kernelERKNSE_10TensorBaseESI_lENKUlvE_clEvENKUlvE1_clEvEUlS7_S7_E_S7_EEDaPvRmT3_T4_T5_mT6_P12ihipStream_tbENKUlT_T0_E_clISt17integral_constantIbLb0EESZ_EEDaSU_SV_EUlSU_E_NS1_11comp_targetILNS1_3genE5ELNS1_11target_archE942ELNS1_3gpuE9ELNS1_3repE0EEENS1_30default_config_static_selectorELNS0_4arch9wavefront6targetE1EEEvT1_
    .private_segment_fixed_size: 8
    .sgpr_count:     70
    .sgpr_spill_count: 0
    .symbol:         _ZN7rocprim17ROCPRIM_400000_NS6detail17trampoline_kernelINS0_14default_configENS1_20scan_config_selectorIN3c107complexIdEEEEZZNS1_9scan_implILNS1_25lookback_scan_determinismE0ELb0ELb0ES3_PKS7_PS7_S7_ZZZN2at6native31launch_logcumsumexp_cuda_kernelERKNSE_10TensorBaseESI_lENKUlvE_clEvENKUlvE1_clEvEUlS7_S7_E_S7_EEDaPvRmT3_T4_T5_mT6_P12ihipStream_tbENKUlT_T0_E_clISt17integral_constantIbLb0EESZ_EEDaSU_SV_EUlSU_E_NS1_11comp_targetILNS1_3genE5ELNS1_11target_archE942ELNS1_3gpuE9ELNS1_3repE0EEENS1_30default_config_static_selectorELNS0_4arch9wavefront6targetE1EEEvT1_.kd
    .uniform_work_group_size: 1
    .uses_dynamic_stack: false
    .vgpr_count:     167
    .vgpr_spill_count: 0
    .wavefront_size: 64
  - .agpr_count:     0
    .args:
      - .offset:         0
        .size:           128
        .value_kind:     by_value
    .group_segment_fixed_size: 0
    .kernarg_segment_align: 16
    .kernarg_segment_size: 128
    .language:       OpenCL C
    .language_version:
      - 2
      - 0
    .max_flat_workgroup_size: 64
    .name:           _ZN7rocprim17ROCPRIM_400000_NS6detail17trampoline_kernelINS0_14default_configENS1_20scan_config_selectorIN3c107complexIdEEEEZZNS1_9scan_implILNS1_25lookback_scan_determinismE0ELb0ELb0ES3_PKS7_PS7_S7_ZZZN2at6native31launch_logcumsumexp_cuda_kernelERKNSE_10TensorBaseESI_lENKUlvE_clEvENKUlvE1_clEvEUlS7_S7_E_S7_EEDaPvRmT3_T4_T5_mT6_P12ihipStream_tbENKUlT_T0_E_clISt17integral_constantIbLb0EESZ_EEDaSU_SV_EUlSU_E_NS1_11comp_targetILNS1_3genE4ELNS1_11target_archE910ELNS1_3gpuE8ELNS1_3repE0EEENS1_30default_config_static_selectorELNS0_4arch9wavefront6targetE1EEEvT1_
    .private_segment_fixed_size: 0
    .sgpr_count:     6
    .sgpr_spill_count: 0
    .symbol:         _ZN7rocprim17ROCPRIM_400000_NS6detail17trampoline_kernelINS0_14default_configENS1_20scan_config_selectorIN3c107complexIdEEEEZZNS1_9scan_implILNS1_25lookback_scan_determinismE0ELb0ELb0ES3_PKS7_PS7_S7_ZZZN2at6native31launch_logcumsumexp_cuda_kernelERKNSE_10TensorBaseESI_lENKUlvE_clEvENKUlvE1_clEvEUlS7_S7_E_S7_EEDaPvRmT3_T4_T5_mT6_P12ihipStream_tbENKUlT_T0_E_clISt17integral_constantIbLb0EESZ_EEDaSU_SV_EUlSU_E_NS1_11comp_targetILNS1_3genE4ELNS1_11target_archE910ELNS1_3gpuE8ELNS1_3repE0EEENS1_30default_config_static_selectorELNS0_4arch9wavefront6targetE1EEEvT1_.kd
    .uniform_work_group_size: 1
    .uses_dynamic_stack: false
    .vgpr_count:     0
    .vgpr_spill_count: 0
    .wavefront_size: 64
  - .agpr_count:     0
    .args:
      - .offset:         0
        .size:           128
        .value_kind:     by_value
    .group_segment_fixed_size: 0
    .kernarg_segment_align: 16
    .kernarg_segment_size: 128
    .language:       OpenCL C
    .language_version:
      - 2
      - 0
    .max_flat_workgroup_size: 128
    .name:           _ZN7rocprim17ROCPRIM_400000_NS6detail17trampoline_kernelINS0_14default_configENS1_20scan_config_selectorIN3c107complexIdEEEEZZNS1_9scan_implILNS1_25lookback_scan_determinismE0ELb0ELb0ES3_PKS7_PS7_S7_ZZZN2at6native31launch_logcumsumexp_cuda_kernelERKNSE_10TensorBaseESI_lENKUlvE_clEvENKUlvE1_clEvEUlS7_S7_E_S7_EEDaPvRmT3_T4_T5_mT6_P12ihipStream_tbENKUlT_T0_E_clISt17integral_constantIbLb0EESZ_EEDaSU_SV_EUlSU_E_NS1_11comp_targetILNS1_3genE3ELNS1_11target_archE908ELNS1_3gpuE7ELNS1_3repE0EEENS1_30default_config_static_selectorELNS0_4arch9wavefront6targetE1EEEvT1_
    .private_segment_fixed_size: 0
    .sgpr_count:     6
    .sgpr_spill_count: 0
    .symbol:         _ZN7rocprim17ROCPRIM_400000_NS6detail17trampoline_kernelINS0_14default_configENS1_20scan_config_selectorIN3c107complexIdEEEEZZNS1_9scan_implILNS1_25lookback_scan_determinismE0ELb0ELb0ES3_PKS7_PS7_S7_ZZZN2at6native31launch_logcumsumexp_cuda_kernelERKNSE_10TensorBaseESI_lENKUlvE_clEvENKUlvE1_clEvEUlS7_S7_E_S7_EEDaPvRmT3_T4_T5_mT6_P12ihipStream_tbENKUlT_T0_E_clISt17integral_constantIbLb0EESZ_EEDaSU_SV_EUlSU_E_NS1_11comp_targetILNS1_3genE3ELNS1_11target_archE908ELNS1_3gpuE7ELNS1_3repE0EEENS1_30default_config_static_selectorELNS0_4arch9wavefront6targetE1EEEvT1_.kd
    .uniform_work_group_size: 1
    .uses_dynamic_stack: false
    .vgpr_count:     0
    .vgpr_spill_count: 0
    .wavefront_size: 64
  - .agpr_count:     0
    .args:
      - .offset:         0
        .size:           128
        .value_kind:     by_value
    .group_segment_fixed_size: 0
    .kernarg_segment_align: 16
    .kernarg_segment_size: 128
    .language:       OpenCL C
    .language_version:
      - 2
      - 0
    .max_flat_workgroup_size: 64
    .name:           _ZN7rocprim17ROCPRIM_400000_NS6detail17trampoline_kernelINS0_14default_configENS1_20scan_config_selectorIN3c107complexIdEEEEZZNS1_9scan_implILNS1_25lookback_scan_determinismE0ELb0ELb0ES3_PKS7_PS7_S7_ZZZN2at6native31launch_logcumsumexp_cuda_kernelERKNSE_10TensorBaseESI_lENKUlvE_clEvENKUlvE1_clEvEUlS7_S7_E_S7_EEDaPvRmT3_T4_T5_mT6_P12ihipStream_tbENKUlT_T0_E_clISt17integral_constantIbLb0EESZ_EEDaSU_SV_EUlSU_E_NS1_11comp_targetILNS1_3genE2ELNS1_11target_archE906ELNS1_3gpuE6ELNS1_3repE0EEENS1_30default_config_static_selectorELNS0_4arch9wavefront6targetE1EEEvT1_
    .private_segment_fixed_size: 0
    .sgpr_count:     6
    .sgpr_spill_count: 0
    .symbol:         _ZN7rocprim17ROCPRIM_400000_NS6detail17trampoline_kernelINS0_14default_configENS1_20scan_config_selectorIN3c107complexIdEEEEZZNS1_9scan_implILNS1_25lookback_scan_determinismE0ELb0ELb0ES3_PKS7_PS7_S7_ZZZN2at6native31launch_logcumsumexp_cuda_kernelERKNSE_10TensorBaseESI_lENKUlvE_clEvENKUlvE1_clEvEUlS7_S7_E_S7_EEDaPvRmT3_T4_T5_mT6_P12ihipStream_tbENKUlT_T0_E_clISt17integral_constantIbLb0EESZ_EEDaSU_SV_EUlSU_E_NS1_11comp_targetILNS1_3genE2ELNS1_11target_archE906ELNS1_3gpuE6ELNS1_3repE0EEENS1_30default_config_static_selectorELNS0_4arch9wavefront6targetE1EEEvT1_.kd
    .uniform_work_group_size: 1
    .uses_dynamic_stack: false
    .vgpr_count:     0
    .vgpr_spill_count: 0
    .wavefront_size: 64
  - .agpr_count:     0
    .args:
      - .offset:         0
        .size:           128
        .value_kind:     by_value
    .group_segment_fixed_size: 0
    .kernarg_segment_align: 16
    .kernarg_segment_size: 128
    .language:       OpenCL C
    .language_version:
      - 2
      - 0
    .max_flat_workgroup_size: 256
    .name:           _ZN7rocprim17ROCPRIM_400000_NS6detail17trampoline_kernelINS0_14default_configENS1_20scan_config_selectorIN3c107complexIdEEEEZZNS1_9scan_implILNS1_25lookback_scan_determinismE0ELb0ELb0ES3_PKS7_PS7_S7_ZZZN2at6native31launch_logcumsumexp_cuda_kernelERKNSE_10TensorBaseESI_lENKUlvE_clEvENKUlvE1_clEvEUlS7_S7_E_S7_EEDaPvRmT3_T4_T5_mT6_P12ihipStream_tbENKUlT_T0_E_clISt17integral_constantIbLb0EESZ_EEDaSU_SV_EUlSU_E_NS1_11comp_targetILNS1_3genE10ELNS1_11target_archE1201ELNS1_3gpuE5ELNS1_3repE0EEENS1_30default_config_static_selectorELNS0_4arch9wavefront6targetE1EEEvT1_
    .private_segment_fixed_size: 0
    .sgpr_count:     6
    .sgpr_spill_count: 0
    .symbol:         _ZN7rocprim17ROCPRIM_400000_NS6detail17trampoline_kernelINS0_14default_configENS1_20scan_config_selectorIN3c107complexIdEEEEZZNS1_9scan_implILNS1_25lookback_scan_determinismE0ELb0ELb0ES3_PKS7_PS7_S7_ZZZN2at6native31launch_logcumsumexp_cuda_kernelERKNSE_10TensorBaseESI_lENKUlvE_clEvENKUlvE1_clEvEUlS7_S7_E_S7_EEDaPvRmT3_T4_T5_mT6_P12ihipStream_tbENKUlT_T0_E_clISt17integral_constantIbLb0EESZ_EEDaSU_SV_EUlSU_E_NS1_11comp_targetILNS1_3genE10ELNS1_11target_archE1201ELNS1_3gpuE5ELNS1_3repE0EEENS1_30default_config_static_selectorELNS0_4arch9wavefront6targetE1EEEvT1_.kd
    .uniform_work_group_size: 1
    .uses_dynamic_stack: false
    .vgpr_count:     0
    .vgpr_spill_count: 0
    .wavefront_size: 64
  - .agpr_count:     0
    .args:
      - .offset:         0
        .size:           128
        .value_kind:     by_value
    .group_segment_fixed_size: 0
    .kernarg_segment_align: 16
    .kernarg_segment_size: 128
    .language:       OpenCL C
    .language_version:
      - 2
      - 0
    .max_flat_workgroup_size: 256
    .name:           _ZN7rocprim17ROCPRIM_400000_NS6detail17trampoline_kernelINS0_14default_configENS1_20scan_config_selectorIN3c107complexIdEEEEZZNS1_9scan_implILNS1_25lookback_scan_determinismE0ELb0ELb0ES3_PKS7_PS7_S7_ZZZN2at6native31launch_logcumsumexp_cuda_kernelERKNSE_10TensorBaseESI_lENKUlvE_clEvENKUlvE1_clEvEUlS7_S7_E_S7_EEDaPvRmT3_T4_T5_mT6_P12ihipStream_tbENKUlT_T0_E_clISt17integral_constantIbLb0EESZ_EEDaSU_SV_EUlSU_E_NS1_11comp_targetILNS1_3genE10ELNS1_11target_archE1200ELNS1_3gpuE4ELNS1_3repE0EEENS1_30default_config_static_selectorELNS0_4arch9wavefront6targetE1EEEvT1_
    .private_segment_fixed_size: 0
    .sgpr_count:     6
    .sgpr_spill_count: 0
    .symbol:         _ZN7rocprim17ROCPRIM_400000_NS6detail17trampoline_kernelINS0_14default_configENS1_20scan_config_selectorIN3c107complexIdEEEEZZNS1_9scan_implILNS1_25lookback_scan_determinismE0ELb0ELb0ES3_PKS7_PS7_S7_ZZZN2at6native31launch_logcumsumexp_cuda_kernelERKNSE_10TensorBaseESI_lENKUlvE_clEvENKUlvE1_clEvEUlS7_S7_E_S7_EEDaPvRmT3_T4_T5_mT6_P12ihipStream_tbENKUlT_T0_E_clISt17integral_constantIbLb0EESZ_EEDaSU_SV_EUlSU_E_NS1_11comp_targetILNS1_3genE10ELNS1_11target_archE1200ELNS1_3gpuE4ELNS1_3repE0EEENS1_30default_config_static_selectorELNS0_4arch9wavefront6targetE1EEEvT1_.kd
    .uniform_work_group_size: 1
    .uses_dynamic_stack: false
    .vgpr_count:     0
    .vgpr_spill_count: 0
    .wavefront_size: 64
  - .agpr_count:     0
    .args:
      - .offset:         0
        .size:           128
        .value_kind:     by_value
    .group_segment_fixed_size: 0
    .kernarg_segment_align: 16
    .kernarg_segment_size: 128
    .language:       OpenCL C
    .language_version:
      - 2
      - 0
    .max_flat_workgroup_size: 256
    .name:           _ZN7rocprim17ROCPRIM_400000_NS6detail17trampoline_kernelINS0_14default_configENS1_20scan_config_selectorIN3c107complexIdEEEEZZNS1_9scan_implILNS1_25lookback_scan_determinismE0ELb0ELb0ES3_PKS7_PS7_S7_ZZZN2at6native31launch_logcumsumexp_cuda_kernelERKNSE_10TensorBaseESI_lENKUlvE_clEvENKUlvE1_clEvEUlS7_S7_E_S7_EEDaPvRmT3_T4_T5_mT6_P12ihipStream_tbENKUlT_T0_E_clISt17integral_constantIbLb0EESZ_EEDaSU_SV_EUlSU_E_NS1_11comp_targetILNS1_3genE9ELNS1_11target_archE1100ELNS1_3gpuE3ELNS1_3repE0EEENS1_30default_config_static_selectorELNS0_4arch9wavefront6targetE1EEEvT1_
    .private_segment_fixed_size: 0
    .sgpr_count:     6
    .sgpr_spill_count: 0
    .symbol:         _ZN7rocprim17ROCPRIM_400000_NS6detail17trampoline_kernelINS0_14default_configENS1_20scan_config_selectorIN3c107complexIdEEEEZZNS1_9scan_implILNS1_25lookback_scan_determinismE0ELb0ELb0ES3_PKS7_PS7_S7_ZZZN2at6native31launch_logcumsumexp_cuda_kernelERKNSE_10TensorBaseESI_lENKUlvE_clEvENKUlvE1_clEvEUlS7_S7_E_S7_EEDaPvRmT3_T4_T5_mT6_P12ihipStream_tbENKUlT_T0_E_clISt17integral_constantIbLb0EESZ_EEDaSU_SV_EUlSU_E_NS1_11comp_targetILNS1_3genE9ELNS1_11target_archE1100ELNS1_3gpuE3ELNS1_3repE0EEENS1_30default_config_static_selectorELNS0_4arch9wavefront6targetE1EEEvT1_.kd
    .uniform_work_group_size: 1
    .uses_dynamic_stack: false
    .vgpr_count:     0
    .vgpr_spill_count: 0
    .wavefront_size: 64
  - .agpr_count:     0
    .args:
      - .offset:         0
        .size:           128
        .value_kind:     by_value
    .group_segment_fixed_size: 0
    .kernarg_segment_align: 16
    .kernarg_segment_size: 128
    .language:       OpenCL C
    .language_version:
      - 2
      - 0
    .max_flat_workgroup_size: 256
    .name:           _ZN7rocprim17ROCPRIM_400000_NS6detail17trampoline_kernelINS0_14default_configENS1_20scan_config_selectorIN3c107complexIdEEEEZZNS1_9scan_implILNS1_25lookback_scan_determinismE0ELb0ELb0ES3_PKS7_PS7_S7_ZZZN2at6native31launch_logcumsumexp_cuda_kernelERKNSE_10TensorBaseESI_lENKUlvE_clEvENKUlvE1_clEvEUlS7_S7_E_S7_EEDaPvRmT3_T4_T5_mT6_P12ihipStream_tbENKUlT_T0_E_clISt17integral_constantIbLb0EESZ_EEDaSU_SV_EUlSU_E_NS1_11comp_targetILNS1_3genE8ELNS1_11target_archE1030ELNS1_3gpuE2ELNS1_3repE0EEENS1_30default_config_static_selectorELNS0_4arch9wavefront6targetE1EEEvT1_
    .private_segment_fixed_size: 0
    .sgpr_count:     6
    .sgpr_spill_count: 0
    .symbol:         _ZN7rocprim17ROCPRIM_400000_NS6detail17trampoline_kernelINS0_14default_configENS1_20scan_config_selectorIN3c107complexIdEEEEZZNS1_9scan_implILNS1_25lookback_scan_determinismE0ELb0ELb0ES3_PKS7_PS7_S7_ZZZN2at6native31launch_logcumsumexp_cuda_kernelERKNSE_10TensorBaseESI_lENKUlvE_clEvENKUlvE1_clEvEUlS7_S7_E_S7_EEDaPvRmT3_T4_T5_mT6_P12ihipStream_tbENKUlT_T0_E_clISt17integral_constantIbLb0EESZ_EEDaSU_SV_EUlSU_E_NS1_11comp_targetILNS1_3genE8ELNS1_11target_archE1030ELNS1_3gpuE2ELNS1_3repE0EEENS1_30default_config_static_selectorELNS0_4arch9wavefront6targetE1EEEvT1_.kd
    .uniform_work_group_size: 1
    .uses_dynamic_stack: false
    .vgpr_count:     0
    .vgpr_spill_count: 0
    .wavefront_size: 64
  - .agpr_count:     0
    .args:
      - .offset:         0
        .size:           40
        .value_kind:     by_value
    .group_segment_fixed_size: 0
    .kernarg_segment_align: 8
    .kernarg_segment_size: 40
    .language:       OpenCL C
    .language_version:
      - 2
      - 0
    .max_flat_workgroup_size: 128
    .name:           _ZN7rocprim17ROCPRIM_400000_NS6detail17trampoline_kernelINS0_14default_configENS1_25transform_config_selectorIN3c107complexIdEELb1EEEZNS1_14transform_implILb1ES3_S8_PS7_SA_NS0_8identityIS7_EEEE10hipError_tT2_T3_mT4_P12ihipStream_tbEUlT_E_NS1_11comp_targetILNS1_3genE0ELNS1_11target_archE4294967295ELNS1_3gpuE0ELNS1_3repE0EEENS1_30default_config_static_selectorELNS0_4arch9wavefront6targetE1EEEvT1_
    .private_segment_fixed_size: 0
    .sgpr_count:     6
    .sgpr_spill_count: 0
    .symbol:         _ZN7rocprim17ROCPRIM_400000_NS6detail17trampoline_kernelINS0_14default_configENS1_25transform_config_selectorIN3c107complexIdEELb1EEEZNS1_14transform_implILb1ES3_S8_PS7_SA_NS0_8identityIS7_EEEE10hipError_tT2_T3_mT4_P12ihipStream_tbEUlT_E_NS1_11comp_targetILNS1_3genE0ELNS1_11target_archE4294967295ELNS1_3gpuE0ELNS1_3repE0EEENS1_30default_config_static_selectorELNS0_4arch9wavefront6targetE1EEEvT1_.kd
    .uniform_work_group_size: 1
    .uses_dynamic_stack: false
    .vgpr_count:     0
    .vgpr_spill_count: 0
    .wavefront_size: 64
  - .agpr_count:     0
    .args:
      - .offset:         0
        .size:           40
        .value_kind:     by_value
    .group_segment_fixed_size: 0
    .kernarg_segment_align: 8
    .kernarg_segment_size: 40
    .language:       OpenCL C
    .language_version:
      - 2
      - 0
    .max_flat_workgroup_size: 64
    .name:           _ZN7rocprim17ROCPRIM_400000_NS6detail17trampoline_kernelINS0_14default_configENS1_25transform_config_selectorIN3c107complexIdEELb1EEEZNS1_14transform_implILb1ES3_S8_PS7_SA_NS0_8identityIS7_EEEE10hipError_tT2_T3_mT4_P12ihipStream_tbEUlT_E_NS1_11comp_targetILNS1_3genE10ELNS1_11target_archE1201ELNS1_3gpuE5ELNS1_3repE0EEENS1_30default_config_static_selectorELNS0_4arch9wavefront6targetE1EEEvT1_
    .private_segment_fixed_size: 0
    .sgpr_count:     6
    .sgpr_spill_count: 0
    .symbol:         _ZN7rocprim17ROCPRIM_400000_NS6detail17trampoline_kernelINS0_14default_configENS1_25transform_config_selectorIN3c107complexIdEELb1EEEZNS1_14transform_implILb1ES3_S8_PS7_SA_NS0_8identityIS7_EEEE10hipError_tT2_T3_mT4_P12ihipStream_tbEUlT_E_NS1_11comp_targetILNS1_3genE10ELNS1_11target_archE1201ELNS1_3gpuE5ELNS1_3repE0EEENS1_30default_config_static_selectorELNS0_4arch9wavefront6targetE1EEEvT1_.kd
    .uniform_work_group_size: 1
    .uses_dynamic_stack: false
    .vgpr_count:     0
    .vgpr_spill_count: 0
    .wavefront_size: 64
  - .agpr_count:     0
    .args:
      - .offset:         0
        .size:           40
        .value_kind:     by_value
      - .offset:         40
        .size:           4
        .value_kind:     hidden_block_count_x
      - .offset:         44
        .size:           4
        .value_kind:     hidden_block_count_y
      - .offset:         48
        .size:           4
        .value_kind:     hidden_block_count_z
      - .offset:         52
        .size:           2
        .value_kind:     hidden_group_size_x
      - .offset:         54
        .size:           2
        .value_kind:     hidden_group_size_y
      - .offset:         56
        .size:           2
        .value_kind:     hidden_group_size_z
      - .offset:         58
        .size:           2
        .value_kind:     hidden_remainder_x
      - .offset:         60
        .size:           2
        .value_kind:     hidden_remainder_y
      - .offset:         62
        .size:           2
        .value_kind:     hidden_remainder_z
      - .offset:         80
        .size:           8
        .value_kind:     hidden_global_offset_x
      - .offset:         88
        .size:           8
        .value_kind:     hidden_global_offset_y
      - .offset:         96
        .size:           8
        .value_kind:     hidden_global_offset_z
      - .offset:         104
        .size:           2
        .value_kind:     hidden_grid_dims
    .group_segment_fixed_size: 0
    .kernarg_segment_align: 8
    .kernarg_segment_size: 296
    .language:       OpenCL C
    .language_version:
      - 2
      - 0
    .max_flat_workgroup_size: 256
    .name:           _ZN7rocprim17ROCPRIM_400000_NS6detail17trampoline_kernelINS0_14default_configENS1_25transform_config_selectorIN3c107complexIdEELb1EEEZNS1_14transform_implILb1ES3_S8_PS7_SA_NS0_8identityIS7_EEEE10hipError_tT2_T3_mT4_P12ihipStream_tbEUlT_E_NS1_11comp_targetILNS1_3genE5ELNS1_11target_archE942ELNS1_3gpuE9ELNS1_3repE0EEENS1_30default_config_static_selectorELNS0_4arch9wavefront6targetE1EEEvT1_
    .private_segment_fixed_size: 0
    .sgpr_count:     18
    .sgpr_spill_count: 0
    .symbol:         _ZN7rocprim17ROCPRIM_400000_NS6detail17trampoline_kernelINS0_14default_configENS1_25transform_config_selectorIN3c107complexIdEELb1EEEZNS1_14transform_implILb1ES3_S8_PS7_SA_NS0_8identityIS7_EEEE10hipError_tT2_T3_mT4_P12ihipStream_tbEUlT_E_NS1_11comp_targetILNS1_3genE5ELNS1_11target_archE942ELNS1_3gpuE9ELNS1_3repE0EEENS1_30default_config_static_selectorELNS0_4arch9wavefront6targetE1EEEvT1_.kd
    .uniform_work_group_size: 1
    .uses_dynamic_stack: false
    .vgpr_count:     5
    .vgpr_spill_count: 0
    .wavefront_size: 64
  - .agpr_count:     0
    .args:
      - .offset:         0
        .size:           40
        .value_kind:     by_value
    .group_segment_fixed_size: 0
    .kernarg_segment_align: 8
    .kernarg_segment_size: 40
    .language:       OpenCL C
    .language_version:
      - 2
      - 0
    .max_flat_workgroup_size: 1024
    .name:           _ZN7rocprim17ROCPRIM_400000_NS6detail17trampoline_kernelINS0_14default_configENS1_25transform_config_selectorIN3c107complexIdEELb1EEEZNS1_14transform_implILb1ES3_S8_PS7_SA_NS0_8identityIS7_EEEE10hipError_tT2_T3_mT4_P12ihipStream_tbEUlT_E_NS1_11comp_targetILNS1_3genE4ELNS1_11target_archE910ELNS1_3gpuE8ELNS1_3repE0EEENS1_30default_config_static_selectorELNS0_4arch9wavefront6targetE1EEEvT1_
    .private_segment_fixed_size: 0
    .sgpr_count:     6
    .sgpr_spill_count: 0
    .symbol:         _ZN7rocprim17ROCPRIM_400000_NS6detail17trampoline_kernelINS0_14default_configENS1_25transform_config_selectorIN3c107complexIdEELb1EEEZNS1_14transform_implILb1ES3_S8_PS7_SA_NS0_8identityIS7_EEEE10hipError_tT2_T3_mT4_P12ihipStream_tbEUlT_E_NS1_11comp_targetILNS1_3genE4ELNS1_11target_archE910ELNS1_3gpuE8ELNS1_3repE0EEENS1_30default_config_static_selectorELNS0_4arch9wavefront6targetE1EEEvT1_.kd
    .uniform_work_group_size: 1
    .uses_dynamic_stack: false
    .vgpr_count:     0
    .vgpr_spill_count: 0
    .wavefront_size: 64
  - .agpr_count:     0
    .args:
      - .offset:         0
        .size:           40
        .value_kind:     by_value
    .group_segment_fixed_size: 0
    .kernarg_segment_align: 8
    .kernarg_segment_size: 40
    .language:       OpenCL C
    .language_version:
      - 2
      - 0
    .max_flat_workgroup_size: 128
    .name:           _ZN7rocprim17ROCPRIM_400000_NS6detail17trampoline_kernelINS0_14default_configENS1_25transform_config_selectorIN3c107complexIdEELb1EEEZNS1_14transform_implILb1ES3_S8_PS7_SA_NS0_8identityIS7_EEEE10hipError_tT2_T3_mT4_P12ihipStream_tbEUlT_E_NS1_11comp_targetILNS1_3genE3ELNS1_11target_archE908ELNS1_3gpuE7ELNS1_3repE0EEENS1_30default_config_static_selectorELNS0_4arch9wavefront6targetE1EEEvT1_
    .private_segment_fixed_size: 0
    .sgpr_count:     6
    .sgpr_spill_count: 0
    .symbol:         _ZN7rocprim17ROCPRIM_400000_NS6detail17trampoline_kernelINS0_14default_configENS1_25transform_config_selectorIN3c107complexIdEELb1EEEZNS1_14transform_implILb1ES3_S8_PS7_SA_NS0_8identityIS7_EEEE10hipError_tT2_T3_mT4_P12ihipStream_tbEUlT_E_NS1_11comp_targetILNS1_3genE3ELNS1_11target_archE908ELNS1_3gpuE7ELNS1_3repE0EEENS1_30default_config_static_selectorELNS0_4arch9wavefront6targetE1EEEvT1_.kd
    .uniform_work_group_size: 1
    .uses_dynamic_stack: false
    .vgpr_count:     0
    .vgpr_spill_count: 0
    .wavefront_size: 64
  - .agpr_count:     0
    .args:
      - .offset:         0
        .size:           40
        .value_kind:     by_value
    .group_segment_fixed_size: 0
    .kernarg_segment_align: 8
    .kernarg_segment_size: 40
    .language:       OpenCL C
    .language_version:
      - 2
      - 0
    .max_flat_workgroup_size: 1024
    .name:           _ZN7rocprim17ROCPRIM_400000_NS6detail17trampoline_kernelINS0_14default_configENS1_25transform_config_selectorIN3c107complexIdEELb1EEEZNS1_14transform_implILb1ES3_S8_PS7_SA_NS0_8identityIS7_EEEE10hipError_tT2_T3_mT4_P12ihipStream_tbEUlT_E_NS1_11comp_targetILNS1_3genE2ELNS1_11target_archE906ELNS1_3gpuE6ELNS1_3repE0EEENS1_30default_config_static_selectorELNS0_4arch9wavefront6targetE1EEEvT1_
    .private_segment_fixed_size: 0
    .sgpr_count:     6
    .sgpr_spill_count: 0
    .symbol:         _ZN7rocprim17ROCPRIM_400000_NS6detail17trampoline_kernelINS0_14default_configENS1_25transform_config_selectorIN3c107complexIdEELb1EEEZNS1_14transform_implILb1ES3_S8_PS7_SA_NS0_8identityIS7_EEEE10hipError_tT2_T3_mT4_P12ihipStream_tbEUlT_E_NS1_11comp_targetILNS1_3genE2ELNS1_11target_archE906ELNS1_3gpuE6ELNS1_3repE0EEENS1_30default_config_static_selectorELNS0_4arch9wavefront6targetE1EEEvT1_.kd
    .uniform_work_group_size: 1
    .uses_dynamic_stack: false
    .vgpr_count:     0
    .vgpr_spill_count: 0
    .wavefront_size: 64
  - .agpr_count:     0
    .args:
      - .offset:         0
        .size:           40
        .value_kind:     by_value
    .group_segment_fixed_size: 0
    .kernarg_segment_align: 8
    .kernarg_segment_size: 40
    .language:       OpenCL C
    .language_version:
      - 2
      - 0
    .max_flat_workgroup_size: 1024
    .name:           _ZN7rocprim17ROCPRIM_400000_NS6detail17trampoline_kernelINS0_14default_configENS1_25transform_config_selectorIN3c107complexIdEELb1EEEZNS1_14transform_implILb1ES3_S8_PS7_SA_NS0_8identityIS7_EEEE10hipError_tT2_T3_mT4_P12ihipStream_tbEUlT_E_NS1_11comp_targetILNS1_3genE9ELNS1_11target_archE1100ELNS1_3gpuE3ELNS1_3repE0EEENS1_30default_config_static_selectorELNS0_4arch9wavefront6targetE1EEEvT1_
    .private_segment_fixed_size: 0
    .sgpr_count:     6
    .sgpr_spill_count: 0
    .symbol:         _ZN7rocprim17ROCPRIM_400000_NS6detail17trampoline_kernelINS0_14default_configENS1_25transform_config_selectorIN3c107complexIdEELb1EEEZNS1_14transform_implILb1ES3_S8_PS7_SA_NS0_8identityIS7_EEEE10hipError_tT2_T3_mT4_P12ihipStream_tbEUlT_E_NS1_11comp_targetILNS1_3genE9ELNS1_11target_archE1100ELNS1_3gpuE3ELNS1_3repE0EEENS1_30default_config_static_selectorELNS0_4arch9wavefront6targetE1EEEvT1_.kd
    .uniform_work_group_size: 1
    .uses_dynamic_stack: false
    .vgpr_count:     0
    .vgpr_spill_count: 0
    .wavefront_size: 64
  - .agpr_count:     0
    .args:
      - .offset:         0
        .size:           40
        .value_kind:     by_value
    .group_segment_fixed_size: 0
    .kernarg_segment_align: 8
    .kernarg_segment_size: 40
    .language:       OpenCL C
    .language_version:
      - 2
      - 0
    .max_flat_workgroup_size: 1024
    .name:           _ZN7rocprim17ROCPRIM_400000_NS6detail17trampoline_kernelINS0_14default_configENS1_25transform_config_selectorIN3c107complexIdEELb1EEEZNS1_14transform_implILb1ES3_S8_PS7_SA_NS0_8identityIS7_EEEE10hipError_tT2_T3_mT4_P12ihipStream_tbEUlT_E_NS1_11comp_targetILNS1_3genE8ELNS1_11target_archE1030ELNS1_3gpuE2ELNS1_3repE0EEENS1_30default_config_static_selectorELNS0_4arch9wavefront6targetE1EEEvT1_
    .private_segment_fixed_size: 0
    .sgpr_count:     6
    .sgpr_spill_count: 0
    .symbol:         _ZN7rocprim17ROCPRIM_400000_NS6detail17trampoline_kernelINS0_14default_configENS1_25transform_config_selectorIN3c107complexIdEELb1EEEZNS1_14transform_implILb1ES3_S8_PS7_SA_NS0_8identityIS7_EEEE10hipError_tT2_T3_mT4_P12ihipStream_tbEUlT_E_NS1_11comp_targetILNS1_3genE8ELNS1_11target_archE1030ELNS1_3gpuE2ELNS1_3repE0EEENS1_30default_config_static_selectorELNS0_4arch9wavefront6targetE1EEEvT1_.kd
    .uniform_work_group_size: 1
    .uses_dynamic_stack: false
    .vgpr_count:     0
    .vgpr_spill_count: 0
    .wavefront_size: 64
  - .agpr_count:     0
    .args:
      - .offset:         0
        .size:           48
        .value_kind:     by_value
    .group_segment_fixed_size: 0
    .kernarg_segment_align: 16
    .kernarg_segment_size: 48
    .language:       OpenCL C
    .language_version:
      - 2
      - 0
    .max_flat_workgroup_size: 128
    .name:           _ZN7rocprim17ROCPRIM_400000_NS6detail17trampoline_kernelINS0_14default_configENS1_20scan_config_selectorIN3c107complexIdEEEEZZNS1_9scan_implILNS1_25lookback_scan_determinismE0ELb0ELb0ES3_PKS7_PS7_S7_ZZZN2at6native31launch_logcumsumexp_cuda_kernelERKNSE_10TensorBaseESI_lENKUlvE_clEvENKUlvE1_clEvEUlS7_S7_E_S7_EEDaPvRmT3_T4_T5_mT6_P12ihipStream_tbENKUlT_T0_E_clISt17integral_constantIbLb0EESZ_EEDaSU_SV_EUlSU_E0_NS1_11comp_targetILNS1_3genE0ELNS1_11target_archE4294967295ELNS1_3gpuE0ELNS1_3repE0EEENS1_30default_config_static_selectorELNS0_4arch9wavefront6targetE1EEEvT1_
    .private_segment_fixed_size: 0
    .sgpr_count:     6
    .sgpr_spill_count: 0
    .symbol:         _ZN7rocprim17ROCPRIM_400000_NS6detail17trampoline_kernelINS0_14default_configENS1_20scan_config_selectorIN3c107complexIdEEEEZZNS1_9scan_implILNS1_25lookback_scan_determinismE0ELb0ELb0ES3_PKS7_PS7_S7_ZZZN2at6native31launch_logcumsumexp_cuda_kernelERKNSE_10TensorBaseESI_lENKUlvE_clEvENKUlvE1_clEvEUlS7_S7_E_S7_EEDaPvRmT3_T4_T5_mT6_P12ihipStream_tbENKUlT_T0_E_clISt17integral_constantIbLb0EESZ_EEDaSU_SV_EUlSU_E0_NS1_11comp_targetILNS1_3genE0ELNS1_11target_archE4294967295ELNS1_3gpuE0ELNS1_3repE0EEENS1_30default_config_static_selectorELNS0_4arch9wavefront6targetE1EEEvT1_.kd
    .uniform_work_group_size: 1
    .uses_dynamic_stack: false
    .vgpr_count:     0
    .vgpr_spill_count: 0
    .wavefront_size: 64
  - .agpr_count:     0
    .args:
      - .offset:         0
        .size:           48
        .value_kind:     by_value
    .group_segment_fixed_size: 57344
    .kernarg_segment_align: 16
    .kernarg_segment_size: 48
    .language:       OpenCL C
    .language_version:
      - 2
      - 0
    .max_flat_workgroup_size: 256
    .name:           _ZN7rocprim17ROCPRIM_400000_NS6detail17trampoline_kernelINS0_14default_configENS1_20scan_config_selectorIN3c107complexIdEEEEZZNS1_9scan_implILNS1_25lookback_scan_determinismE0ELb0ELb0ES3_PKS7_PS7_S7_ZZZN2at6native31launch_logcumsumexp_cuda_kernelERKNSE_10TensorBaseESI_lENKUlvE_clEvENKUlvE1_clEvEUlS7_S7_E_S7_EEDaPvRmT3_T4_T5_mT6_P12ihipStream_tbENKUlT_T0_E_clISt17integral_constantIbLb0EESZ_EEDaSU_SV_EUlSU_E0_NS1_11comp_targetILNS1_3genE5ELNS1_11target_archE942ELNS1_3gpuE9ELNS1_3repE0EEENS1_30default_config_static_selectorELNS0_4arch9wavefront6targetE1EEEvT1_
    .private_segment_fixed_size: 8
    .sgpr_count:     74
    .sgpr_spill_count: 0
    .symbol:         _ZN7rocprim17ROCPRIM_400000_NS6detail17trampoline_kernelINS0_14default_configENS1_20scan_config_selectorIN3c107complexIdEEEEZZNS1_9scan_implILNS1_25lookback_scan_determinismE0ELb0ELb0ES3_PKS7_PS7_S7_ZZZN2at6native31launch_logcumsumexp_cuda_kernelERKNSE_10TensorBaseESI_lENKUlvE_clEvENKUlvE1_clEvEUlS7_S7_E_S7_EEDaPvRmT3_T4_T5_mT6_P12ihipStream_tbENKUlT_T0_E_clISt17integral_constantIbLb0EESZ_EEDaSU_SV_EUlSU_E0_NS1_11comp_targetILNS1_3genE5ELNS1_11target_archE942ELNS1_3gpuE9ELNS1_3repE0EEENS1_30default_config_static_selectorELNS0_4arch9wavefront6targetE1EEEvT1_.kd
    .uniform_work_group_size: 1
    .uses_dynamic_stack: false
    .vgpr_count:     166
    .vgpr_spill_count: 0
    .wavefront_size: 64
  - .agpr_count:     0
    .args:
      - .offset:         0
        .size:           48
        .value_kind:     by_value
    .group_segment_fixed_size: 0
    .kernarg_segment_align: 16
    .kernarg_segment_size: 48
    .language:       OpenCL C
    .language_version:
      - 2
      - 0
    .max_flat_workgroup_size: 64
    .name:           _ZN7rocprim17ROCPRIM_400000_NS6detail17trampoline_kernelINS0_14default_configENS1_20scan_config_selectorIN3c107complexIdEEEEZZNS1_9scan_implILNS1_25lookback_scan_determinismE0ELb0ELb0ES3_PKS7_PS7_S7_ZZZN2at6native31launch_logcumsumexp_cuda_kernelERKNSE_10TensorBaseESI_lENKUlvE_clEvENKUlvE1_clEvEUlS7_S7_E_S7_EEDaPvRmT3_T4_T5_mT6_P12ihipStream_tbENKUlT_T0_E_clISt17integral_constantIbLb0EESZ_EEDaSU_SV_EUlSU_E0_NS1_11comp_targetILNS1_3genE4ELNS1_11target_archE910ELNS1_3gpuE8ELNS1_3repE0EEENS1_30default_config_static_selectorELNS0_4arch9wavefront6targetE1EEEvT1_
    .private_segment_fixed_size: 0
    .sgpr_count:     6
    .sgpr_spill_count: 0
    .symbol:         _ZN7rocprim17ROCPRIM_400000_NS6detail17trampoline_kernelINS0_14default_configENS1_20scan_config_selectorIN3c107complexIdEEEEZZNS1_9scan_implILNS1_25lookback_scan_determinismE0ELb0ELb0ES3_PKS7_PS7_S7_ZZZN2at6native31launch_logcumsumexp_cuda_kernelERKNSE_10TensorBaseESI_lENKUlvE_clEvENKUlvE1_clEvEUlS7_S7_E_S7_EEDaPvRmT3_T4_T5_mT6_P12ihipStream_tbENKUlT_T0_E_clISt17integral_constantIbLb0EESZ_EEDaSU_SV_EUlSU_E0_NS1_11comp_targetILNS1_3genE4ELNS1_11target_archE910ELNS1_3gpuE8ELNS1_3repE0EEENS1_30default_config_static_selectorELNS0_4arch9wavefront6targetE1EEEvT1_.kd
    .uniform_work_group_size: 1
    .uses_dynamic_stack: false
    .vgpr_count:     0
    .vgpr_spill_count: 0
    .wavefront_size: 64
  - .agpr_count:     0
    .args:
      - .offset:         0
        .size:           48
        .value_kind:     by_value
    .group_segment_fixed_size: 0
    .kernarg_segment_align: 16
    .kernarg_segment_size: 48
    .language:       OpenCL C
    .language_version:
      - 2
      - 0
    .max_flat_workgroup_size: 128
    .name:           _ZN7rocprim17ROCPRIM_400000_NS6detail17trampoline_kernelINS0_14default_configENS1_20scan_config_selectorIN3c107complexIdEEEEZZNS1_9scan_implILNS1_25lookback_scan_determinismE0ELb0ELb0ES3_PKS7_PS7_S7_ZZZN2at6native31launch_logcumsumexp_cuda_kernelERKNSE_10TensorBaseESI_lENKUlvE_clEvENKUlvE1_clEvEUlS7_S7_E_S7_EEDaPvRmT3_T4_T5_mT6_P12ihipStream_tbENKUlT_T0_E_clISt17integral_constantIbLb0EESZ_EEDaSU_SV_EUlSU_E0_NS1_11comp_targetILNS1_3genE3ELNS1_11target_archE908ELNS1_3gpuE7ELNS1_3repE0EEENS1_30default_config_static_selectorELNS0_4arch9wavefront6targetE1EEEvT1_
    .private_segment_fixed_size: 0
    .sgpr_count:     6
    .sgpr_spill_count: 0
    .symbol:         _ZN7rocprim17ROCPRIM_400000_NS6detail17trampoline_kernelINS0_14default_configENS1_20scan_config_selectorIN3c107complexIdEEEEZZNS1_9scan_implILNS1_25lookback_scan_determinismE0ELb0ELb0ES3_PKS7_PS7_S7_ZZZN2at6native31launch_logcumsumexp_cuda_kernelERKNSE_10TensorBaseESI_lENKUlvE_clEvENKUlvE1_clEvEUlS7_S7_E_S7_EEDaPvRmT3_T4_T5_mT6_P12ihipStream_tbENKUlT_T0_E_clISt17integral_constantIbLb0EESZ_EEDaSU_SV_EUlSU_E0_NS1_11comp_targetILNS1_3genE3ELNS1_11target_archE908ELNS1_3gpuE7ELNS1_3repE0EEENS1_30default_config_static_selectorELNS0_4arch9wavefront6targetE1EEEvT1_.kd
    .uniform_work_group_size: 1
    .uses_dynamic_stack: false
    .vgpr_count:     0
    .vgpr_spill_count: 0
    .wavefront_size: 64
  - .agpr_count:     0
    .args:
      - .offset:         0
        .size:           48
        .value_kind:     by_value
    .group_segment_fixed_size: 0
    .kernarg_segment_align: 16
    .kernarg_segment_size: 48
    .language:       OpenCL C
    .language_version:
      - 2
      - 0
    .max_flat_workgroup_size: 64
    .name:           _ZN7rocprim17ROCPRIM_400000_NS6detail17trampoline_kernelINS0_14default_configENS1_20scan_config_selectorIN3c107complexIdEEEEZZNS1_9scan_implILNS1_25lookback_scan_determinismE0ELb0ELb0ES3_PKS7_PS7_S7_ZZZN2at6native31launch_logcumsumexp_cuda_kernelERKNSE_10TensorBaseESI_lENKUlvE_clEvENKUlvE1_clEvEUlS7_S7_E_S7_EEDaPvRmT3_T4_T5_mT6_P12ihipStream_tbENKUlT_T0_E_clISt17integral_constantIbLb0EESZ_EEDaSU_SV_EUlSU_E0_NS1_11comp_targetILNS1_3genE2ELNS1_11target_archE906ELNS1_3gpuE6ELNS1_3repE0EEENS1_30default_config_static_selectorELNS0_4arch9wavefront6targetE1EEEvT1_
    .private_segment_fixed_size: 0
    .sgpr_count:     6
    .sgpr_spill_count: 0
    .symbol:         _ZN7rocprim17ROCPRIM_400000_NS6detail17trampoline_kernelINS0_14default_configENS1_20scan_config_selectorIN3c107complexIdEEEEZZNS1_9scan_implILNS1_25lookback_scan_determinismE0ELb0ELb0ES3_PKS7_PS7_S7_ZZZN2at6native31launch_logcumsumexp_cuda_kernelERKNSE_10TensorBaseESI_lENKUlvE_clEvENKUlvE1_clEvEUlS7_S7_E_S7_EEDaPvRmT3_T4_T5_mT6_P12ihipStream_tbENKUlT_T0_E_clISt17integral_constantIbLb0EESZ_EEDaSU_SV_EUlSU_E0_NS1_11comp_targetILNS1_3genE2ELNS1_11target_archE906ELNS1_3gpuE6ELNS1_3repE0EEENS1_30default_config_static_selectorELNS0_4arch9wavefront6targetE1EEEvT1_.kd
    .uniform_work_group_size: 1
    .uses_dynamic_stack: false
    .vgpr_count:     0
    .vgpr_spill_count: 0
    .wavefront_size: 64
  - .agpr_count:     0
    .args:
      - .offset:         0
        .size:           48
        .value_kind:     by_value
    .group_segment_fixed_size: 0
    .kernarg_segment_align: 16
    .kernarg_segment_size: 48
    .language:       OpenCL C
    .language_version:
      - 2
      - 0
    .max_flat_workgroup_size: 256
    .name:           _ZN7rocprim17ROCPRIM_400000_NS6detail17trampoline_kernelINS0_14default_configENS1_20scan_config_selectorIN3c107complexIdEEEEZZNS1_9scan_implILNS1_25lookback_scan_determinismE0ELb0ELb0ES3_PKS7_PS7_S7_ZZZN2at6native31launch_logcumsumexp_cuda_kernelERKNSE_10TensorBaseESI_lENKUlvE_clEvENKUlvE1_clEvEUlS7_S7_E_S7_EEDaPvRmT3_T4_T5_mT6_P12ihipStream_tbENKUlT_T0_E_clISt17integral_constantIbLb0EESZ_EEDaSU_SV_EUlSU_E0_NS1_11comp_targetILNS1_3genE10ELNS1_11target_archE1201ELNS1_3gpuE5ELNS1_3repE0EEENS1_30default_config_static_selectorELNS0_4arch9wavefront6targetE1EEEvT1_
    .private_segment_fixed_size: 0
    .sgpr_count:     6
    .sgpr_spill_count: 0
    .symbol:         _ZN7rocprim17ROCPRIM_400000_NS6detail17trampoline_kernelINS0_14default_configENS1_20scan_config_selectorIN3c107complexIdEEEEZZNS1_9scan_implILNS1_25lookback_scan_determinismE0ELb0ELb0ES3_PKS7_PS7_S7_ZZZN2at6native31launch_logcumsumexp_cuda_kernelERKNSE_10TensorBaseESI_lENKUlvE_clEvENKUlvE1_clEvEUlS7_S7_E_S7_EEDaPvRmT3_T4_T5_mT6_P12ihipStream_tbENKUlT_T0_E_clISt17integral_constantIbLb0EESZ_EEDaSU_SV_EUlSU_E0_NS1_11comp_targetILNS1_3genE10ELNS1_11target_archE1201ELNS1_3gpuE5ELNS1_3repE0EEENS1_30default_config_static_selectorELNS0_4arch9wavefront6targetE1EEEvT1_.kd
    .uniform_work_group_size: 1
    .uses_dynamic_stack: false
    .vgpr_count:     0
    .vgpr_spill_count: 0
    .wavefront_size: 64
  - .agpr_count:     0
    .args:
      - .offset:         0
        .size:           48
        .value_kind:     by_value
    .group_segment_fixed_size: 0
    .kernarg_segment_align: 16
    .kernarg_segment_size: 48
    .language:       OpenCL C
    .language_version:
      - 2
      - 0
    .max_flat_workgroup_size: 256
    .name:           _ZN7rocprim17ROCPRIM_400000_NS6detail17trampoline_kernelINS0_14default_configENS1_20scan_config_selectorIN3c107complexIdEEEEZZNS1_9scan_implILNS1_25lookback_scan_determinismE0ELb0ELb0ES3_PKS7_PS7_S7_ZZZN2at6native31launch_logcumsumexp_cuda_kernelERKNSE_10TensorBaseESI_lENKUlvE_clEvENKUlvE1_clEvEUlS7_S7_E_S7_EEDaPvRmT3_T4_T5_mT6_P12ihipStream_tbENKUlT_T0_E_clISt17integral_constantIbLb0EESZ_EEDaSU_SV_EUlSU_E0_NS1_11comp_targetILNS1_3genE10ELNS1_11target_archE1200ELNS1_3gpuE4ELNS1_3repE0EEENS1_30default_config_static_selectorELNS0_4arch9wavefront6targetE1EEEvT1_
    .private_segment_fixed_size: 0
    .sgpr_count:     6
    .sgpr_spill_count: 0
    .symbol:         _ZN7rocprim17ROCPRIM_400000_NS6detail17trampoline_kernelINS0_14default_configENS1_20scan_config_selectorIN3c107complexIdEEEEZZNS1_9scan_implILNS1_25lookback_scan_determinismE0ELb0ELb0ES3_PKS7_PS7_S7_ZZZN2at6native31launch_logcumsumexp_cuda_kernelERKNSE_10TensorBaseESI_lENKUlvE_clEvENKUlvE1_clEvEUlS7_S7_E_S7_EEDaPvRmT3_T4_T5_mT6_P12ihipStream_tbENKUlT_T0_E_clISt17integral_constantIbLb0EESZ_EEDaSU_SV_EUlSU_E0_NS1_11comp_targetILNS1_3genE10ELNS1_11target_archE1200ELNS1_3gpuE4ELNS1_3repE0EEENS1_30default_config_static_selectorELNS0_4arch9wavefront6targetE1EEEvT1_.kd
    .uniform_work_group_size: 1
    .uses_dynamic_stack: false
    .vgpr_count:     0
    .vgpr_spill_count: 0
    .wavefront_size: 64
  - .agpr_count:     0
    .args:
      - .offset:         0
        .size:           48
        .value_kind:     by_value
    .group_segment_fixed_size: 0
    .kernarg_segment_align: 16
    .kernarg_segment_size: 48
    .language:       OpenCL C
    .language_version:
      - 2
      - 0
    .max_flat_workgroup_size: 256
    .name:           _ZN7rocprim17ROCPRIM_400000_NS6detail17trampoline_kernelINS0_14default_configENS1_20scan_config_selectorIN3c107complexIdEEEEZZNS1_9scan_implILNS1_25lookback_scan_determinismE0ELb0ELb0ES3_PKS7_PS7_S7_ZZZN2at6native31launch_logcumsumexp_cuda_kernelERKNSE_10TensorBaseESI_lENKUlvE_clEvENKUlvE1_clEvEUlS7_S7_E_S7_EEDaPvRmT3_T4_T5_mT6_P12ihipStream_tbENKUlT_T0_E_clISt17integral_constantIbLb0EESZ_EEDaSU_SV_EUlSU_E0_NS1_11comp_targetILNS1_3genE9ELNS1_11target_archE1100ELNS1_3gpuE3ELNS1_3repE0EEENS1_30default_config_static_selectorELNS0_4arch9wavefront6targetE1EEEvT1_
    .private_segment_fixed_size: 0
    .sgpr_count:     6
    .sgpr_spill_count: 0
    .symbol:         _ZN7rocprim17ROCPRIM_400000_NS6detail17trampoline_kernelINS0_14default_configENS1_20scan_config_selectorIN3c107complexIdEEEEZZNS1_9scan_implILNS1_25lookback_scan_determinismE0ELb0ELb0ES3_PKS7_PS7_S7_ZZZN2at6native31launch_logcumsumexp_cuda_kernelERKNSE_10TensorBaseESI_lENKUlvE_clEvENKUlvE1_clEvEUlS7_S7_E_S7_EEDaPvRmT3_T4_T5_mT6_P12ihipStream_tbENKUlT_T0_E_clISt17integral_constantIbLb0EESZ_EEDaSU_SV_EUlSU_E0_NS1_11comp_targetILNS1_3genE9ELNS1_11target_archE1100ELNS1_3gpuE3ELNS1_3repE0EEENS1_30default_config_static_selectorELNS0_4arch9wavefront6targetE1EEEvT1_.kd
    .uniform_work_group_size: 1
    .uses_dynamic_stack: false
    .vgpr_count:     0
    .vgpr_spill_count: 0
    .wavefront_size: 64
  - .agpr_count:     0
    .args:
      - .offset:         0
        .size:           48
        .value_kind:     by_value
    .group_segment_fixed_size: 0
    .kernarg_segment_align: 16
    .kernarg_segment_size: 48
    .language:       OpenCL C
    .language_version:
      - 2
      - 0
    .max_flat_workgroup_size: 256
    .name:           _ZN7rocprim17ROCPRIM_400000_NS6detail17trampoline_kernelINS0_14default_configENS1_20scan_config_selectorIN3c107complexIdEEEEZZNS1_9scan_implILNS1_25lookback_scan_determinismE0ELb0ELb0ES3_PKS7_PS7_S7_ZZZN2at6native31launch_logcumsumexp_cuda_kernelERKNSE_10TensorBaseESI_lENKUlvE_clEvENKUlvE1_clEvEUlS7_S7_E_S7_EEDaPvRmT3_T4_T5_mT6_P12ihipStream_tbENKUlT_T0_E_clISt17integral_constantIbLb0EESZ_EEDaSU_SV_EUlSU_E0_NS1_11comp_targetILNS1_3genE8ELNS1_11target_archE1030ELNS1_3gpuE2ELNS1_3repE0EEENS1_30default_config_static_selectorELNS0_4arch9wavefront6targetE1EEEvT1_
    .private_segment_fixed_size: 0
    .sgpr_count:     6
    .sgpr_spill_count: 0
    .symbol:         _ZN7rocprim17ROCPRIM_400000_NS6detail17trampoline_kernelINS0_14default_configENS1_20scan_config_selectorIN3c107complexIdEEEEZZNS1_9scan_implILNS1_25lookback_scan_determinismE0ELb0ELb0ES3_PKS7_PS7_S7_ZZZN2at6native31launch_logcumsumexp_cuda_kernelERKNSE_10TensorBaseESI_lENKUlvE_clEvENKUlvE1_clEvEUlS7_S7_E_S7_EEDaPvRmT3_T4_T5_mT6_P12ihipStream_tbENKUlT_T0_E_clISt17integral_constantIbLb0EESZ_EEDaSU_SV_EUlSU_E0_NS1_11comp_targetILNS1_3genE8ELNS1_11target_archE1030ELNS1_3gpuE2ELNS1_3repE0EEENS1_30default_config_static_selectorELNS0_4arch9wavefront6targetE1EEEvT1_.kd
    .uniform_work_group_size: 1
    .uses_dynamic_stack: false
    .vgpr_count:     0
    .vgpr_spill_count: 0
    .wavefront_size: 64
  - .agpr_count:     0
    .args:
      - .offset:         0
        .size:           24
        .value_kind:     by_value
      - .offset:         24
        .size:           4
        .value_kind:     by_value
      - .address_space:  global
        .offset:         32
        .size:           8
        .value_kind:     global_buffer
      - .offset:         40
        .size:           4
        .value_kind:     by_value
      - .address_space:  global
        .offset:         48
        .size:           8
        .value_kind:     global_buffer
      - .offset:         56
        .size:           4
        .value_kind:     hidden_block_count_x
      - .offset:         60
        .size:           4
        .value_kind:     hidden_block_count_y
      - .offset:         64
        .size:           4
        .value_kind:     hidden_block_count_z
      - .offset:         68
        .size:           2
        .value_kind:     hidden_group_size_x
      - .offset:         70
        .size:           2
        .value_kind:     hidden_group_size_y
      - .offset:         72
        .size:           2
        .value_kind:     hidden_group_size_z
      - .offset:         74
        .size:           2
        .value_kind:     hidden_remainder_x
      - .offset:         76
        .size:           2
        .value_kind:     hidden_remainder_y
      - .offset:         78
        .size:           2
        .value_kind:     hidden_remainder_z
      - .offset:         96
        .size:           8
        .value_kind:     hidden_global_offset_x
      - .offset:         104
        .size:           8
        .value_kind:     hidden_global_offset_y
      - .offset:         112
        .size:           8
        .value_kind:     hidden_global_offset_z
      - .offset:         120
        .size:           2
        .value_kind:     hidden_grid_dims
    .group_segment_fixed_size: 0
    .kernarg_segment_align: 8
    .kernarg_segment_size: 312
    .language:       OpenCL C
    .language_version:
      - 2
      - 0
    .max_flat_workgroup_size: 256
    .name:           _ZN7rocprim17ROCPRIM_400000_NS6detail31init_lookback_scan_state_kernelINS1_19lookback_scan_stateIN3c107complexIdEELb1ELb0EEENS1_16block_id_wrapperIjLb1EEEEEvT_jT0_jPNSA_10value_typeE
    .private_segment_fixed_size: 0
    .sgpr_count:     26
    .sgpr_spill_count: 0
    .symbol:         _ZN7rocprim17ROCPRIM_400000_NS6detail31init_lookback_scan_state_kernelINS1_19lookback_scan_stateIN3c107complexIdEELb1ELb0EEENS1_16block_id_wrapperIjLb1EEEEEvT_jT0_jPNSA_10value_typeE.kd
    .uniform_work_group_size: 1
    .uses_dynamic_stack: false
    .vgpr_count:     6
    .vgpr_spill_count: 0
    .wavefront_size: 64
  - .agpr_count:     0
    .args:
      - .offset:         0
        .size:           128
        .value_kind:     by_value
    .group_segment_fixed_size: 0
    .kernarg_segment_align: 16
    .kernarg_segment_size: 128
    .language:       OpenCL C
    .language_version:
      - 2
      - 0
    .max_flat_workgroup_size: 128
    .name:           _ZN7rocprim17ROCPRIM_400000_NS6detail17trampoline_kernelINS0_14default_configENS1_20scan_config_selectorIN3c107complexIdEEEEZZNS1_9scan_implILNS1_25lookback_scan_determinismE0ELb0ELb0ES3_PKS7_PS7_S7_ZZZN2at6native31launch_logcumsumexp_cuda_kernelERKNSE_10TensorBaseESI_lENKUlvE_clEvENKUlvE1_clEvEUlS7_S7_E_S7_EEDaPvRmT3_T4_T5_mT6_P12ihipStream_tbENKUlT_T0_E_clISt17integral_constantIbLb1EESZ_EEDaSU_SV_EUlSU_E_NS1_11comp_targetILNS1_3genE0ELNS1_11target_archE4294967295ELNS1_3gpuE0ELNS1_3repE0EEENS1_30default_config_static_selectorELNS0_4arch9wavefront6targetE1EEEvT1_
    .private_segment_fixed_size: 0
    .sgpr_count:     6
    .sgpr_spill_count: 0
    .symbol:         _ZN7rocprim17ROCPRIM_400000_NS6detail17trampoline_kernelINS0_14default_configENS1_20scan_config_selectorIN3c107complexIdEEEEZZNS1_9scan_implILNS1_25lookback_scan_determinismE0ELb0ELb0ES3_PKS7_PS7_S7_ZZZN2at6native31launch_logcumsumexp_cuda_kernelERKNSE_10TensorBaseESI_lENKUlvE_clEvENKUlvE1_clEvEUlS7_S7_E_S7_EEDaPvRmT3_T4_T5_mT6_P12ihipStream_tbENKUlT_T0_E_clISt17integral_constantIbLb1EESZ_EEDaSU_SV_EUlSU_E_NS1_11comp_targetILNS1_3genE0ELNS1_11target_archE4294967295ELNS1_3gpuE0ELNS1_3repE0EEENS1_30default_config_static_selectorELNS0_4arch9wavefront6targetE1EEEvT1_.kd
    .uniform_work_group_size: 1
    .uses_dynamic_stack: false
    .vgpr_count:     0
    .vgpr_spill_count: 0
    .wavefront_size: 64
  - .agpr_count:     0
    .args:
      - .offset:         0
        .size:           128
        .value_kind:     by_value
    .group_segment_fixed_size: 57344
    .kernarg_segment_align: 16
    .kernarg_segment_size: 128
    .language:       OpenCL C
    .language_version:
      - 2
      - 0
    .max_flat_workgroup_size: 256
    .name:           _ZN7rocprim17ROCPRIM_400000_NS6detail17trampoline_kernelINS0_14default_configENS1_20scan_config_selectorIN3c107complexIdEEEEZZNS1_9scan_implILNS1_25lookback_scan_determinismE0ELb0ELb0ES3_PKS7_PS7_S7_ZZZN2at6native31launch_logcumsumexp_cuda_kernelERKNSE_10TensorBaseESI_lENKUlvE_clEvENKUlvE1_clEvEUlS7_S7_E_S7_EEDaPvRmT3_T4_T5_mT6_P12ihipStream_tbENKUlT_T0_E_clISt17integral_constantIbLb1EESZ_EEDaSU_SV_EUlSU_E_NS1_11comp_targetILNS1_3genE5ELNS1_11target_archE942ELNS1_3gpuE9ELNS1_3repE0EEENS1_30default_config_static_selectorELNS0_4arch9wavefront6targetE1EEEvT1_
    .private_segment_fixed_size: 8
    .sgpr_count:     74
    .sgpr_spill_count: 0
    .symbol:         _ZN7rocprim17ROCPRIM_400000_NS6detail17trampoline_kernelINS0_14default_configENS1_20scan_config_selectorIN3c107complexIdEEEEZZNS1_9scan_implILNS1_25lookback_scan_determinismE0ELb0ELb0ES3_PKS7_PS7_S7_ZZZN2at6native31launch_logcumsumexp_cuda_kernelERKNSE_10TensorBaseESI_lENKUlvE_clEvENKUlvE1_clEvEUlS7_S7_E_S7_EEDaPvRmT3_T4_T5_mT6_P12ihipStream_tbENKUlT_T0_E_clISt17integral_constantIbLb1EESZ_EEDaSU_SV_EUlSU_E_NS1_11comp_targetILNS1_3genE5ELNS1_11target_archE942ELNS1_3gpuE9ELNS1_3repE0EEENS1_30default_config_static_selectorELNS0_4arch9wavefront6targetE1EEEvT1_.kd
    .uniform_work_group_size: 1
    .uses_dynamic_stack: false
    .vgpr_count:     167
    .vgpr_spill_count: 0
    .wavefront_size: 64
  - .agpr_count:     0
    .args:
      - .offset:         0
        .size:           128
        .value_kind:     by_value
    .group_segment_fixed_size: 0
    .kernarg_segment_align: 16
    .kernarg_segment_size: 128
    .language:       OpenCL C
    .language_version:
      - 2
      - 0
    .max_flat_workgroup_size: 64
    .name:           _ZN7rocprim17ROCPRIM_400000_NS6detail17trampoline_kernelINS0_14default_configENS1_20scan_config_selectorIN3c107complexIdEEEEZZNS1_9scan_implILNS1_25lookback_scan_determinismE0ELb0ELb0ES3_PKS7_PS7_S7_ZZZN2at6native31launch_logcumsumexp_cuda_kernelERKNSE_10TensorBaseESI_lENKUlvE_clEvENKUlvE1_clEvEUlS7_S7_E_S7_EEDaPvRmT3_T4_T5_mT6_P12ihipStream_tbENKUlT_T0_E_clISt17integral_constantIbLb1EESZ_EEDaSU_SV_EUlSU_E_NS1_11comp_targetILNS1_3genE4ELNS1_11target_archE910ELNS1_3gpuE8ELNS1_3repE0EEENS1_30default_config_static_selectorELNS0_4arch9wavefront6targetE1EEEvT1_
    .private_segment_fixed_size: 0
    .sgpr_count:     6
    .sgpr_spill_count: 0
    .symbol:         _ZN7rocprim17ROCPRIM_400000_NS6detail17trampoline_kernelINS0_14default_configENS1_20scan_config_selectorIN3c107complexIdEEEEZZNS1_9scan_implILNS1_25lookback_scan_determinismE0ELb0ELb0ES3_PKS7_PS7_S7_ZZZN2at6native31launch_logcumsumexp_cuda_kernelERKNSE_10TensorBaseESI_lENKUlvE_clEvENKUlvE1_clEvEUlS7_S7_E_S7_EEDaPvRmT3_T4_T5_mT6_P12ihipStream_tbENKUlT_T0_E_clISt17integral_constantIbLb1EESZ_EEDaSU_SV_EUlSU_E_NS1_11comp_targetILNS1_3genE4ELNS1_11target_archE910ELNS1_3gpuE8ELNS1_3repE0EEENS1_30default_config_static_selectorELNS0_4arch9wavefront6targetE1EEEvT1_.kd
    .uniform_work_group_size: 1
    .uses_dynamic_stack: false
    .vgpr_count:     0
    .vgpr_spill_count: 0
    .wavefront_size: 64
  - .agpr_count:     0
    .args:
      - .offset:         0
        .size:           128
        .value_kind:     by_value
    .group_segment_fixed_size: 0
    .kernarg_segment_align: 16
    .kernarg_segment_size: 128
    .language:       OpenCL C
    .language_version:
      - 2
      - 0
    .max_flat_workgroup_size: 128
    .name:           _ZN7rocprim17ROCPRIM_400000_NS6detail17trampoline_kernelINS0_14default_configENS1_20scan_config_selectorIN3c107complexIdEEEEZZNS1_9scan_implILNS1_25lookback_scan_determinismE0ELb0ELb0ES3_PKS7_PS7_S7_ZZZN2at6native31launch_logcumsumexp_cuda_kernelERKNSE_10TensorBaseESI_lENKUlvE_clEvENKUlvE1_clEvEUlS7_S7_E_S7_EEDaPvRmT3_T4_T5_mT6_P12ihipStream_tbENKUlT_T0_E_clISt17integral_constantIbLb1EESZ_EEDaSU_SV_EUlSU_E_NS1_11comp_targetILNS1_3genE3ELNS1_11target_archE908ELNS1_3gpuE7ELNS1_3repE0EEENS1_30default_config_static_selectorELNS0_4arch9wavefront6targetE1EEEvT1_
    .private_segment_fixed_size: 0
    .sgpr_count:     6
    .sgpr_spill_count: 0
    .symbol:         _ZN7rocprim17ROCPRIM_400000_NS6detail17trampoline_kernelINS0_14default_configENS1_20scan_config_selectorIN3c107complexIdEEEEZZNS1_9scan_implILNS1_25lookback_scan_determinismE0ELb0ELb0ES3_PKS7_PS7_S7_ZZZN2at6native31launch_logcumsumexp_cuda_kernelERKNSE_10TensorBaseESI_lENKUlvE_clEvENKUlvE1_clEvEUlS7_S7_E_S7_EEDaPvRmT3_T4_T5_mT6_P12ihipStream_tbENKUlT_T0_E_clISt17integral_constantIbLb1EESZ_EEDaSU_SV_EUlSU_E_NS1_11comp_targetILNS1_3genE3ELNS1_11target_archE908ELNS1_3gpuE7ELNS1_3repE0EEENS1_30default_config_static_selectorELNS0_4arch9wavefront6targetE1EEEvT1_.kd
    .uniform_work_group_size: 1
    .uses_dynamic_stack: false
    .vgpr_count:     0
    .vgpr_spill_count: 0
    .wavefront_size: 64
  - .agpr_count:     0
    .args:
      - .offset:         0
        .size:           128
        .value_kind:     by_value
    .group_segment_fixed_size: 0
    .kernarg_segment_align: 16
    .kernarg_segment_size: 128
    .language:       OpenCL C
    .language_version:
      - 2
      - 0
    .max_flat_workgroup_size: 64
    .name:           _ZN7rocprim17ROCPRIM_400000_NS6detail17trampoline_kernelINS0_14default_configENS1_20scan_config_selectorIN3c107complexIdEEEEZZNS1_9scan_implILNS1_25lookback_scan_determinismE0ELb0ELb0ES3_PKS7_PS7_S7_ZZZN2at6native31launch_logcumsumexp_cuda_kernelERKNSE_10TensorBaseESI_lENKUlvE_clEvENKUlvE1_clEvEUlS7_S7_E_S7_EEDaPvRmT3_T4_T5_mT6_P12ihipStream_tbENKUlT_T0_E_clISt17integral_constantIbLb1EESZ_EEDaSU_SV_EUlSU_E_NS1_11comp_targetILNS1_3genE2ELNS1_11target_archE906ELNS1_3gpuE6ELNS1_3repE0EEENS1_30default_config_static_selectorELNS0_4arch9wavefront6targetE1EEEvT1_
    .private_segment_fixed_size: 0
    .sgpr_count:     6
    .sgpr_spill_count: 0
    .symbol:         _ZN7rocprim17ROCPRIM_400000_NS6detail17trampoline_kernelINS0_14default_configENS1_20scan_config_selectorIN3c107complexIdEEEEZZNS1_9scan_implILNS1_25lookback_scan_determinismE0ELb0ELb0ES3_PKS7_PS7_S7_ZZZN2at6native31launch_logcumsumexp_cuda_kernelERKNSE_10TensorBaseESI_lENKUlvE_clEvENKUlvE1_clEvEUlS7_S7_E_S7_EEDaPvRmT3_T4_T5_mT6_P12ihipStream_tbENKUlT_T0_E_clISt17integral_constantIbLb1EESZ_EEDaSU_SV_EUlSU_E_NS1_11comp_targetILNS1_3genE2ELNS1_11target_archE906ELNS1_3gpuE6ELNS1_3repE0EEENS1_30default_config_static_selectorELNS0_4arch9wavefront6targetE1EEEvT1_.kd
    .uniform_work_group_size: 1
    .uses_dynamic_stack: false
    .vgpr_count:     0
    .vgpr_spill_count: 0
    .wavefront_size: 64
  - .agpr_count:     0
    .args:
      - .offset:         0
        .size:           128
        .value_kind:     by_value
    .group_segment_fixed_size: 0
    .kernarg_segment_align: 16
    .kernarg_segment_size: 128
    .language:       OpenCL C
    .language_version:
      - 2
      - 0
    .max_flat_workgroup_size: 256
    .name:           _ZN7rocprim17ROCPRIM_400000_NS6detail17trampoline_kernelINS0_14default_configENS1_20scan_config_selectorIN3c107complexIdEEEEZZNS1_9scan_implILNS1_25lookback_scan_determinismE0ELb0ELb0ES3_PKS7_PS7_S7_ZZZN2at6native31launch_logcumsumexp_cuda_kernelERKNSE_10TensorBaseESI_lENKUlvE_clEvENKUlvE1_clEvEUlS7_S7_E_S7_EEDaPvRmT3_T4_T5_mT6_P12ihipStream_tbENKUlT_T0_E_clISt17integral_constantIbLb1EESZ_EEDaSU_SV_EUlSU_E_NS1_11comp_targetILNS1_3genE10ELNS1_11target_archE1201ELNS1_3gpuE5ELNS1_3repE0EEENS1_30default_config_static_selectorELNS0_4arch9wavefront6targetE1EEEvT1_
    .private_segment_fixed_size: 0
    .sgpr_count:     6
    .sgpr_spill_count: 0
    .symbol:         _ZN7rocprim17ROCPRIM_400000_NS6detail17trampoline_kernelINS0_14default_configENS1_20scan_config_selectorIN3c107complexIdEEEEZZNS1_9scan_implILNS1_25lookback_scan_determinismE0ELb0ELb0ES3_PKS7_PS7_S7_ZZZN2at6native31launch_logcumsumexp_cuda_kernelERKNSE_10TensorBaseESI_lENKUlvE_clEvENKUlvE1_clEvEUlS7_S7_E_S7_EEDaPvRmT3_T4_T5_mT6_P12ihipStream_tbENKUlT_T0_E_clISt17integral_constantIbLb1EESZ_EEDaSU_SV_EUlSU_E_NS1_11comp_targetILNS1_3genE10ELNS1_11target_archE1201ELNS1_3gpuE5ELNS1_3repE0EEENS1_30default_config_static_selectorELNS0_4arch9wavefront6targetE1EEEvT1_.kd
    .uniform_work_group_size: 1
    .uses_dynamic_stack: false
    .vgpr_count:     0
    .vgpr_spill_count: 0
    .wavefront_size: 64
  - .agpr_count:     0
    .args:
      - .offset:         0
        .size:           128
        .value_kind:     by_value
    .group_segment_fixed_size: 0
    .kernarg_segment_align: 16
    .kernarg_segment_size: 128
    .language:       OpenCL C
    .language_version:
      - 2
      - 0
    .max_flat_workgroup_size: 256
    .name:           _ZN7rocprim17ROCPRIM_400000_NS6detail17trampoline_kernelINS0_14default_configENS1_20scan_config_selectorIN3c107complexIdEEEEZZNS1_9scan_implILNS1_25lookback_scan_determinismE0ELb0ELb0ES3_PKS7_PS7_S7_ZZZN2at6native31launch_logcumsumexp_cuda_kernelERKNSE_10TensorBaseESI_lENKUlvE_clEvENKUlvE1_clEvEUlS7_S7_E_S7_EEDaPvRmT3_T4_T5_mT6_P12ihipStream_tbENKUlT_T0_E_clISt17integral_constantIbLb1EESZ_EEDaSU_SV_EUlSU_E_NS1_11comp_targetILNS1_3genE10ELNS1_11target_archE1200ELNS1_3gpuE4ELNS1_3repE0EEENS1_30default_config_static_selectorELNS0_4arch9wavefront6targetE1EEEvT1_
    .private_segment_fixed_size: 0
    .sgpr_count:     6
    .sgpr_spill_count: 0
    .symbol:         _ZN7rocprim17ROCPRIM_400000_NS6detail17trampoline_kernelINS0_14default_configENS1_20scan_config_selectorIN3c107complexIdEEEEZZNS1_9scan_implILNS1_25lookback_scan_determinismE0ELb0ELb0ES3_PKS7_PS7_S7_ZZZN2at6native31launch_logcumsumexp_cuda_kernelERKNSE_10TensorBaseESI_lENKUlvE_clEvENKUlvE1_clEvEUlS7_S7_E_S7_EEDaPvRmT3_T4_T5_mT6_P12ihipStream_tbENKUlT_T0_E_clISt17integral_constantIbLb1EESZ_EEDaSU_SV_EUlSU_E_NS1_11comp_targetILNS1_3genE10ELNS1_11target_archE1200ELNS1_3gpuE4ELNS1_3repE0EEENS1_30default_config_static_selectorELNS0_4arch9wavefront6targetE1EEEvT1_.kd
    .uniform_work_group_size: 1
    .uses_dynamic_stack: false
    .vgpr_count:     0
    .vgpr_spill_count: 0
    .wavefront_size: 64
  - .agpr_count:     0
    .args:
      - .offset:         0
        .size:           128
        .value_kind:     by_value
    .group_segment_fixed_size: 0
    .kernarg_segment_align: 16
    .kernarg_segment_size: 128
    .language:       OpenCL C
    .language_version:
      - 2
      - 0
    .max_flat_workgroup_size: 256
    .name:           _ZN7rocprim17ROCPRIM_400000_NS6detail17trampoline_kernelINS0_14default_configENS1_20scan_config_selectorIN3c107complexIdEEEEZZNS1_9scan_implILNS1_25lookback_scan_determinismE0ELb0ELb0ES3_PKS7_PS7_S7_ZZZN2at6native31launch_logcumsumexp_cuda_kernelERKNSE_10TensorBaseESI_lENKUlvE_clEvENKUlvE1_clEvEUlS7_S7_E_S7_EEDaPvRmT3_T4_T5_mT6_P12ihipStream_tbENKUlT_T0_E_clISt17integral_constantIbLb1EESZ_EEDaSU_SV_EUlSU_E_NS1_11comp_targetILNS1_3genE9ELNS1_11target_archE1100ELNS1_3gpuE3ELNS1_3repE0EEENS1_30default_config_static_selectorELNS0_4arch9wavefront6targetE1EEEvT1_
    .private_segment_fixed_size: 0
    .sgpr_count:     6
    .sgpr_spill_count: 0
    .symbol:         _ZN7rocprim17ROCPRIM_400000_NS6detail17trampoline_kernelINS0_14default_configENS1_20scan_config_selectorIN3c107complexIdEEEEZZNS1_9scan_implILNS1_25lookback_scan_determinismE0ELb0ELb0ES3_PKS7_PS7_S7_ZZZN2at6native31launch_logcumsumexp_cuda_kernelERKNSE_10TensorBaseESI_lENKUlvE_clEvENKUlvE1_clEvEUlS7_S7_E_S7_EEDaPvRmT3_T4_T5_mT6_P12ihipStream_tbENKUlT_T0_E_clISt17integral_constantIbLb1EESZ_EEDaSU_SV_EUlSU_E_NS1_11comp_targetILNS1_3genE9ELNS1_11target_archE1100ELNS1_3gpuE3ELNS1_3repE0EEENS1_30default_config_static_selectorELNS0_4arch9wavefront6targetE1EEEvT1_.kd
    .uniform_work_group_size: 1
    .uses_dynamic_stack: false
    .vgpr_count:     0
    .vgpr_spill_count: 0
    .wavefront_size: 64
  - .agpr_count:     0
    .args:
      - .offset:         0
        .size:           128
        .value_kind:     by_value
    .group_segment_fixed_size: 0
    .kernarg_segment_align: 16
    .kernarg_segment_size: 128
    .language:       OpenCL C
    .language_version:
      - 2
      - 0
    .max_flat_workgroup_size: 256
    .name:           _ZN7rocprim17ROCPRIM_400000_NS6detail17trampoline_kernelINS0_14default_configENS1_20scan_config_selectorIN3c107complexIdEEEEZZNS1_9scan_implILNS1_25lookback_scan_determinismE0ELb0ELb0ES3_PKS7_PS7_S7_ZZZN2at6native31launch_logcumsumexp_cuda_kernelERKNSE_10TensorBaseESI_lENKUlvE_clEvENKUlvE1_clEvEUlS7_S7_E_S7_EEDaPvRmT3_T4_T5_mT6_P12ihipStream_tbENKUlT_T0_E_clISt17integral_constantIbLb1EESZ_EEDaSU_SV_EUlSU_E_NS1_11comp_targetILNS1_3genE8ELNS1_11target_archE1030ELNS1_3gpuE2ELNS1_3repE0EEENS1_30default_config_static_selectorELNS0_4arch9wavefront6targetE1EEEvT1_
    .private_segment_fixed_size: 0
    .sgpr_count:     6
    .sgpr_spill_count: 0
    .symbol:         _ZN7rocprim17ROCPRIM_400000_NS6detail17trampoline_kernelINS0_14default_configENS1_20scan_config_selectorIN3c107complexIdEEEEZZNS1_9scan_implILNS1_25lookback_scan_determinismE0ELb0ELb0ES3_PKS7_PS7_S7_ZZZN2at6native31launch_logcumsumexp_cuda_kernelERKNSE_10TensorBaseESI_lENKUlvE_clEvENKUlvE1_clEvEUlS7_S7_E_S7_EEDaPvRmT3_T4_T5_mT6_P12ihipStream_tbENKUlT_T0_E_clISt17integral_constantIbLb1EESZ_EEDaSU_SV_EUlSU_E_NS1_11comp_targetILNS1_3genE8ELNS1_11target_archE1030ELNS1_3gpuE2ELNS1_3repE0EEENS1_30default_config_static_selectorELNS0_4arch9wavefront6targetE1EEEvT1_.kd
    .uniform_work_group_size: 1
    .uses_dynamic_stack: false
    .vgpr_count:     0
    .vgpr_spill_count: 0
    .wavefront_size: 64
  - .agpr_count:     0
    .args:
      - .offset:         0
        .size:           48
        .value_kind:     by_value
    .group_segment_fixed_size: 0
    .kernarg_segment_align: 16
    .kernarg_segment_size: 48
    .language:       OpenCL C
    .language_version:
      - 2
      - 0
    .max_flat_workgroup_size: 128
    .name:           _ZN7rocprim17ROCPRIM_400000_NS6detail17trampoline_kernelINS0_14default_configENS1_20scan_config_selectorIN3c107complexIdEEEEZZNS1_9scan_implILNS1_25lookback_scan_determinismE0ELb0ELb0ES3_PKS7_PS7_S7_ZZZN2at6native31launch_logcumsumexp_cuda_kernelERKNSE_10TensorBaseESI_lENKUlvE_clEvENKUlvE1_clEvEUlS7_S7_E_S7_EEDaPvRmT3_T4_T5_mT6_P12ihipStream_tbENKUlT_T0_E_clISt17integral_constantIbLb1EESZ_EEDaSU_SV_EUlSU_E0_NS1_11comp_targetILNS1_3genE0ELNS1_11target_archE4294967295ELNS1_3gpuE0ELNS1_3repE0EEENS1_30default_config_static_selectorELNS0_4arch9wavefront6targetE1EEEvT1_
    .private_segment_fixed_size: 0
    .sgpr_count:     6
    .sgpr_spill_count: 0
    .symbol:         _ZN7rocprim17ROCPRIM_400000_NS6detail17trampoline_kernelINS0_14default_configENS1_20scan_config_selectorIN3c107complexIdEEEEZZNS1_9scan_implILNS1_25lookback_scan_determinismE0ELb0ELb0ES3_PKS7_PS7_S7_ZZZN2at6native31launch_logcumsumexp_cuda_kernelERKNSE_10TensorBaseESI_lENKUlvE_clEvENKUlvE1_clEvEUlS7_S7_E_S7_EEDaPvRmT3_T4_T5_mT6_P12ihipStream_tbENKUlT_T0_E_clISt17integral_constantIbLb1EESZ_EEDaSU_SV_EUlSU_E0_NS1_11comp_targetILNS1_3genE0ELNS1_11target_archE4294967295ELNS1_3gpuE0ELNS1_3repE0EEENS1_30default_config_static_selectorELNS0_4arch9wavefront6targetE1EEEvT1_.kd
    .uniform_work_group_size: 1
    .uses_dynamic_stack: false
    .vgpr_count:     0
    .vgpr_spill_count: 0
    .wavefront_size: 64
  - .agpr_count:     0
    .args:
      - .offset:         0
        .size:           48
        .value_kind:     by_value
    .group_segment_fixed_size: 57344
    .kernarg_segment_align: 16
    .kernarg_segment_size: 48
    .language:       OpenCL C
    .language_version:
      - 2
      - 0
    .max_flat_workgroup_size: 256
    .name:           _ZN7rocprim17ROCPRIM_400000_NS6detail17trampoline_kernelINS0_14default_configENS1_20scan_config_selectorIN3c107complexIdEEEEZZNS1_9scan_implILNS1_25lookback_scan_determinismE0ELb0ELb0ES3_PKS7_PS7_S7_ZZZN2at6native31launch_logcumsumexp_cuda_kernelERKNSE_10TensorBaseESI_lENKUlvE_clEvENKUlvE1_clEvEUlS7_S7_E_S7_EEDaPvRmT3_T4_T5_mT6_P12ihipStream_tbENKUlT_T0_E_clISt17integral_constantIbLb1EESZ_EEDaSU_SV_EUlSU_E0_NS1_11comp_targetILNS1_3genE5ELNS1_11target_archE942ELNS1_3gpuE9ELNS1_3repE0EEENS1_30default_config_static_selectorELNS0_4arch9wavefront6targetE1EEEvT1_
    .private_segment_fixed_size: 8
    .sgpr_count:     74
    .sgpr_spill_count: 0
    .symbol:         _ZN7rocprim17ROCPRIM_400000_NS6detail17trampoline_kernelINS0_14default_configENS1_20scan_config_selectorIN3c107complexIdEEEEZZNS1_9scan_implILNS1_25lookback_scan_determinismE0ELb0ELb0ES3_PKS7_PS7_S7_ZZZN2at6native31launch_logcumsumexp_cuda_kernelERKNSE_10TensorBaseESI_lENKUlvE_clEvENKUlvE1_clEvEUlS7_S7_E_S7_EEDaPvRmT3_T4_T5_mT6_P12ihipStream_tbENKUlT_T0_E_clISt17integral_constantIbLb1EESZ_EEDaSU_SV_EUlSU_E0_NS1_11comp_targetILNS1_3genE5ELNS1_11target_archE942ELNS1_3gpuE9ELNS1_3repE0EEENS1_30default_config_static_selectorELNS0_4arch9wavefront6targetE1EEEvT1_.kd
    .uniform_work_group_size: 1
    .uses_dynamic_stack: false
    .vgpr_count:     166
    .vgpr_spill_count: 0
    .wavefront_size: 64
  - .agpr_count:     0
    .args:
      - .offset:         0
        .size:           48
        .value_kind:     by_value
    .group_segment_fixed_size: 0
    .kernarg_segment_align: 16
    .kernarg_segment_size: 48
    .language:       OpenCL C
    .language_version:
      - 2
      - 0
    .max_flat_workgroup_size: 64
    .name:           _ZN7rocprim17ROCPRIM_400000_NS6detail17trampoline_kernelINS0_14default_configENS1_20scan_config_selectorIN3c107complexIdEEEEZZNS1_9scan_implILNS1_25lookback_scan_determinismE0ELb0ELb0ES3_PKS7_PS7_S7_ZZZN2at6native31launch_logcumsumexp_cuda_kernelERKNSE_10TensorBaseESI_lENKUlvE_clEvENKUlvE1_clEvEUlS7_S7_E_S7_EEDaPvRmT3_T4_T5_mT6_P12ihipStream_tbENKUlT_T0_E_clISt17integral_constantIbLb1EESZ_EEDaSU_SV_EUlSU_E0_NS1_11comp_targetILNS1_3genE4ELNS1_11target_archE910ELNS1_3gpuE8ELNS1_3repE0EEENS1_30default_config_static_selectorELNS0_4arch9wavefront6targetE1EEEvT1_
    .private_segment_fixed_size: 0
    .sgpr_count:     6
    .sgpr_spill_count: 0
    .symbol:         _ZN7rocprim17ROCPRIM_400000_NS6detail17trampoline_kernelINS0_14default_configENS1_20scan_config_selectorIN3c107complexIdEEEEZZNS1_9scan_implILNS1_25lookback_scan_determinismE0ELb0ELb0ES3_PKS7_PS7_S7_ZZZN2at6native31launch_logcumsumexp_cuda_kernelERKNSE_10TensorBaseESI_lENKUlvE_clEvENKUlvE1_clEvEUlS7_S7_E_S7_EEDaPvRmT3_T4_T5_mT6_P12ihipStream_tbENKUlT_T0_E_clISt17integral_constantIbLb1EESZ_EEDaSU_SV_EUlSU_E0_NS1_11comp_targetILNS1_3genE4ELNS1_11target_archE910ELNS1_3gpuE8ELNS1_3repE0EEENS1_30default_config_static_selectorELNS0_4arch9wavefront6targetE1EEEvT1_.kd
    .uniform_work_group_size: 1
    .uses_dynamic_stack: false
    .vgpr_count:     0
    .vgpr_spill_count: 0
    .wavefront_size: 64
  - .agpr_count:     0
    .args:
      - .offset:         0
        .size:           48
        .value_kind:     by_value
    .group_segment_fixed_size: 0
    .kernarg_segment_align: 16
    .kernarg_segment_size: 48
    .language:       OpenCL C
    .language_version:
      - 2
      - 0
    .max_flat_workgroup_size: 128
    .name:           _ZN7rocprim17ROCPRIM_400000_NS6detail17trampoline_kernelINS0_14default_configENS1_20scan_config_selectorIN3c107complexIdEEEEZZNS1_9scan_implILNS1_25lookback_scan_determinismE0ELb0ELb0ES3_PKS7_PS7_S7_ZZZN2at6native31launch_logcumsumexp_cuda_kernelERKNSE_10TensorBaseESI_lENKUlvE_clEvENKUlvE1_clEvEUlS7_S7_E_S7_EEDaPvRmT3_T4_T5_mT6_P12ihipStream_tbENKUlT_T0_E_clISt17integral_constantIbLb1EESZ_EEDaSU_SV_EUlSU_E0_NS1_11comp_targetILNS1_3genE3ELNS1_11target_archE908ELNS1_3gpuE7ELNS1_3repE0EEENS1_30default_config_static_selectorELNS0_4arch9wavefront6targetE1EEEvT1_
    .private_segment_fixed_size: 0
    .sgpr_count:     6
    .sgpr_spill_count: 0
    .symbol:         _ZN7rocprim17ROCPRIM_400000_NS6detail17trampoline_kernelINS0_14default_configENS1_20scan_config_selectorIN3c107complexIdEEEEZZNS1_9scan_implILNS1_25lookback_scan_determinismE0ELb0ELb0ES3_PKS7_PS7_S7_ZZZN2at6native31launch_logcumsumexp_cuda_kernelERKNSE_10TensorBaseESI_lENKUlvE_clEvENKUlvE1_clEvEUlS7_S7_E_S7_EEDaPvRmT3_T4_T5_mT6_P12ihipStream_tbENKUlT_T0_E_clISt17integral_constantIbLb1EESZ_EEDaSU_SV_EUlSU_E0_NS1_11comp_targetILNS1_3genE3ELNS1_11target_archE908ELNS1_3gpuE7ELNS1_3repE0EEENS1_30default_config_static_selectorELNS0_4arch9wavefront6targetE1EEEvT1_.kd
    .uniform_work_group_size: 1
    .uses_dynamic_stack: false
    .vgpr_count:     0
    .vgpr_spill_count: 0
    .wavefront_size: 64
  - .agpr_count:     0
    .args:
      - .offset:         0
        .size:           48
        .value_kind:     by_value
    .group_segment_fixed_size: 0
    .kernarg_segment_align: 16
    .kernarg_segment_size: 48
    .language:       OpenCL C
    .language_version:
      - 2
      - 0
    .max_flat_workgroup_size: 64
    .name:           _ZN7rocprim17ROCPRIM_400000_NS6detail17trampoline_kernelINS0_14default_configENS1_20scan_config_selectorIN3c107complexIdEEEEZZNS1_9scan_implILNS1_25lookback_scan_determinismE0ELb0ELb0ES3_PKS7_PS7_S7_ZZZN2at6native31launch_logcumsumexp_cuda_kernelERKNSE_10TensorBaseESI_lENKUlvE_clEvENKUlvE1_clEvEUlS7_S7_E_S7_EEDaPvRmT3_T4_T5_mT6_P12ihipStream_tbENKUlT_T0_E_clISt17integral_constantIbLb1EESZ_EEDaSU_SV_EUlSU_E0_NS1_11comp_targetILNS1_3genE2ELNS1_11target_archE906ELNS1_3gpuE6ELNS1_3repE0EEENS1_30default_config_static_selectorELNS0_4arch9wavefront6targetE1EEEvT1_
    .private_segment_fixed_size: 0
    .sgpr_count:     6
    .sgpr_spill_count: 0
    .symbol:         _ZN7rocprim17ROCPRIM_400000_NS6detail17trampoline_kernelINS0_14default_configENS1_20scan_config_selectorIN3c107complexIdEEEEZZNS1_9scan_implILNS1_25lookback_scan_determinismE0ELb0ELb0ES3_PKS7_PS7_S7_ZZZN2at6native31launch_logcumsumexp_cuda_kernelERKNSE_10TensorBaseESI_lENKUlvE_clEvENKUlvE1_clEvEUlS7_S7_E_S7_EEDaPvRmT3_T4_T5_mT6_P12ihipStream_tbENKUlT_T0_E_clISt17integral_constantIbLb1EESZ_EEDaSU_SV_EUlSU_E0_NS1_11comp_targetILNS1_3genE2ELNS1_11target_archE906ELNS1_3gpuE6ELNS1_3repE0EEENS1_30default_config_static_selectorELNS0_4arch9wavefront6targetE1EEEvT1_.kd
    .uniform_work_group_size: 1
    .uses_dynamic_stack: false
    .vgpr_count:     0
    .vgpr_spill_count: 0
    .wavefront_size: 64
  - .agpr_count:     0
    .args:
      - .offset:         0
        .size:           48
        .value_kind:     by_value
    .group_segment_fixed_size: 0
    .kernarg_segment_align: 16
    .kernarg_segment_size: 48
    .language:       OpenCL C
    .language_version:
      - 2
      - 0
    .max_flat_workgroup_size: 256
    .name:           _ZN7rocprim17ROCPRIM_400000_NS6detail17trampoline_kernelINS0_14default_configENS1_20scan_config_selectorIN3c107complexIdEEEEZZNS1_9scan_implILNS1_25lookback_scan_determinismE0ELb0ELb0ES3_PKS7_PS7_S7_ZZZN2at6native31launch_logcumsumexp_cuda_kernelERKNSE_10TensorBaseESI_lENKUlvE_clEvENKUlvE1_clEvEUlS7_S7_E_S7_EEDaPvRmT3_T4_T5_mT6_P12ihipStream_tbENKUlT_T0_E_clISt17integral_constantIbLb1EESZ_EEDaSU_SV_EUlSU_E0_NS1_11comp_targetILNS1_3genE10ELNS1_11target_archE1201ELNS1_3gpuE5ELNS1_3repE0EEENS1_30default_config_static_selectorELNS0_4arch9wavefront6targetE1EEEvT1_
    .private_segment_fixed_size: 0
    .sgpr_count:     6
    .sgpr_spill_count: 0
    .symbol:         _ZN7rocprim17ROCPRIM_400000_NS6detail17trampoline_kernelINS0_14default_configENS1_20scan_config_selectorIN3c107complexIdEEEEZZNS1_9scan_implILNS1_25lookback_scan_determinismE0ELb0ELb0ES3_PKS7_PS7_S7_ZZZN2at6native31launch_logcumsumexp_cuda_kernelERKNSE_10TensorBaseESI_lENKUlvE_clEvENKUlvE1_clEvEUlS7_S7_E_S7_EEDaPvRmT3_T4_T5_mT6_P12ihipStream_tbENKUlT_T0_E_clISt17integral_constantIbLb1EESZ_EEDaSU_SV_EUlSU_E0_NS1_11comp_targetILNS1_3genE10ELNS1_11target_archE1201ELNS1_3gpuE5ELNS1_3repE0EEENS1_30default_config_static_selectorELNS0_4arch9wavefront6targetE1EEEvT1_.kd
    .uniform_work_group_size: 1
    .uses_dynamic_stack: false
    .vgpr_count:     0
    .vgpr_spill_count: 0
    .wavefront_size: 64
  - .agpr_count:     0
    .args:
      - .offset:         0
        .size:           48
        .value_kind:     by_value
    .group_segment_fixed_size: 0
    .kernarg_segment_align: 16
    .kernarg_segment_size: 48
    .language:       OpenCL C
    .language_version:
      - 2
      - 0
    .max_flat_workgroup_size: 256
    .name:           _ZN7rocprim17ROCPRIM_400000_NS6detail17trampoline_kernelINS0_14default_configENS1_20scan_config_selectorIN3c107complexIdEEEEZZNS1_9scan_implILNS1_25lookback_scan_determinismE0ELb0ELb0ES3_PKS7_PS7_S7_ZZZN2at6native31launch_logcumsumexp_cuda_kernelERKNSE_10TensorBaseESI_lENKUlvE_clEvENKUlvE1_clEvEUlS7_S7_E_S7_EEDaPvRmT3_T4_T5_mT6_P12ihipStream_tbENKUlT_T0_E_clISt17integral_constantIbLb1EESZ_EEDaSU_SV_EUlSU_E0_NS1_11comp_targetILNS1_3genE10ELNS1_11target_archE1200ELNS1_3gpuE4ELNS1_3repE0EEENS1_30default_config_static_selectorELNS0_4arch9wavefront6targetE1EEEvT1_
    .private_segment_fixed_size: 0
    .sgpr_count:     6
    .sgpr_spill_count: 0
    .symbol:         _ZN7rocprim17ROCPRIM_400000_NS6detail17trampoline_kernelINS0_14default_configENS1_20scan_config_selectorIN3c107complexIdEEEEZZNS1_9scan_implILNS1_25lookback_scan_determinismE0ELb0ELb0ES3_PKS7_PS7_S7_ZZZN2at6native31launch_logcumsumexp_cuda_kernelERKNSE_10TensorBaseESI_lENKUlvE_clEvENKUlvE1_clEvEUlS7_S7_E_S7_EEDaPvRmT3_T4_T5_mT6_P12ihipStream_tbENKUlT_T0_E_clISt17integral_constantIbLb1EESZ_EEDaSU_SV_EUlSU_E0_NS1_11comp_targetILNS1_3genE10ELNS1_11target_archE1200ELNS1_3gpuE4ELNS1_3repE0EEENS1_30default_config_static_selectorELNS0_4arch9wavefront6targetE1EEEvT1_.kd
    .uniform_work_group_size: 1
    .uses_dynamic_stack: false
    .vgpr_count:     0
    .vgpr_spill_count: 0
    .wavefront_size: 64
  - .agpr_count:     0
    .args:
      - .offset:         0
        .size:           48
        .value_kind:     by_value
    .group_segment_fixed_size: 0
    .kernarg_segment_align: 16
    .kernarg_segment_size: 48
    .language:       OpenCL C
    .language_version:
      - 2
      - 0
    .max_flat_workgroup_size: 256
    .name:           _ZN7rocprim17ROCPRIM_400000_NS6detail17trampoline_kernelINS0_14default_configENS1_20scan_config_selectorIN3c107complexIdEEEEZZNS1_9scan_implILNS1_25lookback_scan_determinismE0ELb0ELb0ES3_PKS7_PS7_S7_ZZZN2at6native31launch_logcumsumexp_cuda_kernelERKNSE_10TensorBaseESI_lENKUlvE_clEvENKUlvE1_clEvEUlS7_S7_E_S7_EEDaPvRmT3_T4_T5_mT6_P12ihipStream_tbENKUlT_T0_E_clISt17integral_constantIbLb1EESZ_EEDaSU_SV_EUlSU_E0_NS1_11comp_targetILNS1_3genE9ELNS1_11target_archE1100ELNS1_3gpuE3ELNS1_3repE0EEENS1_30default_config_static_selectorELNS0_4arch9wavefront6targetE1EEEvT1_
    .private_segment_fixed_size: 0
    .sgpr_count:     6
    .sgpr_spill_count: 0
    .symbol:         _ZN7rocprim17ROCPRIM_400000_NS6detail17trampoline_kernelINS0_14default_configENS1_20scan_config_selectorIN3c107complexIdEEEEZZNS1_9scan_implILNS1_25lookback_scan_determinismE0ELb0ELb0ES3_PKS7_PS7_S7_ZZZN2at6native31launch_logcumsumexp_cuda_kernelERKNSE_10TensorBaseESI_lENKUlvE_clEvENKUlvE1_clEvEUlS7_S7_E_S7_EEDaPvRmT3_T4_T5_mT6_P12ihipStream_tbENKUlT_T0_E_clISt17integral_constantIbLb1EESZ_EEDaSU_SV_EUlSU_E0_NS1_11comp_targetILNS1_3genE9ELNS1_11target_archE1100ELNS1_3gpuE3ELNS1_3repE0EEENS1_30default_config_static_selectorELNS0_4arch9wavefront6targetE1EEEvT1_.kd
    .uniform_work_group_size: 1
    .uses_dynamic_stack: false
    .vgpr_count:     0
    .vgpr_spill_count: 0
    .wavefront_size: 64
  - .agpr_count:     0
    .args:
      - .offset:         0
        .size:           48
        .value_kind:     by_value
    .group_segment_fixed_size: 0
    .kernarg_segment_align: 16
    .kernarg_segment_size: 48
    .language:       OpenCL C
    .language_version:
      - 2
      - 0
    .max_flat_workgroup_size: 256
    .name:           _ZN7rocprim17ROCPRIM_400000_NS6detail17trampoline_kernelINS0_14default_configENS1_20scan_config_selectorIN3c107complexIdEEEEZZNS1_9scan_implILNS1_25lookback_scan_determinismE0ELb0ELb0ES3_PKS7_PS7_S7_ZZZN2at6native31launch_logcumsumexp_cuda_kernelERKNSE_10TensorBaseESI_lENKUlvE_clEvENKUlvE1_clEvEUlS7_S7_E_S7_EEDaPvRmT3_T4_T5_mT6_P12ihipStream_tbENKUlT_T0_E_clISt17integral_constantIbLb1EESZ_EEDaSU_SV_EUlSU_E0_NS1_11comp_targetILNS1_3genE8ELNS1_11target_archE1030ELNS1_3gpuE2ELNS1_3repE0EEENS1_30default_config_static_selectorELNS0_4arch9wavefront6targetE1EEEvT1_
    .private_segment_fixed_size: 0
    .sgpr_count:     6
    .sgpr_spill_count: 0
    .symbol:         _ZN7rocprim17ROCPRIM_400000_NS6detail17trampoline_kernelINS0_14default_configENS1_20scan_config_selectorIN3c107complexIdEEEEZZNS1_9scan_implILNS1_25lookback_scan_determinismE0ELb0ELb0ES3_PKS7_PS7_S7_ZZZN2at6native31launch_logcumsumexp_cuda_kernelERKNSE_10TensorBaseESI_lENKUlvE_clEvENKUlvE1_clEvEUlS7_S7_E_S7_EEDaPvRmT3_T4_T5_mT6_P12ihipStream_tbENKUlT_T0_E_clISt17integral_constantIbLb1EESZ_EEDaSU_SV_EUlSU_E0_NS1_11comp_targetILNS1_3genE8ELNS1_11target_archE1030ELNS1_3gpuE2ELNS1_3repE0EEENS1_30default_config_static_selectorELNS0_4arch9wavefront6targetE1EEEvT1_.kd
    .uniform_work_group_size: 1
    .uses_dynamic_stack: false
    .vgpr_count:     0
    .vgpr_spill_count: 0
    .wavefront_size: 64
  - .agpr_count:     0
    .args:
      - .offset:         0
        .size:           24
        .value_kind:     by_value
      - .offset:         24
        .size:           4
        .value_kind:     by_value
      - .offset:         28
        .size:           1
        .value_kind:     by_value
      - .offset:         32
        .size:           4
        .value_kind:     by_value
      - .address_space:  global
        .offset:         40
        .size:           8
        .value_kind:     global_buffer
      - .offset:         48
        .size:           4
        .value_kind:     hidden_block_count_x
      - .offset:         52
        .size:           4
        .value_kind:     hidden_block_count_y
      - .offset:         56
        .size:           4
        .value_kind:     hidden_block_count_z
      - .offset:         60
        .size:           2
        .value_kind:     hidden_group_size_x
      - .offset:         62
        .size:           2
        .value_kind:     hidden_group_size_y
      - .offset:         64
        .size:           2
        .value_kind:     hidden_group_size_z
      - .offset:         66
        .size:           2
        .value_kind:     hidden_remainder_x
      - .offset:         68
        .size:           2
        .value_kind:     hidden_remainder_y
      - .offset:         70
        .size:           2
        .value_kind:     hidden_remainder_z
      - .offset:         88
        .size:           8
        .value_kind:     hidden_global_offset_x
      - .offset:         96
        .size:           8
        .value_kind:     hidden_global_offset_y
      - .offset:         104
        .size:           8
        .value_kind:     hidden_global_offset_z
      - .offset:         112
        .size:           2
        .value_kind:     hidden_grid_dims
    .group_segment_fixed_size: 0
    .kernarg_segment_align: 8
    .kernarg_segment_size: 304
    .language:       OpenCL C
    .language_version:
      - 2
      - 0
    .max_flat_workgroup_size: 256
    .name:           _ZN7rocprim17ROCPRIM_400000_NS6detail31init_lookback_scan_state_kernelINS1_19lookback_scan_stateIN3c107complexIdEELb1ELb0EEENS1_16block_id_wrapperIjLb0EEEEEvT_jT0_jPNSA_10value_typeE
    .private_segment_fixed_size: 0
    .sgpr_count:     24
    .sgpr_spill_count: 0
    .symbol:         _ZN7rocprim17ROCPRIM_400000_NS6detail31init_lookback_scan_state_kernelINS1_19lookback_scan_stateIN3c107complexIdEELb1ELb0EEENS1_16block_id_wrapperIjLb0EEEEEvT_jT0_jPNSA_10value_typeE.kd
    .uniform_work_group_size: 1
    .uses_dynamic_stack: false
    .vgpr_count:     6
    .vgpr_spill_count: 0
    .wavefront_size: 64
  - .agpr_count:     0
    .args:
      - .offset:         0
        .size:           128
        .value_kind:     by_value
    .group_segment_fixed_size: 0
    .kernarg_segment_align: 16
    .kernarg_segment_size: 128
    .language:       OpenCL C
    .language_version:
      - 2
      - 0
    .max_flat_workgroup_size: 128
    .name:           _ZN7rocprim17ROCPRIM_400000_NS6detail17trampoline_kernelINS0_14default_configENS1_20scan_config_selectorIN3c107complexIdEEEEZZNS1_9scan_implILNS1_25lookback_scan_determinismE0ELb0ELb0ES3_PKS7_PS7_S7_ZZZN2at6native31launch_logcumsumexp_cuda_kernelERKNSE_10TensorBaseESI_lENKUlvE_clEvENKUlvE1_clEvEUlS7_S7_E_S7_EEDaPvRmT3_T4_T5_mT6_P12ihipStream_tbENKUlT_T0_E_clISt17integral_constantIbLb1EESY_IbLb0EEEEDaSU_SV_EUlSU_E_NS1_11comp_targetILNS1_3genE0ELNS1_11target_archE4294967295ELNS1_3gpuE0ELNS1_3repE0EEENS1_30default_config_static_selectorELNS0_4arch9wavefront6targetE1EEEvT1_
    .private_segment_fixed_size: 0
    .sgpr_count:     6
    .sgpr_spill_count: 0
    .symbol:         _ZN7rocprim17ROCPRIM_400000_NS6detail17trampoline_kernelINS0_14default_configENS1_20scan_config_selectorIN3c107complexIdEEEEZZNS1_9scan_implILNS1_25lookback_scan_determinismE0ELb0ELb0ES3_PKS7_PS7_S7_ZZZN2at6native31launch_logcumsumexp_cuda_kernelERKNSE_10TensorBaseESI_lENKUlvE_clEvENKUlvE1_clEvEUlS7_S7_E_S7_EEDaPvRmT3_T4_T5_mT6_P12ihipStream_tbENKUlT_T0_E_clISt17integral_constantIbLb1EESY_IbLb0EEEEDaSU_SV_EUlSU_E_NS1_11comp_targetILNS1_3genE0ELNS1_11target_archE4294967295ELNS1_3gpuE0ELNS1_3repE0EEENS1_30default_config_static_selectorELNS0_4arch9wavefront6targetE1EEEvT1_.kd
    .uniform_work_group_size: 1
    .uses_dynamic_stack: false
    .vgpr_count:     0
    .vgpr_spill_count: 0
    .wavefront_size: 64
  - .agpr_count:     0
    .args:
      - .offset:         0
        .size:           128
        .value_kind:     by_value
    .group_segment_fixed_size: 57344
    .kernarg_segment_align: 16
    .kernarg_segment_size: 128
    .language:       OpenCL C
    .language_version:
      - 2
      - 0
    .max_flat_workgroup_size: 256
    .name:           _ZN7rocprim17ROCPRIM_400000_NS6detail17trampoline_kernelINS0_14default_configENS1_20scan_config_selectorIN3c107complexIdEEEEZZNS1_9scan_implILNS1_25lookback_scan_determinismE0ELb0ELb0ES3_PKS7_PS7_S7_ZZZN2at6native31launch_logcumsumexp_cuda_kernelERKNSE_10TensorBaseESI_lENKUlvE_clEvENKUlvE1_clEvEUlS7_S7_E_S7_EEDaPvRmT3_T4_T5_mT6_P12ihipStream_tbENKUlT_T0_E_clISt17integral_constantIbLb1EESY_IbLb0EEEEDaSU_SV_EUlSU_E_NS1_11comp_targetILNS1_3genE5ELNS1_11target_archE942ELNS1_3gpuE9ELNS1_3repE0EEENS1_30default_config_static_selectorELNS0_4arch9wavefront6targetE1EEEvT1_
    .private_segment_fixed_size: 8
    .sgpr_count:     70
    .sgpr_spill_count: 0
    .symbol:         _ZN7rocprim17ROCPRIM_400000_NS6detail17trampoline_kernelINS0_14default_configENS1_20scan_config_selectorIN3c107complexIdEEEEZZNS1_9scan_implILNS1_25lookback_scan_determinismE0ELb0ELb0ES3_PKS7_PS7_S7_ZZZN2at6native31launch_logcumsumexp_cuda_kernelERKNSE_10TensorBaseESI_lENKUlvE_clEvENKUlvE1_clEvEUlS7_S7_E_S7_EEDaPvRmT3_T4_T5_mT6_P12ihipStream_tbENKUlT_T0_E_clISt17integral_constantIbLb1EESY_IbLb0EEEEDaSU_SV_EUlSU_E_NS1_11comp_targetILNS1_3genE5ELNS1_11target_archE942ELNS1_3gpuE9ELNS1_3repE0EEENS1_30default_config_static_selectorELNS0_4arch9wavefront6targetE1EEEvT1_.kd
    .uniform_work_group_size: 1
    .uses_dynamic_stack: false
    .vgpr_count:     167
    .vgpr_spill_count: 0
    .wavefront_size: 64
  - .agpr_count:     0
    .args:
      - .offset:         0
        .size:           128
        .value_kind:     by_value
    .group_segment_fixed_size: 0
    .kernarg_segment_align: 16
    .kernarg_segment_size: 128
    .language:       OpenCL C
    .language_version:
      - 2
      - 0
    .max_flat_workgroup_size: 64
    .name:           _ZN7rocprim17ROCPRIM_400000_NS6detail17trampoline_kernelINS0_14default_configENS1_20scan_config_selectorIN3c107complexIdEEEEZZNS1_9scan_implILNS1_25lookback_scan_determinismE0ELb0ELb0ES3_PKS7_PS7_S7_ZZZN2at6native31launch_logcumsumexp_cuda_kernelERKNSE_10TensorBaseESI_lENKUlvE_clEvENKUlvE1_clEvEUlS7_S7_E_S7_EEDaPvRmT3_T4_T5_mT6_P12ihipStream_tbENKUlT_T0_E_clISt17integral_constantIbLb1EESY_IbLb0EEEEDaSU_SV_EUlSU_E_NS1_11comp_targetILNS1_3genE4ELNS1_11target_archE910ELNS1_3gpuE8ELNS1_3repE0EEENS1_30default_config_static_selectorELNS0_4arch9wavefront6targetE1EEEvT1_
    .private_segment_fixed_size: 0
    .sgpr_count:     6
    .sgpr_spill_count: 0
    .symbol:         _ZN7rocprim17ROCPRIM_400000_NS6detail17trampoline_kernelINS0_14default_configENS1_20scan_config_selectorIN3c107complexIdEEEEZZNS1_9scan_implILNS1_25lookback_scan_determinismE0ELb0ELb0ES3_PKS7_PS7_S7_ZZZN2at6native31launch_logcumsumexp_cuda_kernelERKNSE_10TensorBaseESI_lENKUlvE_clEvENKUlvE1_clEvEUlS7_S7_E_S7_EEDaPvRmT3_T4_T5_mT6_P12ihipStream_tbENKUlT_T0_E_clISt17integral_constantIbLb1EESY_IbLb0EEEEDaSU_SV_EUlSU_E_NS1_11comp_targetILNS1_3genE4ELNS1_11target_archE910ELNS1_3gpuE8ELNS1_3repE0EEENS1_30default_config_static_selectorELNS0_4arch9wavefront6targetE1EEEvT1_.kd
    .uniform_work_group_size: 1
    .uses_dynamic_stack: false
    .vgpr_count:     0
    .vgpr_spill_count: 0
    .wavefront_size: 64
  - .agpr_count:     0
    .args:
      - .offset:         0
        .size:           128
        .value_kind:     by_value
    .group_segment_fixed_size: 0
    .kernarg_segment_align: 16
    .kernarg_segment_size: 128
    .language:       OpenCL C
    .language_version:
      - 2
      - 0
    .max_flat_workgroup_size: 128
    .name:           _ZN7rocprim17ROCPRIM_400000_NS6detail17trampoline_kernelINS0_14default_configENS1_20scan_config_selectorIN3c107complexIdEEEEZZNS1_9scan_implILNS1_25lookback_scan_determinismE0ELb0ELb0ES3_PKS7_PS7_S7_ZZZN2at6native31launch_logcumsumexp_cuda_kernelERKNSE_10TensorBaseESI_lENKUlvE_clEvENKUlvE1_clEvEUlS7_S7_E_S7_EEDaPvRmT3_T4_T5_mT6_P12ihipStream_tbENKUlT_T0_E_clISt17integral_constantIbLb1EESY_IbLb0EEEEDaSU_SV_EUlSU_E_NS1_11comp_targetILNS1_3genE3ELNS1_11target_archE908ELNS1_3gpuE7ELNS1_3repE0EEENS1_30default_config_static_selectorELNS0_4arch9wavefront6targetE1EEEvT1_
    .private_segment_fixed_size: 0
    .sgpr_count:     6
    .sgpr_spill_count: 0
    .symbol:         _ZN7rocprim17ROCPRIM_400000_NS6detail17trampoline_kernelINS0_14default_configENS1_20scan_config_selectorIN3c107complexIdEEEEZZNS1_9scan_implILNS1_25lookback_scan_determinismE0ELb0ELb0ES3_PKS7_PS7_S7_ZZZN2at6native31launch_logcumsumexp_cuda_kernelERKNSE_10TensorBaseESI_lENKUlvE_clEvENKUlvE1_clEvEUlS7_S7_E_S7_EEDaPvRmT3_T4_T5_mT6_P12ihipStream_tbENKUlT_T0_E_clISt17integral_constantIbLb1EESY_IbLb0EEEEDaSU_SV_EUlSU_E_NS1_11comp_targetILNS1_3genE3ELNS1_11target_archE908ELNS1_3gpuE7ELNS1_3repE0EEENS1_30default_config_static_selectorELNS0_4arch9wavefront6targetE1EEEvT1_.kd
    .uniform_work_group_size: 1
    .uses_dynamic_stack: false
    .vgpr_count:     0
    .vgpr_spill_count: 0
    .wavefront_size: 64
  - .agpr_count:     0
    .args:
      - .offset:         0
        .size:           128
        .value_kind:     by_value
    .group_segment_fixed_size: 0
    .kernarg_segment_align: 16
    .kernarg_segment_size: 128
    .language:       OpenCL C
    .language_version:
      - 2
      - 0
    .max_flat_workgroup_size: 64
    .name:           _ZN7rocprim17ROCPRIM_400000_NS6detail17trampoline_kernelINS0_14default_configENS1_20scan_config_selectorIN3c107complexIdEEEEZZNS1_9scan_implILNS1_25lookback_scan_determinismE0ELb0ELb0ES3_PKS7_PS7_S7_ZZZN2at6native31launch_logcumsumexp_cuda_kernelERKNSE_10TensorBaseESI_lENKUlvE_clEvENKUlvE1_clEvEUlS7_S7_E_S7_EEDaPvRmT3_T4_T5_mT6_P12ihipStream_tbENKUlT_T0_E_clISt17integral_constantIbLb1EESY_IbLb0EEEEDaSU_SV_EUlSU_E_NS1_11comp_targetILNS1_3genE2ELNS1_11target_archE906ELNS1_3gpuE6ELNS1_3repE0EEENS1_30default_config_static_selectorELNS0_4arch9wavefront6targetE1EEEvT1_
    .private_segment_fixed_size: 0
    .sgpr_count:     6
    .sgpr_spill_count: 0
    .symbol:         _ZN7rocprim17ROCPRIM_400000_NS6detail17trampoline_kernelINS0_14default_configENS1_20scan_config_selectorIN3c107complexIdEEEEZZNS1_9scan_implILNS1_25lookback_scan_determinismE0ELb0ELb0ES3_PKS7_PS7_S7_ZZZN2at6native31launch_logcumsumexp_cuda_kernelERKNSE_10TensorBaseESI_lENKUlvE_clEvENKUlvE1_clEvEUlS7_S7_E_S7_EEDaPvRmT3_T4_T5_mT6_P12ihipStream_tbENKUlT_T0_E_clISt17integral_constantIbLb1EESY_IbLb0EEEEDaSU_SV_EUlSU_E_NS1_11comp_targetILNS1_3genE2ELNS1_11target_archE906ELNS1_3gpuE6ELNS1_3repE0EEENS1_30default_config_static_selectorELNS0_4arch9wavefront6targetE1EEEvT1_.kd
    .uniform_work_group_size: 1
    .uses_dynamic_stack: false
    .vgpr_count:     0
    .vgpr_spill_count: 0
    .wavefront_size: 64
  - .agpr_count:     0
    .args:
      - .offset:         0
        .size:           128
        .value_kind:     by_value
    .group_segment_fixed_size: 0
    .kernarg_segment_align: 16
    .kernarg_segment_size: 128
    .language:       OpenCL C
    .language_version:
      - 2
      - 0
    .max_flat_workgroup_size: 256
    .name:           _ZN7rocprim17ROCPRIM_400000_NS6detail17trampoline_kernelINS0_14default_configENS1_20scan_config_selectorIN3c107complexIdEEEEZZNS1_9scan_implILNS1_25lookback_scan_determinismE0ELb0ELb0ES3_PKS7_PS7_S7_ZZZN2at6native31launch_logcumsumexp_cuda_kernelERKNSE_10TensorBaseESI_lENKUlvE_clEvENKUlvE1_clEvEUlS7_S7_E_S7_EEDaPvRmT3_T4_T5_mT6_P12ihipStream_tbENKUlT_T0_E_clISt17integral_constantIbLb1EESY_IbLb0EEEEDaSU_SV_EUlSU_E_NS1_11comp_targetILNS1_3genE10ELNS1_11target_archE1201ELNS1_3gpuE5ELNS1_3repE0EEENS1_30default_config_static_selectorELNS0_4arch9wavefront6targetE1EEEvT1_
    .private_segment_fixed_size: 0
    .sgpr_count:     6
    .sgpr_spill_count: 0
    .symbol:         _ZN7rocprim17ROCPRIM_400000_NS6detail17trampoline_kernelINS0_14default_configENS1_20scan_config_selectorIN3c107complexIdEEEEZZNS1_9scan_implILNS1_25lookback_scan_determinismE0ELb0ELb0ES3_PKS7_PS7_S7_ZZZN2at6native31launch_logcumsumexp_cuda_kernelERKNSE_10TensorBaseESI_lENKUlvE_clEvENKUlvE1_clEvEUlS7_S7_E_S7_EEDaPvRmT3_T4_T5_mT6_P12ihipStream_tbENKUlT_T0_E_clISt17integral_constantIbLb1EESY_IbLb0EEEEDaSU_SV_EUlSU_E_NS1_11comp_targetILNS1_3genE10ELNS1_11target_archE1201ELNS1_3gpuE5ELNS1_3repE0EEENS1_30default_config_static_selectorELNS0_4arch9wavefront6targetE1EEEvT1_.kd
    .uniform_work_group_size: 1
    .uses_dynamic_stack: false
    .vgpr_count:     0
    .vgpr_spill_count: 0
    .wavefront_size: 64
  - .agpr_count:     0
    .args:
      - .offset:         0
        .size:           128
        .value_kind:     by_value
    .group_segment_fixed_size: 0
    .kernarg_segment_align: 16
    .kernarg_segment_size: 128
    .language:       OpenCL C
    .language_version:
      - 2
      - 0
    .max_flat_workgroup_size: 256
    .name:           _ZN7rocprim17ROCPRIM_400000_NS6detail17trampoline_kernelINS0_14default_configENS1_20scan_config_selectorIN3c107complexIdEEEEZZNS1_9scan_implILNS1_25lookback_scan_determinismE0ELb0ELb0ES3_PKS7_PS7_S7_ZZZN2at6native31launch_logcumsumexp_cuda_kernelERKNSE_10TensorBaseESI_lENKUlvE_clEvENKUlvE1_clEvEUlS7_S7_E_S7_EEDaPvRmT3_T4_T5_mT6_P12ihipStream_tbENKUlT_T0_E_clISt17integral_constantIbLb1EESY_IbLb0EEEEDaSU_SV_EUlSU_E_NS1_11comp_targetILNS1_3genE10ELNS1_11target_archE1200ELNS1_3gpuE4ELNS1_3repE0EEENS1_30default_config_static_selectorELNS0_4arch9wavefront6targetE1EEEvT1_
    .private_segment_fixed_size: 0
    .sgpr_count:     6
    .sgpr_spill_count: 0
    .symbol:         _ZN7rocprim17ROCPRIM_400000_NS6detail17trampoline_kernelINS0_14default_configENS1_20scan_config_selectorIN3c107complexIdEEEEZZNS1_9scan_implILNS1_25lookback_scan_determinismE0ELb0ELb0ES3_PKS7_PS7_S7_ZZZN2at6native31launch_logcumsumexp_cuda_kernelERKNSE_10TensorBaseESI_lENKUlvE_clEvENKUlvE1_clEvEUlS7_S7_E_S7_EEDaPvRmT3_T4_T5_mT6_P12ihipStream_tbENKUlT_T0_E_clISt17integral_constantIbLb1EESY_IbLb0EEEEDaSU_SV_EUlSU_E_NS1_11comp_targetILNS1_3genE10ELNS1_11target_archE1200ELNS1_3gpuE4ELNS1_3repE0EEENS1_30default_config_static_selectorELNS0_4arch9wavefront6targetE1EEEvT1_.kd
    .uniform_work_group_size: 1
    .uses_dynamic_stack: false
    .vgpr_count:     0
    .vgpr_spill_count: 0
    .wavefront_size: 64
  - .agpr_count:     0
    .args:
      - .offset:         0
        .size:           128
        .value_kind:     by_value
    .group_segment_fixed_size: 0
    .kernarg_segment_align: 16
    .kernarg_segment_size: 128
    .language:       OpenCL C
    .language_version:
      - 2
      - 0
    .max_flat_workgroup_size: 256
    .name:           _ZN7rocprim17ROCPRIM_400000_NS6detail17trampoline_kernelINS0_14default_configENS1_20scan_config_selectorIN3c107complexIdEEEEZZNS1_9scan_implILNS1_25lookback_scan_determinismE0ELb0ELb0ES3_PKS7_PS7_S7_ZZZN2at6native31launch_logcumsumexp_cuda_kernelERKNSE_10TensorBaseESI_lENKUlvE_clEvENKUlvE1_clEvEUlS7_S7_E_S7_EEDaPvRmT3_T4_T5_mT6_P12ihipStream_tbENKUlT_T0_E_clISt17integral_constantIbLb1EESY_IbLb0EEEEDaSU_SV_EUlSU_E_NS1_11comp_targetILNS1_3genE9ELNS1_11target_archE1100ELNS1_3gpuE3ELNS1_3repE0EEENS1_30default_config_static_selectorELNS0_4arch9wavefront6targetE1EEEvT1_
    .private_segment_fixed_size: 0
    .sgpr_count:     6
    .sgpr_spill_count: 0
    .symbol:         _ZN7rocprim17ROCPRIM_400000_NS6detail17trampoline_kernelINS0_14default_configENS1_20scan_config_selectorIN3c107complexIdEEEEZZNS1_9scan_implILNS1_25lookback_scan_determinismE0ELb0ELb0ES3_PKS7_PS7_S7_ZZZN2at6native31launch_logcumsumexp_cuda_kernelERKNSE_10TensorBaseESI_lENKUlvE_clEvENKUlvE1_clEvEUlS7_S7_E_S7_EEDaPvRmT3_T4_T5_mT6_P12ihipStream_tbENKUlT_T0_E_clISt17integral_constantIbLb1EESY_IbLb0EEEEDaSU_SV_EUlSU_E_NS1_11comp_targetILNS1_3genE9ELNS1_11target_archE1100ELNS1_3gpuE3ELNS1_3repE0EEENS1_30default_config_static_selectorELNS0_4arch9wavefront6targetE1EEEvT1_.kd
    .uniform_work_group_size: 1
    .uses_dynamic_stack: false
    .vgpr_count:     0
    .vgpr_spill_count: 0
    .wavefront_size: 64
  - .agpr_count:     0
    .args:
      - .offset:         0
        .size:           128
        .value_kind:     by_value
    .group_segment_fixed_size: 0
    .kernarg_segment_align: 16
    .kernarg_segment_size: 128
    .language:       OpenCL C
    .language_version:
      - 2
      - 0
    .max_flat_workgroup_size: 256
    .name:           _ZN7rocprim17ROCPRIM_400000_NS6detail17trampoline_kernelINS0_14default_configENS1_20scan_config_selectorIN3c107complexIdEEEEZZNS1_9scan_implILNS1_25lookback_scan_determinismE0ELb0ELb0ES3_PKS7_PS7_S7_ZZZN2at6native31launch_logcumsumexp_cuda_kernelERKNSE_10TensorBaseESI_lENKUlvE_clEvENKUlvE1_clEvEUlS7_S7_E_S7_EEDaPvRmT3_T4_T5_mT6_P12ihipStream_tbENKUlT_T0_E_clISt17integral_constantIbLb1EESY_IbLb0EEEEDaSU_SV_EUlSU_E_NS1_11comp_targetILNS1_3genE8ELNS1_11target_archE1030ELNS1_3gpuE2ELNS1_3repE0EEENS1_30default_config_static_selectorELNS0_4arch9wavefront6targetE1EEEvT1_
    .private_segment_fixed_size: 0
    .sgpr_count:     6
    .sgpr_spill_count: 0
    .symbol:         _ZN7rocprim17ROCPRIM_400000_NS6detail17trampoline_kernelINS0_14default_configENS1_20scan_config_selectorIN3c107complexIdEEEEZZNS1_9scan_implILNS1_25lookback_scan_determinismE0ELb0ELb0ES3_PKS7_PS7_S7_ZZZN2at6native31launch_logcumsumexp_cuda_kernelERKNSE_10TensorBaseESI_lENKUlvE_clEvENKUlvE1_clEvEUlS7_S7_E_S7_EEDaPvRmT3_T4_T5_mT6_P12ihipStream_tbENKUlT_T0_E_clISt17integral_constantIbLb1EESY_IbLb0EEEEDaSU_SV_EUlSU_E_NS1_11comp_targetILNS1_3genE8ELNS1_11target_archE1030ELNS1_3gpuE2ELNS1_3repE0EEENS1_30default_config_static_selectorELNS0_4arch9wavefront6targetE1EEEvT1_.kd
    .uniform_work_group_size: 1
    .uses_dynamic_stack: false
    .vgpr_count:     0
    .vgpr_spill_count: 0
    .wavefront_size: 64
  - .agpr_count:     0
    .args:
      - .offset:         0
        .size:           48
        .value_kind:     by_value
    .group_segment_fixed_size: 0
    .kernarg_segment_align: 16
    .kernarg_segment_size: 48
    .language:       OpenCL C
    .language_version:
      - 2
      - 0
    .max_flat_workgroup_size: 128
    .name:           _ZN7rocprim17ROCPRIM_400000_NS6detail17trampoline_kernelINS0_14default_configENS1_20scan_config_selectorIN3c107complexIdEEEEZZNS1_9scan_implILNS1_25lookback_scan_determinismE0ELb0ELb0ES3_PKS7_PS7_S7_ZZZN2at6native31launch_logcumsumexp_cuda_kernelERKNSE_10TensorBaseESI_lENKUlvE_clEvENKUlvE1_clEvEUlS7_S7_E_S7_EEDaPvRmT3_T4_T5_mT6_P12ihipStream_tbENKUlT_T0_E_clISt17integral_constantIbLb1EESY_IbLb0EEEEDaSU_SV_EUlSU_E0_NS1_11comp_targetILNS1_3genE0ELNS1_11target_archE4294967295ELNS1_3gpuE0ELNS1_3repE0EEENS1_30default_config_static_selectorELNS0_4arch9wavefront6targetE1EEEvT1_
    .private_segment_fixed_size: 0
    .sgpr_count:     6
    .sgpr_spill_count: 0
    .symbol:         _ZN7rocprim17ROCPRIM_400000_NS6detail17trampoline_kernelINS0_14default_configENS1_20scan_config_selectorIN3c107complexIdEEEEZZNS1_9scan_implILNS1_25lookback_scan_determinismE0ELb0ELb0ES3_PKS7_PS7_S7_ZZZN2at6native31launch_logcumsumexp_cuda_kernelERKNSE_10TensorBaseESI_lENKUlvE_clEvENKUlvE1_clEvEUlS7_S7_E_S7_EEDaPvRmT3_T4_T5_mT6_P12ihipStream_tbENKUlT_T0_E_clISt17integral_constantIbLb1EESY_IbLb0EEEEDaSU_SV_EUlSU_E0_NS1_11comp_targetILNS1_3genE0ELNS1_11target_archE4294967295ELNS1_3gpuE0ELNS1_3repE0EEENS1_30default_config_static_selectorELNS0_4arch9wavefront6targetE1EEEvT1_.kd
    .uniform_work_group_size: 1
    .uses_dynamic_stack: false
    .vgpr_count:     0
    .vgpr_spill_count: 0
    .wavefront_size: 64
  - .agpr_count:     0
    .args:
      - .offset:         0
        .size:           48
        .value_kind:     by_value
    .group_segment_fixed_size: 57344
    .kernarg_segment_align: 16
    .kernarg_segment_size: 48
    .language:       OpenCL C
    .language_version:
      - 2
      - 0
    .max_flat_workgroup_size: 256
    .name:           _ZN7rocprim17ROCPRIM_400000_NS6detail17trampoline_kernelINS0_14default_configENS1_20scan_config_selectorIN3c107complexIdEEEEZZNS1_9scan_implILNS1_25lookback_scan_determinismE0ELb0ELb0ES3_PKS7_PS7_S7_ZZZN2at6native31launch_logcumsumexp_cuda_kernelERKNSE_10TensorBaseESI_lENKUlvE_clEvENKUlvE1_clEvEUlS7_S7_E_S7_EEDaPvRmT3_T4_T5_mT6_P12ihipStream_tbENKUlT_T0_E_clISt17integral_constantIbLb1EESY_IbLb0EEEEDaSU_SV_EUlSU_E0_NS1_11comp_targetILNS1_3genE5ELNS1_11target_archE942ELNS1_3gpuE9ELNS1_3repE0EEENS1_30default_config_static_selectorELNS0_4arch9wavefront6targetE1EEEvT1_
    .private_segment_fixed_size: 8
    .sgpr_count:     74
    .sgpr_spill_count: 0
    .symbol:         _ZN7rocprim17ROCPRIM_400000_NS6detail17trampoline_kernelINS0_14default_configENS1_20scan_config_selectorIN3c107complexIdEEEEZZNS1_9scan_implILNS1_25lookback_scan_determinismE0ELb0ELb0ES3_PKS7_PS7_S7_ZZZN2at6native31launch_logcumsumexp_cuda_kernelERKNSE_10TensorBaseESI_lENKUlvE_clEvENKUlvE1_clEvEUlS7_S7_E_S7_EEDaPvRmT3_T4_T5_mT6_P12ihipStream_tbENKUlT_T0_E_clISt17integral_constantIbLb1EESY_IbLb0EEEEDaSU_SV_EUlSU_E0_NS1_11comp_targetILNS1_3genE5ELNS1_11target_archE942ELNS1_3gpuE9ELNS1_3repE0EEENS1_30default_config_static_selectorELNS0_4arch9wavefront6targetE1EEEvT1_.kd
    .uniform_work_group_size: 1
    .uses_dynamic_stack: false
    .vgpr_count:     166
    .vgpr_spill_count: 0
    .wavefront_size: 64
  - .agpr_count:     0
    .args:
      - .offset:         0
        .size:           48
        .value_kind:     by_value
    .group_segment_fixed_size: 0
    .kernarg_segment_align: 16
    .kernarg_segment_size: 48
    .language:       OpenCL C
    .language_version:
      - 2
      - 0
    .max_flat_workgroup_size: 64
    .name:           _ZN7rocprim17ROCPRIM_400000_NS6detail17trampoline_kernelINS0_14default_configENS1_20scan_config_selectorIN3c107complexIdEEEEZZNS1_9scan_implILNS1_25lookback_scan_determinismE0ELb0ELb0ES3_PKS7_PS7_S7_ZZZN2at6native31launch_logcumsumexp_cuda_kernelERKNSE_10TensorBaseESI_lENKUlvE_clEvENKUlvE1_clEvEUlS7_S7_E_S7_EEDaPvRmT3_T4_T5_mT6_P12ihipStream_tbENKUlT_T0_E_clISt17integral_constantIbLb1EESY_IbLb0EEEEDaSU_SV_EUlSU_E0_NS1_11comp_targetILNS1_3genE4ELNS1_11target_archE910ELNS1_3gpuE8ELNS1_3repE0EEENS1_30default_config_static_selectorELNS0_4arch9wavefront6targetE1EEEvT1_
    .private_segment_fixed_size: 0
    .sgpr_count:     6
    .sgpr_spill_count: 0
    .symbol:         _ZN7rocprim17ROCPRIM_400000_NS6detail17trampoline_kernelINS0_14default_configENS1_20scan_config_selectorIN3c107complexIdEEEEZZNS1_9scan_implILNS1_25lookback_scan_determinismE0ELb0ELb0ES3_PKS7_PS7_S7_ZZZN2at6native31launch_logcumsumexp_cuda_kernelERKNSE_10TensorBaseESI_lENKUlvE_clEvENKUlvE1_clEvEUlS7_S7_E_S7_EEDaPvRmT3_T4_T5_mT6_P12ihipStream_tbENKUlT_T0_E_clISt17integral_constantIbLb1EESY_IbLb0EEEEDaSU_SV_EUlSU_E0_NS1_11comp_targetILNS1_3genE4ELNS1_11target_archE910ELNS1_3gpuE8ELNS1_3repE0EEENS1_30default_config_static_selectorELNS0_4arch9wavefront6targetE1EEEvT1_.kd
    .uniform_work_group_size: 1
    .uses_dynamic_stack: false
    .vgpr_count:     0
    .vgpr_spill_count: 0
    .wavefront_size: 64
  - .agpr_count:     0
    .args:
      - .offset:         0
        .size:           48
        .value_kind:     by_value
    .group_segment_fixed_size: 0
    .kernarg_segment_align: 16
    .kernarg_segment_size: 48
    .language:       OpenCL C
    .language_version:
      - 2
      - 0
    .max_flat_workgroup_size: 128
    .name:           _ZN7rocprim17ROCPRIM_400000_NS6detail17trampoline_kernelINS0_14default_configENS1_20scan_config_selectorIN3c107complexIdEEEEZZNS1_9scan_implILNS1_25lookback_scan_determinismE0ELb0ELb0ES3_PKS7_PS7_S7_ZZZN2at6native31launch_logcumsumexp_cuda_kernelERKNSE_10TensorBaseESI_lENKUlvE_clEvENKUlvE1_clEvEUlS7_S7_E_S7_EEDaPvRmT3_T4_T5_mT6_P12ihipStream_tbENKUlT_T0_E_clISt17integral_constantIbLb1EESY_IbLb0EEEEDaSU_SV_EUlSU_E0_NS1_11comp_targetILNS1_3genE3ELNS1_11target_archE908ELNS1_3gpuE7ELNS1_3repE0EEENS1_30default_config_static_selectorELNS0_4arch9wavefront6targetE1EEEvT1_
    .private_segment_fixed_size: 0
    .sgpr_count:     6
    .sgpr_spill_count: 0
    .symbol:         _ZN7rocprim17ROCPRIM_400000_NS6detail17trampoline_kernelINS0_14default_configENS1_20scan_config_selectorIN3c107complexIdEEEEZZNS1_9scan_implILNS1_25lookback_scan_determinismE0ELb0ELb0ES3_PKS7_PS7_S7_ZZZN2at6native31launch_logcumsumexp_cuda_kernelERKNSE_10TensorBaseESI_lENKUlvE_clEvENKUlvE1_clEvEUlS7_S7_E_S7_EEDaPvRmT3_T4_T5_mT6_P12ihipStream_tbENKUlT_T0_E_clISt17integral_constantIbLb1EESY_IbLb0EEEEDaSU_SV_EUlSU_E0_NS1_11comp_targetILNS1_3genE3ELNS1_11target_archE908ELNS1_3gpuE7ELNS1_3repE0EEENS1_30default_config_static_selectorELNS0_4arch9wavefront6targetE1EEEvT1_.kd
    .uniform_work_group_size: 1
    .uses_dynamic_stack: false
    .vgpr_count:     0
    .vgpr_spill_count: 0
    .wavefront_size: 64
  - .agpr_count:     0
    .args:
      - .offset:         0
        .size:           48
        .value_kind:     by_value
    .group_segment_fixed_size: 0
    .kernarg_segment_align: 16
    .kernarg_segment_size: 48
    .language:       OpenCL C
    .language_version:
      - 2
      - 0
    .max_flat_workgroup_size: 64
    .name:           _ZN7rocprim17ROCPRIM_400000_NS6detail17trampoline_kernelINS0_14default_configENS1_20scan_config_selectorIN3c107complexIdEEEEZZNS1_9scan_implILNS1_25lookback_scan_determinismE0ELb0ELb0ES3_PKS7_PS7_S7_ZZZN2at6native31launch_logcumsumexp_cuda_kernelERKNSE_10TensorBaseESI_lENKUlvE_clEvENKUlvE1_clEvEUlS7_S7_E_S7_EEDaPvRmT3_T4_T5_mT6_P12ihipStream_tbENKUlT_T0_E_clISt17integral_constantIbLb1EESY_IbLb0EEEEDaSU_SV_EUlSU_E0_NS1_11comp_targetILNS1_3genE2ELNS1_11target_archE906ELNS1_3gpuE6ELNS1_3repE0EEENS1_30default_config_static_selectorELNS0_4arch9wavefront6targetE1EEEvT1_
    .private_segment_fixed_size: 0
    .sgpr_count:     6
    .sgpr_spill_count: 0
    .symbol:         _ZN7rocprim17ROCPRIM_400000_NS6detail17trampoline_kernelINS0_14default_configENS1_20scan_config_selectorIN3c107complexIdEEEEZZNS1_9scan_implILNS1_25lookback_scan_determinismE0ELb0ELb0ES3_PKS7_PS7_S7_ZZZN2at6native31launch_logcumsumexp_cuda_kernelERKNSE_10TensorBaseESI_lENKUlvE_clEvENKUlvE1_clEvEUlS7_S7_E_S7_EEDaPvRmT3_T4_T5_mT6_P12ihipStream_tbENKUlT_T0_E_clISt17integral_constantIbLb1EESY_IbLb0EEEEDaSU_SV_EUlSU_E0_NS1_11comp_targetILNS1_3genE2ELNS1_11target_archE906ELNS1_3gpuE6ELNS1_3repE0EEENS1_30default_config_static_selectorELNS0_4arch9wavefront6targetE1EEEvT1_.kd
    .uniform_work_group_size: 1
    .uses_dynamic_stack: false
    .vgpr_count:     0
    .vgpr_spill_count: 0
    .wavefront_size: 64
  - .agpr_count:     0
    .args:
      - .offset:         0
        .size:           48
        .value_kind:     by_value
    .group_segment_fixed_size: 0
    .kernarg_segment_align: 16
    .kernarg_segment_size: 48
    .language:       OpenCL C
    .language_version:
      - 2
      - 0
    .max_flat_workgroup_size: 256
    .name:           _ZN7rocprim17ROCPRIM_400000_NS6detail17trampoline_kernelINS0_14default_configENS1_20scan_config_selectorIN3c107complexIdEEEEZZNS1_9scan_implILNS1_25lookback_scan_determinismE0ELb0ELb0ES3_PKS7_PS7_S7_ZZZN2at6native31launch_logcumsumexp_cuda_kernelERKNSE_10TensorBaseESI_lENKUlvE_clEvENKUlvE1_clEvEUlS7_S7_E_S7_EEDaPvRmT3_T4_T5_mT6_P12ihipStream_tbENKUlT_T0_E_clISt17integral_constantIbLb1EESY_IbLb0EEEEDaSU_SV_EUlSU_E0_NS1_11comp_targetILNS1_3genE10ELNS1_11target_archE1201ELNS1_3gpuE5ELNS1_3repE0EEENS1_30default_config_static_selectorELNS0_4arch9wavefront6targetE1EEEvT1_
    .private_segment_fixed_size: 0
    .sgpr_count:     6
    .sgpr_spill_count: 0
    .symbol:         _ZN7rocprim17ROCPRIM_400000_NS6detail17trampoline_kernelINS0_14default_configENS1_20scan_config_selectorIN3c107complexIdEEEEZZNS1_9scan_implILNS1_25lookback_scan_determinismE0ELb0ELb0ES3_PKS7_PS7_S7_ZZZN2at6native31launch_logcumsumexp_cuda_kernelERKNSE_10TensorBaseESI_lENKUlvE_clEvENKUlvE1_clEvEUlS7_S7_E_S7_EEDaPvRmT3_T4_T5_mT6_P12ihipStream_tbENKUlT_T0_E_clISt17integral_constantIbLb1EESY_IbLb0EEEEDaSU_SV_EUlSU_E0_NS1_11comp_targetILNS1_3genE10ELNS1_11target_archE1201ELNS1_3gpuE5ELNS1_3repE0EEENS1_30default_config_static_selectorELNS0_4arch9wavefront6targetE1EEEvT1_.kd
    .uniform_work_group_size: 1
    .uses_dynamic_stack: false
    .vgpr_count:     0
    .vgpr_spill_count: 0
    .wavefront_size: 64
  - .agpr_count:     0
    .args:
      - .offset:         0
        .size:           48
        .value_kind:     by_value
    .group_segment_fixed_size: 0
    .kernarg_segment_align: 16
    .kernarg_segment_size: 48
    .language:       OpenCL C
    .language_version:
      - 2
      - 0
    .max_flat_workgroup_size: 256
    .name:           _ZN7rocprim17ROCPRIM_400000_NS6detail17trampoline_kernelINS0_14default_configENS1_20scan_config_selectorIN3c107complexIdEEEEZZNS1_9scan_implILNS1_25lookback_scan_determinismE0ELb0ELb0ES3_PKS7_PS7_S7_ZZZN2at6native31launch_logcumsumexp_cuda_kernelERKNSE_10TensorBaseESI_lENKUlvE_clEvENKUlvE1_clEvEUlS7_S7_E_S7_EEDaPvRmT3_T4_T5_mT6_P12ihipStream_tbENKUlT_T0_E_clISt17integral_constantIbLb1EESY_IbLb0EEEEDaSU_SV_EUlSU_E0_NS1_11comp_targetILNS1_3genE10ELNS1_11target_archE1200ELNS1_3gpuE4ELNS1_3repE0EEENS1_30default_config_static_selectorELNS0_4arch9wavefront6targetE1EEEvT1_
    .private_segment_fixed_size: 0
    .sgpr_count:     6
    .sgpr_spill_count: 0
    .symbol:         _ZN7rocprim17ROCPRIM_400000_NS6detail17trampoline_kernelINS0_14default_configENS1_20scan_config_selectorIN3c107complexIdEEEEZZNS1_9scan_implILNS1_25lookback_scan_determinismE0ELb0ELb0ES3_PKS7_PS7_S7_ZZZN2at6native31launch_logcumsumexp_cuda_kernelERKNSE_10TensorBaseESI_lENKUlvE_clEvENKUlvE1_clEvEUlS7_S7_E_S7_EEDaPvRmT3_T4_T5_mT6_P12ihipStream_tbENKUlT_T0_E_clISt17integral_constantIbLb1EESY_IbLb0EEEEDaSU_SV_EUlSU_E0_NS1_11comp_targetILNS1_3genE10ELNS1_11target_archE1200ELNS1_3gpuE4ELNS1_3repE0EEENS1_30default_config_static_selectorELNS0_4arch9wavefront6targetE1EEEvT1_.kd
    .uniform_work_group_size: 1
    .uses_dynamic_stack: false
    .vgpr_count:     0
    .vgpr_spill_count: 0
    .wavefront_size: 64
  - .agpr_count:     0
    .args:
      - .offset:         0
        .size:           48
        .value_kind:     by_value
    .group_segment_fixed_size: 0
    .kernarg_segment_align: 16
    .kernarg_segment_size: 48
    .language:       OpenCL C
    .language_version:
      - 2
      - 0
    .max_flat_workgroup_size: 256
    .name:           _ZN7rocprim17ROCPRIM_400000_NS6detail17trampoline_kernelINS0_14default_configENS1_20scan_config_selectorIN3c107complexIdEEEEZZNS1_9scan_implILNS1_25lookback_scan_determinismE0ELb0ELb0ES3_PKS7_PS7_S7_ZZZN2at6native31launch_logcumsumexp_cuda_kernelERKNSE_10TensorBaseESI_lENKUlvE_clEvENKUlvE1_clEvEUlS7_S7_E_S7_EEDaPvRmT3_T4_T5_mT6_P12ihipStream_tbENKUlT_T0_E_clISt17integral_constantIbLb1EESY_IbLb0EEEEDaSU_SV_EUlSU_E0_NS1_11comp_targetILNS1_3genE9ELNS1_11target_archE1100ELNS1_3gpuE3ELNS1_3repE0EEENS1_30default_config_static_selectorELNS0_4arch9wavefront6targetE1EEEvT1_
    .private_segment_fixed_size: 0
    .sgpr_count:     6
    .sgpr_spill_count: 0
    .symbol:         _ZN7rocprim17ROCPRIM_400000_NS6detail17trampoline_kernelINS0_14default_configENS1_20scan_config_selectorIN3c107complexIdEEEEZZNS1_9scan_implILNS1_25lookback_scan_determinismE0ELb0ELb0ES3_PKS7_PS7_S7_ZZZN2at6native31launch_logcumsumexp_cuda_kernelERKNSE_10TensorBaseESI_lENKUlvE_clEvENKUlvE1_clEvEUlS7_S7_E_S7_EEDaPvRmT3_T4_T5_mT6_P12ihipStream_tbENKUlT_T0_E_clISt17integral_constantIbLb1EESY_IbLb0EEEEDaSU_SV_EUlSU_E0_NS1_11comp_targetILNS1_3genE9ELNS1_11target_archE1100ELNS1_3gpuE3ELNS1_3repE0EEENS1_30default_config_static_selectorELNS0_4arch9wavefront6targetE1EEEvT1_.kd
    .uniform_work_group_size: 1
    .uses_dynamic_stack: false
    .vgpr_count:     0
    .vgpr_spill_count: 0
    .wavefront_size: 64
  - .agpr_count:     0
    .args:
      - .offset:         0
        .size:           48
        .value_kind:     by_value
    .group_segment_fixed_size: 0
    .kernarg_segment_align: 16
    .kernarg_segment_size: 48
    .language:       OpenCL C
    .language_version:
      - 2
      - 0
    .max_flat_workgroup_size: 256
    .name:           _ZN7rocprim17ROCPRIM_400000_NS6detail17trampoline_kernelINS0_14default_configENS1_20scan_config_selectorIN3c107complexIdEEEEZZNS1_9scan_implILNS1_25lookback_scan_determinismE0ELb0ELb0ES3_PKS7_PS7_S7_ZZZN2at6native31launch_logcumsumexp_cuda_kernelERKNSE_10TensorBaseESI_lENKUlvE_clEvENKUlvE1_clEvEUlS7_S7_E_S7_EEDaPvRmT3_T4_T5_mT6_P12ihipStream_tbENKUlT_T0_E_clISt17integral_constantIbLb1EESY_IbLb0EEEEDaSU_SV_EUlSU_E0_NS1_11comp_targetILNS1_3genE8ELNS1_11target_archE1030ELNS1_3gpuE2ELNS1_3repE0EEENS1_30default_config_static_selectorELNS0_4arch9wavefront6targetE1EEEvT1_
    .private_segment_fixed_size: 0
    .sgpr_count:     6
    .sgpr_spill_count: 0
    .symbol:         _ZN7rocprim17ROCPRIM_400000_NS6detail17trampoline_kernelINS0_14default_configENS1_20scan_config_selectorIN3c107complexIdEEEEZZNS1_9scan_implILNS1_25lookback_scan_determinismE0ELb0ELb0ES3_PKS7_PS7_S7_ZZZN2at6native31launch_logcumsumexp_cuda_kernelERKNSE_10TensorBaseESI_lENKUlvE_clEvENKUlvE1_clEvEUlS7_S7_E_S7_EEDaPvRmT3_T4_T5_mT6_P12ihipStream_tbENKUlT_T0_E_clISt17integral_constantIbLb1EESY_IbLb0EEEEDaSU_SV_EUlSU_E0_NS1_11comp_targetILNS1_3genE8ELNS1_11target_archE1030ELNS1_3gpuE2ELNS1_3repE0EEENS1_30default_config_static_selectorELNS0_4arch9wavefront6targetE1EEEvT1_.kd
    .uniform_work_group_size: 1
    .uses_dynamic_stack: false
    .vgpr_count:     0
    .vgpr_spill_count: 0
    .wavefront_size: 64
  - .agpr_count:     0
    .args:
      - .offset:         0
        .size:           24
        .value_kind:     by_value
      - .offset:         24
        .size:           4
        .value_kind:     by_value
      - .address_space:  global
        .offset:         32
        .size:           8
        .value_kind:     global_buffer
      - .offset:         40
        .size:           4
        .value_kind:     by_value
      - .address_space:  global
        .offset:         48
        .size:           8
        .value_kind:     global_buffer
      - .offset:         56
        .size:           4
        .value_kind:     hidden_block_count_x
      - .offset:         60
        .size:           4
        .value_kind:     hidden_block_count_y
      - .offset:         64
        .size:           4
        .value_kind:     hidden_block_count_z
      - .offset:         68
        .size:           2
        .value_kind:     hidden_group_size_x
      - .offset:         70
        .size:           2
        .value_kind:     hidden_group_size_y
      - .offset:         72
        .size:           2
        .value_kind:     hidden_group_size_z
      - .offset:         74
        .size:           2
        .value_kind:     hidden_remainder_x
      - .offset:         76
        .size:           2
        .value_kind:     hidden_remainder_y
      - .offset:         78
        .size:           2
        .value_kind:     hidden_remainder_z
      - .offset:         96
        .size:           8
        .value_kind:     hidden_global_offset_x
      - .offset:         104
        .size:           8
        .value_kind:     hidden_global_offset_y
      - .offset:         112
        .size:           8
        .value_kind:     hidden_global_offset_z
      - .offset:         120
        .size:           2
        .value_kind:     hidden_grid_dims
    .group_segment_fixed_size: 0
    .kernarg_segment_align: 8
    .kernarg_segment_size: 312
    .language:       OpenCL C
    .language_version:
      - 2
      - 0
    .max_flat_workgroup_size: 256
    .name:           _ZN7rocprim17ROCPRIM_400000_NS6detail31init_lookback_scan_state_kernelINS1_19lookback_scan_stateIN3c107complexIdEELb0ELb0EEENS1_16block_id_wrapperIjLb1EEEEEvT_jT0_jPNSA_10value_typeE
    .private_segment_fixed_size: 0
    .sgpr_count:     24
    .sgpr_spill_count: 0
    .symbol:         _ZN7rocprim17ROCPRIM_400000_NS6detail31init_lookback_scan_state_kernelINS1_19lookback_scan_stateIN3c107complexIdEELb0ELb0EEENS1_16block_id_wrapperIjLb1EEEEEvT_jT0_jPNSA_10value_typeE.kd
    .uniform_work_group_size: 1
    .uses_dynamic_stack: false
    .vgpr_count:     6
    .vgpr_spill_count: 0
    .wavefront_size: 64
  - .agpr_count:     0
    .args:
      - .offset:         0
        .size:           128
        .value_kind:     by_value
    .group_segment_fixed_size: 0
    .kernarg_segment_align: 16
    .kernarg_segment_size: 128
    .language:       OpenCL C
    .language_version:
      - 2
      - 0
    .max_flat_workgroup_size: 128
    .name:           _ZN7rocprim17ROCPRIM_400000_NS6detail17trampoline_kernelINS0_14default_configENS1_20scan_config_selectorIN3c107complexIdEEEEZZNS1_9scan_implILNS1_25lookback_scan_determinismE0ELb0ELb0ES3_PKS7_PS7_S7_ZZZN2at6native31launch_logcumsumexp_cuda_kernelERKNSE_10TensorBaseESI_lENKUlvE_clEvENKUlvE1_clEvEUlS7_S7_E_S7_EEDaPvRmT3_T4_T5_mT6_P12ihipStream_tbENKUlT_T0_E_clISt17integral_constantIbLb0EESY_IbLb1EEEEDaSU_SV_EUlSU_E_NS1_11comp_targetILNS1_3genE0ELNS1_11target_archE4294967295ELNS1_3gpuE0ELNS1_3repE0EEENS1_30default_config_static_selectorELNS0_4arch9wavefront6targetE1EEEvT1_
    .private_segment_fixed_size: 0
    .sgpr_count:     6
    .sgpr_spill_count: 0
    .symbol:         _ZN7rocprim17ROCPRIM_400000_NS6detail17trampoline_kernelINS0_14default_configENS1_20scan_config_selectorIN3c107complexIdEEEEZZNS1_9scan_implILNS1_25lookback_scan_determinismE0ELb0ELb0ES3_PKS7_PS7_S7_ZZZN2at6native31launch_logcumsumexp_cuda_kernelERKNSE_10TensorBaseESI_lENKUlvE_clEvENKUlvE1_clEvEUlS7_S7_E_S7_EEDaPvRmT3_T4_T5_mT6_P12ihipStream_tbENKUlT_T0_E_clISt17integral_constantIbLb0EESY_IbLb1EEEEDaSU_SV_EUlSU_E_NS1_11comp_targetILNS1_3genE0ELNS1_11target_archE4294967295ELNS1_3gpuE0ELNS1_3repE0EEENS1_30default_config_static_selectorELNS0_4arch9wavefront6targetE1EEEvT1_.kd
    .uniform_work_group_size: 1
    .uses_dynamic_stack: false
    .vgpr_count:     0
    .vgpr_spill_count: 0
    .wavefront_size: 64
  - .agpr_count:     0
    .args:
      - .offset:         0
        .size:           128
        .value_kind:     by_value
    .group_segment_fixed_size: 57344
    .kernarg_segment_align: 16
    .kernarg_segment_size: 128
    .language:       OpenCL C
    .language_version:
      - 2
      - 0
    .max_flat_workgroup_size: 256
    .name:           _ZN7rocprim17ROCPRIM_400000_NS6detail17trampoline_kernelINS0_14default_configENS1_20scan_config_selectorIN3c107complexIdEEEEZZNS1_9scan_implILNS1_25lookback_scan_determinismE0ELb0ELb0ES3_PKS7_PS7_S7_ZZZN2at6native31launch_logcumsumexp_cuda_kernelERKNSE_10TensorBaseESI_lENKUlvE_clEvENKUlvE1_clEvEUlS7_S7_E_S7_EEDaPvRmT3_T4_T5_mT6_P12ihipStream_tbENKUlT_T0_E_clISt17integral_constantIbLb0EESY_IbLb1EEEEDaSU_SV_EUlSU_E_NS1_11comp_targetILNS1_3genE5ELNS1_11target_archE942ELNS1_3gpuE9ELNS1_3repE0EEENS1_30default_config_static_selectorELNS0_4arch9wavefront6targetE1EEEvT1_
    .private_segment_fixed_size: 8
    .sgpr_count:     74
    .sgpr_spill_count: 0
    .symbol:         _ZN7rocprim17ROCPRIM_400000_NS6detail17trampoline_kernelINS0_14default_configENS1_20scan_config_selectorIN3c107complexIdEEEEZZNS1_9scan_implILNS1_25lookback_scan_determinismE0ELb0ELb0ES3_PKS7_PS7_S7_ZZZN2at6native31launch_logcumsumexp_cuda_kernelERKNSE_10TensorBaseESI_lENKUlvE_clEvENKUlvE1_clEvEUlS7_S7_E_S7_EEDaPvRmT3_T4_T5_mT6_P12ihipStream_tbENKUlT_T0_E_clISt17integral_constantIbLb0EESY_IbLb1EEEEDaSU_SV_EUlSU_E_NS1_11comp_targetILNS1_3genE5ELNS1_11target_archE942ELNS1_3gpuE9ELNS1_3repE0EEENS1_30default_config_static_selectorELNS0_4arch9wavefront6targetE1EEEvT1_.kd
    .uniform_work_group_size: 1
    .uses_dynamic_stack: false
    .vgpr_count:     167
    .vgpr_spill_count: 0
    .wavefront_size: 64
  - .agpr_count:     0
    .args:
      - .offset:         0
        .size:           128
        .value_kind:     by_value
    .group_segment_fixed_size: 0
    .kernarg_segment_align: 16
    .kernarg_segment_size: 128
    .language:       OpenCL C
    .language_version:
      - 2
      - 0
    .max_flat_workgroup_size: 64
    .name:           _ZN7rocprim17ROCPRIM_400000_NS6detail17trampoline_kernelINS0_14default_configENS1_20scan_config_selectorIN3c107complexIdEEEEZZNS1_9scan_implILNS1_25lookback_scan_determinismE0ELb0ELb0ES3_PKS7_PS7_S7_ZZZN2at6native31launch_logcumsumexp_cuda_kernelERKNSE_10TensorBaseESI_lENKUlvE_clEvENKUlvE1_clEvEUlS7_S7_E_S7_EEDaPvRmT3_T4_T5_mT6_P12ihipStream_tbENKUlT_T0_E_clISt17integral_constantIbLb0EESY_IbLb1EEEEDaSU_SV_EUlSU_E_NS1_11comp_targetILNS1_3genE4ELNS1_11target_archE910ELNS1_3gpuE8ELNS1_3repE0EEENS1_30default_config_static_selectorELNS0_4arch9wavefront6targetE1EEEvT1_
    .private_segment_fixed_size: 0
    .sgpr_count:     6
    .sgpr_spill_count: 0
    .symbol:         _ZN7rocprim17ROCPRIM_400000_NS6detail17trampoline_kernelINS0_14default_configENS1_20scan_config_selectorIN3c107complexIdEEEEZZNS1_9scan_implILNS1_25lookback_scan_determinismE0ELb0ELb0ES3_PKS7_PS7_S7_ZZZN2at6native31launch_logcumsumexp_cuda_kernelERKNSE_10TensorBaseESI_lENKUlvE_clEvENKUlvE1_clEvEUlS7_S7_E_S7_EEDaPvRmT3_T4_T5_mT6_P12ihipStream_tbENKUlT_T0_E_clISt17integral_constantIbLb0EESY_IbLb1EEEEDaSU_SV_EUlSU_E_NS1_11comp_targetILNS1_3genE4ELNS1_11target_archE910ELNS1_3gpuE8ELNS1_3repE0EEENS1_30default_config_static_selectorELNS0_4arch9wavefront6targetE1EEEvT1_.kd
    .uniform_work_group_size: 1
    .uses_dynamic_stack: false
    .vgpr_count:     0
    .vgpr_spill_count: 0
    .wavefront_size: 64
  - .agpr_count:     0
    .args:
      - .offset:         0
        .size:           128
        .value_kind:     by_value
    .group_segment_fixed_size: 0
    .kernarg_segment_align: 16
    .kernarg_segment_size: 128
    .language:       OpenCL C
    .language_version:
      - 2
      - 0
    .max_flat_workgroup_size: 128
    .name:           _ZN7rocprim17ROCPRIM_400000_NS6detail17trampoline_kernelINS0_14default_configENS1_20scan_config_selectorIN3c107complexIdEEEEZZNS1_9scan_implILNS1_25lookback_scan_determinismE0ELb0ELb0ES3_PKS7_PS7_S7_ZZZN2at6native31launch_logcumsumexp_cuda_kernelERKNSE_10TensorBaseESI_lENKUlvE_clEvENKUlvE1_clEvEUlS7_S7_E_S7_EEDaPvRmT3_T4_T5_mT6_P12ihipStream_tbENKUlT_T0_E_clISt17integral_constantIbLb0EESY_IbLb1EEEEDaSU_SV_EUlSU_E_NS1_11comp_targetILNS1_3genE3ELNS1_11target_archE908ELNS1_3gpuE7ELNS1_3repE0EEENS1_30default_config_static_selectorELNS0_4arch9wavefront6targetE1EEEvT1_
    .private_segment_fixed_size: 0
    .sgpr_count:     6
    .sgpr_spill_count: 0
    .symbol:         _ZN7rocprim17ROCPRIM_400000_NS6detail17trampoline_kernelINS0_14default_configENS1_20scan_config_selectorIN3c107complexIdEEEEZZNS1_9scan_implILNS1_25lookback_scan_determinismE0ELb0ELb0ES3_PKS7_PS7_S7_ZZZN2at6native31launch_logcumsumexp_cuda_kernelERKNSE_10TensorBaseESI_lENKUlvE_clEvENKUlvE1_clEvEUlS7_S7_E_S7_EEDaPvRmT3_T4_T5_mT6_P12ihipStream_tbENKUlT_T0_E_clISt17integral_constantIbLb0EESY_IbLb1EEEEDaSU_SV_EUlSU_E_NS1_11comp_targetILNS1_3genE3ELNS1_11target_archE908ELNS1_3gpuE7ELNS1_3repE0EEENS1_30default_config_static_selectorELNS0_4arch9wavefront6targetE1EEEvT1_.kd
    .uniform_work_group_size: 1
    .uses_dynamic_stack: false
    .vgpr_count:     0
    .vgpr_spill_count: 0
    .wavefront_size: 64
  - .agpr_count:     0
    .args:
      - .offset:         0
        .size:           128
        .value_kind:     by_value
    .group_segment_fixed_size: 0
    .kernarg_segment_align: 16
    .kernarg_segment_size: 128
    .language:       OpenCL C
    .language_version:
      - 2
      - 0
    .max_flat_workgroup_size: 64
    .name:           _ZN7rocprim17ROCPRIM_400000_NS6detail17trampoline_kernelINS0_14default_configENS1_20scan_config_selectorIN3c107complexIdEEEEZZNS1_9scan_implILNS1_25lookback_scan_determinismE0ELb0ELb0ES3_PKS7_PS7_S7_ZZZN2at6native31launch_logcumsumexp_cuda_kernelERKNSE_10TensorBaseESI_lENKUlvE_clEvENKUlvE1_clEvEUlS7_S7_E_S7_EEDaPvRmT3_T4_T5_mT6_P12ihipStream_tbENKUlT_T0_E_clISt17integral_constantIbLb0EESY_IbLb1EEEEDaSU_SV_EUlSU_E_NS1_11comp_targetILNS1_3genE2ELNS1_11target_archE906ELNS1_3gpuE6ELNS1_3repE0EEENS1_30default_config_static_selectorELNS0_4arch9wavefront6targetE1EEEvT1_
    .private_segment_fixed_size: 0
    .sgpr_count:     6
    .sgpr_spill_count: 0
    .symbol:         _ZN7rocprim17ROCPRIM_400000_NS6detail17trampoline_kernelINS0_14default_configENS1_20scan_config_selectorIN3c107complexIdEEEEZZNS1_9scan_implILNS1_25lookback_scan_determinismE0ELb0ELb0ES3_PKS7_PS7_S7_ZZZN2at6native31launch_logcumsumexp_cuda_kernelERKNSE_10TensorBaseESI_lENKUlvE_clEvENKUlvE1_clEvEUlS7_S7_E_S7_EEDaPvRmT3_T4_T5_mT6_P12ihipStream_tbENKUlT_T0_E_clISt17integral_constantIbLb0EESY_IbLb1EEEEDaSU_SV_EUlSU_E_NS1_11comp_targetILNS1_3genE2ELNS1_11target_archE906ELNS1_3gpuE6ELNS1_3repE0EEENS1_30default_config_static_selectorELNS0_4arch9wavefront6targetE1EEEvT1_.kd
    .uniform_work_group_size: 1
    .uses_dynamic_stack: false
    .vgpr_count:     0
    .vgpr_spill_count: 0
    .wavefront_size: 64
  - .agpr_count:     0
    .args:
      - .offset:         0
        .size:           128
        .value_kind:     by_value
    .group_segment_fixed_size: 0
    .kernarg_segment_align: 16
    .kernarg_segment_size: 128
    .language:       OpenCL C
    .language_version:
      - 2
      - 0
    .max_flat_workgroup_size: 256
    .name:           _ZN7rocprim17ROCPRIM_400000_NS6detail17trampoline_kernelINS0_14default_configENS1_20scan_config_selectorIN3c107complexIdEEEEZZNS1_9scan_implILNS1_25lookback_scan_determinismE0ELb0ELb0ES3_PKS7_PS7_S7_ZZZN2at6native31launch_logcumsumexp_cuda_kernelERKNSE_10TensorBaseESI_lENKUlvE_clEvENKUlvE1_clEvEUlS7_S7_E_S7_EEDaPvRmT3_T4_T5_mT6_P12ihipStream_tbENKUlT_T0_E_clISt17integral_constantIbLb0EESY_IbLb1EEEEDaSU_SV_EUlSU_E_NS1_11comp_targetILNS1_3genE10ELNS1_11target_archE1201ELNS1_3gpuE5ELNS1_3repE0EEENS1_30default_config_static_selectorELNS0_4arch9wavefront6targetE1EEEvT1_
    .private_segment_fixed_size: 0
    .sgpr_count:     6
    .sgpr_spill_count: 0
    .symbol:         _ZN7rocprim17ROCPRIM_400000_NS6detail17trampoline_kernelINS0_14default_configENS1_20scan_config_selectorIN3c107complexIdEEEEZZNS1_9scan_implILNS1_25lookback_scan_determinismE0ELb0ELb0ES3_PKS7_PS7_S7_ZZZN2at6native31launch_logcumsumexp_cuda_kernelERKNSE_10TensorBaseESI_lENKUlvE_clEvENKUlvE1_clEvEUlS7_S7_E_S7_EEDaPvRmT3_T4_T5_mT6_P12ihipStream_tbENKUlT_T0_E_clISt17integral_constantIbLb0EESY_IbLb1EEEEDaSU_SV_EUlSU_E_NS1_11comp_targetILNS1_3genE10ELNS1_11target_archE1201ELNS1_3gpuE5ELNS1_3repE0EEENS1_30default_config_static_selectorELNS0_4arch9wavefront6targetE1EEEvT1_.kd
    .uniform_work_group_size: 1
    .uses_dynamic_stack: false
    .vgpr_count:     0
    .vgpr_spill_count: 0
    .wavefront_size: 64
  - .agpr_count:     0
    .args:
      - .offset:         0
        .size:           128
        .value_kind:     by_value
    .group_segment_fixed_size: 0
    .kernarg_segment_align: 16
    .kernarg_segment_size: 128
    .language:       OpenCL C
    .language_version:
      - 2
      - 0
    .max_flat_workgroup_size: 256
    .name:           _ZN7rocprim17ROCPRIM_400000_NS6detail17trampoline_kernelINS0_14default_configENS1_20scan_config_selectorIN3c107complexIdEEEEZZNS1_9scan_implILNS1_25lookback_scan_determinismE0ELb0ELb0ES3_PKS7_PS7_S7_ZZZN2at6native31launch_logcumsumexp_cuda_kernelERKNSE_10TensorBaseESI_lENKUlvE_clEvENKUlvE1_clEvEUlS7_S7_E_S7_EEDaPvRmT3_T4_T5_mT6_P12ihipStream_tbENKUlT_T0_E_clISt17integral_constantIbLb0EESY_IbLb1EEEEDaSU_SV_EUlSU_E_NS1_11comp_targetILNS1_3genE10ELNS1_11target_archE1200ELNS1_3gpuE4ELNS1_3repE0EEENS1_30default_config_static_selectorELNS0_4arch9wavefront6targetE1EEEvT1_
    .private_segment_fixed_size: 0
    .sgpr_count:     6
    .sgpr_spill_count: 0
    .symbol:         _ZN7rocprim17ROCPRIM_400000_NS6detail17trampoline_kernelINS0_14default_configENS1_20scan_config_selectorIN3c107complexIdEEEEZZNS1_9scan_implILNS1_25lookback_scan_determinismE0ELb0ELb0ES3_PKS7_PS7_S7_ZZZN2at6native31launch_logcumsumexp_cuda_kernelERKNSE_10TensorBaseESI_lENKUlvE_clEvENKUlvE1_clEvEUlS7_S7_E_S7_EEDaPvRmT3_T4_T5_mT6_P12ihipStream_tbENKUlT_T0_E_clISt17integral_constantIbLb0EESY_IbLb1EEEEDaSU_SV_EUlSU_E_NS1_11comp_targetILNS1_3genE10ELNS1_11target_archE1200ELNS1_3gpuE4ELNS1_3repE0EEENS1_30default_config_static_selectorELNS0_4arch9wavefront6targetE1EEEvT1_.kd
    .uniform_work_group_size: 1
    .uses_dynamic_stack: false
    .vgpr_count:     0
    .vgpr_spill_count: 0
    .wavefront_size: 64
  - .agpr_count:     0
    .args:
      - .offset:         0
        .size:           128
        .value_kind:     by_value
    .group_segment_fixed_size: 0
    .kernarg_segment_align: 16
    .kernarg_segment_size: 128
    .language:       OpenCL C
    .language_version:
      - 2
      - 0
    .max_flat_workgroup_size: 256
    .name:           _ZN7rocprim17ROCPRIM_400000_NS6detail17trampoline_kernelINS0_14default_configENS1_20scan_config_selectorIN3c107complexIdEEEEZZNS1_9scan_implILNS1_25lookback_scan_determinismE0ELb0ELb0ES3_PKS7_PS7_S7_ZZZN2at6native31launch_logcumsumexp_cuda_kernelERKNSE_10TensorBaseESI_lENKUlvE_clEvENKUlvE1_clEvEUlS7_S7_E_S7_EEDaPvRmT3_T4_T5_mT6_P12ihipStream_tbENKUlT_T0_E_clISt17integral_constantIbLb0EESY_IbLb1EEEEDaSU_SV_EUlSU_E_NS1_11comp_targetILNS1_3genE9ELNS1_11target_archE1100ELNS1_3gpuE3ELNS1_3repE0EEENS1_30default_config_static_selectorELNS0_4arch9wavefront6targetE1EEEvT1_
    .private_segment_fixed_size: 0
    .sgpr_count:     6
    .sgpr_spill_count: 0
    .symbol:         _ZN7rocprim17ROCPRIM_400000_NS6detail17trampoline_kernelINS0_14default_configENS1_20scan_config_selectorIN3c107complexIdEEEEZZNS1_9scan_implILNS1_25lookback_scan_determinismE0ELb0ELb0ES3_PKS7_PS7_S7_ZZZN2at6native31launch_logcumsumexp_cuda_kernelERKNSE_10TensorBaseESI_lENKUlvE_clEvENKUlvE1_clEvEUlS7_S7_E_S7_EEDaPvRmT3_T4_T5_mT6_P12ihipStream_tbENKUlT_T0_E_clISt17integral_constantIbLb0EESY_IbLb1EEEEDaSU_SV_EUlSU_E_NS1_11comp_targetILNS1_3genE9ELNS1_11target_archE1100ELNS1_3gpuE3ELNS1_3repE0EEENS1_30default_config_static_selectorELNS0_4arch9wavefront6targetE1EEEvT1_.kd
    .uniform_work_group_size: 1
    .uses_dynamic_stack: false
    .vgpr_count:     0
    .vgpr_spill_count: 0
    .wavefront_size: 64
  - .agpr_count:     0
    .args:
      - .offset:         0
        .size:           128
        .value_kind:     by_value
    .group_segment_fixed_size: 0
    .kernarg_segment_align: 16
    .kernarg_segment_size: 128
    .language:       OpenCL C
    .language_version:
      - 2
      - 0
    .max_flat_workgroup_size: 256
    .name:           _ZN7rocprim17ROCPRIM_400000_NS6detail17trampoline_kernelINS0_14default_configENS1_20scan_config_selectorIN3c107complexIdEEEEZZNS1_9scan_implILNS1_25lookback_scan_determinismE0ELb0ELb0ES3_PKS7_PS7_S7_ZZZN2at6native31launch_logcumsumexp_cuda_kernelERKNSE_10TensorBaseESI_lENKUlvE_clEvENKUlvE1_clEvEUlS7_S7_E_S7_EEDaPvRmT3_T4_T5_mT6_P12ihipStream_tbENKUlT_T0_E_clISt17integral_constantIbLb0EESY_IbLb1EEEEDaSU_SV_EUlSU_E_NS1_11comp_targetILNS1_3genE8ELNS1_11target_archE1030ELNS1_3gpuE2ELNS1_3repE0EEENS1_30default_config_static_selectorELNS0_4arch9wavefront6targetE1EEEvT1_
    .private_segment_fixed_size: 0
    .sgpr_count:     6
    .sgpr_spill_count: 0
    .symbol:         _ZN7rocprim17ROCPRIM_400000_NS6detail17trampoline_kernelINS0_14default_configENS1_20scan_config_selectorIN3c107complexIdEEEEZZNS1_9scan_implILNS1_25lookback_scan_determinismE0ELb0ELb0ES3_PKS7_PS7_S7_ZZZN2at6native31launch_logcumsumexp_cuda_kernelERKNSE_10TensorBaseESI_lENKUlvE_clEvENKUlvE1_clEvEUlS7_S7_E_S7_EEDaPvRmT3_T4_T5_mT6_P12ihipStream_tbENKUlT_T0_E_clISt17integral_constantIbLb0EESY_IbLb1EEEEDaSU_SV_EUlSU_E_NS1_11comp_targetILNS1_3genE8ELNS1_11target_archE1030ELNS1_3gpuE2ELNS1_3repE0EEENS1_30default_config_static_selectorELNS0_4arch9wavefront6targetE1EEEvT1_.kd
    .uniform_work_group_size: 1
    .uses_dynamic_stack: false
    .vgpr_count:     0
    .vgpr_spill_count: 0
    .wavefront_size: 64
  - .agpr_count:     0
    .args:
      - .offset:         0
        .size:           48
        .value_kind:     by_value
    .group_segment_fixed_size: 0
    .kernarg_segment_align: 16
    .kernarg_segment_size: 48
    .language:       OpenCL C
    .language_version:
      - 2
      - 0
    .max_flat_workgroup_size: 128
    .name:           _ZN7rocprim17ROCPRIM_400000_NS6detail17trampoline_kernelINS0_14default_configENS1_20scan_config_selectorIN3c107complexIdEEEEZZNS1_9scan_implILNS1_25lookback_scan_determinismE0ELb0ELb0ES3_PKS7_PS7_S7_ZZZN2at6native31launch_logcumsumexp_cuda_kernelERKNSE_10TensorBaseESI_lENKUlvE_clEvENKUlvE1_clEvEUlS7_S7_E_S7_EEDaPvRmT3_T4_T5_mT6_P12ihipStream_tbENKUlT_T0_E_clISt17integral_constantIbLb0EESY_IbLb1EEEEDaSU_SV_EUlSU_E0_NS1_11comp_targetILNS1_3genE0ELNS1_11target_archE4294967295ELNS1_3gpuE0ELNS1_3repE0EEENS1_30default_config_static_selectorELNS0_4arch9wavefront6targetE1EEEvT1_
    .private_segment_fixed_size: 0
    .sgpr_count:     6
    .sgpr_spill_count: 0
    .symbol:         _ZN7rocprim17ROCPRIM_400000_NS6detail17trampoline_kernelINS0_14default_configENS1_20scan_config_selectorIN3c107complexIdEEEEZZNS1_9scan_implILNS1_25lookback_scan_determinismE0ELb0ELb0ES3_PKS7_PS7_S7_ZZZN2at6native31launch_logcumsumexp_cuda_kernelERKNSE_10TensorBaseESI_lENKUlvE_clEvENKUlvE1_clEvEUlS7_S7_E_S7_EEDaPvRmT3_T4_T5_mT6_P12ihipStream_tbENKUlT_T0_E_clISt17integral_constantIbLb0EESY_IbLb1EEEEDaSU_SV_EUlSU_E0_NS1_11comp_targetILNS1_3genE0ELNS1_11target_archE4294967295ELNS1_3gpuE0ELNS1_3repE0EEENS1_30default_config_static_selectorELNS0_4arch9wavefront6targetE1EEEvT1_.kd
    .uniform_work_group_size: 1
    .uses_dynamic_stack: false
    .vgpr_count:     0
    .vgpr_spill_count: 0
    .wavefront_size: 64
  - .agpr_count:     0
    .args:
      - .offset:         0
        .size:           48
        .value_kind:     by_value
    .group_segment_fixed_size: 57344
    .kernarg_segment_align: 16
    .kernarg_segment_size: 48
    .language:       OpenCL C
    .language_version:
      - 2
      - 0
    .max_flat_workgroup_size: 256
    .name:           _ZN7rocprim17ROCPRIM_400000_NS6detail17trampoline_kernelINS0_14default_configENS1_20scan_config_selectorIN3c107complexIdEEEEZZNS1_9scan_implILNS1_25lookback_scan_determinismE0ELb0ELb0ES3_PKS7_PS7_S7_ZZZN2at6native31launch_logcumsumexp_cuda_kernelERKNSE_10TensorBaseESI_lENKUlvE_clEvENKUlvE1_clEvEUlS7_S7_E_S7_EEDaPvRmT3_T4_T5_mT6_P12ihipStream_tbENKUlT_T0_E_clISt17integral_constantIbLb0EESY_IbLb1EEEEDaSU_SV_EUlSU_E0_NS1_11comp_targetILNS1_3genE5ELNS1_11target_archE942ELNS1_3gpuE9ELNS1_3repE0EEENS1_30default_config_static_selectorELNS0_4arch9wavefront6targetE1EEEvT1_
    .private_segment_fixed_size: 8
    .sgpr_count:     74
    .sgpr_spill_count: 0
    .symbol:         _ZN7rocprim17ROCPRIM_400000_NS6detail17trampoline_kernelINS0_14default_configENS1_20scan_config_selectorIN3c107complexIdEEEEZZNS1_9scan_implILNS1_25lookback_scan_determinismE0ELb0ELb0ES3_PKS7_PS7_S7_ZZZN2at6native31launch_logcumsumexp_cuda_kernelERKNSE_10TensorBaseESI_lENKUlvE_clEvENKUlvE1_clEvEUlS7_S7_E_S7_EEDaPvRmT3_T4_T5_mT6_P12ihipStream_tbENKUlT_T0_E_clISt17integral_constantIbLb0EESY_IbLb1EEEEDaSU_SV_EUlSU_E0_NS1_11comp_targetILNS1_3genE5ELNS1_11target_archE942ELNS1_3gpuE9ELNS1_3repE0EEENS1_30default_config_static_selectorELNS0_4arch9wavefront6targetE1EEEvT1_.kd
    .uniform_work_group_size: 1
    .uses_dynamic_stack: false
    .vgpr_count:     166
    .vgpr_spill_count: 0
    .wavefront_size: 64
  - .agpr_count:     0
    .args:
      - .offset:         0
        .size:           48
        .value_kind:     by_value
    .group_segment_fixed_size: 0
    .kernarg_segment_align: 16
    .kernarg_segment_size: 48
    .language:       OpenCL C
    .language_version:
      - 2
      - 0
    .max_flat_workgroup_size: 64
    .name:           _ZN7rocprim17ROCPRIM_400000_NS6detail17trampoline_kernelINS0_14default_configENS1_20scan_config_selectorIN3c107complexIdEEEEZZNS1_9scan_implILNS1_25lookback_scan_determinismE0ELb0ELb0ES3_PKS7_PS7_S7_ZZZN2at6native31launch_logcumsumexp_cuda_kernelERKNSE_10TensorBaseESI_lENKUlvE_clEvENKUlvE1_clEvEUlS7_S7_E_S7_EEDaPvRmT3_T4_T5_mT6_P12ihipStream_tbENKUlT_T0_E_clISt17integral_constantIbLb0EESY_IbLb1EEEEDaSU_SV_EUlSU_E0_NS1_11comp_targetILNS1_3genE4ELNS1_11target_archE910ELNS1_3gpuE8ELNS1_3repE0EEENS1_30default_config_static_selectorELNS0_4arch9wavefront6targetE1EEEvT1_
    .private_segment_fixed_size: 0
    .sgpr_count:     6
    .sgpr_spill_count: 0
    .symbol:         _ZN7rocprim17ROCPRIM_400000_NS6detail17trampoline_kernelINS0_14default_configENS1_20scan_config_selectorIN3c107complexIdEEEEZZNS1_9scan_implILNS1_25lookback_scan_determinismE0ELb0ELb0ES3_PKS7_PS7_S7_ZZZN2at6native31launch_logcumsumexp_cuda_kernelERKNSE_10TensorBaseESI_lENKUlvE_clEvENKUlvE1_clEvEUlS7_S7_E_S7_EEDaPvRmT3_T4_T5_mT6_P12ihipStream_tbENKUlT_T0_E_clISt17integral_constantIbLb0EESY_IbLb1EEEEDaSU_SV_EUlSU_E0_NS1_11comp_targetILNS1_3genE4ELNS1_11target_archE910ELNS1_3gpuE8ELNS1_3repE0EEENS1_30default_config_static_selectorELNS0_4arch9wavefront6targetE1EEEvT1_.kd
    .uniform_work_group_size: 1
    .uses_dynamic_stack: false
    .vgpr_count:     0
    .vgpr_spill_count: 0
    .wavefront_size: 64
  - .agpr_count:     0
    .args:
      - .offset:         0
        .size:           48
        .value_kind:     by_value
    .group_segment_fixed_size: 0
    .kernarg_segment_align: 16
    .kernarg_segment_size: 48
    .language:       OpenCL C
    .language_version:
      - 2
      - 0
    .max_flat_workgroup_size: 128
    .name:           _ZN7rocprim17ROCPRIM_400000_NS6detail17trampoline_kernelINS0_14default_configENS1_20scan_config_selectorIN3c107complexIdEEEEZZNS1_9scan_implILNS1_25lookback_scan_determinismE0ELb0ELb0ES3_PKS7_PS7_S7_ZZZN2at6native31launch_logcumsumexp_cuda_kernelERKNSE_10TensorBaseESI_lENKUlvE_clEvENKUlvE1_clEvEUlS7_S7_E_S7_EEDaPvRmT3_T4_T5_mT6_P12ihipStream_tbENKUlT_T0_E_clISt17integral_constantIbLb0EESY_IbLb1EEEEDaSU_SV_EUlSU_E0_NS1_11comp_targetILNS1_3genE3ELNS1_11target_archE908ELNS1_3gpuE7ELNS1_3repE0EEENS1_30default_config_static_selectorELNS0_4arch9wavefront6targetE1EEEvT1_
    .private_segment_fixed_size: 0
    .sgpr_count:     6
    .sgpr_spill_count: 0
    .symbol:         _ZN7rocprim17ROCPRIM_400000_NS6detail17trampoline_kernelINS0_14default_configENS1_20scan_config_selectorIN3c107complexIdEEEEZZNS1_9scan_implILNS1_25lookback_scan_determinismE0ELb0ELb0ES3_PKS7_PS7_S7_ZZZN2at6native31launch_logcumsumexp_cuda_kernelERKNSE_10TensorBaseESI_lENKUlvE_clEvENKUlvE1_clEvEUlS7_S7_E_S7_EEDaPvRmT3_T4_T5_mT6_P12ihipStream_tbENKUlT_T0_E_clISt17integral_constantIbLb0EESY_IbLb1EEEEDaSU_SV_EUlSU_E0_NS1_11comp_targetILNS1_3genE3ELNS1_11target_archE908ELNS1_3gpuE7ELNS1_3repE0EEENS1_30default_config_static_selectorELNS0_4arch9wavefront6targetE1EEEvT1_.kd
    .uniform_work_group_size: 1
    .uses_dynamic_stack: false
    .vgpr_count:     0
    .vgpr_spill_count: 0
    .wavefront_size: 64
  - .agpr_count:     0
    .args:
      - .offset:         0
        .size:           48
        .value_kind:     by_value
    .group_segment_fixed_size: 0
    .kernarg_segment_align: 16
    .kernarg_segment_size: 48
    .language:       OpenCL C
    .language_version:
      - 2
      - 0
    .max_flat_workgroup_size: 64
    .name:           _ZN7rocprim17ROCPRIM_400000_NS6detail17trampoline_kernelINS0_14default_configENS1_20scan_config_selectorIN3c107complexIdEEEEZZNS1_9scan_implILNS1_25lookback_scan_determinismE0ELb0ELb0ES3_PKS7_PS7_S7_ZZZN2at6native31launch_logcumsumexp_cuda_kernelERKNSE_10TensorBaseESI_lENKUlvE_clEvENKUlvE1_clEvEUlS7_S7_E_S7_EEDaPvRmT3_T4_T5_mT6_P12ihipStream_tbENKUlT_T0_E_clISt17integral_constantIbLb0EESY_IbLb1EEEEDaSU_SV_EUlSU_E0_NS1_11comp_targetILNS1_3genE2ELNS1_11target_archE906ELNS1_3gpuE6ELNS1_3repE0EEENS1_30default_config_static_selectorELNS0_4arch9wavefront6targetE1EEEvT1_
    .private_segment_fixed_size: 0
    .sgpr_count:     6
    .sgpr_spill_count: 0
    .symbol:         _ZN7rocprim17ROCPRIM_400000_NS6detail17trampoline_kernelINS0_14default_configENS1_20scan_config_selectorIN3c107complexIdEEEEZZNS1_9scan_implILNS1_25lookback_scan_determinismE0ELb0ELb0ES3_PKS7_PS7_S7_ZZZN2at6native31launch_logcumsumexp_cuda_kernelERKNSE_10TensorBaseESI_lENKUlvE_clEvENKUlvE1_clEvEUlS7_S7_E_S7_EEDaPvRmT3_T4_T5_mT6_P12ihipStream_tbENKUlT_T0_E_clISt17integral_constantIbLb0EESY_IbLb1EEEEDaSU_SV_EUlSU_E0_NS1_11comp_targetILNS1_3genE2ELNS1_11target_archE906ELNS1_3gpuE6ELNS1_3repE0EEENS1_30default_config_static_selectorELNS0_4arch9wavefront6targetE1EEEvT1_.kd
    .uniform_work_group_size: 1
    .uses_dynamic_stack: false
    .vgpr_count:     0
    .vgpr_spill_count: 0
    .wavefront_size: 64
  - .agpr_count:     0
    .args:
      - .offset:         0
        .size:           48
        .value_kind:     by_value
    .group_segment_fixed_size: 0
    .kernarg_segment_align: 16
    .kernarg_segment_size: 48
    .language:       OpenCL C
    .language_version:
      - 2
      - 0
    .max_flat_workgroup_size: 256
    .name:           _ZN7rocprim17ROCPRIM_400000_NS6detail17trampoline_kernelINS0_14default_configENS1_20scan_config_selectorIN3c107complexIdEEEEZZNS1_9scan_implILNS1_25lookback_scan_determinismE0ELb0ELb0ES3_PKS7_PS7_S7_ZZZN2at6native31launch_logcumsumexp_cuda_kernelERKNSE_10TensorBaseESI_lENKUlvE_clEvENKUlvE1_clEvEUlS7_S7_E_S7_EEDaPvRmT3_T4_T5_mT6_P12ihipStream_tbENKUlT_T0_E_clISt17integral_constantIbLb0EESY_IbLb1EEEEDaSU_SV_EUlSU_E0_NS1_11comp_targetILNS1_3genE10ELNS1_11target_archE1201ELNS1_3gpuE5ELNS1_3repE0EEENS1_30default_config_static_selectorELNS0_4arch9wavefront6targetE1EEEvT1_
    .private_segment_fixed_size: 0
    .sgpr_count:     6
    .sgpr_spill_count: 0
    .symbol:         _ZN7rocprim17ROCPRIM_400000_NS6detail17trampoline_kernelINS0_14default_configENS1_20scan_config_selectorIN3c107complexIdEEEEZZNS1_9scan_implILNS1_25lookback_scan_determinismE0ELb0ELb0ES3_PKS7_PS7_S7_ZZZN2at6native31launch_logcumsumexp_cuda_kernelERKNSE_10TensorBaseESI_lENKUlvE_clEvENKUlvE1_clEvEUlS7_S7_E_S7_EEDaPvRmT3_T4_T5_mT6_P12ihipStream_tbENKUlT_T0_E_clISt17integral_constantIbLb0EESY_IbLb1EEEEDaSU_SV_EUlSU_E0_NS1_11comp_targetILNS1_3genE10ELNS1_11target_archE1201ELNS1_3gpuE5ELNS1_3repE0EEENS1_30default_config_static_selectorELNS0_4arch9wavefront6targetE1EEEvT1_.kd
    .uniform_work_group_size: 1
    .uses_dynamic_stack: false
    .vgpr_count:     0
    .vgpr_spill_count: 0
    .wavefront_size: 64
  - .agpr_count:     0
    .args:
      - .offset:         0
        .size:           48
        .value_kind:     by_value
    .group_segment_fixed_size: 0
    .kernarg_segment_align: 16
    .kernarg_segment_size: 48
    .language:       OpenCL C
    .language_version:
      - 2
      - 0
    .max_flat_workgroup_size: 256
    .name:           _ZN7rocprim17ROCPRIM_400000_NS6detail17trampoline_kernelINS0_14default_configENS1_20scan_config_selectorIN3c107complexIdEEEEZZNS1_9scan_implILNS1_25lookback_scan_determinismE0ELb0ELb0ES3_PKS7_PS7_S7_ZZZN2at6native31launch_logcumsumexp_cuda_kernelERKNSE_10TensorBaseESI_lENKUlvE_clEvENKUlvE1_clEvEUlS7_S7_E_S7_EEDaPvRmT3_T4_T5_mT6_P12ihipStream_tbENKUlT_T0_E_clISt17integral_constantIbLb0EESY_IbLb1EEEEDaSU_SV_EUlSU_E0_NS1_11comp_targetILNS1_3genE10ELNS1_11target_archE1200ELNS1_3gpuE4ELNS1_3repE0EEENS1_30default_config_static_selectorELNS0_4arch9wavefront6targetE1EEEvT1_
    .private_segment_fixed_size: 0
    .sgpr_count:     6
    .sgpr_spill_count: 0
    .symbol:         _ZN7rocprim17ROCPRIM_400000_NS6detail17trampoline_kernelINS0_14default_configENS1_20scan_config_selectorIN3c107complexIdEEEEZZNS1_9scan_implILNS1_25lookback_scan_determinismE0ELb0ELb0ES3_PKS7_PS7_S7_ZZZN2at6native31launch_logcumsumexp_cuda_kernelERKNSE_10TensorBaseESI_lENKUlvE_clEvENKUlvE1_clEvEUlS7_S7_E_S7_EEDaPvRmT3_T4_T5_mT6_P12ihipStream_tbENKUlT_T0_E_clISt17integral_constantIbLb0EESY_IbLb1EEEEDaSU_SV_EUlSU_E0_NS1_11comp_targetILNS1_3genE10ELNS1_11target_archE1200ELNS1_3gpuE4ELNS1_3repE0EEENS1_30default_config_static_selectorELNS0_4arch9wavefront6targetE1EEEvT1_.kd
    .uniform_work_group_size: 1
    .uses_dynamic_stack: false
    .vgpr_count:     0
    .vgpr_spill_count: 0
    .wavefront_size: 64
  - .agpr_count:     0
    .args:
      - .offset:         0
        .size:           48
        .value_kind:     by_value
    .group_segment_fixed_size: 0
    .kernarg_segment_align: 16
    .kernarg_segment_size: 48
    .language:       OpenCL C
    .language_version:
      - 2
      - 0
    .max_flat_workgroup_size: 256
    .name:           _ZN7rocprim17ROCPRIM_400000_NS6detail17trampoline_kernelINS0_14default_configENS1_20scan_config_selectorIN3c107complexIdEEEEZZNS1_9scan_implILNS1_25lookback_scan_determinismE0ELb0ELb0ES3_PKS7_PS7_S7_ZZZN2at6native31launch_logcumsumexp_cuda_kernelERKNSE_10TensorBaseESI_lENKUlvE_clEvENKUlvE1_clEvEUlS7_S7_E_S7_EEDaPvRmT3_T4_T5_mT6_P12ihipStream_tbENKUlT_T0_E_clISt17integral_constantIbLb0EESY_IbLb1EEEEDaSU_SV_EUlSU_E0_NS1_11comp_targetILNS1_3genE9ELNS1_11target_archE1100ELNS1_3gpuE3ELNS1_3repE0EEENS1_30default_config_static_selectorELNS0_4arch9wavefront6targetE1EEEvT1_
    .private_segment_fixed_size: 0
    .sgpr_count:     6
    .sgpr_spill_count: 0
    .symbol:         _ZN7rocprim17ROCPRIM_400000_NS6detail17trampoline_kernelINS0_14default_configENS1_20scan_config_selectorIN3c107complexIdEEEEZZNS1_9scan_implILNS1_25lookback_scan_determinismE0ELb0ELb0ES3_PKS7_PS7_S7_ZZZN2at6native31launch_logcumsumexp_cuda_kernelERKNSE_10TensorBaseESI_lENKUlvE_clEvENKUlvE1_clEvEUlS7_S7_E_S7_EEDaPvRmT3_T4_T5_mT6_P12ihipStream_tbENKUlT_T0_E_clISt17integral_constantIbLb0EESY_IbLb1EEEEDaSU_SV_EUlSU_E0_NS1_11comp_targetILNS1_3genE9ELNS1_11target_archE1100ELNS1_3gpuE3ELNS1_3repE0EEENS1_30default_config_static_selectorELNS0_4arch9wavefront6targetE1EEEvT1_.kd
    .uniform_work_group_size: 1
    .uses_dynamic_stack: false
    .vgpr_count:     0
    .vgpr_spill_count: 0
    .wavefront_size: 64
  - .agpr_count:     0
    .args:
      - .offset:         0
        .size:           48
        .value_kind:     by_value
    .group_segment_fixed_size: 0
    .kernarg_segment_align: 16
    .kernarg_segment_size: 48
    .language:       OpenCL C
    .language_version:
      - 2
      - 0
    .max_flat_workgroup_size: 256
    .name:           _ZN7rocprim17ROCPRIM_400000_NS6detail17trampoline_kernelINS0_14default_configENS1_20scan_config_selectorIN3c107complexIdEEEEZZNS1_9scan_implILNS1_25lookback_scan_determinismE0ELb0ELb0ES3_PKS7_PS7_S7_ZZZN2at6native31launch_logcumsumexp_cuda_kernelERKNSE_10TensorBaseESI_lENKUlvE_clEvENKUlvE1_clEvEUlS7_S7_E_S7_EEDaPvRmT3_T4_T5_mT6_P12ihipStream_tbENKUlT_T0_E_clISt17integral_constantIbLb0EESY_IbLb1EEEEDaSU_SV_EUlSU_E0_NS1_11comp_targetILNS1_3genE8ELNS1_11target_archE1030ELNS1_3gpuE2ELNS1_3repE0EEENS1_30default_config_static_selectorELNS0_4arch9wavefront6targetE1EEEvT1_
    .private_segment_fixed_size: 0
    .sgpr_count:     6
    .sgpr_spill_count: 0
    .symbol:         _ZN7rocprim17ROCPRIM_400000_NS6detail17trampoline_kernelINS0_14default_configENS1_20scan_config_selectorIN3c107complexIdEEEEZZNS1_9scan_implILNS1_25lookback_scan_determinismE0ELb0ELb0ES3_PKS7_PS7_S7_ZZZN2at6native31launch_logcumsumexp_cuda_kernelERKNSE_10TensorBaseESI_lENKUlvE_clEvENKUlvE1_clEvEUlS7_S7_E_S7_EEDaPvRmT3_T4_T5_mT6_P12ihipStream_tbENKUlT_T0_E_clISt17integral_constantIbLb0EESY_IbLb1EEEEDaSU_SV_EUlSU_E0_NS1_11comp_targetILNS1_3genE8ELNS1_11target_archE1030ELNS1_3gpuE2ELNS1_3repE0EEENS1_30default_config_static_selectorELNS0_4arch9wavefront6targetE1EEEvT1_.kd
    .uniform_work_group_size: 1
    .uses_dynamic_stack: false
    .vgpr_count:     0
    .vgpr_spill_count: 0
    .wavefront_size: 64
  - .agpr_count:     0
    .args:
      - .address_space:  global
        .offset:         0
        .size:           8
        .value_kind:     global_buffer
      - .address_space:  global
        .offset:         8
        .size:           8
        .value_kind:     global_buffer
      - .offset:         16
        .size:           4
        .value_kind:     by_value
      - .offset:         20
        .size:           4
        .value_kind:     by_value
      - .offset:         24
        .size:           4
        .value_kind:     by_value
      - .offset:         32
        .size:           16
        .value_kind:     by_value
      - .offset:         48
        .size:           1
        .value_kind:     by_value
      - .offset:         56
        .size:           4
        .value_kind:     hidden_block_count_x
      - .offset:         60
        .size:           4
        .value_kind:     hidden_block_count_y
      - .offset:         64
        .size:           4
        .value_kind:     hidden_block_count_z
      - .offset:         68
        .size:           2
        .value_kind:     hidden_group_size_x
      - .offset:         70
        .size:           2
        .value_kind:     hidden_group_size_y
      - .offset:         72
        .size:           2
        .value_kind:     hidden_group_size_z
      - .offset:         74
        .size:           2
        .value_kind:     hidden_remainder_x
      - .offset:         76
        .size:           2
        .value_kind:     hidden_remainder_y
      - .offset:         78
        .size:           2
        .value_kind:     hidden_remainder_z
      - .offset:         96
        .size:           8
        .value_kind:     hidden_global_offset_x
      - .offset:         104
        .size:           8
        .value_kind:     hidden_global_offset_y
      - .offset:         112
        .size:           8
        .value_kind:     hidden_global_offset_z
      - .offset:         120
        .size:           2
        .value_kind:     hidden_grid_dims
      - .offset:         176
        .size:           4
        .value_kind:     hidden_dynamic_lds_size
    .group_segment_fixed_size: 0
    .kernarg_segment_align: 16
    .kernarg_segment_size: 312
    .language:       OpenCL C
    .language_version:
      - 2
      - 0
    .max_flat_workgroup_size: 1024
    .name:           _ZN2at6native32tensor_kernel_scan_innermost_dimIN3c107complexIdEEZZZNS0_31launch_logcumsumexp_cuda_kernelERKNS_10TensorBaseES7_lENKUlvE_clEvENKUlvE1_clEvEUlS4_S4_E_EEvPT_PKSB_jjjSB_T0_
    .private_segment_fixed_size: 8
    .sgpr_count:     73
    .sgpr_spill_count: 0
    .symbol:         _ZN2at6native32tensor_kernel_scan_innermost_dimIN3c107complexIdEEZZZNS0_31launch_logcumsumexp_cuda_kernelERKNS_10TensorBaseES7_lENKUlvE_clEvENKUlvE1_clEvEUlS4_S4_E_EEvPT_PKSB_jjjSB_T0_.kd
    .uniform_work_group_size: 1
    .uses_dynamic_stack: false
    .vgpr_count:     63
    .vgpr_spill_count: 0
    .wavefront_size: 64
  - .agpr_count:     0
    .args:
      - .address_space:  global
        .offset:         0
        .size:           8
        .value_kind:     global_buffer
      - .address_space:  global
        .offset:         8
        .size:           8
        .value_kind:     global_buffer
      - .offset:         16
        .size:           4
        .value_kind:     by_value
      - .offset:         20
        .size:           4
        .value_kind:     by_value
      - .offset:         24
        .size:           4
        .value_kind:     by_value
      - .offset:         32
        .size:           16
        .value_kind:     by_value
      - .offset:         48
        .size:           1
        .value_kind:     by_value
      - .offset:         56
        .size:           4
        .value_kind:     hidden_block_count_x
      - .offset:         60
        .size:           4
        .value_kind:     hidden_block_count_y
      - .offset:         64
        .size:           4
        .value_kind:     hidden_block_count_z
      - .offset:         68
        .size:           2
        .value_kind:     hidden_group_size_x
      - .offset:         70
        .size:           2
        .value_kind:     hidden_group_size_y
      - .offset:         72
        .size:           2
        .value_kind:     hidden_group_size_z
      - .offset:         74
        .size:           2
        .value_kind:     hidden_remainder_x
      - .offset:         76
        .size:           2
        .value_kind:     hidden_remainder_y
      - .offset:         78
        .size:           2
        .value_kind:     hidden_remainder_z
      - .offset:         96
        .size:           8
        .value_kind:     hidden_global_offset_x
      - .offset:         104
        .size:           8
        .value_kind:     hidden_global_offset_y
      - .offset:         112
        .size:           8
        .value_kind:     hidden_global_offset_z
      - .offset:         120
        .size:           2
        .value_kind:     hidden_grid_dims
    .group_segment_fixed_size: 0
    .kernarg_segment_align: 16
    .kernarg_segment_size: 312
    .language:       OpenCL C
    .language_version:
      - 2
      - 0
    .max_flat_workgroup_size: 1024
    .name:           _ZN2at6native28tensor_kernel_scan_outer_dimIN3c107complexIdEEjZZZNS0_31launch_logcumsumexp_cuda_kernelERKNS_10TensorBaseES7_lENKUlvE_clEvENKUlvE1_clEvEUlS4_S4_E_EEvPT_PKSB_jjjSB_T1_
    .private_segment_fixed_size: 8
    .sgpr_count:     72
    .sgpr_spill_count: 0
    .symbol:         _ZN2at6native28tensor_kernel_scan_outer_dimIN3c107complexIdEEjZZZNS0_31launch_logcumsumexp_cuda_kernelERKNS_10TensorBaseES7_lENKUlvE_clEvENKUlvE1_clEvEUlS4_S4_E_EEvPT_PKSB_jjjSB_T1_.kd
    .uniform_work_group_size: 1
    .uses_dynamic_stack: false
    .vgpr_count:     52
    .vgpr_spill_count: 0
    .wavefront_size: 64
  - .agpr_count:     0
    .args:
      - .address_space:  global
        .offset:         0
        .size:           8
        .value_kind:     global_buffer
      - .address_space:  global
        .offset:         8
        .size:           8
        .value_kind:     global_buffer
      - .offset:         16
        .size:           4
        .value_kind:     by_value
      - .offset:         20
        .size:           4
        .value_kind:     by_value
      - .offset:         24
        .size:           4
        .value_kind:     by_value
      - .offset:         32
        .size:           16
        .value_kind:     by_value
      - .offset:         48
        .size:           1
        .value_kind:     by_value
      - .offset:         56
        .size:           4
        .value_kind:     hidden_block_count_x
      - .offset:         60
        .size:           4
        .value_kind:     hidden_block_count_y
      - .offset:         64
        .size:           4
        .value_kind:     hidden_block_count_z
      - .offset:         68
        .size:           2
        .value_kind:     hidden_group_size_x
      - .offset:         70
        .size:           2
        .value_kind:     hidden_group_size_y
      - .offset:         72
        .size:           2
        .value_kind:     hidden_group_size_z
      - .offset:         74
        .size:           2
        .value_kind:     hidden_remainder_x
      - .offset:         76
        .size:           2
        .value_kind:     hidden_remainder_y
      - .offset:         78
        .size:           2
        .value_kind:     hidden_remainder_z
      - .offset:         96
        .size:           8
        .value_kind:     hidden_global_offset_x
      - .offset:         104
        .size:           8
        .value_kind:     hidden_global_offset_y
      - .offset:         112
        .size:           8
        .value_kind:     hidden_global_offset_z
      - .offset:         120
        .size:           2
        .value_kind:     hidden_grid_dims
    .group_segment_fixed_size: 0
    .kernarg_segment_align: 16
    .kernarg_segment_size: 312
    .language:       OpenCL C
    .language_version:
      - 2
      - 0
    .max_flat_workgroup_size: 1024
    .name:           _ZN2at6native28tensor_kernel_scan_outer_dimIN3c107complexIdEEmZZZNS0_31launch_logcumsumexp_cuda_kernelERKNS_10TensorBaseES7_lENKUlvE_clEvENKUlvE1_clEvEUlS4_S4_E_EEvPT_PKSB_jjjSB_T1_
    .private_segment_fixed_size: 8
    .sgpr_count:     71
    .sgpr_spill_count: 0
    .symbol:         _ZN2at6native28tensor_kernel_scan_outer_dimIN3c107complexIdEEmZZZNS0_31launch_logcumsumexp_cuda_kernelERKNS_10TensorBaseES7_lENKUlvE_clEvENKUlvE1_clEvEUlS4_S4_E_EEvPT_PKSB_jjjSB_T1_.kd
    .uniform_work_group_size: 1
    .uses_dynamic_stack: false
    .vgpr_count:     52
    .vgpr_spill_count: 0
    .wavefront_size: 64
  - .agpr_count:     0
    .args:
      - .address_space:  global
        .offset:         0
        .size:           8
        .value_kind:     global_buffer
      - .offset:         8
        .size:           4
        .value_kind:     by_value
      - .offset:         12
        .size:           1
        .value_kind:     by_value
      - .offset:         16
        .size:           4
        .value_kind:     by_value
      - .address_space:  global
        .offset:         24
        .size:           8
        .value_kind:     global_buffer
      - .offset:         32
        .size:           4
        .value_kind:     hidden_block_count_x
      - .offset:         36
        .size:           4
        .value_kind:     hidden_block_count_y
      - .offset:         40
        .size:           4
        .value_kind:     hidden_block_count_z
      - .offset:         44
        .size:           2
        .value_kind:     hidden_group_size_x
      - .offset:         46
        .size:           2
        .value_kind:     hidden_group_size_y
      - .offset:         48
        .size:           2
        .value_kind:     hidden_group_size_z
      - .offset:         50
        .size:           2
        .value_kind:     hidden_remainder_x
      - .offset:         52
        .size:           2
        .value_kind:     hidden_remainder_y
      - .offset:         54
        .size:           2
        .value_kind:     hidden_remainder_z
      - .offset:         72
        .size:           8
        .value_kind:     hidden_global_offset_x
      - .offset:         80
        .size:           8
        .value_kind:     hidden_global_offset_y
      - .offset:         88
        .size:           8
        .value_kind:     hidden_global_offset_z
      - .offset:         96
        .size:           2
        .value_kind:     hidden_grid_dims
    .group_segment_fixed_size: 0
    .kernarg_segment_align: 8
    .kernarg_segment_size: 288
    .language:       OpenCL C
    .language_version:
      - 2
      - 0
    .max_flat_workgroup_size: 256
    .name:           _ZN7rocprim17ROCPRIM_400000_NS6detail31init_lookback_scan_state_kernelINS1_19lookback_scan_stateIN3c107complexIfEELb0ELb1EEENS1_16block_id_wrapperIjLb0EEEEEvT_jT0_jPNSA_10value_typeE
    .private_segment_fixed_size: 0
    .sgpr_count:     19
    .sgpr_spill_count: 0
    .symbol:         _ZN7rocprim17ROCPRIM_400000_NS6detail31init_lookback_scan_state_kernelINS1_19lookback_scan_stateIN3c107complexIfEELb0ELb1EEENS1_16block_id_wrapperIjLb0EEEEEvT_jT0_jPNSA_10value_typeE.kd
    .uniform_work_group_size: 1
    .uses_dynamic_stack: false
    .vgpr_count:     10
    .vgpr_spill_count: 0
    .wavefront_size: 64
  - .agpr_count:     0
    .args:
      - .offset:         0
        .size:           104
        .value_kind:     by_value
    .group_segment_fixed_size: 0
    .kernarg_segment_align: 8
    .kernarg_segment_size: 104
    .language:       OpenCL C
    .language_version:
      - 2
      - 0
    .max_flat_workgroup_size: 256
    .name:           _ZN7rocprim17ROCPRIM_400000_NS6detail17trampoline_kernelINS0_14default_configENS1_20scan_config_selectorIN3c107complexIfEEEEZZNS1_9scan_implILNS1_25lookback_scan_determinismE0ELb0ELb0ES3_PKS7_PS7_S7_ZZZN2at6native31launch_logcumsumexp_cuda_kernelERKNSE_10TensorBaseESI_lENKUlvE_clEvENKUlvE2_clEvEUlS7_S7_E_S7_EEDaPvRmT3_T4_T5_mT6_P12ihipStream_tbENKUlT_T0_E_clISt17integral_constantIbLb0EESZ_EEDaSU_SV_EUlSU_E_NS1_11comp_targetILNS1_3genE0ELNS1_11target_archE4294967295ELNS1_3gpuE0ELNS1_3repE0EEENS1_30default_config_static_selectorELNS0_4arch9wavefront6targetE1EEEvT1_
    .private_segment_fixed_size: 0
    .sgpr_count:     6
    .sgpr_spill_count: 0
    .symbol:         _ZN7rocprim17ROCPRIM_400000_NS6detail17trampoline_kernelINS0_14default_configENS1_20scan_config_selectorIN3c107complexIfEEEEZZNS1_9scan_implILNS1_25lookback_scan_determinismE0ELb0ELb0ES3_PKS7_PS7_S7_ZZZN2at6native31launch_logcumsumexp_cuda_kernelERKNSE_10TensorBaseESI_lENKUlvE_clEvENKUlvE2_clEvEUlS7_S7_E_S7_EEDaPvRmT3_T4_T5_mT6_P12ihipStream_tbENKUlT_T0_E_clISt17integral_constantIbLb0EESZ_EEDaSU_SV_EUlSU_E_NS1_11comp_targetILNS1_3genE0ELNS1_11target_archE4294967295ELNS1_3gpuE0ELNS1_3repE0EEENS1_30default_config_static_selectorELNS0_4arch9wavefront6targetE1EEEvT1_.kd
    .uniform_work_group_size: 1
    .uses_dynamic_stack: false
    .vgpr_count:     0
    .vgpr_spill_count: 0
    .wavefront_size: 64
  - .agpr_count:     0
    .args:
      - .offset:         0
        .size:           104
        .value_kind:     by_value
    .group_segment_fixed_size: 30720
    .kernarg_segment_align: 8
    .kernarg_segment_size: 104
    .language:       OpenCL C
    .language_version:
      - 2
      - 0
    .max_flat_workgroup_size: 256
    .name:           _ZN7rocprim17ROCPRIM_400000_NS6detail17trampoline_kernelINS0_14default_configENS1_20scan_config_selectorIN3c107complexIfEEEEZZNS1_9scan_implILNS1_25lookback_scan_determinismE0ELb0ELb0ES3_PKS7_PS7_S7_ZZZN2at6native31launch_logcumsumexp_cuda_kernelERKNSE_10TensorBaseESI_lENKUlvE_clEvENKUlvE2_clEvEUlS7_S7_E_S7_EEDaPvRmT3_T4_T5_mT6_P12ihipStream_tbENKUlT_T0_E_clISt17integral_constantIbLb0EESZ_EEDaSU_SV_EUlSU_E_NS1_11comp_targetILNS1_3genE5ELNS1_11target_archE942ELNS1_3gpuE9ELNS1_3repE0EEENS1_30default_config_static_selectorELNS0_4arch9wavefront6targetE1EEEvT1_
    .private_segment_fixed_size: 0
    .sgpr_count:     59
    .sgpr_spill_count: 0
    .symbol:         _ZN7rocprim17ROCPRIM_400000_NS6detail17trampoline_kernelINS0_14default_configENS1_20scan_config_selectorIN3c107complexIfEEEEZZNS1_9scan_implILNS1_25lookback_scan_determinismE0ELb0ELb0ES3_PKS7_PS7_S7_ZZZN2at6native31launch_logcumsumexp_cuda_kernelERKNSE_10TensorBaseESI_lENKUlvE_clEvENKUlvE2_clEvEUlS7_S7_E_S7_EEDaPvRmT3_T4_T5_mT6_P12ihipStream_tbENKUlT_T0_E_clISt17integral_constantIbLb0EESZ_EEDaSU_SV_EUlSU_E_NS1_11comp_targetILNS1_3genE5ELNS1_11target_archE942ELNS1_3gpuE9ELNS1_3repE0EEENS1_30default_config_static_selectorELNS0_4arch9wavefront6targetE1EEEvT1_.kd
    .uniform_work_group_size: 1
    .uses_dynamic_stack: false
    .vgpr_count:     97
    .vgpr_spill_count: 0
    .wavefront_size: 64
  - .agpr_count:     0
    .args:
      - .offset:         0
        .size:           104
        .value_kind:     by_value
    .group_segment_fixed_size: 0
    .kernarg_segment_align: 8
    .kernarg_segment_size: 104
    .language:       OpenCL C
    .language_version:
      - 2
      - 0
    .max_flat_workgroup_size: 128
    .name:           _ZN7rocprim17ROCPRIM_400000_NS6detail17trampoline_kernelINS0_14default_configENS1_20scan_config_selectorIN3c107complexIfEEEEZZNS1_9scan_implILNS1_25lookback_scan_determinismE0ELb0ELb0ES3_PKS7_PS7_S7_ZZZN2at6native31launch_logcumsumexp_cuda_kernelERKNSE_10TensorBaseESI_lENKUlvE_clEvENKUlvE2_clEvEUlS7_S7_E_S7_EEDaPvRmT3_T4_T5_mT6_P12ihipStream_tbENKUlT_T0_E_clISt17integral_constantIbLb0EESZ_EEDaSU_SV_EUlSU_E_NS1_11comp_targetILNS1_3genE4ELNS1_11target_archE910ELNS1_3gpuE8ELNS1_3repE0EEENS1_30default_config_static_selectorELNS0_4arch9wavefront6targetE1EEEvT1_
    .private_segment_fixed_size: 0
    .sgpr_count:     6
    .sgpr_spill_count: 0
    .symbol:         _ZN7rocprim17ROCPRIM_400000_NS6detail17trampoline_kernelINS0_14default_configENS1_20scan_config_selectorIN3c107complexIfEEEEZZNS1_9scan_implILNS1_25lookback_scan_determinismE0ELb0ELb0ES3_PKS7_PS7_S7_ZZZN2at6native31launch_logcumsumexp_cuda_kernelERKNSE_10TensorBaseESI_lENKUlvE_clEvENKUlvE2_clEvEUlS7_S7_E_S7_EEDaPvRmT3_T4_T5_mT6_P12ihipStream_tbENKUlT_T0_E_clISt17integral_constantIbLb0EESZ_EEDaSU_SV_EUlSU_E_NS1_11comp_targetILNS1_3genE4ELNS1_11target_archE910ELNS1_3gpuE8ELNS1_3repE0EEENS1_30default_config_static_selectorELNS0_4arch9wavefront6targetE1EEEvT1_.kd
    .uniform_work_group_size: 1
    .uses_dynamic_stack: false
    .vgpr_count:     0
    .vgpr_spill_count: 0
    .wavefront_size: 64
  - .agpr_count:     0
    .args:
      - .offset:         0
        .size:           104
        .value_kind:     by_value
    .group_segment_fixed_size: 0
    .kernarg_segment_align: 8
    .kernarg_segment_size: 104
    .language:       OpenCL C
    .language_version:
      - 2
      - 0
    .max_flat_workgroup_size: 256
    .name:           _ZN7rocprim17ROCPRIM_400000_NS6detail17trampoline_kernelINS0_14default_configENS1_20scan_config_selectorIN3c107complexIfEEEEZZNS1_9scan_implILNS1_25lookback_scan_determinismE0ELb0ELb0ES3_PKS7_PS7_S7_ZZZN2at6native31launch_logcumsumexp_cuda_kernelERKNSE_10TensorBaseESI_lENKUlvE_clEvENKUlvE2_clEvEUlS7_S7_E_S7_EEDaPvRmT3_T4_T5_mT6_P12ihipStream_tbENKUlT_T0_E_clISt17integral_constantIbLb0EESZ_EEDaSU_SV_EUlSU_E_NS1_11comp_targetILNS1_3genE3ELNS1_11target_archE908ELNS1_3gpuE7ELNS1_3repE0EEENS1_30default_config_static_selectorELNS0_4arch9wavefront6targetE1EEEvT1_
    .private_segment_fixed_size: 0
    .sgpr_count:     6
    .sgpr_spill_count: 0
    .symbol:         _ZN7rocprim17ROCPRIM_400000_NS6detail17trampoline_kernelINS0_14default_configENS1_20scan_config_selectorIN3c107complexIfEEEEZZNS1_9scan_implILNS1_25lookback_scan_determinismE0ELb0ELb0ES3_PKS7_PS7_S7_ZZZN2at6native31launch_logcumsumexp_cuda_kernelERKNSE_10TensorBaseESI_lENKUlvE_clEvENKUlvE2_clEvEUlS7_S7_E_S7_EEDaPvRmT3_T4_T5_mT6_P12ihipStream_tbENKUlT_T0_E_clISt17integral_constantIbLb0EESZ_EEDaSU_SV_EUlSU_E_NS1_11comp_targetILNS1_3genE3ELNS1_11target_archE908ELNS1_3gpuE7ELNS1_3repE0EEENS1_30default_config_static_selectorELNS0_4arch9wavefront6targetE1EEEvT1_.kd
    .uniform_work_group_size: 1
    .uses_dynamic_stack: false
    .vgpr_count:     0
    .vgpr_spill_count: 0
    .wavefront_size: 64
  - .agpr_count:     0
    .args:
      - .offset:         0
        .size:           104
        .value_kind:     by_value
    .group_segment_fixed_size: 0
    .kernarg_segment_align: 8
    .kernarg_segment_size: 104
    .language:       OpenCL C
    .language_version:
      - 2
      - 0
    .max_flat_workgroup_size: 64
    .name:           _ZN7rocprim17ROCPRIM_400000_NS6detail17trampoline_kernelINS0_14default_configENS1_20scan_config_selectorIN3c107complexIfEEEEZZNS1_9scan_implILNS1_25lookback_scan_determinismE0ELb0ELb0ES3_PKS7_PS7_S7_ZZZN2at6native31launch_logcumsumexp_cuda_kernelERKNSE_10TensorBaseESI_lENKUlvE_clEvENKUlvE2_clEvEUlS7_S7_E_S7_EEDaPvRmT3_T4_T5_mT6_P12ihipStream_tbENKUlT_T0_E_clISt17integral_constantIbLb0EESZ_EEDaSU_SV_EUlSU_E_NS1_11comp_targetILNS1_3genE2ELNS1_11target_archE906ELNS1_3gpuE6ELNS1_3repE0EEENS1_30default_config_static_selectorELNS0_4arch9wavefront6targetE1EEEvT1_
    .private_segment_fixed_size: 0
    .sgpr_count:     6
    .sgpr_spill_count: 0
    .symbol:         _ZN7rocprim17ROCPRIM_400000_NS6detail17trampoline_kernelINS0_14default_configENS1_20scan_config_selectorIN3c107complexIfEEEEZZNS1_9scan_implILNS1_25lookback_scan_determinismE0ELb0ELb0ES3_PKS7_PS7_S7_ZZZN2at6native31launch_logcumsumexp_cuda_kernelERKNSE_10TensorBaseESI_lENKUlvE_clEvENKUlvE2_clEvEUlS7_S7_E_S7_EEDaPvRmT3_T4_T5_mT6_P12ihipStream_tbENKUlT_T0_E_clISt17integral_constantIbLb0EESZ_EEDaSU_SV_EUlSU_E_NS1_11comp_targetILNS1_3genE2ELNS1_11target_archE906ELNS1_3gpuE6ELNS1_3repE0EEENS1_30default_config_static_selectorELNS0_4arch9wavefront6targetE1EEEvT1_.kd
    .uniform_work_group_size: 1
    .uses_dynamic_stack: false
    .vgpr_count:     0
    .vgpr_spill_count: 0
    .wavefront_size: 64
  - .agpr_count:     0
    .args:
      - .offset:         0
        .size:           104
        .value_kind:     by_value
    .group_segment_fixed_size: 0
    .kernarg_segment_align: 8
    .kernarg_segment_size: 104
    .language:       OpenCL C
    .language_version:
      - 2
      - 0
    .max_flat_workgroup_size: 256
    .name:           _ZN7rocprim17ROCPRIM_400000_NS6detail17trampoline_kernelINS0_14default_configENS1_20scan_config_selectorIN3c107complexIfEEEEZZNS1_9scan_implILNS1_25lookback_scan_determinismE0ELb0ELb0ES3_PKS7_PS7_S7_ZZZN2at6native31launch_logcumsumexp_cuda_kernelERKNSE_10TensorBaseESI_lENKUlvE_clEvENKUlvE2_clEvEUlS7_S7_E_S7_EEDaPvRmT3_T4_T5_mT6_P12ihipStream_tbENKUlT_T0_E_clISt17integral_constantIbLb0EESZ_EEDaSU_SV_EUlSU_E_NS1_11comp_targetILNS1_3genE10ELNS1_11target_archE1201ELNS1_3gpuE5ELNS1_3repE0EEENS1_30default_config_static_selectorELNS0_4arch9wavefront6targetE1EEEvT1_
    .private_segment_fixed_size: 0
    .sgpr_count:     6
    .sgpr_spill_count: 0
    .symbol:         _ZN7rocprim17ROCPRIM_400000_NS6detail17trampoline_kernelINS0_14default_configENS1_20scan_config_selectorIN3c107complexIfEEEEZZNS1_9scan_implILNS1_25lookback_scan_determinismE0ELb0ELb0ES3_PKS7_PS7_S7_ZZZN2at6native31launch_logcumsumexp_cuda_kernelERKNSE_10TensorBaseESI_lENKUlvE_clEvENKUlvE2_clEvEUlS7_S7_E_S7_EEDaPvRmT3_T4_T5_mT6_P12ihipStream_tbENKUlT_T0_E_clISt17integral_constantIbLb0EESZ_EEDaSU_SV_EUlSU_E_NS1_11comp_targetILNS1_3genE10ELNS1_11target_archE1201ELNS1_3gpuE5ELNS1_3repE0EEENS1_30default_config_static_selectorELNS0_4arch9wavefront6targetE1EEEvT1_.kd
    .uniform_work_group_size: 1
    .uses_dynamic_stack: false
    .vgpr_count:     0
    .vgpr_spill_count: 0
    .wavefront_size: 64
  - .agpr_count:     0
    .args:
      - .offset:         0
        .size:           104
        .value_kind:     by_value
    .group_segment_fixed_size: 0
    .kernarg_segment_align: 8
    .kernarg_segment_size: 104
    .language:       OpenCL C
    .language_version:
      - 2
      - 0
    .max_flat_workgroup_size: 256
    .name:           _ZN7rocprim17ROCPRIM_400000_NS6detail17trampoline_kernelINS0_14default_configENS1_20scan_config_selectorIN3c107complexIfEEEEZZNS1_9scan_implILNS1_25lookback_scan_determinismE0ELb0ELb0ES3_PKS7_PS7_S7_ZZZN2at6native31launch_logcumsumexp_cuda_kernelERKNSE_10TensorBaseESI_lENKUlvE_clEvENKUlvE2_clEvEUlS7_S7_E_S7_EEDaPvRmT3_T4_T5_mT6_P12ihipStream_tbENKUlT_T0_E_clISt17integral_constantIbLb0EESZ_EEDaSU_SV_EUlSU_E_NS1_11comp_targetILNS1_3genE10ELNS1_11target_archE1200ELNS1_3gpuE4ELNS1_3repE0EEENS1_30default_config_static_selectorELNS0_4arch9wavefront6targetE1EEEvT1_
    .private_segment_fixed_size: 0
    .sgpr_count:     6
    .sgpr_spill_count: 0
    .symbol:         _ZN7rocprim17ROCPRIM_400000_NS6detail17trampoline_kernelINS0_14default_configENS1_20scan_config_selectorIN3c107complexIfEEEEZZNS1_9scan_implILNS1_25lookback_scan_determinismE0ELb0ELb0ES3_PKS7_PS7_S7_ZZZN2at6native31launch_logcumsumexp_cuda_kernelERKNSE_10TensorBaseESI_lENKUlvE_clEvENKUlvE2_clEvEUlS7_S7_E_S7_EEDaPvRmT3_T4_T5_mT6_P12ihipStream_tbENKUlT_T0_E_clISt17integral_constantIbLb0EESZ_EEDaSU_SV_EUlSU_E_NS1_11comp_targetILNS1_3genE10ELNS1_11target_archE1200ELNS1_3gpuE4ELNS1_3repE0EEENS1_30default_config_static_selectorELNS0_4arch9wavefront6targetE1EEEvT1_.kd
    .uniform_work_group_size: 1
    .uses_dynamic_stack: false
    .vgpr_count:     0
    .vgpr_spill_count: 0
    .wavefront_size: 64
  - .agpr_count:     0
    .args:
      - .offset:         0
        .size:           104
        .value_kind:     by_value
    .group_segment_fixed_size: 0
    .kernarg_segment_align: 8
    .kernarg_segment_size: 104
    .language:       OpenCL C
    .language_version:
      - 2
      - 0
    .max_flat_workgroup_size: 256
    .name:           _ZN7rocprim17ROCPRIM_400000_NS6detail17trampoline_kernelINS0_14default_configENS1_20scan_config_selectorIN3c107complexIfEEEEZZNS1_9scan_implILNS1_25lookback_scan_determinismE0ELb0ELb0ES3_PKS7_PS7_S7_ZZZN2at6native31launch_logcumsumexp_cuda_kernelERKNSE_10TensorBaseESI_lENKUlvE_clEvENKUlvE2_clEvEUlS7_S7_E_S7_EEDaPvRmT3_T4_T5_mT6_P12ihipStream_tbENKUlT_T0_E_clISt17integral_constantIbLb0EESZ_EEDaSU_SV_EUlSU_E_NS1_11comp_targetILNS1_3genE9ELNS1_11target_archE1100ELNS1_3gpuE3ELNS1_3repE0EEENS1_30default_config_static_selectorELNS0_4arch9wavefront6targetE1EEEvT1_
    .private_segment_fixed_size: 0
    .sgpr_count:     6
    .sgpr_spill_count: 0
    .symbol:         _ZN7rocprim17ROCPRIM_400000_NS6detail17trampoline_kernelINS0_14default_configENS1_20scan_config_selectorIN3c107complexIfEEEEZZNS1_9scan_implILNS1_25lookback_scan_determinismE0ELb0ELb0ES3_PKS7_PS7_S7_ZZZN2at6native31launch_logcumsumexp_cuda_kernelERKNSE_10TensorBaseESI_lENKUlvE_clEvENKUlvE2_clEvEUlS7_S7_E_S7_EEDaPvRmT3_T4_T5_mT6_P12ihipStream_tbENKUlT_T0_E_clISt17integral_constantIbLb0EESZ_EEDaSU_SV_EUlSU_E_NS1_11comp_targetILNS1_3genE9ELNS1_11target_archE1100ELNS1_3gpuE3ELNS1_3repE0EEENS1_30default_config_static_selectorELNS0_4arch9wavefront6targetE1EEEvT1_.kd
    .uniform_work_group_size: 1
    .uses_dynamic_stack: false
    .vgpr_count:     0
    .vgpr_spill_count: 0
    .wavefront_size: 64
  - .agpr_count:     0
    .args:
      - .offset:         0
        .size:           104
        .value_kind:     by_value
    .group_segment_fixed_size: 0
    .kernarg_segment_align: 8
    .kernarg_segment_size: 104
    .language:       OpenCL C
    .language_version:
      - 2
      - 0
    .max_flat_workgroup_size: 256
    .name:           _ZN7rocprim17ROCPRIM_400000_NS6detail17trampoline_kernelINS0_14default_configENS1_20scan_config_selectorIN3c107complexIfEEEEZZNS1_9scan_implILNS1_25lookback_scan_determinismE0ELb0ELb0ES3_PKS7_PS7_S7_ZZZN2at6native31launch_logcumsumexp_cuda_kernelERKNSE_10TensorBaseESI_lENKUlvE_clEvENKUlvE2_clEvEUlS7_S7_E_S7_EEDaPvRmT3_T4_T5_mT6_P12ihipStream_tbENKUlT_T0_E_clISt17integral_constantIbLb0EESZ_EEDaSU_SV_EUlSU_E_NS1_11comp_targetILNS1_3genE8ELNS1_11target_archE1030ELNS1_3gpuE2ELNS1_3repE0EEENS1_30default_config_static_selectorELNS0_4arch9wavefront6targetE1EEEvT1_
    .private_segment_fixed_size: 0
    .sgpr_count:     6
    .sgpr_spill_count: 0
    .symbol:         _ZN7rocprim17ROCPRIM_400000_NS6detail17trampoline_kernelINS0_14default_configENS1_20scan_config_selectorIN3c107complexIfEEEEZZNS1_9scan_implILNS1_25lookback_scan_determinismE0ELb0ELb0ES3_PKS7_PS7_S7_ZZZN2at6native31launch_logcumsumexp_cuda_kernelERKNSE_10TensorBaseESI_lENKUlvE_clEvENKUlvE2_clEvEUlS7_S7_E_S7_EEDaPvRmT3_T4_T5_mT6_P12ihipStream_tbENKUlT_T0_E_clISt17integral_constantIbLb0EESZ_EEDaSU_SV_EUlSU_E_NS1_11comp_targetILNS1_3genE8ELNS1_11target_archE1030ELNS1_3gpuE2ELNS1_3repE0EEENS1_30default_config_static_selectorELNS0_4arch9wavefront6targetE1EEEvT1_.kd
    .uniform_work_group_size: 1
    .uses_dynamic_stack: false
    .vgpr_count:     0
    .vgpr_spill_count: 0
    .wavefront_size: 64
  - .agpr_count:     0
    .args:
      - .offset:         0
        .size:           40
        .value_kind:     by_value
    .group_segment_fixed_size: 0
    .kernarg_segment_align: 8
    .kernarg_segment_size: 40
    .language:       OpenCL C
    .language_version:
      - 2
      - 0
    .max_flat_workgroup_size: 128
    .name:           _ZN7rocprim17ROCPRIM_400000_NS6detail17trampoline_kernelINS0_14default_configENS1_25transform_config_selectorIN3c107complexIfEELb1EEEZNS1_14transform_implILb1ES3_S8_PS7_SA_NS0_8identityIS7_EEEE10hipError_tT2_T3_mT4_P12ihipStream_tbEUlT_E_NS1_11comp_targetILNS1_3genE0ELNS1_11target_archE4294967295ELNS1_3gpuE0ELNS1_3repE0EEENS1_30default_config_static_selectorELNS0_4arch9wavefront6targetE1EEEvT1_
    .private_segment_fixed_size: 0
    .sgpr_count:     6
    .sgpr_spill_count: 0
    .symbol:         _ZN7rocprim17ROCPRIM_400000_NS6detail17trampoline_kernelINS0_14default_configENS1_25transform_config_selectorIN3c107complexIfEELb1EEEZNS1_14transform_implILb1ES3_S8_PS7_SA_NS0_8identityIS7_EEEE10hipError_tT2_T3_mT4_P12ihipStream_tbEUlT_E_NS1_11comp_targetILNS1_3genE0ELNS1_11target_archE4294967295ELNS1_3gpuE0ELNS1_3repE0EEENS1_30default_config_static_selectorELNS0_4arch9wavefront6targetE1EEEvT1_.kd
    .uniform_work_group_size: 1
    .uses_dynamic_stack: false
    .vgpr_count:     0
    .vgpr_spill_count: 0
    .wavefront_size: 64
  - .agpr_count:     0
    .args:
      - .offset:         0
        .size:           40
        .value_kind:     by_value
    .group_segment_fixed_size: 0
    .kernarg_segment_align: 8
    .kernarg_segment_size: 40
    .language:       OpenCL C
    .language_version:
      - 2
      - 0
    .max_flat_workgroup_size: 1024
    .name:           _ZN7rocprim17ROCPRIM_400000_NS6detail17trampoline_kernelINS0_14default_configENS1_25transform_config_selectorIN3c107complexIfEELb1EEEZNS1_14transform_implILb1ES3_S8_PS7_SA_NS0_8identityIS7_EEEE10hipError_tT2_T3_mT4_P12ihipStream_tbEUlT_E_NS1_11comp_targetILNS1_3genE10ELNS1_11target_archE1201ELNS1_3gpuE5ELNS1_3repE0EEENS1_30default_config_static_selectorELNS0_4arch9wavefront6targetE1EEEvT1_
    .private_segment_fixed_size: 0
    .sgpr_count:     6
    .sgpr_spill_count: 0
    .symbol:         _ZN7rocprim17ROCPRIM_400000_NS6detail17trampoline_kernelINS0_14default_configENS1_25transform_config_selectorIN3c107complexIfEELb1EEEZNS1_14transform_implILb1ES3_S8_PS7_SA_NS0_8identityIS7_EEEE10hipError_tT2_T3_mT4_P12ihipStream_tbEUlT_E_NS1_11comp_targetILNS1_3genE10ELNS1_11target_archE1201ELNS1_3gpuE5ELNS1_3repE0EEENS1_30default_config_static_selectorELNS0_4arch9wavefront6targetE1EEEvT1_.kd
    .uniform_work_group_size: 1
    .uses_dynamic_stack: false
    .vgpr_count:     0
    .vgpr_spill_count: 0
    .wavefront_size: 64
  - .agpr_count:     0
    .args:
      - .offset:         0
        .size:           40
        .value_kind:     by_value
      - .offset:         40
        .size:           4
        .value_kind:     hidden_block_count_x
      - .offset:         44
        .size:           4
        .value_kind:     hidden_block_count_y
      - .offset:         48
        .size:           4
        .value_kind:     hidden_block_count_z
      - .offset:         52
        .size:           2
        .value_kind:     hidden_group_size_x
      - .offset:         54
        .size:           2
        .value_kind:     hidden_group_size_y
      - .offset:         56
        .size:           2
        .value_kind:     hidden_group_size_z
      - .offset:         58
        .size:           2
        .value_kind:     hidden_remainder_x
      - .offset:         60
        .size:           2
        .value_kind:     hidden_remainder_y
      - .offset:         62
        .size:           2
        .value_kind:     hidden_remainder_z
      - .offset:         80
        .size:           8
        .value_kind:     hidden_global_offset_x
      - .offset:         88
        .size:           8
        .value_kind:     hidden_global_offset_y
      - .offset:         96
        .size:           8
        .value_kind:     hidden_global_offset_z
      - .offset:         104
        .size:           2
        .value_kind:     hidden_grid_dims
    .group_segment_fixed_size: 0
    .kernarg_segment_align: 8
    .kernarg_segment_size: 296
    .language:       OpenCL C
    .language_version:
      - 2
      - 0
    .max_flat_workgroup_size: 512
    .name:           _ZN7rocprim17ROCPRIM_400000_NS6detail17trampoline_kernelINS0_14default_configENS1_25transform_config_selectorIN3c107complexIfEELb1EEEZNS1_14transform_implILb1ES3_S8_PS7_SA_NS0_8identityIS7_EEEE10hipError_tT2_T3_mT4_P12ihipStream_tbEUlT_E_NS1_11comp_targetILNS1_3genE5ELNS1_11target_archE942ELNS1_3gpuE9ELNS1_3repE0EEENS1_30default_config_static_selectorELNS0_4arch9wavefront6targetE1EEEvT1_
    .private_segment_fixed_size: 0
    .sgpr_count:     18
    .sgpr_spill_count: 0
    .symbol:         _ZN7rocprim17ROCPRIM_400000_NS6detail17trampoline_kernelINS0_14default_configENS1_25transform_config_selectorIN3c107complexIfEELb1EEEZNS1_14transform_implILb1ES3_S8_PS7_SA_NS0_8identityIS7_EEEE10hipError_tT2_T3_mT4_P12ihipStream_tbEUlT_E_NS1_11comp_targetILNS1_3genE5ELNS1_11target_archE942ELNS1_3gpuE9ELNS1_3repE0EEENS1_30default_config_static_selectorELNS0_4arch9wavefront6targetE1EEEvT1_.kd
    .uniform_work_group_size: 1
    .uses_dynamic_stack: false
    .vgpr_count:     8
    .vgpr_spill_count: 0
    .wavefront_size: 64
  - .agpr_count:     0
    .args:
      - .offset:         0
        .size:           40
        .value_kind:     by_value
    .group_segment_fixed_size: 0
    .kernarg_segment_align: 8
    .kernarg_segment_size: 40
    .language:       OpenCL C
    .language_version:
      - 2
      - 0
    .max_flat_workgroup_size: 1024
    .name:           _ZN7rocprim17ROCPRIM_400000_NS6detail17trampoline_kernelINS0_14default_configENS1_25transform_config_selectorIN3c107complexIfEELb1EEEZNS1_14transform_implILb1ES3_S8_PS7_SA_NS0_8identityIS7_EEEE10hipError_tT2_T3_mT4_P12ihipStream_tbEUlT_E_NS1_11comp_targetILNS1_3genE4ELNS1_11target_archE910ELNS1_3gpuE8ELNS1_3repE0EEENS1_30default_config_static_selectorELNS0_4arch9wavefront6targetE1EEEvT1_
    .private_segment_fixed_size: 0
    .sgpr_count:     6
    .sgpr_spill_count: 0
    .symbol:         _ZN7rocprim17ROCPRIM_400000_NS6detail17trampoline_kernelINS0_14default_configENS1_25transform_config_selectorIN3c107complexIfEELb1EEEZNS1_14transform_implILb1ES3_S8_PS7_SA_NS0_8identityIS7_EEEE10hipError_tT2_T3_mT4_P12ihipStream_tbEUlT_E_NS1_11comp_targetILNS1_3genE4ELNS1_11target_archE910ELNS1_3gpuE8ELNS1_3repE0EEENS1_30default_config_static_selectorELNS0_4arch9wavefront6targetE1EEEvT1_.kd
    .uniform_work_group_size: 1
    .uses_dynamic_stack: false
    .vgpr_count:     0
    .vgpr_spill_count: 0
    .wavefront_size: 64
  - .agpr_count:     0
    .args:
      - .offset:         0
        .size:           40
        .value_kind:     by_value
    .group_segment_fixed_size: 0
    .kernarg_segment_align: 8
    .kernarg_segment_size: 40
    .language:       OpenCL C
    .language_version:
      - 2
      - 0
    .max_flat_workgroup_size: 128
    .name:           _ZN7rocprim17ROCPRIM_400000_NS6detail17trampoline_kernelINS0_14default_configENS1_25transform_config_selectorIN3c107complexIfEELb1EEEZNS1_14transform_implILb1ES3_S8_PS7_SA_NS0_8identityIS7_EEEE10hipError_tT2_T3_mT4_P12ihipStream_tbEUlT_E_NS1_11comp_targetILNS1_3genE3ELNS1_11target_archE908ELNS1_3gpuE7ELNS1_3repE0EEENS1_30default_config_static_selectorELNS0_4arch9wavefront6targetE1EEEvT1_
    .private_segment_fixed_size: 0
    .sgpr_count:     6
    .sgpr_spill_count: 0
    .symbol:         _ZN7rocprim17ROCPRIM_400000_NS6detail17trampoline_kernelINS0_14default_configENS1_25transform_config_selectorIN3c107complexIfEELb1EEEZNS1_14transform_implILb1ES3_S8_PS7_SA_NS0_8identityIS7_EEEE10hipError_tT2_T3_mT4_P12ihipStream_tbEUlT_E_NS1_11comp_targetILNS1_3genE3ELNS1_11target_archE908ELNS1_3gpuE7ELNS1_3repE0EEENS1_30default_config_static_selectorELNS0_4arch9wavefront6targetE1EEEvT1_.kd
    .uniform_work_group_size: 1
    .uses_dynamic_stack: false
    .vgpr_count:     0
    .vgpr_spill_count: 0
    .wavefront_size: 64
  - .agpr_count:     0
    .args:
      - .offset:         0
        .size:           40
        .value_kind:     by_value
    .group_segment_fixed_size: 0
    .kernarg_segment_align: 8
    .kernarg_segment_size: 40
    .language:       OpenCL C
    .language_version:
      - 2
      - 0
    .max_flat_workgroup_size: 512
    .name:           _ZN7rocprim17ROCPRIM_400000_NS6detail17trampoline_kernelINS0_14default_configENS1_25transform_config_selectorIN3c107complexIfEELb1EEEZNS1_14transform_implILb1ES3_S8_PS7_SA_NS0_8identityIS7_EEEE10hipError_tT2_T3_mT4_P12ihipStream_tbEUlT_E_NS1_11comp_targetILNS1_3genE2ELNS1_11target_archE906ELNS1_3gpuE6ELNS1_3repE0EEENS1_30default_config_static_selectorELNS0_4arch9wavefront6targetE1EEEvT1_
    .private_segment_fixed_size: 0
    .sgpr_count:     6
    .sgpr_spill_count: 0
    .symbol:         _ZN7rocprim17ROCPRIM_400000_NS6detail17trampoline_kernelINS0_14default_configENS1_25transform_config_selectorIN3c107complexIfEELb1EEEZNS1_14transform_implILb1ES3_S8_PS7_SA_NS0_8identityIS7_EEEE10hipError_tT2_T3_mT4_P12ihipStream_tbEUlT_E_NS1_11comp_targetILNS1_3genE2ELNS1_11target_archE906ELNS1_3gpuE6ELNS1_3repE0EEENS1_30default_config_static_selectorELNS0_4arch9wavefront6targetE1EEEvT1_.kd
    .uniform_work_group_size: 1
    .uses_dynamic_stack: false
    .vgpr_count:     0
    .vgpr_spill_count: 0
    .wavefront_size: 64
  - .agpr_count:     0
    .args:
      - .offset:         0
        .size:           40
        .value_kind:     by_value
    .group_segment_fixed_size: 0
    .kernarg_segment_align: 8
    .kernarg_segment_size: 40
    .language:       OpenCL C
    .language_version:
      - 2
      - 0
    .max_flat_workgroup_size: 1024
    .name:           _ZN7rocprim17ROCPRIM_400000_NS6detail17trampoline_kernelINS0_14default_configENS1_25transform_config_selectorIN3c107complexIfEELb1EEEZNS1_14transform_implILb1ES3_S8_PS7_SA_NS0_8identityIS7_EEEE10hipError_tT2_T3_mT4_P12ihipStream_tbEUlT_E_NS1_11comp_targetILNS1_3genE9ELNS1_11target_archE1100ELNS1_3gpuE3ELNS1_3repE0EEENS1_30default_config_static_selectorELNS0_4arch9wavefront6targetE1EEEvT1_
    .private_segment_fixed_size: 0
    .sgpr_count:     6
    .sgpr_spill_count: 0
    .symbol:         _ZN7rocprim17ROCPRIM_400000_NS6detail17trampoline_kernelINS0_14default_configENS1_25transform_config_selectorIN3c107complexIfEELb1EEEZNS1_14transform_implILb1ES3_S8_PS7_SA_NS0_8identityIS7_EEEE10hipError_tT2_T3_mT4_P12ihipStream_tbEUlT_E_NS1_11comp_targetILNS1_3genE9ELNS1_11target_archE1100ELNS1_3gpuE3ELNS1_3repE0EEENS1_30default_config_static_selectorELNS0_4arch9wavefront6targetE1EEEvT1_.kd
    .uniform_work_group_size: 1
    .uses_dynamic_stack: false
    .vgpr_count:     0
    .vgpr_spill_count: 0
    .wavefront_size: 64
  - .agpr_count:     0
    .args:
      - .offset:         0
        .size:           40
        .value_kind:     by_value
    .group_segment_fixed_size: 0
    .kernarg_segment_align: 8
    .kernarg_segment_size: 40
    .language:       OpenCL C
    .language_version:
      - 2
      - 0
    .max_flat_workgroup_size: 1024
    .name:           _ZN7rocprim17ROCPRIM_400000_NS6detail17trampoline_kernelINS0_14default_configENS1_25transform_config_selectorIN3c107complexIfEELb1EEEZNS1_14transform_implILb1ES3_S8_PS7_SA_NS0_8identityIS7_EEEE10hipError_tT2_T3_mT4_P12ihipStream_tbEUlT_E_NS1_11comp_targetILNS1_3genE8ELNS1_11target_archE1030ELNS1_3gpuE2ELNS1_3repE0EEENS1_30default_config_static_selectorELNS0_4arch9wavefront6targetE1EEEvT1_
    .private_segment_fixed_size: 0
    .sgpr_count:     6
    .sgpr_spill_count: 0
    .symbol:         _ZN7rocprim17ROCPRIM_400000_NS6detail17trampoline_kernelINS0_14default_configENS1_25transform_config_selectorIN3c107complexIfEELb1EEEZNS1_14transform_implILb1ES3_S8_PS7_SA_NS0_8identityIS7_EEEE10hipError_tT2_T3_mT4_P12ihipStream_tbEUlT_E_NS1_11comp_targetILNS1_3genE8ELNS1_11target_archE1030ELNS1_3gpuE2ELNS1_3repE0EEENS1_30default_config_static_selectorELNS0_4arch9wavefront6targetE1EEEvT1_.kd
    .uniform_work_group_size: 1
    .uses_dynamic_stack: false
    .vgpr_count:     0
    .vgpr_spill_count: 0
    .wavefront_size: 64
  - .agpr_count:     0
    .args:
      - .offset:         0
        .size:           40
        .value_kind:     by_value
    .group_segment_fixed_size: 0
    .kernarg_segment_align: 8
    .kernarg_segment_size: 40
    .language:       OpenCL C
    .language_version:
      - 2
      - 0
    .max_flat_workgroup_size: 256
    .name:           _ZN7rocprim17ROCPRIM_400000_NS6detail17trampoline_kernelINS0_14default_configENS1_20scan_config_selectorIN3c107complexIfEEEEZZNS1_9scan_implILNS1_25lookback_scan_determinismE0ELb0ELb0ES3_PKS7_PS7_S7_ZZZN2at6native31launch_logcumsumexp_cuda_kernelERKNSE_10TensorBaseESI_lENKUlvE_clEvENKUlvE2_clEvEUlS7_S7_E_S7_EEDaPvRmT3_T4_T5_mT6_P12ihipStream_tbENKUlT_T0_E_clISt17integral_constantIbLb0EESZ_EEDaSU_SV_EUlSU_E0_NS1_11comp_targetILNS1_3genE0ELNS1_11target_archE4294967295ELNS1_3gpuE0ELNS1_3repE0EEENS1_30default_config_static_selectorELNS0_4arch9wavefront6targetE1EEEvT1_
    .private_segment_fixed_size: 0
    .sgpr_count:     6
    .sgpr_spill_count: 0
    .symbol:         _ZN7rocprim17ROCPRIM_400000_NS6detail17trampoline_kernelINS0_14default_configENS1_20scan_config_selectorIN3c107complexIfEEEEZZNS1_9scan_implILNS1_25lookback_scan_determinismE0ELb0ELb0ES3_PKS7_PS7_S7_ZZZN2at6native31launch_logcumsumexp_cuda_kernelERKNSE_10TensorBaseESI_lENKUlvE_clEvENKUlvE2_clEvEUlS7_S7_E_S7_EEDaPvRmT3_T4_T5_mT6_P12ihipStream_tbENKUlT_T0_E_clISt17integral_constantIbLb0EESZ_EEDaSU_SV_EUlSU_E0_NS1_11comp_targetILNS1_3genE0ELNS1_11target_archE4294967295ELNS1_3gpuE0ELNS1_3repE0EEENS1_30default_config_static_selectorELNS0_4arch9wavefront6targetE1EEEvT1_.kd
    .uniform_work_group_size: 1
    .uses_dynamic_stack: false
    .vgpr_count:     0
    .vgpr_spill_count: 0
    .wavefront_size: 64
  - .agpr_count:     0
    .args:
      - .offset:         0
        .size:           40
        .value_kind:     by_value
    .group_segment_fixed_size: 30720
    .kernarg_segment_align: 8
    .kernarg_segment_size: 40
    .language:       OpenCL C
    .language_version:
      - 2
      - 0
    .max_flat_workgroup_size: 256
    .name:           _ZN7rocprim17ROCPRIM_400000_NS6detail17trampoline_kernelINS0_14default_configENS1_20scan_config_selectorIN3c107complexIfEEEEZZNS1_9scan_implILNS1_25lookback_scan_determinismE0ELb0ELb0ES3_PKS7_PS7_S7_ZZZN2at6native31launch_logcumsumexp_cuda_kernelERKNSE_10TensorBaseESI_lENKUlvE_clEvENKUlvE2_clEvEUlS7_S7_E_S7_EEDaPvRmT3_T4_T5_mT6_P12ihipStream_tbENKUlT_T0_E_clISt17integral_constantIbLb0EESZ_EEDaSU_SV_EUlSU_E0_NS1_11comp_targetILNS1_3genE5ELNS1_11target_archE942ELNS1_3gpuE9ELNS1_3repE0EEENS1_30default_config_static_selectorELNS0_4arch9wavefront6targetE1EEEvT1_
    .private_segment_fixed_size: 0
    .sgpr_count:     62
    .sgpr_spill_count: 0
    .symbol:         _ZN7rocprim17ROCPRIM_400000_NS6detail17trampoline_kernelINS0_14default_configENS1_20scan_config_selectorIN3c107complexIfEEEEZZNS1_9scan_implILNS1_25lookback_scan_determinismE0ELb0ELb0ES3_PKS7_PS7_S7_ZZZN2at6native31launch_logcumsumexp_cuda_kernelERKNSE_10TensorBaseESI_lENKUlvE_clEvENKUlvE2_clEvEUlS7_S7_E_S7_EEDaPvRmT3_T4_T5_mT6_P12ihipStream_tbENKUlT_T0_E_clISt17integral_constantIbLb0EESZ_EEDaSU_SV_EUlSU_E0_NS1_11comp_targetILNS1_3genE5ELNS1_11target_archE942ELNS1_3gpuE9ELNS1_3repE0EEENS1_30default_config_static_selectorELNS0_4arch9wavefront6targetE1EEEvT1_.kd
    .uniform_work_group_size: 1
    .uses_dynamic_stack: false
    .vgpr_count:     95
    .vgpr_spill_count: 0
    .wavefront_size: 64
  - .agpr_count:     0
    .args:
      - .offset:         0
        .size:           40
        .value_kind:     by_value
    .group_segment_fixed_size: 0
    .kernarg_segment_align: 8
    .kernarg_segment_size: 40
    .language:       OpenCL C
    .language_version:
      - 2
      - 0
    .max_flat_workgroup_size: 128
    .name:           _ZN7rocprim17ROCPRIM_400000_NS6detail17trampoline_kernelINS0_14default_configENS1_20scan_config_selectorIN3c107complexIfEEEEZZNS1_9scan_implILNS1_25lookback_scan_determinismE0ELb0ELb0ES3_PKS7_PS7_S7_ZZZN2at6native31launch_logcumsumexp_cuda_kernelERKNSE_10TensorBaseESI_lENKUlvE_clEvENKUlvE2_clEvEUlS7_S7_E_S7_EEDaPvRmT3_T4_T5_mT6_P12ihipStream_tbENKUlT_T0_E_clISt17integral_constantIbLb0EESZ_EEDaSU_SV_EUlSU_E0_NS1_11comp_targetILNS1_3genE4ELNS1_11target_archE910ELNS1_3gpuE8ELNS1_3repE0EEENS1_30default_config_static_selectorELNS0_4arch9wavefront6targetE1EEEvT1_
    .private_segment_fixed_size: 0
    .sgpr_count:     6
    .sgpr_spill_count: 0
    .symbol:         _ZN7rocprim17ROCPRIM_400000_NS6detail17trampoline_kernelINS0_14default_configENS1_20scan_config_selectorIN3c107complexIfEEEEZZNS1_9scan_implILNS1_25lookback_scan_determinismE0ELb0ELb0ES3_PKS7_PS7_S7_ZZZN2at6native31launch_logcumsumexp_cuda_kernelERKNSE_10TensorBaseESI_lENKUlvE_clEvENKUlvE2_clEvEUlS7_S7_E_S7_EEDaPvRmT3_T4_T5_mT6_P12ihipStream_tbENKUlT_T0_E_clISt17integral_constantIbLb0EESZ_EEDaSU_SV_EUlSU_E0_NS1_11comp_targetILNS1_3genE4ELNS1_11target_archE910ELNS1_3gpuE8ELNS1_3repE0EEENS1_30default_config_static_selectorELNS0_4arch9wavefront6targetE1EEEvT1_.kd
    .uniform_work_group_size: 1
    .uses_dynamic_stack: false
    .vgpr_count:     0
    .vgpr_spill_count: 0
    .wavefront_size: 64
  - .agpr_count:     0
    .args:
      - .offset:         0
        .size:           40
        .value_kind:     by_value
    .group_segment_fixed_size: 0
    .kernarg_segment_align: 8
    .kernarg_segment_size: 40
    .language:       OpenCL C
    .language_version:
      - 2
      - 0
    .max_flat_workgroup_size: 256
    .name:           _ZN7rocprim17ROCPRIM_400000_NS6detail17trampoline_kernelINS0_14default_configENS1_20scan_config_selectorIN3c107complexIfEEEEZZNS1_9scan_implILNS1_25lookback_scan_determinismE0ELb0ELb0ES3_PKS7_PS7_S7_ZZZN2at6native31launch_logcumsumexp_cuda_kernelERKNSE_10TensorBaseESI_lENKUlvE_clEvENKUlvE2_clEvEUlS7_S7_E_S7_EEDaPvRmT3_T4_T5_mT6_P12ihipStream_tbENKUlT_T0_E_clISt17integral_constantIbLb0EESZ_EEDaSU_SV_EUlSU_E0_NS1_11comp_targetILNS1_3genE3ELNS1_11target_archE908ELNS1_3gpuE7ELNS1_3repE0EEENS1_30default_config_static_selectorELNS0_4arch9wavefront6targetE1EEEvT1_
    .private_segment_fixed_size: 0
    .sgpr_count:     6
    .sgpr_spill_count: 0
    .symbol:         _ZN7rocprim17ROCPRIM_400000_NS6detail17trampoline_kernelINS0_14default_configENS1_20scan_config_selectorIN3c107complexIfEEEEZZNS1_9scan_implILNS1_25lookback_scan_determinismE0ELb0ELb0ES3_PKS7_PS7_S7_ZZZN2at6native31launch_logcumsumexp_cuda_kernelERKNSE_10TensorBaseESI_lENKUlvE_clEvENKUlvE2_clEvEUlS7_S7_E_S7_EEDaPvRmT3_T4_T5_mT6_P12ihipStream_tbENKUlT_T0_E_clISt17integral_constantIbLb0EESZ_EEDaSU_SV_EUlSU_E0_NS1_11comp_targetILNS1_3genE3ELNS1_11target_archE908ELNS1_3gpuE7ELNS1_3repE0EEENS1_30default_config_static_selectorELNS0_4arch9wavefront6targetE1EEEvT1_.kd
    .uniform_work_group_size: 1
    .uses_dynamic_stack: false
    .vgpr_count:     0
    .vgpr_spill_count: 0
    .wavefront_size: 64
  - .agpr_count:     0
    .args:
      - .offset:         0
        .size:           40
        .value_kind:     by_value
    .group_segment_fixed_size: 0
    .kernarg_segment_align: 8
    .kernarg_segment_size: 40
    .language:       OpenCL C
    .language_version:
      - 2
      - 0
    .max_flat_workgroup_size: 64
    .name:           _ZN7rocprim17ROCPRIM_400000_NS6detail17trampoline_kernelINS0_14default_configENS1_20scan_config_selectorIN3c107complexIfEEEEZZNS1_9scan_implILNS1_25lookback_scan_determinismE0ELb0ELb0ES3_PKS7_PS7_S7_ZZZN2at6native31launch_logcumsumexp_cuda_kernelERKNSE_10TensorBaseESI_lENKUlvE_clEvENKUlvE2_clEvEUlS7_S7_E_S7_EEDaPvRmT3_T4_T5_mT6_P12ihipStream_tbENKUlT_T0_E_clISt17integral_constantIbLb0EESZ_EEDaSU_SV_EUlSU_E0_NS1_11comp_targetILNS1_3genE2ELNS1_11target_archE906ELNS1_3gpuE6ELNS1_3repE0EEENS1_30default_config_static_selectorELNS0_4arch9wavefront6targetE1EEEvT1_
    .private_segment_fixed_size: 0
    .sgpr_count:     6
    .sgpr_spill_count: 0
    .symbol:         _ZN7rocprim17ROCPRIM_400000_NS6detail17trampoline_kernelINS0_14default_configENS1_20scan_config_selectorIN3c107complexIfEEEEZZNS1_9scan_implILNS1_25lookback_scan_determinismE0ELb0ELb0ES3_PKS7_PS7_S7_ZZZN2at6native31launch_logcumsumexp_cuda_kernelERKNSE_10TensorBaseESI_lENKUlvE_clEvENKUlvE2_clEvEUlS7_S7_E_S7_EEDaPvRmT3_T4_T5_mT6_P12ihipStream_tbENKUlT_T0_E_clISt17integral_constantIbLb0EESZ_EEDaSU_SV_EUlSU_E0_NS1_11comp_targetILNS1_3genE2ELNS1_11target_archE906ELNS1_3gpuE6ELNS1_3repE0EEENS1_30default_config_static_selectorELNS0_4arch9wavefront6targetE1EEEvT1_.kd
    .uniform_work_group_size: 1
    .uses_dynamic_stack: false
    .vgpr_count:     0
    .vgpr_spill_count: 0
    .wavefront_size: 64
  - .agpr_count:     0
    .args:
      - .offset:         0
        .size:           40
        .value_kind:     by_value
    .group_segment_fixed_size: 0
    .kernarg_segment_align: 8
    .kernarg_segment_size: 40
    .language:       OpenCL C
    .language_version:
      - 2
      - 0
    .max_flat_workgroup_size: 256
    .name:           _ZN7rocprim17ROCPRIM_400000_NS6detail17trampoline_kernelINS0_14default_configENS1_20scan_config_selectorIN3c107complexIfEEEEZZNS1_9scan_implILNS1_25lookback_scan_determinismE0ELb0ELb0ES3_PKS7_PS7_S7_ZZZN2at6native31launch_logcumsumexp_cuda_kernelERKNSE_10TensorBaseESI_lENKUlvE_clEvENKUlvE2_clEvEUlS7_S7_E_S7_EEDaPvRmT3_T4_T5_mT6_P12ihipStream_tbENKUlT_T0_E_clISt17integral_constantIbLb0EESZ_EEDaSU_SV_EUlSU_E0_NS1_11comp_targetILNS1_3genE10ELNS1_11target_archE1201ELNS1_3gpuE5ELNS1_3repE0EEENS1_30default_config_static_selectorELNS0_4arch9wavefront6targetE1EEEvT1_
    .private_segment_fixed_size: 0
    .sgpr_count:     6
    .sgpr_spill_count: 0
    .symbol:         _ZN7rocprim17ROCPRIM_400000_NS6detail17trampoline_kernelINS0_14default_configENS1_20scan_config_selectorIN3c107complexIfEEEEZZNS1_9scan_implILNS1_25lookback_scan_determinismE0ELb0ELb0ES3_PKS7_PS7_S7_ZZZN2at6native31launch_logcumsumexp_cuda_kernelERKNSE_10TensorBaseESI_lENKUlvE_clEvENKUlvE2_clEvEUlS7_S7_E_S7_EEDaPvRmT3_T4_T5_mT6_P12ihipStream_tbENKUlT_T0_E_clISt17integral_constantIbLb0EESZ_EEDaSU_SV_EUlSU_E0_NS1_11comp_targetILNS1_3genE10ELNS1_11target_archE1201ELNS1_3gpuE5ELNS1_3repE0EEENS1_30default_config_static_selectorELNS0_4arch9wavefront6targetE1EEEvT1_.kd
    .uniform_work_group_size: 1
    .uses_dynamic_stack: false
    .vgpr_count:     0
    .vgpr_spill_count: 0
    .wavefront_size: 64
  - .agpr_count:     0
    .args:
      - .offset:         0
        .size:           40
        .value_kind:     by_value
    .group_segment_fixed_size: 0
    .kernarg_segment_align: 8
    .kernarg_segment_size: 40
    .language:       OpenCL C
    .language_version:
      - 2
      - 0
    .max_flat_workgroup_size: 256
    .name:           _ZN7rocprim17ROCPRIM_400000_NS6detail17trampoline_kernelINS0_14default_configENS1_20scan_config_selectorIN3c107complexIfEEEEZZNS1_9scan_implILNS1_25lookback_scan_determinismE0ELb0ELb0ES3_PKS7_PS7_S7_ZZZN2at6native31launch_logcumsumexp_cuda_kernelERKNSE_10TensorBaseESI_lENKUlvE_clEvENKUlvE2_clEvEUlS7_S7_E_S7_EEDaPvRmT3_T4_T5_mT6_P12ihipStream_tbENKUlT_T0_E_clISt17integral_constantIbLb0EESZ_EEDaSU_SV_EUlSU_E0_NS1_11comp_targetILNS1_3genE10ELNS1_11target_archE1200ELNS1_3gpuE4ELNS1_3repE0EEENS1_30default_config_static_selectorELNS0_4arch9wavefront6targetE1EEEvT1_
    .private_segment_fixed_size: 0
    .sgpr_count:     6
    .sgpr_spill_count: 0
    .symbol:         _ZN7rocprim17ROCPRIM_400000_NS6detail17trampoline_kernelINS0_14default_configENS1_20scan_config_selectorIN3c107complexIfEEEEZZNS1_9scan_implILNS1_25lookback_scan_determinismE0ELb0ELb0ES3_PKS7_PS7_S7_ZZZN2at6native31launch_logcumsumexp_cuda_kernelERKNSE_10TensorBaseESI_lENKUlvE_clEvENKUlvE2_clEvEUlS7_S7_E_S7_EEDaPvRmT3_T4_T5_mT6_P12ihipStream_tbENKUlT_T0_E_clISt17integral_constantIbLb0EESZ_EEDaSU_SV_EUlSU_E0_NS1_11comp_targetILNS1_3genE10ELNS1_11target_archE1200ELNS1_3gpuE4ELNS1_3repE0EEENS1_30default_config_static_selectorELNS0_4arch9wavefront6targetE1EEEvT1_.kd
    .uniform_work_group_size: 1
    .uses_dynamic_stack: false
    .vgpr_count:     0
    .vgpr_spill_count: 0
    .wavefront_size: 64
  - .agpr_count:     0
    .args:
      - .offset:         0
        .size:           40
        .value_kind:     by_value
    .group_segment_fixed_size: 0
    .kernarg_segment_align: 8
    .kernarg_segment_size: 40
    .language:       OpenCL C
    .language_version:
      - 2
      - 0
    .max_flat_workgroup_size: 256
    .name:           _ZN7rocprim17ROCPRIM_400000_NS6detail17trampoline_kernelINS0_14default_configENS1_20scan_config_selectorIN3c107complexIfEEEEZZNS1_9scan_implILNS1_25lookback_scan_determinismE0ELb0ELb0ES3_PKS7_PS7_S7_ZZZN2at6native31launch_logcumsumexp_cuda_kernelERKNSE_10TensorBaseESI_lENKUlvE_clEvENKUlvE2_clEvEUlS7_S7_E_S7_EEDaPvRmT3_T4_T5_mT6_P12ihipStream_tbENKUlT_T0_E_clISt17integral_constantIbLb0EESZ_EEDaSU_SV_EUlSU_E0_NS1_11comp_targetILNS1_3genE9ELNS1_11target_archE1100ELNS1_3gpuE3ELNS1_3repE0EEENS1_30default_config_static_selectorELNS0_4arch9wavefront6targetE1EEEvT1_
    .private_segment_fixed_size: 0
    .sgpr_count:     6
    .sgpr_spill_count: 0
    .symbol:         _ZN7rocprim17ROCPRIM_400000_NS6detail17trampoline_kernelINS0_14default_configENS1_20scan_config_selectorIN3c107complexIfEEEEZZNS1_9scan_implILNS1_25lookback_scan_determinismE0ELb0ELb0ES3_PKS7_PS7_S7_ZZZN2at6native31launch_logcumsumexp_cuda_kernelERKNSE_10TensorBaseESI_lENKUlvE_clEvENKUlvE2_clEvEUlS7_S7_E_S7_EEDaPvRmT3_T4_T5_mT6_P12ihipStream_tbENKUlT_T0_E_clISt17integral_constantIbLb0EESZ_EEDaSU_SV_EUlSU_E0_NS1_11comp_targetILNS1_3genE9ELNS1_11target_archE1100ELNS1_3gpuE3ELNS1_3repE0EEENS1_30default_config_static_selectorELNS0_4arch9wavefront6targetE1EEEvT1_.kd
    .uniform_work_group_size: 1
    .uses_dynamic_stack: false
    .vgpr_count:     0
    .vgpr_spill_count: 0
    .wavefront_size: 64
  - .agpr_count:     0
    .args:
      - .offset:         0
        .size:           40
        .value_kind:     by_value
    .group_segment_fixed_size: 0
    .kernarg_segment_align: 8
    .kernarg_segment_size: 40
    .language:       OpenCL C
    .language_version:
      - 2
      - 0
    .max_flat_workgroup_size: 256
    .name:           _ZN7rocprim17ROCPRIM_400000_NS6detail17trampoline_kernelINS0_14default_configENS1_20scan_config_selectorIN3c107complexIfEEEEZZNS1_9scan_implILNS1_25lookback_scan_determinismE0ELb0ELb0ES3_PKS7_PS7_S7_ZZZN2at6native31launch_logcumsumexp_cuda_kernelERKNSE_10TensorBaseESI_lENKUlvE_clEvENKUlvE2_clEvEUlS7_S7_E_S7_EEDaPvRmT3_T4_T5_mT6_P12ihipStream_tbENKUlT_T0_E_clISt17integral_constantIbLb0EESZ_EEDaSU_SV_EUlSU_E0_NS1_11comp_targetILNS1_3genE8ELNS1_11target_archE1030ELNS1_3gpuE2ELNS1_3repE0EEENS1_30default_config_static_selectorELNS0_4arch9wavefront6targetE1EEEvT1_
    .private_segment_fixed_size: 0
    .sgpr_count:     6
    .sgpr_spill_count: 0
    .symbol:         _ZN7rocprim17ROCPRIM_400000_NS6detail17trampoline_kernelINS0_14default_configENS1_20scan_config_selectorIN3c107complexIfEEEEZZNS1_9scan_implILNS1_25lookback_scan_determinismE0ELb0ELb0ES3_PKS7_PS7_S7_ZZZN2at6native31launch_logcumsumexp_cuda_kernelERKNSE_10TensorBaseESI_lENKUlvE_clEvENKUlvE2_clEvEUlS7_S7_E_S7_EEDaPvRmT3_T4_T5_mT6_P12ihipStream_tbENKUlT_T0_E_clISt17integral_constantIbLb0EESZ_EEDaSU_SV_EUlSU_E0_NS1_11comp_targetILNS1_3genE8ELNS1_11target_archE1030ELNS1_3gpuE2ELNS1_3repE0EEENS1_30default_config_static_selectorELNS0_4arch9wavefront6targetE1EEEvT1_.kd
    .uniform_work_group_size: 1
    .uses_dynamic_stack: false
    .vgpr_count:     0
    .vgpr_spill_count: 0
    .wavefront_size: 64
  - .agpr_count:     0
    .args:
      - .address_space:  global
        .offset:         0
        .size:           8
        .value_kind:     global_buffer
      - .offset:         8
        .size:           4
        .value_kind:     by_value
      - .address_space:  global
        .offset:         16
        .size:           8
        .value_kind:     global_buffer
      - .offset:         24
        .size:           4
        .value_kind:     by_value
      - .address_space:  global
        .offset:         32
        .size:           8
        .value_kind:     global_buffer
      - .offset:         40
        .size:           4
        .value_kind:     hidden_block_count_x
      - .offset:         44
        .size:           4
        .value_kind:     hidden_block_count_y
      - .offset:         48
        .size:           4
        .value_kind:     hidden_block_count_z
      - .offset:         52
        .size:           2
        .value_kind:     hidden_group_size_x
      - .offset:         54
        .size:           2
        .value_kind:     hidden_group_size_y
      - .offset:         56
        .size:           2
        .value_kind:     hidden_group_size_z
      - .offset:         58
        .size:           2
        .value_kind:     hidden_remainder_x
      - .offset:         60
        .size:           2
        .value_kind:     hidden_remainder_y
      - .offset:         62
        .size:           2
        .value_kind:     hidden_remainder_z
      - .offset:         80
        .size:           8
        .value_kind:     hidden_global_offset_x
      - .offset:         88
        .size:           8
        .value_kind:     hidden_global_offset_y
      - .offset:         96
        .size:           8
        .value_kind:     hidden_global_offset_z
      - .offset:         104
        .size:           2
        .value_kind:     hidden_grid_dims
    .group_segment_fixed_size: 0
    .kernarg_segment_align: 8
    .kernarg_segment_size: 296
    .language:       OpenCL C
    .language_version:
      - 2
      - 0
    .max_flat_workgroup_size: 256
    .name:           _ZN7rocprim17ROCPRIM_400000_NS6detail31init_lookback_scan_state_kernelINS1_19lookback_scan_stateIN3c107complexIfEELb1ELb1EEENS1_16block_id_wrapperIjLb1EEEEEvT_jT0_jPNSA_10value_typeE
    .private_segment_fixed_size: 0
    .sgpr_count:     22
    .sgpr_spill_count: 0
    .symbol:         _ZN7rocprim17ROCPRIM_400000_NS6detail31init_lookback_scan_state_kernelINS1_19lookback_scan_stateIN3c107complexIfEELb1ELb1EEENS1_16block_id_wrapperIjLb1EEEEEvT_jT0_jPNSA_10value_typeE.kd
    .uniform_work_group_size: 1
    .uses_dynamic_stack: false
    .vgpr_count:     10
    .vgpr_spill_count: 0
    .wavefront_size: 64
  - .agpr_count:     0
    .args:
      - .offset:         0
        .size:           104
        .value_kind:     by_value
    .group_segment_fixed_size: 0
    .kernarg_segment_align: 8
    .kernarg_segment_size: 104
    .language:       OpenCL C
    .language_version:
      - 2
      - 0
    .max_flat_workgroup_size: 256
    .name:           _ZN7rocprim17ROCPRIM_400000_NS6detail17trampoline_kernelINS0_14default_configENS1_20scan_config_selectorIN3c107complexIfEEEEZZNS1_9scan_implILNS1_25lookback_scan_determinismE0ELb0ELb0ES3_PKS7_PS7_S7_ZZZN2at6native31launch_logcumsumexp_cuda_kernelERKNSE_10TensorBaseESI_lENKUlvE_clEvENKUlvE2_clEvEUlS7_S7_E_S7_EEDaPvRmT3_T4_T5_mT6_P12ihipStream_tbENKUlT_T0_E_clISt17integral_constantIbLb1EESZ_EEDaSU_SV_EUlSU_E_NS1_11comp_targetILNS1_3genE0ELNS1_11target_archE4294967295ELNS1_3gpuE0ELNS1_3repE0EEENS1_30default_config_static_selectorELNS0_4arch9wavefront6targetE1EEEvT1_
    .private_segment_fixed_size: 0
    .sgpr_count:     6
    .sgpr_spill_count: 0
    .symbol:         _ZN7rocprim17ROCPRIM_400000_NS6detail17trampoline_kernelINS0_14default_configENS1_20scan_config_selectorIN3c107complexIfEEEEZZNS1_9scan_implILNS1_25lookback_scan_determinismE0ELb0ELb0ES3_PKS7_PS7_S7_ZZZN2at6native31launch_logcumsumexp_cuda_kernelERKNSE_10TensorBaseESI_lENKUlvE_clEvENKUlvE2_clEvEUlS7_S7_E_S7_EEDaPvRmT3_T4_T5_mT6_P12ihipStream_tbENKUlT_T0_E_clISt17integral_constantIbLb1EESZ_EEDaSU_SV_EUlSU_E_NS1_11comp_targetILNS1_3genE0ELNS1_11target_archE4294967295ELNS1_3gpuE0ELNS1_3repE0EEENS1_30default_config_static_selectorELNS0_4arch9wavefront6targetE1EEEvT1_.kd
    .uniform_work_group_size: 1
    .uses_dynamic_stack: false
    .vgpr_count:     0
    .vgpr_spill_count: 0
    .wavefront_size: 64
  - .agpr_count:     0
    .args:
      - .offset:         0
        .size:           104
        .value_kind:     by_value
    .group_segment_fixed_size: 30720
    .kernarg_segment_align: 8
    .kernarg_segment_size: 104
    .language:       OpenCL C
    .language_version:
      - 2
      - 0
    .max_flat_workgroup_size: 256
    .name:           _ZN7rocprim17ROCPRIM_400000_NS6detail17trampoline_kernelINS0_14default_configENS1_20scan_config_selectorIN3c107complexIfEEEEZZNS1_9scan_implILNS1_25lookback_scan_determinismE0ELb0ELb0ES3_PKS7_PS7_S7_ZZZN2at6native31launch_logcumsumexp_cuda_kernelERKNSE_10TensorBaseESI_lENKUlvE_clEvENKUlvE2_clEvEUlS7_S7_E_S7_EEDaPvRmT3_T4_T5_mT6_P12ihipStream_tbENKUlT_T0_E_clISt17integral_constantIbLb1EESZ_EEDaSU_SV_EUlSU_E_NS1_11comp_targetILNS1_3genE5ELNS1_11target_archE942ELNS1_3gpuE9ELNS1_3repE0EEENS1_30default_config_static_selectorELNS0_4arch9wavefront6targetE1EEEvT1_
    .private_segment_fixed_size: 0
    .sgpr_count:     65
    .sgpr_spill_count: 0
    .symbol:         _ZN7rocprim17ROCPRIM_400000_NS6detail17trampoline_kernelINS0_14default_configENS1_20scan_config_selectorIN3c107complexIfEEEEZZNS1_9scan_implILNS1_25lookback_scan_determinismE0ELb0ELb0ES3_PKS7_PS7_S7_ZZZN2at6native31launch_logcumsumexp_cuda_kernelERKNSE_10TensorBaseESI_lENKUlvE_clEvENKUlvE2_clEvEUlS7_S7_E_S7_EEDaPvRmT3_T4_T5_mT6_P12ihipStream_tbENKUlT_T0_E_clISt17integral_constantIbLb1EESZ_EEDaSU_SV_EUlSU_E_NS1_11comp_targetILNS1_3genE5ELNS1_11target_archE942ELNS1_3gpuE9ELNS1_3repE0EEENS1_30default_config_static_selectorELNS0_4arch9wavefront6targetE1EEEvT1_.kd
    .uniform_work_group_size: 1
    .uses_dynamic_stack: false
    .vgpr_count:     97
    .vgpr_spill_count: 0
    .wavefront_size: 64
  - .agpr_count:     0
    .args:
      - .offset:         0
        .size:           104
        .value_kind:     by_value
    .group_segment_fixed_size: 0
    .kernarg_segment_align: 8
    .kernarg_segment_size: 104
    .language:       OpenCL C
    .language_version:
      - 2
      - 0
    .max_flat_workgroup_size: 128
    .name:           _ZN7rocprim17ROCPRIM_400000_NS6detail17trampoline_kernelINS0_14default_configENS1_20scan_config_selectorIN3c107complexIfEEEEZZNS1_9scan_implILNS1_25lookback_scan_determinismE0ELb0ELb0ES3_PKS7_PS7_S7_ZZZN2at6native31launch_logcumsumexp_cuda_kernelERKNSE_10TensorBaseESI_lENKUlvE_clEvENKUlvE2_clEvEUlS7_S7_E_S7_EEDaPvRmT3_T4_T5_mT6_P12ihipStream_tbENKUlT_T0_E_clISt17integral_constantIbLb1EESZ_EEDaSU_SV_EUlSU_E_NS1_11comp_targetILNS1_3genE4ELNS1_11target_archE910ELNS1_3gpuE8ELNS1_3repE0EEENS1_30default_config_static_selectorELNS0_4arch9wavefront6targetE1EEEvT1_
    .private_segment_fixed_size: 0
    .sgpr_count:     6
    .sgpr_spill_count: 0
    .symbol:         _ZN7rocprim17ROCPRIM_400000_NS6detail17trampoline_kernelINS0_14default_configENS1_20scan_config_selectorIN3c107complexIfEEEEZZNS1_9scan_implILNS1_25lookback_scan_determinismE0ELb0ELb0ES3_PKS7_PS7_S7_ZZZN2at6native31launch_logcumsumexp_cuda_kernelERKNSE_10TensorBaseESI_lENKUlvE_clEvENKUlvE2_clEvEUlS7_S7_E_S7_EEDaPvRmT3_T4_T5_mT6_P12ihipStream_tbENKUlT_T0_E_clISt17integral_constantIbLb1EESZ_EEDaSU_SV_EUlSU_E_NS1_11comp_targetILNS1_3genE4ELNS1_11target_archE910ELNS1_3gpuE8ELNS1_3repE0EEENS1_30default_config_static_selectorELNS0_4arch9wavefront6targetE1EEEvT1_.kd
    .uniform_work_group_size: 1
    .uses_dynamic_stack: false
    .vgpr_count:     0
    .vgpr_spill_count: 0
    .wavefront_size: 64
  - .agpr_count:     0
    .args:
      - .offset:         0
        .size:           104
        .value_kind:     by_value
    .group_segment_fixed_size: 0
    .kernarg_segment_align: 8
    .kernarg_segment_size: 104
    .language:       OpenCL C
    .language_version:
      - 2
      - 0
    .max_flat_workgroup_size: 256
    .name:           _ZN7rocprim17ROCPRIM_400000_NS6detail17trampoline_kernelINS0_14default_configENS1_20scan_config_selectorIN3c107complexIfEEEEZZNS1_9scan_implILNS1_25lookback_scan_determinismE0ELb0ELb0ES3_PKS7_PS7_S7_ZZZN2at6native31launch_logcumsumexp_cuda_kernelERKNSE_10TensorBaseESI_lENKUlvE_clEvENKUlvE2_clEvEUlS7_S7_E_S7_EEDaPvRmT3_T4_T5_mT6_P12ihipStream_tbENKUlT_T0_E_clISt17integral_constantIbLb1EESZ_EEDaSU_SV_EUlSU_E_NS1_11comp_targetILNS1_3genE3ELNS1_11target_archE908ELNS1_3gpuE7ELNS1_3repE0EEENS1_30default_config_static_selectorELNS0_4arch9wavefront6targetE1EEEvT1_
    .private_segment_fixed_size: 0
    .sgpr_count:     6
    .sgpr_spill_count: 0
    .symbol:         _ZN7rocprim17ROCPRIM_400000_NS6detail17trampoline_kernelINS0_14default_configENS1_20scan_config_selectorIN3c107complexIfEEEEZZNS1_9scan_implILNS1_25lookback_scan_determinismE0ELb0ELb0ES3_PKS7_PS7_S7_ZZZN2at6native31launch_logcumsumexp_cuda_kernelERKNSE_10TensorBaseESI_lENKUlvE_clEvENKUlvE2_clEvEUlS7_S7_E_S7_EEDaPvRmT3_T4_T5_mT6_P12ihipStream_tbENKUlT_T0_E_clISt17integral_constantIbLb1EESZ_EEDaSU_SV_EUlSU_E_NS1_11comp_targetILNS1_3genE3ELNS1_11target_archE908ELNS1_3gpuE7ELNS1_3repE0EEENS1_30default_config_static_selectorELNS0_4arch9wavefront6targetE1EEEvT1_.kd
    .uniform_work_group_size: 1
    .uses_dynamic_stack: false
    .vgpr_count:     0
    .vgpr_spill_count: 0
    .wavefront_size: 64
  - .agpr_count:     0
    .args:
      - .offset:         0
        .size:           104
        .value_kind:     by_value
    .group_segment_fixed_size: 0
    .kernarg_segment_align: 8
    .kernarg_segment_size: 104
    .language:       OpenCL C
    .language_version:
      - 2
      - 0
    .max_flat_workgroup_size: 64
    .name:           _ZN7rocprim17ROCPRIM_400000_NS6detail17trampoline_kernelINS0_14default_configENS1_20scan_config_selectorIN3c107complexIfEEEEZZNS1_9scan_implILNS1_25lookback_scan_determinismE0ELb0ELb0ES3_PKS7_PS7_S7_ZZZN2at6native31launch_logcumsumexp_cuda_kernelERKNSE_10TensorBaseESI_lENKUlvE_clEvENKUlvE2_clEvEUlS7_S7_E_S7_EEDaPvRmT3_T4_T5_mT6_P12ihipStream_tbENKUlT_T0_E_clISt17integral_constantIbLb1EESZ_EEDaSU_SV_EUlSU_E_NS1_11comp_targetILNS1_3genE2ELNS1_11target_archE906ELNS1_3gpuE6ELNS1_3repE0EEENS1_30default_config_static_selectorELNS0_4arch9wavefront6targetE1EEEvT1_
    .private_segment_fixed_size: 0
    .sgpr_count:     6
    .sgpr_spill_count: 0
    .symbol:         _ZN7rocprim17ROCPRIM_400000_NS6detail17trampoline_kernelINS0_14default_configENS1_20scan_config_selectorIN3c107complexIfEEEEZZNS1_9scan_implILNS1_25lookback_scan_determinismE0ELb0ELb0ES3_PKS7_PS7_S7_ZZZN2at6native31launch_logcumsumexp_cuda_kernelERKNSE_10TensorBaseESI_lENKUlvE_clEvENKUlvE2_clEvEUlS7_S7_E_S7_EEDaPvRmT3_T4_T5_mT6_P12ihipStream_tbENKUlT_T0_E_clISt17integral_constantIbLb1EESZ_EEDaSU_SV_EUlSU_E_NS1_11comp_targetILNS1_3genE2ELNS1_11target_archE906ELNS1_3gpuE6ELNS1_3repE0EEENS1_30default_config_static_selectorELNS0_4arch9wavefront6targetE1EEEvT1_.kd
    .uniform_work_group_size: 1
    .uses_dynamic_stack: false
    .vgpr_count:     0
    .vgpr_spill_count: 0
    .wavefront_size: 64
  - .agpr_count:     0
    .args:
      - .offset:         0
        .size:           104
        .value_kind:     by_value
    .group_segment_fixed_size: 0
    .kernarg_segment_align: 8
    .kernarg_segment_size: 104
    .language:       OpenCL C
    .language_version:
      - 2
      - 0
    .max_flat_workgroup_size: 256
    .name:           _ZN7rocprim17ROCPRIM_400000_NS6detail17trampoline_kernelINS0_14default_configENS1_20scan_config_selectorIN3c107complexIfEEEEZZNS1_9scan_implILNS1_25lookback_scan_determinismE0ELb0ELb0ES3_PKS7_PS7_S7_ZZZN2at6native31launch_logcumsumexp_cuda_kernelERKNSE_10TensorBaseESI_lENKUlvE_clEvENKUlvE2_clEvEUlS7_S7_E_S7_EEDaPvRmT3_T4_T5_mT6_P12ihipStream_tbENKUlT_T0_E_clISt17integral_constantIbLb1EESZ_EEDaSU_SV_EUlSU_E_NS1_11comp_targetILNS1_3genE10ELNS1_11target_archE1201ELNS1_3gpuE5ELNS1_3repE0EEENS1_30default_config_static_selectorELNS0_4arch9wavefront6targetE1EEEvT1_
    .private_segment_fixed_size: 0
    .sgpr_count:     6
    .sgpr_spill_count: 0
    .symbol:         _ZN7rocprim17ROCPRIM_400000_NS6detail17trampoline_kernelINS0_14default_configENS1_20scan_config_selectorIN3c107complexIfEEEEZZNS1_9scan_implILNS1_25lookback_scan_determinismE0ELb0ELb0ES3_PKS7_PS7_S7_ZZZN2at6native31launch_logcumsumexp_cuda_kernelERKNSE_10TensorBaseESI_lENKUlvE_clEvENKUlvE2_clEvEUlS7_S7_E_S7_EEDaPvRmT3_T4_T5_mT6_P12ihipStream_tbENKUlT_T0_E_clISt17integral_constantIbLb1EESZ_EEDaSU_SV_EUlSU_E_NS1_11comp_targetILNS1_3genE10ELNS1_11target_archE1201ELNS1_3gpuE5ELNS1_3repE0EEENS1_30default_config_static_selectorELNS0_4arch9wavefront6targetE1EEEvT1_.kd
    .uniform_work_group_size: 1
    .uses_dynamic_stack: false
    .vgpr_count:     0
    .vgpr_spill_count: 0
    .wavefront_size: 64
  - .agpr_count:     0
    .args:
      - .offset:         0
        .size:           104
        .value_kind:     by_value
    .group_segment_fixed_size: 0
    .kernarg_segment_align: 8
    .kernarg_segment_size: 104
    .language:       OpenCL C
    .language_version:
      - 2
      - 0
    .max_flat_workgroup_size: 256
    .name:           _ZN7rocprim17ROCPRIM_400000_NS6detail17trampoline_kernelINS0_14default_configENS1_20scan_config_selectorIN3c107complexIfEEEEZZNS1_9scan_implILNS1_25lookback_scan_determinismE0ELb0ELb0ES3_PKS7_PS7_S7_ZZZN2at6native31launch_logcumsumexp_cuda_kernelERKNSE_10TensorBaseESI_lENKUlvE_clEvENKUlvE2_clEvEUlS7_S7_E_S7_EEDaPvRmT3_T4_T5_mT6_P12ihipStream_tbENKUlT_T0_E_clISt17integral_constantIbLb1EESZ_EEDaSU_SV_EUlSU_E_NS1_11comp_targetILNS1_3genE10ELNS1_11target_archE1200ELNS1_3gpuE4ELNS1_3repE0EEENS1_30default_config_static_selectorELNS0_4arch9wavefront6targetE1EEEvT1_
    .private_segment_fixed_size: 0
    .sgpr_count:     6
    .sgpr_spill_count: 0
    .symbol:         _ZN7rocprim17ROCPRIM_400000_NS6detail17trampoline_kernelINS0_14default_configENS1_20scan_config_selectorIN3c107complexIfEEEEZZNS1_9scan_implILNS1_25lookback_scan_determinismE0ELb0ELb0ES3_PKS7_PS7_S7_ZZZN2at6native31launch_logcumsumexp_cuda_kernelERKNSE_10TensorBaseESI_lENKUlvE_clEvENKUlvE2_clEvEUlS7_S7_E_S7_EEDaPvRmT3_T4_T5_mT6_P12ihipStream_tbENKUlT_T0_E_clISt17integral_constantIbLb1EESZ_EEDaSU_SV_EUlSU_E_NS1_11comp_targetILNS1_3genE10ELNS1_11target_archE1200ELNS1_3gpuE4ELNS1_3repE0EEENS1_30default_config_static_selectorELNS0_4arch9wavefront6targetE1EEEvT1_.kd
    .uniform_work_group_size: 1
    .uses_dynamic_stack: false
    .vgpr_count:     0
    .vgpr_spill_count: 0
    .wavefront_size: 64
  - .agpr_count:     0
    .args:
      - .offset:         0
        .size:           104
        .value_kind:     by_value
    .group_segment_fixed_size: 0
    .kernarg_segment_align: 8
    .kernarg_segment_size: 104
    .language:       OpenCL C
    .language_version:
      - 2
      - 0
    .max_flat_workgroup_size: 256
    .name:           _ZN7rocprim17ROCPRIM_400000_NS6detail17trampoline_kernelINS0_14default_configENS1_20scan_config_selectorIN3c107complexIfEEEEZZNS1_9scan_implILNS1_25lookback_scan_determinismE0ELb0ELb0ES3_PKS7_PS7_S7_ZZZN2at6native31launch_logcumsumexp_cuda_kernelERKNSE_10TensorBaseESI_lENKUlvE_clEvENKUlvE2_clEvEUlS7_S7_E_S7_EEDaPvRmT3_T4_T5_mT6_P12ihipStream_tbENKUlT_T0_E_clISt17integral_constantIbLb1EESZ_EEDaSU_SV_EUlSU_E_NS1_11comp_targetILNS1_3genE9ELNS1_11target_archE1100ELNS1_3gpuE3ELNS1_3repE0EEENS1_30default_config_static_selectorELNS0_4arch9wavefront6targetE1EEEvT1_
    .private_segment_fixed_size: 0
    .sgpr_count:     6
    .sgpr_spill_count: 0
    .symbol:         _ZN7rocprim17ROCPRIM_400000_NS6detail17trampoline_kernelINS0_14default_configENS1_20scan_config_selectorIN3c107complexIfEEEEZZNS1_9scan_implILNS1_25lookback_scan_determinismE0ELb0ELb0ES3_PKS7_PS7_S7_ZZZN2at6native31launch_logcumsumexp_cuda_kernelERKNSE_10TensorBaseESI_lENKUlvE_clEvENKUlvE2_clEvEUlS7_S7_E_S7_EEDaPvRmT3_T4_T5_mT6_P12ihipStream_tbENKUlT_T0_E_clISt17integral_constantIbLb1EESZ_EEDaSU_SV_EUlSU_E_NS1_11comp_targetILNS1_3genE9ELNS1_11target_archE1100ELNS1_3gpuE3ELNS1_3repE0EEENS1_30default_config_static_selectorELNS0_4arch9wavefront6targetE1EEEvT1_.kd
    .uniform_work_group_size: 1
    .uses_dynamic_stack: false
    .vgpr_count:     0
    .vgpr_spill_count: 0
    .wavefront_size: 64
  - .agpr_count:     0
    .args:
      - .offset:         0
        .size:           104
        .value_kind:     by_value
    .group_segment_fixed_size: 0
    .kernarg_segment_align: 8
    .kernarg_segment_size: 104
    .language:       OpenCL C
    .language_version:
      - 2
      - 0
    .max_flat_workgroup_size: 256
    .name:           _ZN7rocprim17ROCPRIM_400000_NS6detail17trampoline_kernelINS0_14default_configENS1_20scan_config_selectorIN3c107complexIfEEEEZZNS1_9scan_implILNS1_25lookback_scan_determinismE0ELb0ELb0ES3_PKS7_PS7_S7_ZZZN2at6native31launch_logcumsumexp_cuda_kernelERKNSE_10TensorBaseESI_lENKUlvE_clEvENKUlvE2_clEvEUlS7_S7_E_S7_EEDaPvRmT3_T4_T5_mT6_P12ihipStream_tbENKUlT_T0_E_clISt17integral_constantIbLb1EESZ_EEDaSU_SV_EUlSU_E_NS1_11comp_targetILNS1_3genE8ELNS1_11target_archE1030ELNS1_3gpuE2ELNS1_3repE0EEENS1_30default_config_static_selectorELNS0_4arch9wavefront6targetE1EEEvT1_
    .private_segment_fixed_size: 0
    .sgpr_count:     6
    .sgpr_spill_count: 0
    .symbol:         _ZN7rocprim17ROCPRIM_400000_NS6detail17trampoline_kernelINS0_14default_configENS1_20scan_config_selectorIN3c107complexIfEEEEZZNS1_9scan_implILNS1_25lookback_scan_determinismE0ELb0ELb0ES3_PKS7_PS7_S7_ZZZN2at6native31launch_logcumsumexp_cuda_kernelERKNSE_10TensorBaseESI_lENKUlvE_clEvENKUlvE2_clEvEUlS7_S7_E_S7_EEDaPvRmT3_T4_T5_mT6_P12ihipStream_tbENKUlT_T0_E_clISt17integral_constantIbLb1EESZ_EEDaSU_SV_EUlSU_E_NS1_11comp_targetILNS1_3genE8ELNS1_11target_archE1030ELNS1_3gpuE2ELNS1_3repE0EEENS1_30default_config_static_selectorELNS0_4arch9wavefront6targetE1EEEvT1_.kd
    .uniform_work_group_size: 1
    .uses_dynamic_stack: false
    .vgpr_count:     0
    .vgpr_spill_count: 0
    .wavefront_size: 64
  - .agpr_count:     0
    .args:
      - .offset:         0
        .size:           40
        .value_kind:     by_value
    .group_segment_fixed_size: 0
    .kernarg_segment_align: 8
    .kernarg_segment_size: 40
    .language:       OpenCL C
    .language_version:
      - 2
      - 0
    .max_flat_workgroup_size: 256
    .name:           _ZN7rocprim17ROCPRIM_400000_NS6detail17trampoline_kernelINS0_14default_configENS1_20scan_config_selectorIN3c107complexIfEEEEZZNS1_9scan_implILNS1_25lookback_scan_determinismE0ELb0ELb0ES3_PKS7_PS7_S7_ZZZN2at6native31launch_logcumsumexp_cuda_kernelERKNSE_10TensorBaseESI_lENKUlvE_clEvENKUlvE2_clEvEUlS7_S7_E_S7_EEDaPvRmT3_T4_T5_mT6_P12ihipStream_tbENKUlT_T0_E_clISt17integral_constantIbLb1EESZ_EEDaSU_SV_EUlSU_E0_NS1_11comp_targetILNS1_3genE0ELNS1_11target_archE4294967295ELNS1_3gpuE0ELNS1_3repE0EEENS1_30default_config_static_selectorELNS0_4arch9wavefront6targetE1EEEvT1_
    .private_segment_fixed_size: 0
    .sgpr_count:     6
    .sgpr_spill_count: 0
    .symbol:         _ZN7rocprim17ROCPRIM_400000_NS6detail17trampoline_kernelINS0_14default_configENS1_20scan_config_selectorIN3c107complexIfEEEEZZNS1_9scan_implILNS1_25lookback_scan_determinismE0ELb0ELb0ES3_PKS7_PS7_S7_ZZZN2at6native31launch_logcumsumexp_cuda_kernelERKNSE_10TensorBaseESI_lENKUlvE_clEvENKUlvE2_clEvEUlS7_S7_E_S7_EEDaPvRmT3_T4_T5_mT6_P12ihipStream_tbENKUlT_T0_E_clISt17integral_constantIbLb1EESZ_EEDaSU_SV_EUlSU_E0_NS1_11comp_targetILNS1_3genE0ELNS1_11target_archE4294967295ELNS1_3gpuE0ELNS1_3repE0EEENS1_30default_config_static_selectorELNS0_4arch9wavefront6targetE1EEEvT1_.kd
    .uniform_work_group_size: 1
    .uses_dynamic_stack: false
    .vgpr_count:     0
    .vgpr_spill_count: 0
    .wavefront_size: 64
  - .agpr_count:     0
    .args:
      - .offset:         0
        .size:           40
        .value_kind:     by_value
    .group_segment_fixed_size: 30720
    .kernarg_segment_align: 8
    .kernarg_segment_size: 40
    .language:       OpenCL C
    .language_version:
      - 2
      - 0
    .max_flat_workgroup_size: 256
    .name:           _ZN7rocprim17ROCPRIM_400000_NS6detail17trampoline_kernelINS0_14default_configENS1_20scan_config_selectorIN3c107complexIfEEEEZZNS1_9scan_implILNS1_25lookback_scan_determinismE0ELb0ELb0ES3_PKS7_PS7_S7_ZZZN2at6native31launch_logcumsumexp_cuda_kernelERKNSE_10TensorBaseESI_lENKUlvE_clEvENKUlvE2_clEvEUlS7_S7_E_S7_EEDaPvRmT3_T4_T5_mT6_P12ihipStream_tbENKUlT_T0_E_clISt17integral_constantIbLb1EESZ_EEDaSU_SV_EUlSU_E0_NS1_11comp_targetILNS1_3genE5ELNS1_11target_archE942ELNS1_3gpuE9ELNS1_3repE0EEENS1_30default_config_static_selectorELNS0_4arch9wavefront6targetE1EEEvT1_
    .private_segment_fixed_size: 0
    .sgpr_count:     62
    .sgpr_spill_count: 0
    .symbol:         _ZN7rocprim17ROCPRIM_400000_NS6detail17trampoline_kernelINS0_14default_configENS1_20scan_config_selectorIN3c107complexIfEEEEZZNS1_9scan_implILNS1_25lookback_scan_determinismE0ELb0ELb0ES3_PKS7_PS7_S7_ZZZN2at6native31launch_logcumsumexp_cuda_kernelERKNSE_10TensorBaseESI_lENKUlvE_clEvENKUlvE2_clEvEUlS7_S7_E_S7_EEDaPvRmT3_T4_T5_mT6_P12ihipStream_tbENKUlT_T0_E_clISt17integral_constantIbLb1EESZ_EEDaSU_SV_EUlSU_E0_NS1_11comp_targetILNS1_3genE5ELNS1_11target_archE942ELNS1_3gpuE9ELNS1_3repE0EEENS1_30default_config_static_selectorELNS0_4arch9wavefront6targetE1EEEvT1_.kd
    .uniform_work_group_size: 1
    .uses_dynamic_stack: false
    .vgpr_count:     95
    .vgpr_spill_count: 0
    .wavefront_size: 64
  - .agpr_count:     0
    .args:
      - .offset:         0
        .size:           40
        .value_kind:     by_value
    .group_segment_fixed_size: 0
    .kernarg_segment_align: 8
    .kernarg_segment_size: 40
    .language:       OpenCL C
    .language_version:
      - 2
      - 0
    .max_flat_workgroup_size: 128
    .name:           _ZN7rocprim17ROCPRIM_400000_NS6detail17trampoline_kernelINS0_14default_configENS1_20scan_config_selectorIN3c107complexIfEEEEZZNS1_9scan_implILNS1_25lookback_scan_determinismE0ELb0ELb0ES3_PKS7_PS7_S7_ZZZN2at6native31launch_logcumsumexp_cuda_kernelERKNSE_10TensorBaseESI_lENKUlvE_clEvENKUlvE2_clEvEUlS7_S7_E_S7_EEDaPvRmT3_T4_T5_mT6_P12ihipStream_tbENKUlT_T0_E_clISt17integral_constantIbLb1EESZ_EEDaSU_SV_EUlSU_E0_NS1_11comp_targetILNS1_3genE4ELNS1_11target_archE910ELNS1_3gpuE8ELNS1_3repE0EEENS1_30default_config_static_selectorELNS0_4arch9wavefront6targetE1EEEvT1_
    .private_segment_fixed_size: 0
    .sgpr_count:     6
    .sgpr_spill_count: 0
    .symbol:         _ZN7rocprim17ROCPRIM_400000_NS6detail17trampoline_kernelINS0_14default_configENS1_20scan_config_selectorIN3c107complexIfEEEEZZNS1_9scan_implILNS1_25lookback_scan_determinismE0ELb0ELb0ES3_PKS7_PS7_S7_ZZZN2at6native31launch_logcumsumexp_cuda_kernelERKNSE_10TensorBaseESI_lENKUlvE_clEvENKUlvE2_clEvEUlS7_S7_E_S7_EEDaPvRmT3_T4_T5_mT6_P12ihipStream_tbENKUlT_T0_E_clISt17integral_constantIbLb1EESZ_EEDaSU_SV_EUlSU_E0_NS1_11comp_targetILNS1_3genE4ELNS1_11target_archE910ELNS1_3gpuE8ELNS1_3repE0EEENS1_30default_config_static_selectorELNS0_4arch9wavefront6targetE1EEEvT1_.kd
    .uniform_work_group_size: 1
    .uses_dynamic_stack: false
    .vgpr_count:     0
    .vgpr_spill_count: 0
    .wavefront_size: 64
  - .agpr_count:     0
    .args:
      - .offset:         0
        .size:           40
        .value_kind:     by_value
    .group_segment_fixed_size: 0
    .kernarg_segment_align: 8
    .kernarg_segment_size: 40
    .language:       OpenCL C
    .language_version:
      - 2
      - 0
    .max_flat_workgroup_size: 256
    .name:           _ZN7rocprim17ROCPRIM_400000_NS6detail17trampoline_kernelINS0_14default_configENS1_20scan_config_selectorIN3c107complexIfEEEEZZNS1_9scan_implILNS1_25lookback_scan_determinismE0ELb0ELb0ES3_PKS7_PS7_S7_ZZZN2at6native31launch_logcumsumexp_cuda_kernelERKNSE_10TensorBaseESI_lENKUlvE_clEvENKUlvE2_clEvEUlS7_S7_E_S7_EEDaPvRmT3_T4_T5_mT6_P12ihipStream_tbENKUlT_T0_E_clISt17integral_constantIbLb1EESZ_EEDaSU_SV_EUlSU_E0_NS1_11comp_targetILNS1_3genE3ELNS1_11target_archE908ELNS1_3gpuE7ELNS1_3repE0EEENS1_30default_config_static_selectorELNS0_4arch9wavefront6targetE1EEEvT1_
    .private_segment_fixed_size: 0
    .sgpr_count:     6
    .sgpr_spill_count: 0
    .symbol:         _ZN7rocprim17ROCPRIM_400000_NS6detail17trampoline_kernelINS0_14default_configENS1_20scan_config_selectorIN3c107complexIfEEEEZZNS1_9scan_implILNS1_25lookback_scan_determinismE0ELb0ELb0ES3_PKS7_PS7_S7_ZZZN2at6native31launch_logcumsumexp_cuda_kernelERKNSE_10TensorBaseESI_lENKUlvE_clEvENKUlvE2_clEvEUlS7_S7_E_S7_EEDaPvRmT3_T4_T5_mT6_P12ihipStream_tbENKUlT_T0_E_clISt17integral_constantIbLb1EESZ_EEDaSU_SV_EUlSU_E0_NS1_11comp_targetILNS1_3genE3ELNS1_11target_archE908ELNS1_3gpuE7ELNS1_3repE0EEENS1_30default_config_static_selectorELNS0_4arch9wavefront6targetE1EEEvT1_.kd
    .uniform_work_group_size: 1
    .uses_dynamic_stack: false
    .vgpr_count:     0
    .vgpr_spill_count: 0
    .wavefront_size: 64
  - .agpr_count:     0
    .args:
      - .offset:         0
        .size:           40
        .value_kind:     by_value
    .group_segment_fixed_size: 0
    .kernarg_segment_align: 8
    .kernarg_segment_size: 40
    .language:       OpenCL C
    .language_version:
      - 2
      - 0
    .max_flat_workgroup_size: 64
    .name:           _ZN7rocprim17ROCPRIM_400000_NS6detail17trampoline_kernelINS0_14default_configENS1_20scan_config_selectorIN3c107complexIfEEEEZZNS1_9scan_implILNS1_25lookback_scan_determinismE0ELb0ELb0ES3_PKS7_PS7_S7_ZZZN2at6native31launch_logcumsumexp_cuda_kernelERKNSE_10TensorBaseESI_lENKUlvE_clEvENKUlvE2_clEvEUlS7_S7_E_S7_EEDaPvRmT3_T4_T5_mT6_P12ihipStream_tbENKUlT_T0_E_clISt17integral_constantIbLb1EESZ_EEDaSU_SV_EUlSU_E0_NS1_11comp_targetILNS1_3genE2ELNS1_11target_archE906ELNS1_3gpuE6ELNS1_3repE0EEENS1_30default_config_static_selectorELNS0_4arch9wavefront6targetE1EEEvT1_
    .private_segment_fixed_size: 0
    .sgpr_count:     6
    .sgpr_spill_count: 0
    .symbol:         _ZN7rocprim17ROCPRIM_400000_NS6detail17trampoline_kernelINS0_14default_configENS1_20scan_config_selectorIN3c107complexIfEEEEZZNS1_9scan_implILNS1_25lookback_scan_determinismE0ELb0ELb0ES3_PKS7_PS7_S7_ZZZN2at6native31launch_logcumsumexp_cuda_kernelERKNSE_10TensorBaseESI_lENKUlvE_clEvENKUlvE2_clEvEUlS7_S7_E_S7_EEDaPvRmT3_T4_T5_mT6_P12ihipStream_tbENKUlT_T0_E_clISt17integral_constantIbLb1EESZ_EEDaSU_SV_EUlSU_E0_NS1_11comp_targetILNS1_3genE2ELNS1_11target_archE906ELNS1_3gpuE6ELNS1_3repE0EEENS1_30default_config_static_selectorELNS0_4arch9wavefront6targetE1EEEvT1_.kd
    .uniform_work_group_size: 1
    .uses_dynamic_stack: false
    .vgpr_count:     0
    .vgpr_spill_count: 0
    .wavefront_size: 64
  - .agpr_count:     0
    .args:
      - .offset:         0
        .size:           40
        .value_kind:     by_value
    .group_segment_fixed_size: 0
    .kernarg_segment_align: 8
    .kernarg_segment_size: 40
    .language:       OpenCL C
    .language_version:
      - 2
      - 0
    .max_flat_workgroup_size: 256
    .name:           _ZN7rocprim17ROCPRIM_400000_NS6detail17trampoline_kernelINS0_14default_configENS1_20scan_config_selectorIN3c107complexIfEEEEZZNS1_9scan_implILNS1_25lookback_scan_determinismE0ELb0ELb0ES3_PKS7_PS7_S7_ZZZN2at6native31launch_logcumsumexp_cuda_kernelERKNSE_10TensorBaseESI_lENKUlvE_clEvENKUlvE2_clEvEUlS7_S7_E_S7_EEDaPvRmT3_T4_T5_mT6_P12ihipStream_tbENKUlT_T0_E_clISt17integral_constantIbLb1EESZ_EEDaSU_SV_EUlSU_E0_NS1_11comp_targetILNS1_3genE10ELNS1_11target_archE1201ELNS1_3gpuE5ELNS1_3repE0EEENS1_30default_config_static_selectorELNS0_4arch9wavefront6targetE1EEEvT1_
    .private_segment_fixed_size: 0
    .sgpr_count:     6
    .sgpr_spill_count: 0
    .symbol:         _ZN7rocprim17ROCPRIM_400000_NS6detail17trampoline_kernelINS0_14default_configENS1_20scan_config_selectorIN3c107complexIfEEEEZZNS1_9scan_implILNS1_25lookback_scan_determinismE0ELb0ELb0ES3_PKS7_PS7_S7_ZZZN2at6native31launch_logcumsumexp_cuda_kernelERKNSE_10TensorBaseESI_lENKUlvE_clEvENKUlvE2_clEvEUlS7_S7_E_S7_EEDaPvRmT3_T4_T5_mT6_P12ihipStream_tbENKUlT_T0_E_clISt17integral_constantIbLb1EESZ_EEDaSU_SV_EUlSU_E0_NS1_11comp_targetILNS1_3genE10ELNS1_11target_archE1201ELNS1_3gpuE5ELNS1_3repE0EEENS1_30default_config_static_selectorELNS0_4arch9wavefront6targetE1EEEvT1_.kd
    .uniform_work_group_size: 1
    .uses_dynamic_stack: false
    .vgpr_count:     0
    .vgpr_spill_count: 0
    .wavefront_size: 64
  - .agpr_count:     0
    .args:
      - .offset:         0
        .size:           40
        .value_kind:     by_value
    .group_segment_fixed_size: 0
    .kernarg_segment_align: 8
    .kernarg_segment_size: 40
    .language:       OpenCL C
    .language_version:
      - 2
      - 0
    .max_flat_workgroup_size: 256
    .name:           _ZN7rocprim17ROCPRIM_400000_NS6detail17trampoline_kernelINS0_14default_configENS1_20scan_config_selectorIN3c107complexIfEEEEZZNS1_9scan_implILNS1_25lookback_scan_determinismE0ELb0ELb0ES3_PKS7_PS7_S7_ZZZN2at6native31launch_logcumsumexp_cuda_kernelERKNSE_10TensorBaseESI_lENKUlvE_clEvENKUlvE2_clEvEUlS7_S7_E_S7_EEDaPvRmT3_T4_T5_mT6_P12ihipStream_tbENKUlT_T0_E_clISt17integral_constantIbLb1EESZ_EEDaSU_SV_EUlSU_E0_NS1_11comp_targetILNS1_3genE10ELNS1_11target_archE1200ELNS1_3gpuE4ELNS1_3repE0EEENS1_30default_config_static_selectorELNS0_4arch9wavefront6targetE1EEEvT1_
    .private_segment_fixed_size: 0
    .sgpr_count:     6
    .sgpr_spill_count: 0
    .symbol:         _ZN7rocprim17ROCPRIM_400000_NS6detail17trampoline_kernelINS0_14default_configENS1_20scan_config_selectorIN3c107complexIfEEEEZZNS1_9scan_implILNS1_25lookback_scan_determinismE0ELb0ELb0ES3_PKS7_PS7_S7_ZZZN2at6native31launch_logcumsumexp_cuda_kernelERKNSE_10TensorBaseESI_lENKUlvE_clEvENKUlvE2_clEvEUlS7_S7_E_S7_EEDaPvRmT3_T4_T5_mT6_P12ihipStream_tbENKUlT_T0_E_clISt17integral_constantIbLb1EESZ_EEDaSU_SV_EUlSU_E0_NS1_11comp_targetILNS1_3genE10ELNS1_11target_archE1200ELNS1_3gpuE4ELNS1_3repE0EEENS1_30default_config_static_selectorELNS0_4arch9wavefront6targetE1EEEvT1_.kd
    .uniform_work_group_size: 1
    .uses_dynamic_stack: false
    .vgpr_count:     0
    .vgpr_spill_count: 0
    .wavefront_size: 64
  - .agpr_count:     0
    .args:
      - .offset:         0
        .size:           40
        .value_kind:     by_value
    .group_segment_fixed_size: 0
    .kernarg_segment_align: 8
    .kernarg_segment_size: 40
    .language:       OpenCL C
    .language_version:
      - 2
      - 0
    .max_flat_workgroup_size: 256
    .name:           _ZN7rocprim17ROCPRIM_400000_NS6detail17trampoline_kernelINS0_14default_configENS1_20scan_config_selectorIN3c107complexIfEEEEZZNS1_9scan_implILNS1_25lookback_scan_determinismE0ELb0ELb0ES3_PKS7_PS7_S7_ZZZN2at6native31launch_logcumsumexp_cuda_kernelERKNSE_10TensorBaseESI_lENKUlvE_clEvENKUlvE2_clEvEUlS7_S7_E_S7_EEDaPvRmT3_T4_T5_mT6_P12ihipStream_tbENKUlT_T0_E_clISt17integral_constantIbLb1EESZ_EEDaSU_SV_EUlSU_E0_NS1_11comp_targetILNS1_3genE9ELNS1_11target_archE1100ELNS1_3gpuE3ELNS1_3repE0EEENS1_30default_config_static_selectorELNS0_4arch9wavefront6targetE1EEEvT1_
    .private_segment_fixed_size: 0
    .sgpr_count:     6
    .sgpr_spill_count: 0
    .symbol:         _ZN7rocprim17ROCPRIM_400000_NS6detail17trampoline_kernelINS0_14default_configENS1_20scan_config_selectorIN3c107complexIfEEEEZZNS1_9scan_implILNS1_25lookback_scan_determinismE0ELb0ELb0ES3_PKS7_PS7_S7_ZZZN2at6native31launch_logcumsumexp_cuda_kernelERKNSE_10TensorBaseESI_lENKUlvE_clEvENKUlvE2_clEvEUlS7_S7_E_S7_EEDaPvRmT3_T4_T5_mT6_P12ihipStream_tbENKUlT_T0_E_clISt17integral_constantIbLb1EESZ_EEDaSU_SV_EUlSU_E0_NS1_11comp_targetILNS1_3genE9ELNS1_11target_archE1100ELNS1_3gpuE3ELNS1_3repE0EEENS1_30default_config_static_selectorELNS0_4arch9wavefront6targetE1EEEvT1_.kd
    .uniform_work_group_size: 1
    .uses_dynamic_stack: false
    .vgpr_count:     0
    .vgpr_spill_count: 0
    .wavefront_size: 64
  - .agpr_count:     0
    .args:
      - .offset:         0
        .size:           40
        .value_kind:     by_value
    .group_segment_fixed_size: 0
    .kernarg_segment_align: 8
    .kernarg_segment_size: 40
    .language:       OpenCL C
    .language_version:
      - 2
      - 0
    .max_flat_workgroup_size: 256
    .name:           _ZN7rocprim17ROCPRIM_400000_NS6detail17trampoline_kernelINS0_14default_configENS1_20scan_config_selectorIN3c107complexIfEEEEZZNS1_9scan_implILNS1_25lookback_scan_determinismE0ELb0ELb0ES3_PKS7_PS7_S7_ZZZN2at6native31launch_logcumsumexp_cuda_kernelERKNSE_10TensorBaseESI_lENKUlvE_clEvENKUlvE2_clEvEUlS7_S7_E_S7_EEDaPvRmT3_T4_T5_mT6_P12ihipStream_tbENKUlT_T0_E_clISt17integral_constantIbLb1EESZ_EEDaSU_SV_EUlSU_E0_NS1_11comp_targetILNS1_3genE8ELNS1_11target_archE1030ELNS1_3gpuE2ELNS1_3repE0EEENS1_30default_config_static_selectorELNS0_4arch9wavefront6targetE1EEEvT1_
    .private_segment_fixed_size: 0
    .sgpr_count:     6
    .sgpr_spill_count: 0
    .symbol:         _ZN7rocprim17ROCPRIM_400000_NS6detail17trampoline_kernelINS0_14default_configENS1_20scan_config_selectorIN3c107complexIfEEEEZZNS1_9scan_implILNS1_25lookback_scan_determinismE0ELb0ELb0ES3_PKS7_PS7_S7_ZZZN2at6native31launch_logcumsumexp_cuda_kernelERKNSE_10TensorBaseESI_lENKUlvE_clEvENKUlvE2_clEvEUlS7_S7_E_S7_EEDaPvRmT3_T4_T5_mT6_P12ihipStream_tbENKUlT_T0_E_clISt17integral_constantIbLb1EESZ_EEDaSU_SV_EUlSU_E0_NS1_11comp_targetILNS1_3genE8ELNS1_11target_archE1030ELNS1_3gpuE2ELNS1_3repE0EEENS1_30default_config_static_selectorELNS0_4arch9wavefront6targetE1EEEvT1_.kd
    .uniform_work_group_size: 1
    .uses_dynamic_stack: false
    .vgpr_count:     0
    .vgpr_spill_count: 0
    .wavefront_size: 64
  - .agpr_count:     0
    .args:
      - .address_space:  global
        .offset:         0
        .size:           8
        .value_kind:     global_buffer
      - .offset:         8
        .size:           4
        .value_kind:     by_value
      - .offset:         12
        .size:           1
        .value_kind:     by_value
      - .offset:         16
        .size:           4
        .value_kind:     by_value
      - .address_space:  global
        .offset:         24
        .size:           8
        .value_kind:     global_buffer
      - .offset:         32
        .size:           4
        .value_kind:     hidden_block_count_x
      - .offset:         36
        .size:           4
        .value_kind:     hidden_block_count_y
      - .offset:         40
        .size:           4
        .value_kind:     hidden_block_count_z
      - .offset:         44
        .size:           2
        .value_kind:     hidden_group_size_x
      - .offset:         46
        .size:           2
        .value_kind:     hidden_group_size_y
      - .offset:         48
        .size:           2
        .value_kind:     hidden_group_size_z
      - .offset:         50
        .size:           2
        .value_kind:     hidden_remainder_x
      - .offset:         52
        .size:           2
        .value_kind:     hidden_remainder_y
      - .offset:         54
        .size:           2
        .value_kind:     hidden_remainder_z
      - .offset:         72
        .size:           8
        .value_kind:     hidden_global_offset_x
      - .offset:         80
        .size:           8
        .value_kind:     hidden_global_offset_y
      - .offset:         88
        .size:           8
        .value_kind:     hidden_global_offset_z
      - .offset:         96
        .size:           2
        .value_kind:     hidden_grid_dims
    .group_segment_fixed_size: 0
    .kernarg_segment_align: 8
    .kernarg_segment_size: 288
    .language:       OpenCL C
    .language_version:
      - 2
      - 0
    .max_flat_workgroup_size: 256
    .name:           _ZN7rocprim17ROCPRIM_400000_NS6detail31init_lookback_scan_state_kernelINS1_19lookback_scan_stateIN3c107complexIfEELb1ELb1EEENS1_16block_id_wrapperIjLb0EEEEEvT_jT0_jPNSA_10value_typeE
    .private_segment_fixed_size: 0
    .sgpr_count:     20
    .sgpr_spill_count: 0
    .symbol:         _ZN7rocprim17ROCPRIM_400000_NS6detail31init_lookback_scan_state_kernelINS1_19lookback_scan_stateIN3c107complexIfEELb1ELb1EEENS1_16block_id_wrapperIjLb0EEEEEvT_jT0_jPNSA_10value_typeE.kd
    .uniform_work_group_size: 1
    .uses_dynamic_stack: false
    .vgpr_count:     10
    .vgpr_spill_count: 0
    .wavefront_size: 64
  - .agpr_count:     0
    .args:
      - .offset:         0
        .size:           104
        .value_kind:     by_value
    .group_segment_fixed_size: 0
    .kernarg_segment_align: 8
    .kernarg_segment_size: 104
    .language:       OpenCL C
    .language_version:
      - 2
      - 0
    .max_flat_workgroup_size: 256
    .name:           _ZN7rocprim17ROCPRIM_400000_NS6detail17trampoline_kernelINS0_14default_configENS1_20scan_config_selectorIN3c107complexIfEEEEZZNS1_9scan_implILNS1_25lookback_scan_determinismE0ELb0ELb0ES3_PKS7_PS7_S7_ZZZN2at6native31launch_logcumsumexp_cuda_kernelERKNSE_10TensorBaseESI_lENKUlvE_clEvENKUlvE2_clEvEUlS7_S7_E_S7_EEDaPvRmT3_T4_T5_mT6_P12ihipStream_tbENKUlT_T0_E_clISt17integral_constantIbLb1EESY_IbLb0EEEEDaSU_SV_EUlSU_E_NS1_11comp_targetILNS1_3genE0ELNS1_11target_archE4294967295ELNS1_3gpuE0ELNS1_3repE0EEENS1_30default_config_static_selectorELNS0_4arch9wavefront6targetE1EEEvT1_
    .private_segment_fixed_size: 0
    .sgpr_count:     6
    .sgpr_spill_count: 0
    .symbol:         _ZN7rocprim17ROCPRIM_400000_NS6detail17trampoline_kernelINS0_14default_configENS1_20scan_config_selectorIN3c107complexIfEEEEZZNS1_9scan_implILNS1_25lookback_scan_determinismE0ELb0ELb0ES3_PKS7_PS7_S7_ZZZN2at6native31launch_logcumsumexp_cuda_kernelERKNSE_10TensorBaseESI_lENKUlvE_clEvENKUlvE2_clEvEUlS7_S7_E_S7_EEDaPvRmT3_T4_T5_mT6_P12ihipStream_tbENKUlT_T0_E_clISt17integral_constantIbLb1EESY_IbLb0EEEEDaSU_SV_EUlSU_E_NS1_11comp_targetILNS1_3genE0ELNS1_11target_archE4294967295ELNS1_3gpuE0ELNS1_3repE0EEENS1_30default_config_static_selectorELNS0_4arch9wavefront6targetE1EEEvT1_.kd
    .uniform_work_group_size: 1
    .uses_dynamic_stack: false
    .vgpr_count:     0
    .vgpr_spill_count: 0
    .wavefront_size: 64
  - .agpr_count:     0
    .args:
      - .offset:         0
        .size:           104
        .value_kind:     by_value
    .group_segment_fixed_size: 30720
    .kernarg_segment_align: 8
    .kernarg_segment_size: 104
    .language:       OpenCL C
    .language_version:
      - 2
      - 0
    .max_flat_workgroup_size: 256
    .name:           _ZN7rocprim17ROCPRIM_400000_NS6detail17trampoline_kernelINS0_14default_configENS1_20scan_config_selectorIN3c107complexIfEEEEZZNS1_9scan_implILNS1_25lookback_scan_determinismE0ELb0ELb0ES3_PKS7_PS7_S7_ZZZN2at6native31launch_logcumsumexp_cuda_kernelERKNSE_10TensorBaseESI_lENKUlvE_clEvENKUlvE2_clEvEUlS7_S7_E_S7_EEDaPvRmT3_T4_T5_mT6_P12ihipStream_tbENKUlT_T0_E_clISt17integral_constantIbLb1EESY_IbLb0EEEEDaSU_SV_EUlSU_E_NS1_11comp_targetILNS1_3genE5ELNS1_11target_archE942ELNS1_3gpuE9ELNS1_3repE0EEENS1_30default_config_static_selectorELNS0_4arch9wavefront6targetE1EEEvT1_
    .private_segment_fixed_size: 0
    .sgpr_count:     59
    .sgpr_spill_count: 0
    .symbol:         _ZN7rocprim17ROCPRIM_400000_NS6detail17trampoline_kernelINS0_14default_configENS1_20scan_config_selectorIN3c107complexIfEEEEZZNS1_9scan_implILNS1_25lookback_scan_determinismE0ELb0ELb0ES3_PKS7_PS7_S7_ZZZN2at6native31launch_logcumsumexp_cuda_kernelERKNSE_10TensorBaseESI_lENKUlvE_clEvENKUlvE2_clEvEUlS7_S7_E_S7_EEDaPvRmT3_T4_T5_mT6_P12ihipStream_tbENKUlT_T0_E_clISt17integral_constantIbLb1EESY_IbLb0EEEEDaSU_SV_EUlSU_E_NS1_11comp_targetILNS1_3genE5ELNS1_11target_archE942ELNS1_3gpuE9ELNS1_3repE0EEENS1_30default_config_static_selectorELNS0_4arch9wavefront6targetE1EEEvT1_.kd
    .uniform_work_group_size: 1
    .uses_dynamic_stack: false
    .vgpr_count:     97
    .vgpr_spill_count: 0
    .wavefront_size: 64
  - .agpr_count:     0
    .args:
      - .offset:         0
        .size:           104
        .value_kind:     by_value
    .group_segment_fixed_size: 0
    .kernarg_segment_align: 8
    .kernarg_segment_size: 104
    .language:       OpenCL C
    .language_version:
      - 2
      - 0
    .max_flat_workgroup_size: 128
    .name:           _ZN7rocprim17ROCPRIM_400000_NS6detail17trampoline_kernelINS0_14default_configENS1_20scan_config_selectorIN3c107complexIfEEEEZZNS1_9scan_implILNS1_25lookback_scan_determinismE0ELb0ELb0ES3_PKS7_PS7_S7_ZZZN2at6native31launch_logcumsumexp_cuda_kernelERKNSE_10TensorBaseESI_lENKUlvE_clEvENKUlvE2_clEvEUlS7_S7_E_S7_EEDaPvRmT3_T4_T5_mT6_P12ihipStream_tbENKUlT_T0_E_clISt17integral_constantIbLb1EESY_IbLb0EEEEDaSU_SV_EUlSU_E_NS1_11comp_targetILNS1_3genE4ELNS1_11target_archE910ELNS1_3gpuE8ELNS1_3repE0EEENS1_30default_config_static_selectorELNS0_4arch9wavefront6targetE1EEEvT1_
    .private_segment_fixed_size: 0
    .sgpr_count:     6
    .sgpr_spill_count: 0
    .symbol:         _ZN7rocprim17ROCPRIM_400000_NS6detail17trampoline_kernelINS0_14default_configENS1_20scan_config_selectorIN3c107complexIfEEEEZZNS1_9scan_implILNS1_25lookback_scan_determinismE0ELb0ELb0ES3_PKS7_PS7_S7_ZZZN2at6native31launch_logcumsumexp_cuda_kernelERKNSE_10TensorBaseESI_lENKUlvE_clEvENKUlvE2_clEvEUlS7_S7_E_S7_EEDaPvRmT3_T4_T5_mT6_P12ihipStream_tbENKUlT_T0_E_clISt17integral_constantIbLb1EESY_IbLb0EEEEDaSU_SV_EUlSU_E_NS1_11comp_targetILNS1_3genE4ELNS1_11target_archE910ELNS1_3gpuE8ELNS1_3repE0EEENS1_30default_config_static_selectorELNS0_4arch9wavefront6targetE1EEEvT1_.kd
    .uniform_work_group_size: 1
    .uses_dynamic_stack: false
    .vgpr_count:     0
    .vgpr_spill_count: 0
    .wavefront_size: 64
  - .agpr_count:     0
    .args:
      - .offset:         0
        .size:           104
        .value_kind:     by_value
    .group_segment_fixed_size: 0
    .kernarg_segment_align: 8
    .kernarg_segment_size: 104
    .language:       OpenCL C
    .language_version:
      - 2
      - 0
    .max_flat_workgroup_size: 256
    .name:           _ZN7rocprim17ROCPRIM_400000_NS6detail17trampoline_kernelINS0_14default_configENS1_20scan_config_selectorIN3c107complexIfEEEEZZNS1_9scan_implILNS1_25lookback_scan_determinismE0ELb0ELb0ES3_PKS7_PS7_S7_ZZZN2at6native31launch_logcumsumexp_cuda_kernelERKNSE_10TensorBaseESI_lENKUlvE_clEvENKUlvE2_clEvEUlS7_S7_E_S7_EEDaPvRmT3_T4_T5_mT6_P12ihipStream_tbENKUlT_T0_E_clISt17integral_constantIbLb1EESY_IbLb0EEEEDaSU_SV_EUlSU_E_NS1_11comp_targetILNS1_3genE3ELNS1_11target_archE908ELNS1_3gpuE7ELNS1_3repE0EEENS1_30default_config_static_selectorELNS0_4arch9wavefront6targetE1EEEvT1_
    .private_segment_fixed_size: 0
    .sgpr_count:     6
    .sgpr_spill_count: 0
    .symbol:         _ZN7rocprim17ROCPRIM_400000_NS6detail17trampoline_kernelINS0_14default_configENS1_20scan_config_selectorIN3c107complexIfEEEEZZNS1_9scan_implILNS1_25lookback_scan_determinismE0ELb0ELb0ES3_PKS7_PS7_S7_ZZZN2at6native31launch_logcumsumexp_cuda_kernelERKNSE_10TensorBaseESI_lENKUlvE_clEvENKUlvE2_clEvEUlS7_S7_E_S7_EEDaPvRmT3_T4_T5_mT6_P12ihipStream_tbENKUlT_T0_E_clISt17integral_constantIbLb1EESY_IbLb0EEEEDaSU_SV_EUlSU_E_NS1_11comp_targetILNS1_3genE3ELNS1_11target_archE908ELNS1_3gpuE7ELNS1_3repE0EEENS1_30default_config_static_selectorELNS0_4arch9wavefront6targetE1EEEvT1_.kd
    .uniform_work_group_size: 1
    .uses_dynamic_stack: false
    .vgpr_count:     0
    .vgpr_spill_count: 0
    .wavefront_size: 64
  - .agpr_count:     0
    .args:
      - .offset:         0
        .size:           104
        .value_kind:     by_value
    .group_segment_fixed_size: 0
    .kernarg_segment_align: 8
    .kernarg_segment_size: 104
    .language:       OpenCL C
    .language_version:
      - 2
      - 0
    .max_flat_workgroup_size: 64
    .name:           _ZN7rocprim17ROCPRIM_400000_NS6detail17trampoline_kernelINS0_14default_configENS1_20scan_config_selectorIN3c107complexIfEEEEZZNS1_9scan_implILNS1_25lookback_scan_determinismE0ELb0ELb0ES3_PKS7_PS7_S7_ZZZN2at6native31launch_logcumsumexp_cuda_kernelERKNSE_10TensorBaseESI_lENKUlvE_clEvENKUlvE2_clEvEUlS7_S7_E_S7_EEDaPvRmT3_T4_T5_mT6_P12ihipStream_tbENKUlT_T0_E_clISt17integral_constantIbLb1EESY_IbLb0EEEEDaSU_SV_EUlSU_E_NS1_11comp_targetILNS1_3genE2ELNS1_11target_archE906ELNS1_3gpuE6ELNS1_3repE0EEENS1_30default_config_static_selectorELNS0_4arch9wavefront6targetE1EEEvT1_
    .private_segment_fixed_size: 0
    .sgpr_count:     6
    .sgpr_spill_count: 0
    .symbol:         _ZN7rocprim17ROCPRIM_400000_NS6detail17trampoline_kernelINS0_14default_configENS1_20scan_config_selectorIN3c107complexIfEEEEZZNS1_9scan_implILNS1_25lookback_scan_determinismE0ELb0ELb0ES3_PKS7_PS7_S7_ZZZN2at6native31launch_logcumsumexp_cuda_kernelERKNSE_10TensorBaseESI_lENKUlvE_clEvENKUlvE2_clEvEUlS7_S7_E_S7_EEDaPvRmT3_T4_T5_mT6_P12ihipStream_tbENKUlT_T0_E_clISt17integral_constantIbLb1EESY_IbLb0EEEEDaSU_SV_EUlSU_E_NS1_11comp_targetILNS1_3genE2ELNS1_11target_archE906ELNS1_3gpuE6ELNS1_3repE0EEENS1_30default_config_static_selectorELNS0_4arch9wavefront6targetE1EEEvT1_.kd
    .uniform_work_group_size: 1
    .uses_dynamic_stack: false
    .vgpr_count:     0
    .vgpr_spill_count: 0
    .wavefront_size: 64
  - .agpr_count:     0
    .args:
      - .offset:         0
        .size:           104
        .value_kind:     by_value
    .group_segment_fixed_size: 0
    .kernarg_segment_align: 8
    .kernarg_segment_size: 104
    .language:       OpenCL C
    .language_version:
      - 2
      - 0
    .max_flat_workgroup_size: 256
    .name:           _ZN7rocprim17ROCPRIM_400000_NS6detail17trampoline_kernelINS0_14default_configENS1_20scan_config_selectorIN3c107complexIfEEEEZZNS1_9scan_implILNS1_25lookback_scan_determinismE0ELb0ELb0ES3_PKS7_PS7_S7_ZZZN2at6native31launch_logcumsumexp_cuda_kernelERKNSE_10TensorBaseESI_lENKUlvE_clEvENKUlvE2_clEvEUlS7_S7_E_S7_EEDaPvRmT3_T4_T5_mT6_P12ihipStream_tbENKUlT_T0_E_clISt17integral_constantIbLb1EESY_IbLb0EEEEDaSU_SV_EUlSU_E_NS1_11comp_targetILNS1_3genE10ELNS1_11target_archE1201ELNS1_3gpuE5ELNS1_3repE0EEENS1_30default_config_static_selectorELNS0_4arch9wavefront6targetE1EEEvT1_
    .private_segment_fixed_size: 0
    .sgpr_count:     6
    .sgpr_spill_count: 0
    .symbol:         _ZN7rocprim17ROCPRIM_400000_NS6detail17trampoline_kernelINS0_14default_configENS1_20scan_config_selectorIN3c107complexIfEEEEZZNS1_9scan_implILNS1_25lookback_scan_determinismE0ELb0ELb0ES3_PKS7_PS7_S7_ZZZN2at6native31launch_logcumsumexp_cuda_kernelERKNSE_10TensorBaseESI_lENKUlvE_clEvENKUlvE2_clEvEUlS7_S7_E_S7_EEDaPvRmT3_T4_T5_mT6_P12ihipStream_tbENKUlT_T0_E_clISt17integral_constantIbLb1EESY_IbLb0EEEEDaSU_SV_EUlSU_E_NS1_11comp_targetILNS1_3genE10ELNS1_11target_archE1201ELNS1_3gpuE5ELNS1_3repE0EEENS1_30default_config_static_selectorELNS0_4arch9wavefront6targetE1EEEvT1_.kd
    .uniform_work_group_size: 1
    .uses_dynamic_stack: false
    .vgpr_count:     0
    .vgpr_spill_count: 0
    .wavefront_size: 64
  - .agpr_count:     0
    .args:
      - .offset:         0
        .size:           104
        .value_kind:     by_value
    .group_segment_fixed_size: 0
    .kernarg_segment_align: 8
    .kernarg_segment_size: 104
    .language:       OpenCL C
    .language_version:
      - 2
      - 0
    .max_flat_workgroup_size: 256
    .name:           _ZN7rocprim17ROCPRIM_400000_NS6detail17trampoline_kernelINS0_14default_configENS1_20scan_config_selectorIN3c107complexIfEEEEZZNS1_9scan_implILNS1_25lookback_scan_determinismE0ELb0ELb0ES3_PKS7_PS7_S7_ZZZN2at6native31launch_logcumsumexp_cuda_kernelERKNSE_10TensorBaseESI_lENKUlvE_clEvENKUlvE2_clEvEUlS7_S7_E_S7_EEDaPvRmT3_T4_T5_mT6_P12ihipStream_tbENKUlT_T0_E_clISt17integral_constantIbLb1EESY_IbLb0EEEEDaSU_SV_EUlSU_E_NS1_11comp_targetILNS1_3genE10ELNS1_11target_archE1200ELNS1_3gpuE4ELNS1_3repE0EEENS1_30default_config_static_selectorELNS0_4arch9wavefront6targetE1EEEvT1_
    .private_segment_fixed_size: 0
    .sgpr_count:     6
    .sgpr_spill_count: 0
    .symbol:         _ZN7rocprim17ROCPRIM_400000_NS6detail17trampoline_kernelINS0_14default_configENS1_20scan_config_selectorIN3c107complexIfEEEEZZNS1_9scan_implILNS1_25lookback_scan_determinismE0ELb0ELb0ES3_PKS7_PS7_S7_ZZZN2at6native31launch_logcumsumexp_cuda_kernelERKNSE_10TensorBaseESI_lENKUlvE_clEvENKUlvE2_clEvEUlS7_S7_E_S7_EEDaPvRmT3_T4_T5_mT6_P12ihipStream_tbENKUlT_T0_E_clISt17integral_constantIbLb1EESY_IbLb0EEEEDaSU_SV_EUlSU_E_NS1_11comp_targetILNS1_3genE10ELNS1_11target_archE1200ELNS1_3gpuE4ELNS1_3repE0EEENS1_30default_config_static_selectorELNS0_4arch9wavefront6targetE1EEEvT1_.kd
    .uniform_work_group_size: 1
    .uses_dynamic_stack: false
    .vgpr_count:     0
    .vgpr_spill_count: 0
    .wavefront_size: 64
  - .agpr_count:     0
    .args:
      - .offset:         0
        .size:           104
        .value_kind:     by_value
    .group_segment_fixed_size: 0
    .kernarg_segment_align: 8
    .kernarg_segment_size: 104
    .language:       OpenCL C
    .language_version:
      - 2
      - 0
    .max_flat_workgroup_size: 256
    .name:           _ZN7rocprim17ROCPRIM_400000_NS6detail17trampoline_kernelINS0_14default_configENS1_20scan_config_selectorIN3c107complexIfEEEEZZNS1_9scan_implILNS1_25lookback_scan_determinismE0ELb0ELb0ES3_PKS7_PS7_S7_ZZZN2at6native31launch_logcumsumexp_cuda_kernelERKNSE_10TensorBaseESI_lENKUlvE_clEvENKUlvE2_clEvEUlS7_S7_E_S7_EEDaPvRmT3_T4_T5_mT6_P12ihipStream_tbENKUlT_T0_E_clISt17integral_constantIbLb1EESY_IbLb0EEEEDaSU_SV_EUlSU_E_NS1_11comp_targetILNS1_3genE9ELNS1_11target_archE1100ELNS1_3gpuE3ELNS1_3repE0EEENS1_30default_config_static_selectorELNS0_4arch9wavefront6targetE1EEEvT1_
    .private_segment_fixed_size: 0
    .sgpr_count:     6
    .sgpr_spill_count: 0
    .symbol:         _ZN7rocprim17ROCPRIM_400000_NS6detail17trampoline_kernelINS0_14default_configENS1_20scan_config_selectorIN3c107complexIfEEEEZZNS1_9scan_implILNS1_25lookback_scan_determinismE0ELb0ELb0ES3_PKS7_PS7_S7_ZZZN2at6native31launch_logcumsumexp_cuda_kernelERKNSE_10TensorBaseESI_lENKUlvE_clEvENKUlvE2_clEvEUlS7_S7_E_S7_EEDaPvRmT3_T4_T5_mT6_P12ihipStream_tbENKUlT_T0_E_clISt17integral_constantIbLb1EESY_IbLb0EEEEDaSU_SV_EUlSU_E_NS1_11comp_targetILNS1_3genE9ELNS1_11target_archE1100ELNS1_3gpuE3ELNS1_3repE0EEENS1_30default_config_static_selectorELNS0_4arch9wavefront6targetE1EEEvT1_.kd
    .uniform_work_group_size: 1
    .uses_dynamic_stack: false
    .vgpr_count:     0
    .vgpr_spill_count: 0
    .wavefront_size: 64
  - .agpr_count:     0
    .args:
      - .offset:         0
        .size:           104
        .value_kind:     by_value
    .group_segment_fixed_size: 0
    .kernarg_segment_align: 8
    .kernarg_segment_size: 104
    .language:       OpenCL C
    .language_version:
      - 2
      - 0
    .max_flat_workgroup_size: 256
    .name:           _ZN7rocprim17ROCPRIM_400000_NS6detail17trampoline_kernelINS0_14default_configENS1_20scan_config_selectorIN3c107complexIfEEEEZZNS1_9scan_implILNS1_25lookback_scan_determinismE0ELb0ELb0ES3_PKS7_PS7_S7_ZZZN2at6native31launch_logcumsumexp_cuda_kernelERKNSE_10TensorBaseESI_lENKUlvE_clEvENKUlvE2_clEvEUlS7_S7_E_S7_EEDaPvRmT3_T4_T5_mT6_P12ihipStream_tbENKUlT_T0_E_clISt17integral_constantIbLb1EESY_IbLb0EEEEDaSU_SV_EUlSU_E_NS1_11comp_targetILNS1_3genE8ELNS1_11target_archE1030ELNS1_3gpuE2ELNS1_3repE0EEENS1_30default_config_static_selectorELNS0_4arch9wavefront6targetE1EEEvT1_
    .private_segment_fixed_size: 0
    .sgpr_count:     6
    .sgpr_spill_count: 0
    .symbol:         _ZN7rocprim17ROCPRIM_400000_NS6detail17trampoline_kernelINS0_14default_configENS1_20scan_config_selectorIN3c107complexIfEEEEZZNS1_9scan_implILNS1_25lookback_scan_determinismE0ELb0ELb0ES3_PKS7_PS7_S7_ZZZN2at6native31launch_logcumsumexp_cuda_kernelERKNSE_10TensorBaseESI_lENKUlvE_clEvENKUlvE2_clEvEUlS7_S7_E_S7_EEDaPvRmT3_T4_T5_mT6_P12ihipStream_tbENKUlT_T0_E_clISt17integral_constantIbLb1EESY_IbLb0EEEEDaSU_SV_EUlSU_E_NS1_11comp_targetILNS1_3genE8ELNS1_11target_archE1030ELNS1_3gpuE2ELNS1_3repE0EEENS1_30default_config_static_selectorELNS0_4arch9wavefront6targetE1EEEvT1_.kd
    .uniform_work_group_size: 1
    .uses_dynamic_stack: false
    .vgpr_count:     0
    .vgpr_spill_count: 0
    .wavefront_size: 64
  - .agpr_count:     0
    .args:
      - .offset:         0
        .size:           40
        .value_kind:     by_value
    .group_segment_fixed_size: 0
    .kernarg_segment_align: 8
    .kernarg_segment_size: 40
    .language:       OpenCL C
    .language_version:
      - 2
      - 0
    .max_flat_workgroup_size: 256
    .name:           _ZN7rocprim17ROCPRIM_400000_NS6detail17trampoline_kernelINS0_14default_configENS1_20scan_config_selectorIN3c107complexIfEEEEZZNS1_9scan_implILNS1_25lookback_scan_determinismE0ELb0ELb0ES3_PKS7_PS7_S7_ZZZN2at6native31launch_logcumsumexp_cuda_kernelERKNSE_10TensorBaseESI_lENKUlvE_clEvENKUlvE2_clEvEUlS7_S7_E_S7_EEDaPvRmT3_T4_T5_mT6_P12ihipStream_tbENKUlT_T0_E_clISt17integral_constantIbLb1EESY_IbLb0EEEEDaSU_SV_EUlSU_E0_NS1_11comp_targetILNS1_3genE0ELNS1_11target_archE4294967295ELNS1_3gpuE0ELNS1_3repE0EEENS1_30default_config_static_selectorELNS0_4arch9wavefront6targetE1EEEvT1_
    .private_segment_fixed_size: 0
    .sgpr_count:     6
    .sgpr_spill_count: 0
    .symbol:         _ZN7rocprim17ROCPRIM_400000_NS6detail17trampoline_kernelINS0_14default_configENS1_20scan_config_selectorIN3c107complexIfEEEEZZNS1_9scan_implILNS1_25lookback_scan_determinismE0ELb0ELb0ES3_PKS7_PS7_S7_ZZZN2at6native31launch_logcumsumexp_cuda_kernelERKNSE_10TensorBaseESI_lENKUlvE_clEvENKUlvE2_clEvEUlS7_S7_E_S7_EEDaPvRmT3_T4_T5_mT6_P12ihipStream_tbENKUlT_T0_E_clISt17integral_constantIbLb1EESY_IbLb0EEEEDaSU_SV_EUlSU_E0_NS1_11comp_targetILNS1_3genE0ELNS1_11target_archE4294967295ELNS1_3gpuE0ELNS1_3repE0EEENS1_30default_config_static_selectorELNS0_4arch9wavefront6targetE1EEEvT1_.kd
    .uniform_work_group_size: 1
    .uses_dynamic_stack: false
    .vgpr_count:     0
    .vgpr_spill_count: 0
    .wavefront_size: 64
  - .agpr_count:     0
    .args:
      - .offset:         0
        .size:           40
        .value_kind:     by_value
    .group_segment_fixed_size: 30720
    .kernarg_segment_align: 8
    .kernarg_segment_size: 40
    .language:       OpenCL C
    .language_version:
      - 2
      - 0
    .max_flat_workgroup_size: 256
    .name:           _ZN7rocprim17ROCPRIM_400000_NS6detail17trampoline_kernelINS0_14default_configENS1_20scan_config_selectorIN3c107complexIfEEEEZZNS1_9scan_implILNS1_25lookback_scan_determinismE0ELb0ELb0ES3_PKS7_PS7_S7_ZZZN2at6native31launch_logcumsumexp_cuda_kernelERKNSE_10TensorBaseESI_lENKUlvE_clEvENKUlvE2_clEvEUlS7_S7_E_S7_EEDaPvRmT3_T4_T5_mT6_P12ihipStream_tbENKUlT_T0_E_clISt17integral_constantIbLb1EESY_IbLb0EEEEDaSU_SV_EUlSU_E0_NS1_11comp_targetILNS1_3genE5ELNS1_11target_archE942ELNS1_3gpuE9ELNS1_3repE0EEENS1_30default_config_static_selectorELNS0_4arch9wavefront6targetE1EEEvT1_
    .private_segment_fixed_size: 0
    .sgpr_count:     62
    .sgpr_spill_count: 0
    .symbol:         _ZN7rocprim17ROCPRIM_400000_NS6detail17trampoline_kernelINS0_14default_configENS1_20scan_config_selectorIN3c107complexIfEEEEZZNS1_9scan_implILNS1_25lookback_scan_determinismE0ELb0ELb0ES3_PKS7_PS7_S7_ZZZN2at6native31launch_logcumsumexp_cuda_kernelERKNSE_10TensorBaseESI_lENKUlvE_clEvENKUlvE2_clEvEUlS7_S7_E_S7_EEDaPvRmT3_T4_T5_mT6_P12ihipStream_tbENKUlT_T0_E_clISt17integral_constantIbLb1EESY_IbLb0EEEEDaSU_SV_EUlSU_E0_NS1_11comp_targetILNS1_3genE5ELNS1_11target_archE942ELNS1_3gpuE9ELNS1_3repE0EEENS1_30default_config_static_selectorELNS0_4arch9wavefront6targetE1EEEvT1_.kd
    .uniform_work_group_size: 1
    .uses_dynamic_stack: false
    .vgpr_count:     95
    .vgpr_spill_count: 0
    .wavefront_size: 64
  - .agpr_count:     0
    .args:
      - .offset:         0
        .size:           40
        .value_kind:     by_value
    .group_segment_fixed_size: 0
    .kernarg_segment_align: 8
    .kernarg_segment_size: 40
    .language:       OpenCL C
    .language_version:
      - 2
      - 0
    .max_flat_workgroup_size: 128
    .name:           _ZN7rocprim17ROCPRIM_400000_NS6detail17trampoline_kernelINS0_14default_configENS1_20scan_config_selectorIN3c107complexIfEEEEZZNS1_9scan_implILNS1_25lookback_scan_determinismE0ELb0ELb0ES3_PKS7_PS7_S7_ZZZN2at6native31launch_logcumsumexp_cuda_kernelERKNSE_10TensorBaseESI_lENKUlvE_clEvENKUlvE2_clEvEUlS7_S7_E_S7_EEDaPvRmT3_T4_T5_mT6_P12ihipStream_tbENKUlT_T0_E_clISt17integral_constantIbLb1EESY_IbLb0EEEEDaSU_SV_EUlSU_E0_NS1_11comp_targetILNS1_3genE4ELNS1_11target_archE910ELNS1_3gpuE8ELNS1_3repE0EEENS1_30default_config_static_selectorELNS0_4arch9wavefront6targetE1EEEvT1_
    .private_segment_fixed_size: 0
    .sgpr_count:     6
    .sgpr_spill_count: 0
    .symbol:         _ZN7rocprim17ROCPRIM_400000_NS6detail17trampoline_kernelINS0_14default_configENS1_20scan_config_selectorIN3c107complexIfEEEEZZNS1_9scan_implILNS1_25lookback_scan_determinismE0ELb0ELb0ES3_PKS7_PS7_S7_ZZZN2at6native31launch_logcumsumexp_cuda_kernelERKNSE_10TensorBaseESI_lENKUlvE_clEvENKUlvE2_clEvEUlS7_S7_E_S7_EEDaPvRmT3_T4_T5_mT6_P12ihipStream_tbENKUlT_T0_E_clISt17integral_constantIbLb1EESY_IbLb0EEEEDaSU_SV_EUlSU_E0_NS1_11comp_targetILNS1_3genE4ELNS1_11target_archE910ELNS1_3gpuE8ELNS1_3repE0EEENS1_30default_config_static_selectorELNS0_4arch9wavefront6targetE1EEEvT1_.kd
    .uniform_work_group_size: 1
    .uses_dynamic_stack: false
    .vgpr_count:     0
    .vgpr_spill_count: 0
    .wavefront_size: 64
  - .agpr_count:     0
    .args:
      - .offset:         0
        .size:           40
        .value_kind:     by_value
    .group_segment_fixed_size: 0
    .kernarg_segment_align: 8
    .kernarg_segment_size: 40
    .language:       OpenCL C
    .language_version:
      - 2
      - 0
    .max_flat_workgroup_size: 256
    .name:           _ZN7rocprim17ROCPRIM_400000_NS6detail17trampoline_kernelINS0_14default_configENS1_20scan_config_selectorIN3c107complexIfEEEEZZNS1_9scan_implILNS1_25lookback_scan_determinismE0ELb0ELb0ES3_PKS7_PS7_S7_ZZZN2at6native31launch_logcumsumexp_cuda_kernelERKNSE_10TensorBaseESI_lENKUlvE_clEvENKUlvE2_clEvEUlS7_S7_E_S7_EEDaPvRmT3_T4_T5_mT6_P12ihipStream_tbENKUlT_T0_E_clISt17integral_constantIbLb1EESY_IbLb0EEEEDaSU_SV_EUlSU_E0_NS1_11comp_targetILNS1_3genE3ELNS1_11target_archE908ELNS1_3gpuE7ELNS1_3repE0EEENS1_30default_config_static_selectorELNS0_4arch9wavefront6targetE1EEEvT1_
    .private_segment_fixed_size: 0
    .sgpr_count:     6
    .sgpr_spill_count: 0
    .symbol:         _ZN7rocprim17ROCPRIM_400000_NS6detail17trampoline_kernelINS0_14default_configENS1_20scan_config_selectorIN3c107complexIfEEEEZZNS1_9scan_implILNS1_25lookback_scan_determinismE0ELb0ELb0ES3_PKS7_PS7_S7_ZZZN2at6native31launch_logcumsumexp_cuda_kernelERKNSE_10TensorBaseESI_lENKUlvE_clEvENKUlvE2_clEvEUlS7_S7_E_S7_EEDaPvRmT3_T4_T5_mT6_P12ihipStream_tbENKUlT_T0_E_clISt17integral_constantIbLb1EESY_IbLb0EEEEDaSU_SV_EUlSU_E0_NS1_11comp_targetILNS1_3genE3ELNS1_11target_archE908ELNS1_3gpuE7ELNS1_3repE0EEENS1_30default_config_static_selectorELNS0_4arch9wavefront6targetE1EEEvT1_.kd
    .uniform_work_group_size: 1
    .uses_dynamic_stack: false
    .vgpr_count:     0
    .vgpr_spill_count: 0
    .wavefront_size: 64
  - .agpr_count:     0
    .args:
      - .offset:         0
        .size:           40
        .value_kind:     by_value
    .group_segment_fixed_size: 0
    .kernarg_segment_align: 8
    .kernarg_segment_size: 40
    .language:       OpenCL C
    .language_version:
      - 2
      - 0
    .max_flat_workgroup_size: 64
    .name:           _ZN7rocprim17ROCPRIM_400000_NS6detail17trampoline_kernelINS0_14default_configENS1_20scan_config_selectorIN3c107complexIfEEEEZZNS1_9scan_implILNS1_25lookback_scan_determinismE0ELb0ELb0ES3_PKS7_PS7_S7_ZZZN2at6native31launch_logcumsumexp_cuda_kernelERKNSE_10TensorBaseESI_lENKUlvE_clEvENKUlvE2_clEvEUlS7_S7_E_S7_EEDaPvRmT3_T4_T5_mT6_P12ihipStream_tbENKUlT_T0_E_clISt17integral_constantIbLb1EESY_IbLb0EEEEDaSU_SV_EUlSU_E0_NS1_11comp_targetILNS1_3genE2ELNS1_11target_archE906ELNS1_3gpuE6ELNS1_3repE0EEENS1_30default_config_static_selectorELNS0_4arch9wavefront6targetE1EEEvT1_
    .private_segment_fixed_size: 0
    .sgpr_count:     6
    .sgpr_spill_count: 0
    .symbol:         _ZN7rocprim17ROCPRIM_400000_NS6detail17trampoline_kernelINS0_14default_configENS1_20scan_config_selectorIN3c107complexIfEEEEZZNS1_9scan_implILNS1_25lookback_scan_determinismE0ELb0ELb0ES3_PKS7_PS7_S7_ZZZN2at6native31launch_logcumsumexp_cuda_kernelERKNSE_10TensorBaseESI_lENKUlvE_clEvENKUlvE2_clEvEUlS7_S7_E_S7_EEDaPvRmT3_T4_T5_mT6_P12ihipStream_tbENKUlT_T0_E_clISt17integral_constantIbLb1EESY_IbLb0EEEEDaSU_SV_EUlSU_E0_NS1_11comp_targetILNS1_3genE2ELNS1_11target_archE906ELNS1_3gpuE6ELNS1_3repE0EEENS1_30default_config_static_selectorELNS0_4arch9wavefront6targetE1EEEvT1_.kd
    .uniform_work_group_size: 1
    .uses_dynamic_stack: false
    .vgpr_count:     0
    .vgpr_spill_count: 0
    .wavefront_size: 64
  - .agpr_count:     0
    .args:
      - .offset:         0
        .size:           40
        .value_kind:     by_value
    .group_segment_fixed_size: 0
    .kernarg_segment_align: 8
    .kernarg_segment_size: 40
    .language:       OpenCL C
    .language_version:
      - 2
      - 0
    .max_flat_workgroup_size: 256
    .name:           _ZN7rocprim17ROCPRIM_400000_NS6detail17trampoline_kernelINS0_14default_configENS1_20scan_config_selectorIN3c107complexIfEEEEZZNS1_9scan_implILNS1_25lookback_scan_determinismE0ELb0ELb0ES3_PKS7_PS7_S7_ZZZN2at6native31launch_logcumsumexp_cuda_kernelERKNSE_10TensorBaseESI_lENKUlvE_clEvENKUlvE2_clEvEUlS7_S7_E_S7_EEDaPvRmT3_T4_T5_mT6_P12ihipStream_tbENKUlT_T0_E_clISt17integral_constantIbLb1EESY_IbLb0EEEEDaSU_SV_EUlSU_E0_NS1_11comp_targetILNS1_3genE10ELNS1_11target_archE1201ELNS1_3gpuE5ELNS1_3repE0EEENS1_30default_config_static_selectorELNS0_4arch9wavefront6targetE1EEEvT1_
    .private_segment_fixed_size: 0
    .sgpr_count:     6
    .sgpr_spill_count: 0
    .symbol:         _ZN7rocprim17ROCPRIM_400000_NS6detail17trampoline_kernelINS0_14default_configENS1_20scan_config_selectorIN3c107complexIfEEEEZZNS1_9scan_implILNS1_25lookback_scan_determinismE0ELb0ELb0ES3_PKS7_PS7_S7_ZZZN2at6native31launch_logcumsumexp_cuda_kernelERKNSE_10TensorBaseESI_lENKUlvE_clEvENKUlvE2_clEvEUlS7_S7_E_S7_EEDaPvRmT3_T4_T5_mT6_P12ihipStream_tbENKUlT_T0_E_clISt17integral_constantIbLb1EESY_IbLb0EEEEDaSU_SV_EUlSU_E0_NS1_11comp_targetILNS1_3genE10ELNS1_11target_archE1201ELNS1_3gpuE5ELNS1_3repE0EEENS1_30default_config_static_selectorELNS0_4arch9wavefront6targetE1EEEvT1_.kd
    .uniform_work_group_size: 1
    .uses_dynamic_stack: false
    .vgpr_count:     0
    .vgpr_spill_count: 0
    .wavefront_size: 64
  - .agpr_count:     0
    .args:
      - .offset:         0
        .size:           40
        .value_kind:     by_value
    .group_segment_fixed_size: 0
    .kernarg_segment_align: 8
    .kernarg_segment_size: 40
    .language:       OpenCL C
    .language_version:
      - 2
      - 0
    .max_flat_workgroup_size: 256
    .name:           _ZN7rocprim17ROCPRIM_400000_NS6detail17trampoline_kernelINS0_14default_configENS1_20scan_config_selectorIN3c107complexIfEEEEZZNS1_9scan_implILNS1_25lookback_scan_determinismE0ELb0ELb0ES3_PKS7_PS7_S7_ZZZN2at6native31launch_logcumsumexp_cuda_kernelERKNSE_10TensorBaseESI_lENKUlvE_clEvENKUlvE2_clEvEUlS7_S7_E_S7_EEDaPvRmT3_T4_T5_mT6_P12ihipStream_tbENKUlT_T0_E_clISt17integral_constantIbLb1EESY_IbLb0EEEEDaSU_SV_EUlSU_E0_NS1_11comp_targetILNS1_3genE10ELNS1_11target_archE1200ELNS1_3gpuE4ELNS1_3repE0EEENS1_30default_config_static_selectorELNS0_4arch9wavefront6targetE1EEEvT1_
    .private_segment_fixed_size: 0
    .sgpr_count:     6
    .sgpr_spill_count: 0
    .symbol:         _ZN7rocprim17ROCPRIM_400000_NS6detail17trampoline_kernelINS0_14default_configENS1_20scan_config_selectorIN3c107complexIfEEEEZZNS1_9scan_implILNS1_25lookback_scan_determinismE0ELb0ELb0ES3_PKS7_PS7_S7_ZZZN2at6native31launch_logcumsumexp_cuda_kernelERKNSE_10TensorBaseESI_lENKUlvE_clEvENKUlvE2_clEvEUlS7_S7_E_S7_EEDaPvRmT3_T4_T5_mT6_P12ihipStream_tbENKUlT_T0_E_clISt17integral_constantIbLb1EESY_IbLb0EEEEDaSU_SV_EUlSU_E0_NS1_11comp_targetILNS1_3genE10ELNS1_11target_archE1200ELNS1_3gpuE4ELNS1_3repE0EEENS1_30default_config_static_selectorELNS0_4arch9wavefront6targetE1EEEvT1_.kd
    .uniform_work_group_size: 1
    .uses_dynamic_stack: false
    .vgpr_count:     0
    .vgpr_spill_count: 0
    .wavefront_size: 64
  - .agpr_count:     0
    .args:
      - .offset:         0
        .size:           40
        .value_kind:     by_value
    .group_segment_fixed_size: 0
    .kernarg_segment_align: 8
    .kernarg_segment_size: 40
    .language:       OpenCL C
    .language_version:
      - 2
      - 0
    .max_flat_workgroup_size: 256
    .name:           _ZN7rocprim17ROCPRIM_400000_NS6detail17trampoline_kernelINS0_14default_configENS1_20scan_config_selectorIN3c107complexIfEEEEZZNS1_9scan_implILNS1_25lookback_scan_determinismE0ELb0ELb0ES3_PKS7_PS7_S7_ZZZN2at6native31launch_logcumsumexp_cuda_kernelERKNSE_10TensorBaseESI_lENKUlvE_clEvENKUlvE2_clEvEUlS7_S7_E_S7_EEDaPvRmT3_T4_T5_mT6_P12ihipStream_tbENKUlT_T0_E_clISt17integral_constantIbLb1EESY_IbLb0EEEEDaSU_SV_EUlSU_E0_NS1_11comp_targetILNS1_3genE9ELNS1_11target_archE1100ELNS1_3gpuE3ELNS1_3repE0EEENS1_30default_config_static_selectorELNS0_4arch9wavefront6targetE1EEEvT1_
    .private_segment_fixed_size: 0
    .sgpr_count:     6
    .sgpr_spill_count: 0
    .symbol:         _ZN7rocprim17ROCPRIM_400000_NS6detail17trampoline_kernelINS0_14default_configENS1_20scan_config_selectorIN3c107complexIfEEEEZZNS1_9scan_implILNS1_25lookback_scan_determinismE0ELb0ELb0ES3_PKS7_PS7_S7_ZZZN2at6native31launch_logcumsumexp_cuda_kernelERKNSE_10TensorBaseESI_lENKUlvE_clEvENKUlvE2_clEvEUlS7_S7_E_S7_EEDaPvRmT3_T4_T5_mT6_P12ihipStream_tbENKUlT_T0_E_clISt17integral_constantIbLb1EESY_IbLb0EEEEDaSU_SV_EUlSU_E0_NS1_11comp_targetILNS1_3genE9ELNS1_11target_archE1100ELNS1_3gpuE3ELNS1_3repE0EEENS1_30default_config_static_selectorELNS0_4arch9wavefront6targetE1EEEvT1_.kd
    .uniform_work_group_size: 1
    .uses_dynamic_stack: false
    .vgpr_count:     0
    .vgpr_spill_count: 0
    .wavefront_size: 64
  - .agpr_count:     0
    .args:
      - .offset:         0
        .size:           40
        .value_kind:     by_value
    .group_segment_fixed_size: 0
    .kernarg_segment_align: 8
    .kernarg_segment_size: 40
    .language:       OpenCL C
    .language_version:
      - 2
      - 0
    .max_flat_workgroup_size: 256
    .name:           _ZN7rocprim17ROCPRIM_400000_NS6detail17trampoline_kernelINS0_14default_configENS1_20scan_config_selectorIN3c107complexIfEEEEZZNS1_9scan_implILNS1_25lookback_scan_determinismE0ELb0ELb0ES3_PKS7_PS7_S7_ZZZN2at6native31launch_logcumsumexp_cuda_kernelERKNSE_10TensorBaseESI_lENKUlvE_clEvENKUlvE2_clEvEUlS7_S7_E_S7_EEDaPvRmT3_T4_T5_mT6_P12ihipStream_tbENKUlT_T0_E_clISt17integral_constantIbLb1EESY_IbLb0EEEEDaSU_SV_EUlSU_E0_NS1_11comp_targetILNS1_3genE8ELNS1_11target_archE1030ELNS1_3gpuE2ELNS1_3repE0EEENS1_30default_config_static_selectorELNS0_4arch9wavefront6targetE1EEEvT1_
    .private_segment_fixed_size: 0
    .sgpr_count:     6
    .sgpr_spill_count: 0
    .symbol:         _ZN7rocprim17ROCPRIM_400000_NS6detail17trampoline_kernelINS0_14default_configENS1_20scan_config_selectorIN3c107complexIfEEEEZZNS1_9scan_implILNS1_25lookback_scan_determinismE0ELb0ELb0ES3_PKS7_PS7_S7_ZZZN2at6native31launch_logcumsumexp_cuda_kernelERKNSE_10TensorBaseESI_lENKUlvE_clEvENKUlvE2_clEvEUlS7_S7_E_S7_EEDaPvRmT3_T4_T5_mT6_P12ihipStream_tbENKUlT_T0_E_clISt17integral_constantIbLb1EESY_IbLb0EEEEDaSU_SV_EUlSU_E0_NS1_11comp_targetILNS1_3genE8ELNS1_11target_archE1030ELNS1_3gpuE2ELNS1_3repE0EEENS1_30default_config_static_selectorELNS0_4arch9wavefront6targetE1EEEvT1_.kd
    .uniform_work_group_size: 1
    .uses_dynamic_stack: false
    .vgpr_count:     0
    .vgpr_spill_count: 0
    .wavefront_size: 64
  - .agpr_count:     0
    .args:
      - .address_space:  global
        .offset:         0
        .size:           8
        .value_kind:     global_buffer
      - .offset:         8
        .size:           4
        .value_kind:     by_value
      - .address_space:  global
        .offset:         16
        .size:           8
        .value_kind:     global_buffer
      - .offset:         24
        .size:           4
        .value_kind:     by_value
      - .address_space:  global
        .offset:         32
        .size:           8
        .value_kind:     global_buffer
      - .offset:         40
        .size:           4
        .value_kind:     hidden_block_count_x
      - .offset:         44
        .size:           4
        .value_kind:     hidden_block_count_y
      - .offset:         48
        .size:           4
        .value_kind:     hidden_block_count_z
      - .offset:         52
        .size:           2
        .value_kind:     hidden_group_size_x
      - .offset:         54
        .size:           2
        .value_kind:     hidden_group_size_y
      - .offset:         56
        .size:           2
        .value_kind:     hidden_group_size_z
      - .offset:         58
        .size:           2
        .value_kind:     hidden_remainder_x
      - .offset:         60
        .size:           2
        .value_kind:     hidden_remainder_y
      - .offset:         62
        .size:           2
        .value_kind:     hidden_remainder_z
      - .offset:         80
        .size:           8
        .value_kind:     hidden_global_offset_x
      - .offset:         88
        .size:           8
        .value_kind:     hidden_global_offset_y
      - .offset:         96
        .size:           8
        .value_kind:     hidden_global_offset_z
      - .offset:         104
        .size:           2
        .value_kind:     hidden_grid_dims
    .group_segment_fixed_size: 0
    .kernarg_segment_align: 8
    .kernarg_segment_size: 296
    .language:       OpenCL C
    .language_version:
      - 2
      - 0
    .max_flat_workgroup_size: 256
    .name:           _ZN7rocprim17ROCPRIM_400000_NS6detail31init_lookback_scan_state_kernelINS1_19lookback_scan_stateIN3c107complexIfEELb0ELb1EEENS1_16block_id_wrapperIjLb1EEEEEvT_jT0_jPNSA_10value_typeE
    .private_segment_fixed_size: 0
    .sgpr_count:     21
    .sgpr_spill_count: 0
    .symbol:         _ZN7rocprim17ROCPRIM_400000_NS6detail31init_lookback_scan_state_kernelINS1_19lookback_scan_stateIN3c107complexIfEELb0ELb1EEENS1_16block_id_wrapperIjLb1EEEEEvT_jT0_jPNSA_10value_typeE.kd
    .uniform_work_group_size: 1
    .uses_dynamic_stack: false
    .vgpr_count:     10
    .vgpr_spill_count: 0
    .wavefront_size: 64
  - .agpr_count:     0
    .args:
      - .offset:         0
        .size:           104
        .value_kind:     by_value
    .group_segment_fixed_size: 0
    .kernarg_segment_align: 8
    .kernarg_segment_size: 104
    .language:       OpenCL C
    .language_version:
      - 2
      - 0
    .max_flat_workgroup_size: 256
    .name:           _ZN7rocprim17ROCPRIM_400000_NS6detail17trampoline_kernelINS0_14default_configENS1_20scan_config_selectorIN3c107complexIfEEEEZZNS1_9scan_implILNS1_25lookback_scan_determinismE0ELb0ELb0ES3_PKS7_PS7_S7_ZZZN2at6native31launch_logcumsumexp_cuda_kernelERKNSE_10TensorBaseESI_lENKUlvE_clEvENKUlvE2_clEvEUlS7_S7_E_S7_EEDaPvRmT3_T4_T5_mT6_P12ihipStream_tbENKUlT_T0_E_clISt17integral_constantIbLb0EESY_IbLb1EEEEDaSU_SV_EUlSU_E_NS1_11comp_targetILNS1_3genE0ELNS1_11target_archE4294967295ELNS1_3gpuE0ELNS1_3repE0EEENS1_30default_config_static_selectorELNS0_4arch9wavefront6targetE1EEEvT1_
    .private_segment_fixed_size: 0
    .sgpr_count:     6
    .sgpr_spill_count: 0
    .symbol:         _ZN7rocprim17ROCPRIM_400000_NS6detail17trampoline_kernelINS0_14default_configENS1_20scan_config_selectorIN3c107complexIfEEEEZZNS1_9scan_implILNS1_25lookback_scan_determinismE0ELb0ELb0ES3_PKS7_PS7_S7_ZZZN2at6native31launch_logcumsumexp_cuda_kernelERKNSE_10TensorBaseESI_lENKUlvE_clEvENKUlvE2_clEvEUlS7_S7_E_S7_EEDaPvRmT3_T4_T5_mT6_P12ihipStream_tbENKUlT_T0_E_clISt17integral_constantIbLb0EESY_IbLb1EEEEDaSU_SV_EUlSU_E_NS1_11comp_targetILNS1_3genE0ELNS1_11target_archE4294967295ELNS1_3gpuE0ELNS1_3repE0EEENS1_30default_config_static_selectorELNS0_4arch9wavefront6targetE1EEEvT1_.kd
    .uniform_work_group_size: 1
    .uses_dynamic_stack: false
    .vgpr_count:     0
    .vgpr_spill_count: 0
    .wavefront_size: 64
  - .agpr_count:     0
    .args:
      - .offset:         0
        .size:           104
        .value_kind:     by_value
    .group_segment_fixed_size: 30720
    .kernarg_segment_align: 8
    .kernarg_segment_size: 104
    .language:       OpenCL C
    .language_version:
      - 2
      - 0
    .max_flat_workgroup_size: 256
    .name:           _ZN7rocprim17ROCPRIM_400000_NS6detail17trampoline_kernelINS0_14default_configENS1_20scan_config_selectorIN3c107complexIfEEEEZZNS1_9scan_implILNS1_25lookback_scan_determinismE0ELb0ELb0ES3_PKS7_PS7_S7_ZZZN2at6native31launch_logcumsumexp_cuda_kernelERKNSE_10TensorBaseESI_lENKUlvE_clEvENKUlvE2_clEvEUlS7_S7_E_S7_EEDaPvRmT3_T4_T5_mT6_P12ihipStream_tbENKUlT_T0_E_clISt17integral_constantIbLb0EESY_IbLb1EEEEDaSU_SV_EUlSU_E_NS1_11comp_targetILNS1_3genE5ELNS1_11target_archE942ELNS1_3gpuE9ELNS1_3repE0EEENS1_30default_config_static_selectorELNS0_4arch9wavefront6targetE1EEEvT1_
    .private_segment_fixed_size: 0
    .sgpr_count:     65
    .sgpr_spill_count: 0
    .symbol:         _ZN7rocprim17ROCPRIM_400000_NS6detail17trampoline_kernelINS0_14default_configENS1_20scan_config_selectorIN3c107complexIfEEEEZZNS1_9scan_implILNS1_25lookback_scan_determinismE0ELb0ELb0ES3_PKS7_PS7_S7_ZZZN2at6native31launch_logcumsumexp_cuda_kernelERKNSE_10TensorBaseESI_lENKUlvE_clEvENKUlvE2_clEvEUlS7_S7_E_S7_EEDaPvRmT3_T4_T5_mT6_P12ihipStream_tbENKUlT_T0_E_clISt17integral_constantIbLb0EESY_IbLb1EEEEDaSU_SV_EUlSU_E_NS1_11comp_targetILNS1_3genE5ELNS1_11target_archE942ELNS1_3gpuE9ELNS1_3repE0EEENS1_30default_config_static_selectorELNS0_4arch9wavefront6targetE1EEEvT1_.kd
    .uniform_work_group_size: 1
    .uses_dynamic_stack: false
    .vgpr_count:     97
    .vgpr_spill_count: 0
    .wavefront_size: 64
  - .agpr_count:     0
    .args:
      - .offset:         0
        .size:           104
        .value_kind:     by_value
    .group_segment_fixed_size: 0
    .kernarg_segment_align: 8
    .kernarg_segment_size: 104
    .language:       OpenCL C
    .language_version:
      - 2
      - 0
    .max_flat_workgroup_size: 128
    .name:           _ZN7rocprim17ROCPRIM_400000_NS6detail17trampoline_kernelINS0_14default_configENS1_20scan_config_selectorIN3c107complexIfEEEEZZNS1_9scan_implILNS1_25lookback_scan_determinismE0ELb0ELb0ES3_PKS7_PS7_S7_ZZZN2at6native31launch_logcumsumexp_cuda_kernelERKNSE_10TensorBaseESI_lENKUlvE_clEvENKUlvE2_clEvEUlS7_S7_E_S7_EEDaPvRmT3_T4_T5_mT6_P12ihipStream_tbENKUlT_T0_E_clISt17integral_constantIbLb0EESY_IbLb1EEEEDaSU_SV_EUlSU_E_NS1_11comp_targetILNS1_3genE4ELNS1_11target_archE910ELNS1_3gpuE8ELNS1_3repE0EEENS1_30default_config_static_selectorELNS0_4arch9wavefront6targetE1EEEvT1_
    .private_segment_fixed_size: 0
    .sgpr_count:     6
    .sgpr_spill_count: 0
    .symbol:         _ZN7rocprim17ROCPRIM_400000_NS6detail17trampoline_kernelINS0_14default_configENS1_20scan_config_selectorIN3c107complexIfEEEEZZNS1_9scan_implILNS1_25lookback_scan_determinismE0ELb0ELb0ES3_PKS7_PS7_S7_ZZZN2at6native31launch_logcumsumexp_cuda_kernelERKNSE_10TensorBaseESI_lENKUlvE_clEvENKUlvE2_clEvEUlS7_S7_E_S7_EEDaPvRmT3_T4_T5_mT6_P12ihipStream_tbENKUlT_T0_E_clISt17integral_constantIbLb0EESY_IbLb1EEEEDaSU_SV_EUlSU_E_NS1_11comp_targetILNS1_3genE4ELNS1_11target_archE910ELNS1_3gpuE8ELNS1_3repE0EEENS1_30default_config_static_selectorELNS0_4arch9wavefront6targetE1EEEvT1_.kd
    .uniform_work_group_size: 1
    .uses_dynamic_stack: false
    .vgpr_count:     0
    .vgpr_spill_count: 0
    .wavefront_size: 64
  - .agpr_count:     0
    .args:
      - .offset:         0
        .size:           104
        .value_kind:     by_value
    .group_segment_fixed_size: 0
    .kernarg_segment_align: 8
    .kernarg_segment_size: 104
    .language:       OpenCL C
    .language_version:
      - 2
      - 0
    .max_flat_workgroup_size: 256
    .name:           _ZN7rocprim17ROCPRIM_400000_NS6detail17trampoline_kernelINS0_14default_configENS1_20scan_config_selectorIN3c107complexIfEEEEZZNS1_9scan_implILNS1_25lookback_scan_determinismE0ELb0ELb0ES3_PKS7_PS7_S7_ZZZN2at6native31launch_logcumsumexp_cuda_kernelERKNSE_10TensorBaseESI_lENKUlvE_clEvENKUlvE2_clEvEUlS7_S7_E_S7_EEDaPvRmT3_T4_T5_mT6_P12ihipStream_tbENKUlT_T0_E_clISt17integral_constantIbLb0EESY_IbLb1EEEEDaSU_SV_EUlSU_E_NS1_11comp_targetILNS1_3genE3ELNS1_11target_archE908ELNS1_3gpuE7ELNS1_3repE0EEENS1_30default_config_static_selectorELNS0_4arch9wavefront6targetE1EEEvT1_
    .private_segment_fixed_size: 0
    .sgpr_count:     6
    .sgpr_spill_count: 0
    .symbol:         _ZN7rocprim17ROCPRIM_400000_NS6detail17trampoline_kernelINS0_14default_configENS1_20scan_config_selectorIN3c107complexIfEEEEZZNS1_9scan_implILNS1_25lookback_scan_determinismE0ELb0ELb0ES3_PKS7_PS7_S7_ZZZN2at6native31launch_logcumsumexp_cuda_kernelERKNSE_10TensorBaseESI_lENKUlvE_clEvENKUlvE2_clEvEUlS7_S7_E_S7_EEDaPvRmT3_T4_T5_mT6_P12ihipStream_tbENKUlT_T0_E_clISt17integral_constantIbLb0EESY_IbLb1EEEEDaSU_SV_EUlSU_E_NS1_11comp_targetILNS1_3genE3ELNS1_11target_archE908ELNS1_3gpuE7ELNS1_3repE0EEENS1_30default_config_static_selectorELNS0_4arch9wavefront6targetE1EEEvT1_.kd
    .uniform_work_group_size: 1
    .uses_dynamic_stack: false
    .vgpr_count:     0
    .vgpr_spill_count: 0
    .wavefront_size: 64
  - .agpr_count:     0
    .args:
      - .offset:         0
        .size:           104
        .value_kind:     by_value
    .group_segment_fixed_size: 0
    .kernarg_segment_align: 8
    .kernarg_segment_size: 104
    .language:       OpenCL C
    .language_version:
      - 2
      - 0
    .max_flat_workgroup_size: 64
    .name:           _ZN7rocprim17ROCPRIM_400000_NS6detail17trampoline_kernelINS0_14default_configENS1_20scan_config_selectorIN3c107complexIfEEEEZZNS1_9scan_implILNS1_25lookback_scan_determinismE0ELb0ELb0ES3_PKS7_PS7_S7_ZZZN2at6native31launch_logcumsumexp_cuda_kernelERKNSE_10TensorBaseESI_lENKUlvE_clEvENKUlvE2_clEvEUlS7_S7_E_S7_EEDaPvRmT3_T4_T5_mT6_P12ihipStream_tbENKUlT_T0_E_clISt17integral_constantIbLb0EESY_IbLb1EEEEDaSU_SV_EUlSU_E_NS1_11comp_targetILNS1_3genE2ELNS1_11target_archE906ELNS1_3gpuE6ELNS1_3repE0EEENS1_30default_config_static_selectorELNS0_4arch9wavefront6targetE1EEEvT1_
    .private_segment_fixed_size: 0
    .sgpr_count:     6
    .sgpr_spill_count: 0
    .symbol:         _ZN7rocprim17ROCPRIM_400000_NS6detail17trampoline_kernelINS0_14default_configENS1_20scan_config_selectorIN3c107complexIfEEEEZZNS1_9scan_implILNS1_25lookback_scan_determinismE0ELb0ELb0ES3_PKS7_PS7_S7_ZZZN2at6native31launch_logcumsumexp_cuda_kernelERKNSE_10TensorBaseESI_lENKUlvE_clEvENKUlvE2_clEvEUlS7_S7_E_S7_EEDaPvRmT3_T4_T5_mT6_P12ihipStream_tbENKUlT_T0_E_clISt17integral_constantIbLb0EESY_IbLb1EEEEDaSU_SV_EUlSU_E_NS1_11comp_targetILNS1_3genE2ELNS1_11target_archE906ELNS1_3gpuE6ELNS1_3repE0EEENS1_30default_config_static_selectorELNS0_4arch9wavefront6targetE1EEEvT1_.kd
    .uniform_work_group_size: 1
    .uses_dynamic_stack: false
    .vgpr_count:     0
    .vgpr_spill_count: 0
    .wavefront_size: 64
  - .agpr_count:     0
    .args:
      - .offset:         0
        .size:           104
        .value_kind:     by_value
    .group_segment_fixed_size: 0
    .kernarg_segment_align: 8
    .kernarg_segment_size: 104
    .language:       OpenCL C
    .language_version:
      - 2
      - 0
    .max_flat_workgroup_size: 256
    .name:           _ZN7rocprim17ROCPRIM_400000_NS6detail17trampoline_kernelINS0_14default_configENS1_20scan_config_selectorIN3c107complexIfEEEEZZNS1_9scan_implILNS1_25lookback_scan_determinismE0ELb0ELb0ES3_PKS7_PS7_S7_ZZZN2at6native31launch_logcumsumexp_cuda_kernelERKNSE_10TensorBaseESI_lENKUlvE_clEvENKUlvE2_clEvEUlS7_S7_E_S7_EEDaPvRmT3_T4_T5_mT6_P12ihipStream_tbENKUlT_T0_E_clISt17integral_constantIbLb0EESY_IbLb1EEEEDaSU_SV_EUlSU_E_NS1_11comp_targetILNS1_3genE10ELNS1_11target_archE1201ELNS1_3gpuE5ELNS1_3repE0EEENS1_30default_config_static_selectorELNS0_4arch9wavefront6targetE1EEEvT1_
    .private_segment_fixed_size: 0
    .sgpr_count:     6
    .sgpr_spill_count: 0
    .symbol:         _ZN7rocprim17ROCPRIM_400000_NS6detail17trampoline_kernelINS0_14default_configENS1_20scan_config_selectorIN3c107complexIfEEEEZZNS1_9scan_implILNS1_25lookback_scan_determinismE0ELb0ELb0ES3_PKS7_PS7_S7_ZZZN2at6native31launch_logcumsumexp_cuda_kernelERKNSE_10TensorBaseESI_lENKUlvE_clEvENKUlvE2_clEvEUlS7_S7_E_S7_EEDaPvRmT3_T4_T5_mT6_P12ihipStream_tbENKUlT_T0_E_clISt17integral_constantIbLb0EESY_IbLb1EEEEDaSU_SV_EUlSU_E_NS1_11comp_targetILNS1_3genE10ELNS1_11target_archE1201ELNS1_3gpuE5ELNS1_3repE0EEENS1_30default_config_static_selectorELNS0_4arch9wavefront6targetE1EEEvT1_.kd
    .uniform_work_group_size: 1
    .uses_dynamic_stack: false
    .vgpr_count:     0
    .vgpr_spill_count: 0
    .wavefront_size: 64
  - .agpr_count:     0
    .args:
      - .offset:         0
        .size:           104
        .value_kind:     by_value
    .group_segment_fixed_size: 0
    .kernarg_segment_align: 8
    .kernarg_segment_size: 104
    .language:       OpenCL C
    .language_version:
      - 2
      - 0
    .max_flat_workgroup_size: 256
    .name:           _ZN7rocprim17ROCPRIM_400000_NS6detail17trampoline_kernelINS0_14default_configENS1_20scan_config_selectorIN3c107complexIfEEEEZZNS1_9scan_implILNS1_25lookback_scan_determinismE0ELb0ELb0ES3_PKS7_PS7_S7_ZZZN2at6native31launch_logcumsumexp_cuda_kernelERKNSE_10TensorBaseESI_lENKUlvE_clEvENKUlvE2_clEvEUlS7_S7_E_S7_EEDaPvRmT3_T4_T5_mT6_P12ihipStream_tbENKUlT_T0_E_clISt17integral_constantIbLb0EESY_IbLb1EEEEDaSU_SV_EUlSU_E_NS1_11comp_targetILNS1_3genE10ELNS1_11target_archE1200ELNS1_3gpuE4ELNS1_3repE0EEENS1_30default_config_static_selectorELNS0_4arch9wavefront6targetE1EEEvT1_
    .private_segment_fixed_size: 0
    .sgpr_count:     6
    .sgpr_spill_count: 0
    .symbol:         _ZN7rocprim17ROCPRIM_400000_NS6detail17trampoline_kernelINS0_14default_configENS1_20scan_config_selectorIN3c107complexIfEEEEZZNS1_9scan_implILNS1_25lookback_scan_determinismE0ELb0ELb0ES3_PKS7_PS7_S7_ZZZN2at6native31launch_logcumsumexp_cuda_kernelERKNSE_10TensorBaseESI_lENKUlvE_clEvENKUlvE2_clEvEUlS7_S7_E_S7_EEDaPvRmT3_T4_T5_mT6_P12ihipStream_tbENKUlT_T0_E_clISt17integral_constantIbLb0EESY_IbLb1EEEEDaSU_SV_EUlSU_E_NS1_11comp_targetILNS1_3genE10ELNS1_11target_archE1200ELNS1_3gpuE4ELNS1_3repE0EEENS1_30default_config_static_selectorELNS0_4arch9wavefront6targetE1EEEvT1_.kd
    .uniform_work_group_size: 1
    .uses_dynamic_stack: false
    .vgpr_count:     0
    .vgpr_spill_count: 0
    .wavefront_size: 64
  - .agpr_count:     0
    .args:
      - .offset:         0
        .size:           104
        .value_kind:     by_value
    .group_segment_fixed_size: 0
    .kernarg_segment_align: 8
    .kernarg_segment_size: 104
    .language:       OpenCL C
    .language_version:
      - 2
      - 0
    .max_flat_workgroup_size: 256
    .name:           _ZN7rocprim17ROCPRIM_400000_NS6detail17trampoline_kernelINS0_14default_configENS1_20scan_config_selectorIN3c107complexIfEEEEZZNS1_9scan_implILNS1_25lookback_scan_determinismE0ELb0ELb0ES3_PKS7_PS7_S7_ZZZN2at6native31launch_logcumsumexp_cuda_kernelERKNSE_10TensorBaseESI_lENKUlvE_clEvENKUlvE2_clEvEUlS7_S7_E_S7_EEDaPvRmT3_T4_T5_mT6_P12ihipStream_tbENKUlT_T0_E_clISt17integral_constantIbLb0EESY_IbLb1EEEEDaSU_SV_EUlSU_E_NS1_11comp_targetILNS1_3genE9ELNS1_11target_archE1100ELNS1_3gpuE3ELNS1_3repE0EEENS1_30default_config_static_selectorELNS0_4arch9wavefront6targetE1EEEvT1_
    .private_segment_fixed_size: 0
    .sgpr_count:     6
    .sgpr_spill_count: 0
    .symbol:         _ZN7rocprim17ROCPRIM_400000_NS6detail17trampoline_kernelINS0_14default_configENS1_20scan_config_selectorIN3c107complexIfEEEEZZNS1_9scan_implILNS1_25lookback_scan_determinismE0ELb0ELb0ES3_PKS7_PS7_S7_ZZZN2at6native31launch_logcumsumexp_cuda_kernelERKNSE_10TensorBaseESI_lENKUlvE_clEvENKUlvE2_clEvEUlS7_S7_E_S7_EEDaPvRmT3_T4_T5_mT6_P12ihipStream_tbENKUlT_T0_E_clISt17integral_constantIbLb0EESY_IbLb1EEEEDaSU_SV_EUlSU_E_NS1_11comp_targetILNS1_3genE9ELNS1_11target_archE1100ELNS1_3gpuE3ELNS1_3repE0EEENS1_30default_config_static_selectorELNS0_4arch9wavefront6targetE1EEEvT1_.kd
    .uniform_work_group_size: 1
    .uses_dynamic_stack: false
    .vgpr_count:     0
    .vgpr_spill_count: 0
    .wavefront_size: 64
  - .agpr_count:     0
    .args:
      - .offset:         0
        .size:           104
        .value_kind:     by_value
    .group_segment_fixed_size: 0
    .kernarg_segment_align: 8
    .kernarg_segment_size: 104
    .language:       OpenCL C
    .language_version:
      - 2
      - 0
    .max_flat_workgroup_size: 256
    .name:           _ZN7rocprim17ROCPRIM_400000_NS6detail17trampoline_kernelINS0_14default_configENS1_20scan_config_selectorIN3c107complexIfEEEEZZNS1_9scan_implILNS1_25lookback_scan_determinismE0ELb0ELb0ES3_PKS7_PS7_S7_ZZZN2at6native31launch_logcumsumexp_cuda_kernelERKNSE_10TensorBaseESI_lENKUlvE_clEvENKUlvE2_clEvEUlS7_S7_E_S7_EEDaPvRmT3_T4_T5_mT6_P12ihipStream_tbENKUlT_T0_E_clISt17integral_constantIbLb0EESY_IbLb1EEEEDaSU_SV_EUlSU_E_NS1_11comp_targetILNS1_3genE8ELNS1_11target_archE1030ELNS1_3gpuE2ELNS1_3repE0EEENS1_30default_config_static_selectorELNS0_4arch9wavefront6targetE1EEEvT1_
    .private_segment_fixed_size: 0
    .sgpr_count:     6
    .sgpr_spill_count: 0
    .symbol:         _ZN7rocprim17ROCPRIM_400000_NS6detail17trampoline_kernelINS0_14default_configENS1_20scan_config_selectorIN3c107complexIfEEEEZZNS1_9scan_implILNS1_25lookback_scan_determinismE0ELb0ELb0ES3_PKS7_PS7_S7_ZZZN2at6native31launch_logcumsumexp_cuda_kernelERKNSE_10TensorBaseESI_lENKUlvE_clEvENKUlvE2_clEvEUlS7_S7_E_S7_EEDaPvRmT3_T4_T5_mT6_P12ihipStream_tbENKUlT_T0_E_clISt17integral_constantIbLb0EESY_IbLb1EEEEDaSU_SV_EUlSU_E_NS1_11comp_targetILNS1_3genE8ELNS1_11target_archE1030ELNS1_3gpuE2ELNS1_3repE0EEENS1_30default_config_static_selectorELNS0_4arch9wavefront6targetE1EEEvT1_.kd
    .uniform_work_group_size: 1
    .uses_dynamic_stack: false
    .vgpr_count:     0
    .vgpr_spill_count: 0
    .wavefront_size: 64
  - .agpr_count:     0
    .args:
      - .offset:         0
        .size:           40
        .value_kind:     by_value
    .group_segment_fixed_size: 0
    .kernarg_segment_align: 8
    .kernarg_segment_size: 40
    .language:       OpenCL C
    .language_version:
      - 2
      - 0
    .max_flat_workgroup_size: 256
    .name:           _ZN7rocprim17ROCPRIM_400000_NS6detail17trampoline_kernelINS0_14default_configENS1_20scan_config_selectorIN3c107complexIfEEEEZZNS1_9scan_implILNS1_25lookback_scan_determinismE0ELb0ELb0ES3_PKS7_PS7_S7_ZZZN2at6native31launch_logcumsumexp_cuda_kernelERKNSE_10TensorBaseESI_lENKUlvE_clEvENKUlvE2_clEvEUlS7_S7_E_S7_EEDaPvRmT3_T4_T5_mT6_P12ihipStream_tbENKUlT_T0_E_clISt17integral_constantIbLb0EESY_IbLb1EEEEDaSU_SV_EUlSU_E0_NS1_11comp_targetILNS1_3genE0ELNS1_11target_archE4294967295ELNS1_3gpuE0ELNS1_3repE0EEENS1_30default_config_static_selectorELNS0_4arch9wavefront6targetE1EEEvT1_
    .private_segment_fixed_size: 0
    .sgpr_count:     6
    .sgpr_spill_count: 0
    .symbol:         _ZN7rocprim17ROCPRIM_400000_NS6detail17trampoline_kernelINS0_14default_configENS1_20scan_config_selectorIN3c107complexIfEEEEZZNS1_9scan_implILNS1_25lookback_scan_determinismE0ELb0ELb0ES3_PKS7_PS7_S7_ZZZN2at6native31launch_logcumsumexp_cuda_kernelERKNSE_10TensorBaseESI_lENKUlvE_clEvENKUlvE2_clEvEUlS7_S7_E_S7_EEDaPvRmT3_T4_T5_mT6_P12ihipStream_tbENKUlT_T0_E_clISt17integral_constantIbLb0EESY_IbLb1EEEEDaSU_SV_EUlSU_E0_NS1_11comp_targetILNS1_3genE0ELNS1_11target_archE4294967295ELNS1_3gpuE0ELNS1_3repE0EEENS1_30default_config_static_selectorELNS0_4arch9wavefront6targetE1EEEvT1_.kd
    .uniform_work_group_size: 1
    .uses_dynamic_stack: false
    .vgpr_count:     0
    .vgpr_spill_count: 0
    .wavefront_size: 64
  - .agpr_count:     0
    .args:
      - .offset:         0
        .size:           40
        .value_kind:     by_value
    .group_segment_fixed_size: 30720
    .kernarg_segment_align: 8
    .kernarg_segment_size: 40
    .language:       OpenCL C
    .language_version:
      - 2
      - 0
    .max_flat_workgroup_size: 256
    .name:           _ZN7rocprim17ROCPRIM_400000_NS6detail17trampoline_kernelINS0_14default_configENS1_20scan_config_selectorIN3c107complexIfEEEEZZNS1_9scan_implILNS1_25lookback_scan_determinismE0ELb0ELb0ES3_PKS7_PS7_S7_ZZZN2at6native31launch_logcumsumexp_cuda_kernelERKNSE_10TensorBaseESI_lENKUlvE_clEvENKUlvE2_clEvEUlS7_S7_E_S7_EEDaPvRmT3_T4_T5_mT6_P12ihipStream_tbENKUlT_T0_E_clISt17integral_constantIbLb0EESY_IbLb1EEEEDaSU_SV_EUlSU_E0_NS1_11comp_targetILNS1_3genE5ELNS1_11target_archE942ELNS1_3gpuE9ELNS1_3repE0EEENS1_30default_config_static_selectorELNS0_4arch9wavefront6targetE1EEEvT1_
    .private_segment_fixed_size: 0
    .sgpr_count:     62
    .sgpr_spill_count: 0
    .symbol:         _ZN7rocprim17ROCPRIM_400000_NS6detail17trampoline_kernelINS0_14default_configENS1_20scan_config_selectorIN3c107complexIfEEEEZZNS1_9scan_implILNS1_25lookback_scan_determinismE0ELb0ELb0ES3_PKS7_PS7_S7_ZZZN2at6native31launch_logcumsumexp_cuda_kernelERKNSE_10TensorBaseESI_lENKUlvE_clEvENKUlvE2_clEvEUlS7_S7_E_S7_EEDaPvRmT3_T4_T5_mT6_P12ihipStream_tbENKUlT_T0_E_clISt17integral_constantIbLb0EESY_IbLb1EEEEDaSU_SV_EUlSU_E0_NS1_11comp_targetILNS1_3genE5ELNS1_11target_archE942ELNS1_3gpuE9ELNS1_3repE0EEENS1_30default_config_static_selectorELNS0_4arch9wavefront6targetE1EEEvT1_.kd
    .uniform_work_group_size: 1
    .uses_dynamic_stack: false
    .vgpr_count:     95
    .vgpr_spill_count: 0
    .wavefront_size: 64
  - .agpr_count:     0
    .args:
      - .offset:         0
        .size:           40
        .value_kind:     by_value
    .group_segment_fixed_size: 0
    .kernarg_segment_align: 8
    .kernarg_segment_size: 40
    .language:       OpenCL C
    .language_version:
      - 2
      - 0
    .max_flat_workgroup_size: 128
    .name:           _ZN7rocprim17ROCPRIM_400000_NS6detail17trampoline_kernelINS0_14default_configENS1_20scan_config_selectorIN3c107complexIfEEEEZZNS1_9scan_implILNS1_25lookback_scan_determinismE0ELb0ELb0ES3_PKS7_PS7_S7_ZZZN2at6native31launch_logcumsumexp_cuda_kernelERKNSE_10TensorBaseESI_lENKUlvE_clEvENKUlvE2_clEvEUlS7_S7_E_S7_EEDaPvRmT3_T4_T5_mT6_P12ihipStream_tbENKUlT_T0_E_clISt17integral_constantIbLb0EESY_IbLb1EEEEDaSU_SV_EUlSU_E0_NS1_11comp_targetILNS1_3genE4ELNS1_11target_archE910ELNS1_3gpuE8ELNS1_3repE0EEENS1_30default_config_static_selectorELNS0_4arch9wavefront6targetE1EEEvT1_
    .private_segment_fixed_size: 0
    .sgpr_count:     6
    .sgpr_spill_count: 0
    .symbol:         _ZN7rocprim17ROCPRIM_400000_NS6detail17trampoline_kernelINS0_14default_configENS1_20scan_config_selectorIN3c107complexIfEEEEZZNS1_9scan_implILNS1_25lookback_scan_determinismE0ELb0ELb0ES3_PKS7_PS7_S7_ZZZN2at6native31launch_logcumsumexp_cuda_kernelERKNSE_10TensorBaseESI_lENKUlvE_clEvENKUlvE2_clEvEUlS7_S7_E_S7_EEDaPvRmT3_T4_T5_mT6_P12ihipStream_tbENKUlT_T0_E_clISt17integral_constantIbLb0EESY_IbLb1EEEEDaSU_SV_EUlSU_E0_NS1_11comp_targetILNS1_3genE4ELNS1_11target_archE910ELNS1_3gpuE8ELNS1_3repE0EEENS1_30default_config_static_selectorELNS0_4arch9wavefront6targetE1EEEvT1_.kd
    .uniform_work_group_size: 1
    .uses_dynamic_stack: false
    .vgpr_count:     0
    .vgpr_spill_count: 0
    .wavefront_size: 64
  - .agpr_count:     0
    .args:
      - .offset:         0
        .size:           40
        .value_kind:     by_value
    .group_segment_fixed_size: 0
    .kernarg_segment_align: 8
    .kernarg_segment_size: 40
    .language:       OpenCL C
    .language_version:
      - 2
      - 0
    .max_flat_workgroup_size: 256
    .name:           _ZN7rocprim17ROCPRIM_400000_NS6detail17trampoline_kernelINS0_14default_configENS1_20scan_config_selectorIN3c107complexIfEEEEZZNS1_9scan_implILNS1_25lookback_scan_determinismE0ELb0ELb0ES3_PKS7_PS7_S7_ZZZN2at6native31launch_logcumsumexp_cuda_kernelERKNSE_10TensorBaseESI_lENKUlvE_clEvENKUlvE2_clEvEUlS7_S7_E_S7_EEDaPvRmT3_T4_T5_mT6_P12ihipStream_tbENKUlT_T0_E_clISt17integral_constantIbLb0EESY_IbLb1EEEEDaSU_SV_EUlSU_E0_NS1_11comp_targetILNS1_3genE3ELNS1_11target_archE908ELNS1_3gpuE7ELNS1_3repE0EEENS1_30default_config_static_selectorELNS0_4arch9wavefront6targetE1EEEvT1_
    .private_segment_fixed_size: 0
    .sgpr_count:     6
    .sgpr_spill_count: 0
    .symbol:         _ZN7rocprim17ROCPRIM_400000_NS6detail17trampoline_kernelINS0_14default_configENS1_20scan_config_selectorIN3c107complexIfEEEEZZNS1_9scan_implILNS1_25lookback_scan_determinismE0ELb0ELb0ES3_PKS7_PS7_S7_ZZZN2at6native31launch_logcumsumexp_cuda_kernelERKNSE_10TensorBaseESI_lENKUlvE_clEvENKUlvE2_clEvEUlS7_S7_E_S7_EEDaPvRmT3_T4_T5_mT6_P12ihipStream_tbENKUlT_T0_E_clISt17integral_constantIbLb0EESY_IbLb1EEEEDaSU_SV_EUlSU_E0_NS1_11comp_targetILNS1_3genE3ELNS1_11target_archE908ELNS1_3gpuE7ELNS1_3repE0EEENS1_30default_config_static_selectorELNS0_4arch9wavefront6targetE1EEEvT1_.kd
    .uniform_work_group_size: 1
    .uses_dynamic_stack: false
    .vgpr_count:     0
    .vgpr_spill_count: 0
    .wavefront_size: 64
  - .agpr_count:     0
    .args:
      - .offset:         0
        .size:           40
        .value_kind:     by_value
    .group_segment_fixed_size: 0
    .kernarg_segment_align: 8
    .kernarg_segment_size: 40
    .language:       OpenCL C
    .language_version:
      - 2
      - 0
    .max_flat_workgroup_size: 64
    .name:           _ZN7rocprim17ROCPRIM_400000_NS6detail17trampoline_kernelINS0_14default_configENS1_20scan_config_selectorIN3c107complexIfEEEEZZNS1_9scan_implILNS1_25lookback_scan_determinismE0ELb0ELb0ES3_PKS7_PS7_S7_ZZZN2at6native31launch_logcumsumexp_cuda_kernelERKNSE_10TensorBaseESI_lENKUlvE_clEvENKUlvE2_clEvEUlS7_S7_E_S7_EEDaPvRmT3_T4_T5_mT6_P12ihipStream_tbENKUlT_T0_E_clISt17integral_constantIbLb0EESY_IbLb1EEEEDaSU_SV_EUlSU_E0_NS1_11comp_targetILNS1_3genE2ELNS1_11target_archE906ELNS1_3gpuE6ELNS1_3repE0EEENS1_30default_config_static_selectorELNS0_4arch9wavefront6targetE1EEEvT1_
    .private_segment_fixed_size: 0
    .sgpr_count:     6
    .sgpr_spill_count: 0
    .symbol:         _ZN7rocprim17ROCPRIM_400000_NS6detail17trampoline_kernelINS0_14default_configENS1_20scan_config_selectorIN3c107complexIfEEEEZZNS1_9scan_implILNS1_25lookback_scan_determinismE0ELb0ELb0ES3_PKS7_PS7_S7_ZZZN2at6native31launch_logcumsumexp_cuda_kernelERKNSE_10TensorBaseESI_lENKUlvE_clEvENKUlvE2_clEvEUlS7_S7_E_S7_EEDaPvRmT3_T4_T5_mT6_P12ihipStream_tbENKUlT_T0_E_clISt17integral_constantIbLb0EESY_IbLb1EEEEDaSU_SV_EUlSU_E0_NS1_11comp_targetILNS1_3genE2ELNS1_11target_archE906ELNS1_3gpuE6ELNS1_3repE0EEENS1_30default_config_static_selectorELNS0_4arch9wavefront6targetE1EEEvT1_.kd
    .uniform_work_group_size: 1
    .uses_dynamic_stack: false
    .vgpr_count:     0
    .vgpr_spill_count: 0
    .wavefront_size: 64
  - .agpr_count:     0
    .args:
      - .offset:         0
        .size:           40
        .value_kind:     by_value
    .group_segment_fixed_size: 0
    .kernarg_segment_align: 8
    .kernarg_segment_size: 40
    .language:       OpenCL C
    .language_version:
      - 2
      - 0
    .max_flat_workgroup_size: 256
    .name:           _ZN7rocprim17ROCPRIM_400000_NS6detail17trampoline_kernelINS0_14default_configENS1_20scan_config_selectorIN3c107complexIfEEEEZZNS1_9scan_implILNS1_25lookback_scan_determinismE0ELb0ELb0ES3_PKS7_PS7_S7_ZZZN2at6native31launch_logcumsumexp_cuda_kernelERKNSE_10TensorBaseESI_lENKUlvE_clEvENKUlvE2_clEvEUlS7_S7_E_S7_EEDaPvRmT3_T4_T5_mT6_P12ihipStream_tbENKUlT_T0_E_clISt17integral_constantIbLb0EESY_IbLb1EEEEDaSU_SV_EUlSU_E0_NS1_11comp_targetILNS1_3genE10ELNS1_11target_archE1201ELNS1_3gpuE5ELNS1_3repE0EEENS1_30default_config_static_selectorELNS0_4arch9wavefront6targetE1EEEvT1_
    .private_segment_fixed_size: 0
    .sgpr_count:     6
    .sgpr_spill_count: 0
    .symbol:         _ZN7rocprim17ROCPRIM_400000_NS6detail17trampoline_kernelINS0_14default_configENS1_20scan_config_selectorIN3c107complexIfEEEEZZNS1_9scan_implILNS1_25lookback_scan_determinismE0ELb0ELb0ES3_PKS7_PS7_S7_ZZZN2at6native31launch_logcumsumexp_cuda_kernelERKNSE_10TensorBaseESI_lENKUlvE_clEvENKUlvE2_clEvEUlS7_S7_E_S7_EEDaPvRmT3_T4_T5_mT6_P12ihipStream_tbENKUlT_T0_E_clISt17integral_constantIbLb0EESY_IbLb1EEEEDaSU_SV_EUlSU_E0_NS1_11comp_targetILNS1_3genE10ELNS1_11target_archE1201ELNS1_3gpuE5ELNS1_3repE0EEENS1_30default_config_static_selectorELNS0_4arch9wavefront6targetE1EEEvT1_.kd
    .uniform_work_group_size: 1
    .uses_dynamic_stack: false
    .vgpr_count:     0
    .vgpr_spill_count: 0
    .wavefront_size: 64
  - .agpr_count:     0
    .args:
      - .offset:         0
        .size:           40
        .value_kind:     by_value
    .group_segment_fixed_size: 0
    .kernarg_segment_align: 8
    .kernarg_segment_size: 40
    .language:       OpenCL C
    .language_version:
      - 2
      - 0
    .max_flat_workgroup_size: 256
    .name:           _ZN7rocprim17ROCPRIM_400000_NS6detail17trampoline_kernelINS0_14default_configENS1_20scan_config_selectorIN3c107complexIfEEEEZZNS1_9scan_implILNS1_25lookback_scan_determinismE0ELb0ELb0ES3_PKS7_PS7_S7_ZZZN2at6native31launch_logcumsumexp_cuda_kernelERKNSE_10TensorBaseESI_lENKUlvE_clEvENKUlvE2_clEvEUlS7_S7_E_S7_EEDaPvRmT3_T4_T5_mT6_P12ihipStream_tbENKUlT_T0_E_clISt17integral_constantIbLb0EESY_IbLb1EEEEDaSU_SV_EUlSU_E0_NS1_11comp_targetILNS1_3genE10ELNS1_11target_archE1200ELNS1_3gpuE4ELNS1_3repE0EEENS1_30default_config_static_selectorELNS0_4arch9wavefront6targetE1EEEvT1_
    .private_segment_fixed_size: 0
    .sgpr_count:     6
    .sgpr_spill_count: 0
    .symbol:         _ZN7rocprim17ROCPRIM_400000_NS6detail17trampoline_kernelINS0_14default_configENS1_20scan_config_selectorIN3c107complexIfEEEEZZNS1_9scan_implILNS1_25lookback_scan_determinismE0ELb0ELb0ES3_PKS7_PS7_S7_ZZZN2at6native31launch_logcumsumexp_cuda_kernelERKNSE_10TensorBaseESI_lENKUlvE_clEvENKUlvE2_clEvEUlS7_S7_E_S7_EEDaPvRmT3_T4_T5_mT6_P12ihipStream_tbENKUlT_T0_E_clISt17integral_constantIbLb0EESY_IbLb1EEEEDaSU_SV_EUlSU_E0_NS1_11comp_targetILNS1_3genE10ELNS1_11target_archE1200ELNS1_3gpuE4ELNS1_3repE0EEENS1_30default_config_static_selectorELNS0_4arch9wavefront6targetE1EEEvT1_.kd
    .uniform_work_group_size: 1
    .uses_dynamic_stack: false
    .vgpr_count:     0
    .vgpr_spill_count: 0
    .wavefront_size: 64
  - .agpr_count:     0
    .args:
      - .offset:         0
        .size:           40
        .value_kind:     by_value
    .group_segment_fixed_size: 0
    .kernarg_segment_align: 8
    .kernarg_segment_size: 40
    .language:       OpenCL C
    .language_version:
      - 2
      - 0
    .max_flat_workgroup_size: 256
    .name:           _ZN7rocprim17ROCPRIM_400000_NS6detail17trampoline_kernelINS0_14default_configENS1_20scan_config_selectorIN3c107complexIfEEEEZZNS1_9scan_implILNS1_25lookback_scan_determinismE0ELb0ELb0ES3_PKS7_PS7_S7_ZZZN2at6native31launch_logcumsumexp_cuda_kernelERKNSE_10TensorBaseESI_lENKUlvE_clEvENKUlvE2_clEvEUlS7_S7_E_S7_EEDaPvRmT3_T4_T5_mT6_P12ihipStream_tbENKUlT_T0_E_clISt17integral_constantIbLb0EESY_IbLb1EEEEDaSU_SV_EUlSU_E0_NS1_11comp_targetILNS1_3genE9ELNS1_11target_archE1100ELNS1_3gpuE3ELNS1_3repE0EEENS1_30default_config_static_selectorELNS0_4arch9wavefront6targetE1EEEvT1_
    .private_segment_fixed_size: 0
    .sgpr_count:     6
    .sgpr_spill_count: 0
    .symbol:         _ZN7rocprim17ROCPRIM_400000_NS6detail17trampoline_kernelINS0_14default_configENS1_20scan_config_selectorIN3c107complexIfEEEEZZNS1_9scan_implILNS1_25lookback_scan_determinismE0ELb0ELb0ES3_PKS7_PS7_S7_ZZZN2at6native31launch_logcumsumexp_cuda_kernelERKNSE_10TensorBaseESI_lENKUlvE_clEvENKUlvE2_clEvEUlS7_S7_E_S7_EEDaPvRmT3_T4_T5_mT6_P12ihipStream_tbENKUlT_T0_E_clISt17integral_constantIbLb0EESY_IbLb1EEEEDaSU_SV_EUlSU_E0_NS1_11comp_targetILNS1_3genE9ELNS1_11target_archE1100ELNS1_3gpuE3ELNS1_3repE0EEENS1_30default_config_static_selectorELNS0_4arch9wavefront6targetE1EEEvT1_.kd
    .uniform_work_group_size: 1
    .uses_dynamic_stack: false
    .vgpr_count:     0
    .vgpr_spill_count: 0
    .wavefront_size: 64
  - .agpr_count:     0
    .args:
      - .offset:         0
        .size:           40
        .value_kind:     by_value
    .group_segment_fixed_size: 0
    .kernarg_segment_align: 8
    .kernarg_segment_size: 40
    .language:       OpenCL C
    .language_version:
      - 2
      - 0
    .max_flat_workgroup_size: 256
    .name:           _ZN7rocprim17ROCPRIM_400000_NS6detail17trampoline_kernelINS0_14default_configENS1_20scan_config_selectorIN3c107complexIfEEEEZZNS1_9scan_implILNS1_25lookback_scan_determinismE0ELb0ELb0ES3_PKS7_PS7_S7_ZZZN2at6native31launch_logcumsumexp_cuda_kernelERKNSE_10TensorBaseESI_lENKUlvE_clEvENKUlvE2_clEvEUlS7_S7_E_S7_EEDaPvRmT3_T4_T5_mT6_P12ihipStream_tbENKUlT_T0_E_clISt17integral_constantIbLb0EESY_IbLb1EEEEDaSU_SV_EUlSU_E0_NS1_11comp_targetILNS1_3genE8ELNS1_11target_archE1030ELNS1_3gpuE2ELNS1_3repE0EEENS1_30default_config_static_selectorELNS0_4arch9wavefront6targetE1EEEvT1_
    .private_segment_fixed_size: 0
    .sgpr_count:     6
    .sgpr_spill_count: 0
    .symbol:         _ZN7rocprim17ROCPRIM_400000_NS6detail17trampoline_kernelINS0_14default_configENS1_20scan_config_selectorIN3c107complexIfEEEEZZNS1_9scan_implILNS1_25lookback_scan_determinismE0ELb0ELb0ES3_PKS7_PS7_S7_ZZZN2at6native31launch_logcumsumexp_cuda_kernelERKNSE_10TensorBaseESI_lENKUlvE_clEvENKUlvE2_clEvEUlS7_S7_E_S7_EEDaPvRmT3_T4_T5_mT6_P12ihipStream_tbENKUlT_T0_E_clISt17integral_constantIbLb0EESY_IbLb1EEEEDaSU_SV_EUlSU_E0_NS1_11comp_targetILNS1_3genE8ELNS1_11target_archE1030ELNS1_3gpuE2ELNS1_3repE0EEENS1_30default_config_static_selectorELNS0_4arch9wavefront6targetE1EEEvT1_.kd
    .uniform_work_group_size: 1
    .uses_dynamic_stack: false
    .vgpr_count:     0
    .vgpr_spill_count: 0
    .wavefront_size: 64
  - .agpr_count:     0
    .args:
      - .address_space:  global
        .offset:         0
        .size:           8
        .value_kind:     global_buffer
      - .address_space:  global
        .offset:         8
        .size:           8
        .value_kind:     global_buffer
      - .offset:         16
        .size:           4
        .value_kind:     by_value
      - .offset:         20
        .size:           4
        .value_kind:     by_value
      - .offset:         24
        .size:           4
        .value_kind:     by_value
      - .offset:         32
        .size:           8
        .value_kind:     by_value
      - .offset:         40
        .size:           1
        .value_kind:     by_value
      - .offset:         48
        .size:           4
        .value_kind:     hidden_block_count_x
      - .offset:         52
        .size:           4
        .value_kind:     hidden_block_count_y
      - .offset:         56
        .size:           4
        .value_kind:     hidden_block_count_z
      - .offset:         60
        .size:           2
        .value_kind:     hidden_group_size_x
      - .offset:         62
        .size:           2
        .value_kind:     hidden_group_size_y
      - .offset:         64
        .size:           2
        .value_kind:     hidden_group_size_z
      - .offset:         66
        .size:           2
        .value_kind:     hidden_remainder_x
      - .offset:         68
        .size:           2
        .value_kind:     hidden_remainder_y
      - .offset:         70
        .size:           2
        .value_kind:     hidden_remainder_z
      - .offset:         88
        .size:           8
        .value_kind:     hidden_global_offset_x
      - .offset:         96
        .size:           8
        .value_kind:     hidden_global_offset_y
      - .offset:         104
        .size:           8
        .value_kind:     hidden_global_offset_z
      - .offset:         112
        .size:           2
        .value_kind:     hidden_grid_dims
      - .offset:         168
        .size:           4
        .value_kind:     hidden_dynamic_lds_size
    .group_segment_fixed_size: 0
    .kernarg_segment_align: 8
    .kernarg_segment_size: 304
    .language:       OpenCL C
    .language_version:
      - 2
      - 0
    .max_flat_workgroup_size: 1024
    .name:           _ZN2at6native32tensor_kernel_scan_innermost_dimIN3c107complexIfEEZZZNS0_31launch_logcumsumexp_cuda_kernelERKNS_10TensorBaseES7_lENKUlvE_clEvENKUlvE2_clEvEUlS4_S4_E_EEvPT_PKSB_jjjSB_T0_
    .private_segment_fixed_size: 0
    .sgpr_count:     80
    .sgpr_spill_count: 0
    .symbol:         _ZN2at6native32tensor_kernel_scan_innermost_dimIN3c107complexIfEEZZZNS0_31launch_logcumsumexp_cuda_kernelERKNS_10TensorBaseES7_lENKUlvE_clEvENKUlvE2_clEvEUlS4_S4_E_EEvPT_PKSB_jjjSB_T0_.kd
    .uniform_work_group_size: 1
    .uses_dynamic_stack: false
    .vgpr_count:     64
    .vgpr_spill_count: 0
    .wavefront_size: 64
  - .agpr_count:     0
    .args:
      - .address_space:  global
        .offset:         0
        .size:           8
        .value_kind:     global_buffer
      - .address_space:  global
        .offset:         8
        .size:           8
        .value_kind:     global_buffer
      - .offset:         16
        .size:           4
        .value_kind:     by_value
      - .offset:         20
        .size:           4
        .value_kind:     by_value
      - .offset:         24
        .size:           4
        .value_kind:     by_value
      - .offset:         32
        .size:           8
        .value_kind:     by_value
      - .offset:         40
        .size:           1
        .value_kind:     by_value
      - .offset:         48
        .size:           4
        .value_kind:     hidden_block_count_x
      - .offset:         52
        .size:           4
        .value_kind:     hidden_block_count_y
      - .offset:         56
        .size:           4
        .value_kind:     hidden_block_count_z
      - .offset:         60
        .size:           2
        .value_kind:     hidden_group_size_x
      - .offset:         62
        .size:           2
        .value_kind:     hidden_group_size_y
      - .offset:         64
        .size:           2
        .value_kind:     hidden_group_size_z
      - .offset:         66
        .size:           2
        .value_kind:     hidden_remainder_x
      - .offset:         68
        .size:           2
        .value_kind:     hidden_remainder_y
      - .offset:         70
        .size:           2
        .value_kind:     hidden_remainder_z
      - .offset:         88
        .size:           8
        .value_kind:     hidden_global_offset_x
      - .offset:         96
        .size:           8
        .value_kind:     hidden_global_offset_y
      - .offset:         104
        .size:           8
        .value_kind:     hidden_global_offset_z
      - .offset:         112
        .size:           2
        .value_kind:     hidden_grid_dims
    .group_segment_fixed_size: 0
    .kernarg_segment_align: 8
    .kernarg_segment_size: 304
    .language:       OpenCL C
    .language_version:
      - 2
      - 0
    .max_flat_workgroup_size: 1024
    .name:           _ZN2at6native28tensor_kernel_scan_outer_dimIN3c107complexIfEEjZZZNS0_31launch_logcumsumexp_cuda_kernelERKNS_10TensorBaseES7_lENKUlvE_clEvENKUlvE2_clEvEUlS4_S4_E_EEvPT_PKSB_jjjSB_T1_
    .private_segment_fixed_size: 0
    .sgpr_count:     79
    .sgpr_spill_count: 0
    .symbol:         _ZN2at6native28tensor_kernel_scan_outer_dimIN3c107complexIfEEjZZZNS0_31launch_logcumsumexp_cuda_kernelERKNS_10TensorBaseES7_lENKUlvE_clEvENKUlvE2_clEvEUlS4_S4_E_EEvPT_PKSB_jjjSB_T1_.kd
    .uniform_work_group_size: 1
    .uses_dynamic_stack: false
    .vgpr_count:     49
    .vgpr_spill_count: 0
    .wavefront_size: 64
  - .agpr_count:     0
    .args:
      - .address_space:  global
        .offset:         0
        .size:           8
        .value_kind:     global_buffer
      - .address_space:  global
        .offset:         8
        .size:           8
        .value_kind:     global_buffer
      - .offset:         16
        .size:           4
        .value_kind:     by_value
      - .offset:         20
        .size:           4
        .value_kind:     by_value
      - .offset:         24
        .size:           4
        .value_kind:     by_value
      - .offset:         32
        .size:           8
        .value_kind:     by_value
      - .offset:         40
        .size:           1
        .value_kind:     by_value
      - .offset:         48
        .size:           4
        .value_kind:     hidden_block_count_x
      - .offset:         52
        .size:           4
        .value_kind:     hidden_block_count_y
      - .offset:         56
        .size:           4
        .value_kind:     hidden_block_count_z
      - .offset:         60
        .size:           2
        .value_kind:     hidden_group_size_x
      - .offset:         62
        .size:           2
        .value_kind:     hidden_group_size_y
      - .offset:         64
        .size:           2
        .value_kind:     hidden_group_size_z
      - .offset:         66
        .size:           2
        .value_kind:     hidden_remainder_x
      - .offset:         68
        .size:           2
        .value_kind:     hidden_remainder_y
      - .offset:         70
        .size:           2
        .value_kind:     hidden_remainder_z
      - .offset:         88
        .size:           8
        .value_kind:     hidden_global_offset_x
      - .offset:         96
        .size:           8
        .value_kind:     hidden_global_offset_y
      - .offset:         104
        .size:           8
        .value_kind:     hidden_global_offset_z
      - .offset:         112
        .size:           2
        .value_kind:     hidden_grid_dims
    .group_segment_fixed_size: 0
    .kernarg_segment_align: 8
    .kernarg_segment_size: 304
    .language:       OpenCL C
    .language_version:
      - 2
      - 0
    .max_flat_workgroup_size: 1024
    .name:           _ZN2at6native28tensor_kernel_scan_outer_dimIN3c107complexIfEEmZZZNS0_31launch_logcumsumexp_cuda_kernelERKNS_10TensorBaseES7_lENKUlvE_clEvENKUlvE2_clEvEUlS4_S4_E_EEvPT_PKSB_jjjSB_T1_
    .private_segment_fixed_size: 0
    .sgpr_count:     78
    .sgpr_spill_count: 0
    .symbol:         _ZN2at6native28tensor_kernel_scan_outer_dimIN3c107complexIfEEmZZZNS0_31launch_logcumsumexp_cuda_kernelERKNS_10TensorBaseES7_lENKUlvE_clEvENKUlvE2_clEvEUlS4_S4_E_EEvPT_PKSB_jjjSB_T1_.kd
    .uniform_work_group_size: 1
    .uses_dynamic_stack: false
    .vgpr_count:     49
    .vgpr_spill_count: 0
    .wavefront_size: 64
  - .agpr_count:     0
    .args:
      - .address_space:  global
        .offset:         0
        .size:           8
        .value_kind:     global_buffer
      - .offset:         8
        .size:           4
        .value_kind:     by_value
      - .offset:         12
        .size:           1
        .value_kind:     by_value
      - .offset:         16
        .size:           4
        .value_kind:     by_value
      - .address_space:  global
        .offset:         24
        .size:           8
        .value_kind:     global_buffer
      - .offset:         32
        .size:           4
        .value_kind:     hidden_block_count_x
      - .offset:         36
        .size:           4
        .value_kind:     hidden_block_count_y
      - .offset:         40
        .size:           4
        .value_kind:     hidden_block_count_z
      - .offset:         44
        .size:           2
        .value_kind:     hidden_group_size_x
      - .offset:         46
        .size:           2
        .value_kind:     hidden_group_size_y
      - .offset:         48
        .size:           2
        .value_kind:     hidden_group_size_z
      - .offset:         50
        .size:           2
        .value_kind:     hidden_remainder_x
      - .offset:         52
        .size:           2
        .value_kind:     hidden_remainder_y
      - .offset:         54
        .size:           2
        .value_kind:     hidden_remainder_z
      - .offset:         72
        .size:           8
        .value_kind:     hidden_global_offset_x
      - .offset:         80
        .size:           8
        .value_kind:     hidden_global_offset_y
      - .offset:         88
        .size:           8
        .value_kind:     hidden_global_offset_z
      - .offset:         96
        .size:           2
        .value_kind:     hidden_grid_dims
    .group_segment_fixed_size: 0
    .kernarg_segment_align: 8
    .kernarg_segment_size: 288
    .language:       OpenCL C
    .language_version:
      - 2
      - 0
    .max_flat_workgroup_size: 256
    .name:           _ZN7rocprim17ROCPRIM_400000_NS6detail31init_lookback_scan_state_kernelINS1_19lookback_scan_stateIN3c104HalfELb0ELb1EEENS1_16block_id_wrapperIjLb0EEEEEvT_jT0_jPNS9_10value_typeE
    .private_segment_fixed_size: 0
    .sgpr_count:     15
    .sgpr_spill_count: 0
    .symbol:         _ZN7rocprim17ROCPRIM_400000_NS6detail31init_lookback_scan_state_kernelINS1_19lookback_scan_stateIN3c104HalfELb0ELb1EEENS1_16block_id_wrapperIjLb0EEEEEvT_jT0_jPNS9_10value_typeE.kd
    .uniform_work_group_size: 1
    .uses_dynamic_stack: false
    .vgpr_count:     6
    .vgpr_spill_count: 0
    .wavefront_size: 64
  - .agpr_count:     0
    .args:
      - .offset:         0
        .size:           96
        .value_kind:     by_value
    .group_segment_fixed_size: 0
    .kernarg_segment_align: 8
    .kernarg_segment_size: 96
    .language:       OpenCL C
    .language_version:
      - 2
      - 0
    .max_flat_workgroup_size: 128
    .name:           _ZN7rocprim17ROCPRIM_400000_NS6detail17trampoline_kernelINS0_14default_configENS1_20scan_config_selectorIN3c104HalfEEEZZNS1_9scan_implILNS1_25lookback_scan_determinismE0ELb0ELb0ES3_PKS6_PS6_S6_ZZZN2at6native31launch_logcumsumexp_cuda_kernelERKNSD_10TensorBaseESH_lENKUlvE_clEvENKUlvE3_clEvEUlS6_S6_E_S6_EEDaPvRmT3_T4_T5_mT6_P12ihipStream_tbENKUlT_T0_E_clISt17integral_constantIbLb0EESY_EEDaST_SU_EUlST_E_NS1_11comp_targetILNS1_3genE0ELNS1_11target_archE4294967295ELNS1_3gpuE0ELNS1_3repE0EEENS1_30default_config_static_selectorELNS0_4arch9wavefront6targetE1EEEvT1_
    .private_segment_fixed_size: 0
    .sgpr_count:     6
    .sgpr_spill_count: 0
    .symbol:         _ZN7rocprim17ROCPRIM_400000_NS6detail17trampoline_kernelINS0_14default_configENS1_20scan_config_selectorIN3c104HalfEEEZZNS1_9scan_implILNS1_25lookback_scan_determinismE0ELb0ELb0ES3_PKS6_PS6_S6_ZZZN2at6native31launch_logcumsumexp_cuda_kernelERKNSD_10TensorBaseESH_lENKUlvE_clEvENKUlvE3_clEvEUlS6_S6_E_S6_EEDaPvRmT3_T4_T5_mT6_P12ihipStream_tbENKUlT_T0_E_clISt17integral_constantIbLb0EESY_EEDaST_SU_EUlST_E_NS1_11comp_targetILNS1_3genE0ELNS1_11target_archE4294967295ELNS1_3gpuE0ELNS1_3repE0EEENS1_30default_config_static_selectorELNS0_4arch9wavefront6targetE1EEEvT1_.kd
    .uniform_work_group_size: 1
    .uses_dynamic_stack: false
    .vgpr_count:     0
    .vgpr_spill_count: 0
    .wavefront_size: 64
  - .agpr_count:     0
    .args:
      - .offset:         0
        .size:           96
        .value_kind:     by_value
      - .offset:         96
        .size:           4
        .value_kind:     hidden_block_count_x
      - .offset:         100
        .size:           4
        .value_kind:     hidden_block_count_y
      - .offset:         104
        .size:           4
        .value_kind:     hidden_block_count_z
      - .offset:         108
        .size:           2
        .value_kind:     hidden_group_size_x
      - .offset:         110
        .size:           2
        .value_kind:     hidden_group_size_y
      - .offset:         112
        .size:           2
        .value_kind:     hidden_group_size_z
      - .offset:         114
        .size:           2
        .value_kind:     hidden_remainder_x
      - .offset:         116
        .size:           2
        .value_kind:     hidden_remainder_y
      - .offset:         118
        .size:           2
        .value_kind:     hidden_remainder_z
      - .offset:         136
        .size:           8
        .value_kind:     hidden_global_offset_x
      - .offset:         144
        .size:           8
        .value_kind:     hidden_global_offset_y
      - .offset:         152
        .size:           8
        .value_kind:     hidden_global_offset_z
      - .offset:         160
        .size:           2
        .value_kind:     hidden_grid_dims
    .group_segment_fixed_size: 12288
    .kernarg_segment_align: 8
    .kernarg_segment_size: 352
    .language:       OpenCL C
    .language_version:
      - 2
      - 0
    .max_flat_workgroup_size: 256
    .name:           _ZN7rocprim17ROCPRIM_400000_NS6detail17trampoline_kernelINS0_14default_configENS1_20scan_config_selectorIN3c104HalfEEEZZNS1_9scan_implILNS1_25lookback_scan_determinismE0ELb0ELb0ES3_PKS6_PS6_S6_ZZZN2at6native31launch_logcumsumexp_cuda_kernelERKNSD_10TensorBaseESH_lENKUlvE_clEvENKUlvE3_clEvEUlS6_S6_E_S6_EEDaPvRmT3_T4_T5_mT6_P12ihipStream_tbENKUlT_T0_E_clISt17integral_constantIbLb0EESY_EEDaST_SU_EUlST_E_NS1_11comp_targetILNS1_3genE5ELNS1_11target_archE942ELNS1_3gpuE9ELNS1_3repE0EEENS1_30default_config_static_selectorELNS0_4arch9wavefront6targetE1EEEvT1_
    .private_segment_fixed_size: 120
    .sgpr_count:     80
    .sgpr_spill_count: 0
    .symbol:         _ZN7rocprim17ROCPRIM_400000_NS6detail17trampoline_kernelINS0_14default_configENS1_20scan_config_selectorIN3c104HalfEEEZZNS1_9scan_implILNS1_25lookback_scan_determinismE0ELb0ELb0ES3_PKS6_PS6_S6_ZZZN2at6native31launch_logcumsumexp_cuda_kernelERKNSD_10TensorBaseESH_lENKUlvE_clEvENKUlvE3_clEvEUlS6_S6_E_S6_EEDaPvRmT3_T4_T5_mT6_P12ihipStream_tbENKUlT_T0_E_clISt17integral_constantIbLb0EESY_EEDaST_SU_EUlST_E_NS1_11comp_targetILNS1_3genE5ELNS1_11target_archE942ELNS1_3gpuE9ELNS1_3repE0EEENS1_30default_config_static_selectorELNS0_4arch9wavefront6targetE1EEEvT1_.kd
    .uniform_work_group_size: 1
    .uses_dynamic_stack: false
    .vgpr_count:     165
    .vgpr_spill_count: 0
    .wavefront_size: 64
  - .agpr_count:     0
    .args:
      - .offset:         0
        .size:           96
        .value_kind:     by_value
    .group_segment_fixed_size: 0
    .kernarg_segment_align: 8
    .kernarg_segment_size: 96
    .language:       OpenCL C
    .language_version:
      - 2
      - 0
    .max_flat_workgroup_size: 64
    .name:           _ZN7rocprim17ROCPRIM_400000_NS6detail17trampoline_kernelINS0_14default_configENS1_20scan_config_selectorIN3c104HalfEEEZZNS1_9scan_implILNS1_25lookback_scan_determinismE0ELb0ELb0ES3_PKS6_PS6_S6_ZZZN2at6native31launch_logcumsumexp_cuda_kernelERKNSD_10TensorBaseESH_lENKUlvE_clEvENKUlvE3_clEvEUlS6_S6_E_S6_EEDaPvRmT3_T4_T5_mT6_P12ihipStream_tbENKUlT_T0_E_clISt17integral_constantIbLb0EESY_EEDaST_SU_EUlST_E_NS1_11comp_targetILNS1_3genE4ELNS1_11target_archE910ELNS1_3gpuE8ELNS1_3repE0EEENS1_30default_config_static_selectorELNS0_4arch9wavefront6targetE1EEEvT1_
    .private_segment_fixed_size: 0
    .sgpr_count:     6
    .sgpr_spill_count: 0
    .symbol:         _ZN7rocprim17ROCPRIM_400000_NS6detail17trampoline_kernelINS0_14default_configENS1_20scan_config_selectorIN3c104HalfEEEZZNS1_9scan_implILNS1_25lookback_scan_determinismE0ELb0ELb0ES3_PKS6_PS6_S6_ZZZN2at6native31launch_logcumsumexp_cuda_kernelERKNSD_10TensorBaseESH_lENKUlvE_clEvENKUlvE3_clEvEUlS6_S6_E_S6_EEDaPvRmT3_T4_T5_mT6_P12ihipStream_tbENKUlT_T0_E_clISt17integral_constantIbLb0EESY_EEDaST_SU_EUlST_E_NS1_11comp_targetILNS1_3genE4ELNS1_11target_archE910ELNS1_3gpuE8ELNS1_3repE0EEENS1_30default_config_static_selectorELNS0_4arch9wavefront6targetE1EEEvT1_.kd
    .uniform_work_group_size: 1
    .uses_dynamic_stack: false
    .vgpr_count:     0
    .vgpr_spill_count: 0
    .wavefront_size: 64
  - .agpr_count:     0
    .args:
      - .offset:         0
        .size:           96
        .value_kind:     by_value
    .group_segment_fixed_size: 0
    .kernarg_segment_align: 8
    .kernarg_segment_size: 96
    .language:       OpenCL C
    .language_version:
      - 2
      - 0
    .max_flat_workgroup_size: 128
    .name:           _ZN7rocprim17ROCPRIM_400000_NS6detail17trampoline_kernelINS0_14default_configENS1_20scan_config_selectorIN3c104HalfEEEZZNS1_9scan_implILNS1_25lookback_scan_determinismE0ELb0ELb0ES3_PKS6_PS6_S6_ZZZN2at6native31launch_logcumsumexp_cuda_kernelERKNSD_10TensorBaseESH_lENKUlvE_clEvENKUlvE3_clEvEUlS6_S6_E_S6_EEDaPvRmT3_T4_T5_mT6_P12ihipStream_tbENKUlT_T0_E_clISt17integral_constantIbLb0EESY_EEDaST_SU_EUlST_E_NS1_11comp_targetILNS1_3genE3ELNS1_11target_archE908ELNS1_3gpuE7ELNS1_3repE0EEENS1_30default_config_static_selectorELNS0_4arch9wavefront6targetE1EEEvT1_
    .private_segment_fixed_size: 0
    .sgpr_count:     6
    .sgpr_spill_count: 0
    .symbol:         _ZN7rocprim17ROCPRIM_400000_NS6detail17trampoline_kernelINS0_14default_configENS1_20scan_config_selectorIN3c104HalfEEEZZNS1_9scan_implILNS1_25lookback_scan_determinismE0ELb0ELb0ES3_PKS6_PS6_S6_ZZZN2at6native31launch_logcumsumexp_cuda_kernelERKNSD_10TensorBaseESH_lENKUlvE_clEvENKUlvE3_clEvEUlS6_S6_E_S6_EEDaPvRmT3_T4_T5_mT6_P12ihipStream_tbENKUlT_T0_E_clISt17integral_constantIbLb0EESY_EEDaST_SU_EUlST_E_NS1_11comp_targetILNS1_3genE3ELNS1_11target_archE908ELNS1_3gpuE7ELNS1_3repE0EEENS1_30default_config_static_selectorELNS0_4arch9wavefront6targetE1EEEvT1_.kd
    .uniform_work_group_size: 1
    .uses_dynamic_stack: false
    .vgpr_count:     0
    .vgpr_spill_count: 0
    .wavefront_size: 64
  - .agpr_count:     0
    .args:
      - .offset:         0
        .size:           96
        .value_kind:     by_value
    .group_segment_fixed_size: 0
    .kernarg_segment_align: 8
    .kernarg_segment_size: 96
    .language:       OpenCL C
    .language_version:
      - 2
      - 0
    .max_flat_workgroup_size: 256
    .name:           _ZN7rocprim17ROCPRIM_400000_NS6detail17trampoline_kernelINS0_14default_configENS1_20scan_config_selectorIN3c104HalfEEEZZNS1_9scan_implILNS1_25lookback_scan_determinismE0ELb0ELb0ES3_PKS6_PS6_S6_ZZZN2at6native31launch_logcumsumexp_cuda_kernelERKNSD_10TensorBaseESH_lENKUlvE_clEvENKUlvE3_clEvEUlS6_S6_E_S6_EEDaPvRmT3_T4_T5_mT6_P12ihipStream_tbENKUlT_T0_E_clISt17integral_constantIbLb0EESY_EEDaST_SU_EUlST_E_NS1_11comp_targetILNS1_3genE2ELNS1_11target_archE906ELNS1_3gpuE6ELNS1_3repE0EEENS1_30default_config_static_selectorELNS0_4arch9wavefront6targetE1EEEvT1_
    .private_segment_fixed_size: 0
    .sgpr_count:     6
    .sgpr_spill_count: 0
    .symbol:         _ZN7rocprim17ROCPRIM_400000_NS6detail17trampoline_kernelINS0_14default_configENS1_20scan_config_selectorIN3c104HalfEEEZZNS1_9scan_implILNS1_25lookback_scan_determinismE0ELb0ELb0ES3_PKS6_PS6_S6_ZZZN2at6native31launch_logcumsumexp_cuda_kernelERKNSD_10TensorBaseESH_lENKUlvE_clEvENKUlvE3_clEvEUlS6_S6_E_S6_EEDaPvRmT3_T4_T5_mT6_P12ihipStream_tbENKUlT_T0_E_clISt17integral_constantIbLb0EESY_EEDaST_SU_EUlST_E_NS1_11comp_targetILNS1_3genE2ELNS1_11target_archE906ELNS1_3gpuE6ELNS1_3repE0EEENS1_30default_config_static_selectorELNS0_4arch9wavefront6targetE1EEEvT1_.kd
    .uniform_work_group_size: 1
    .uses_dynamic_stack: false
    .vgpr_count:     0
    .vgpr_spill_count: 0
    .wavefront_size: 64
  - .agpr_count:     0
    .args:
      - .offset:         0
        .size:           96
        .value_kind:     by_value
    .group_segment_fixed_size: 0
    .kernarg_segment_align: 8
    .kernarg_segment_size: 96
    .language:       OpenCL C
    .language_version:
      - 2
      - 0
    .max_flat_workgroup_size: 256
    .name:           _ZN7rocprim17ROCPRIM_400000_NS6detail17trampoline_kernelINS0_14default_configENS1_20scan_config_selectorIN3c104HalfEEEZZNS1_9scan_implILNS1_25lookback_scan_determinismE0ELb0ELb0ES3_PKS6_PS6_S6_ZZZN2at6native31launch_logcumsumexp_cuda_kernelERKNSD_10TensorBaseESH_lENKUlvE_clEvENKUlvE3_clEvEUlS6_S6_E_S6_EEDaPvRmT3_T4_T5_mT6_P12ihipStream_tbENKUlT_T0_E_clISt17integral_constantIbLb0EESY_EEDaST_SU_EUlST_E_NS1_11comp_targetILNS1_3genE10ELNS1_11target_archE1201ELNS1_3gpuE5ELNS1_3repE0EEENS1_30default_config_static_selectorELNS0_4arch9wavefront6targetE1EEEvT1_
    .private_segment_fixed_size: 0
    .sgpr_count:     6
    .sgpr_spill_count: 0
    .symbol:         _ZN7rocprim17ROCPRIM_400000_NS6detail17trampoline_kernelINS0_14default_configENS1_20scan_config_selectorIN3c104HalfEEEZZNS1_9scan_implILNS1_25lookback_scan_determinismE0ELb0ELb0ES3_PKS6_PS6_S6_ZZZN2at6native31launch_logcumsumexp_cuda_kernelERKNSD_10TensorBaseESH_lENKUlvE_clEvENKUlvE3_clEvEUlS6_S6_E_S6_EEDaPvRmT3_T4_T5_mT6_P12ihipStream_tbENKUlT_T0_E_clISt17integral_constantIbLb0EESY_EEDaST_SU_EUlST_E_NS1_11comp_targetILNS1_3genE10ELNS1_11target_archE1201ELNS1_3gpuE5ELNS1_3repE0EEENS1_30default_config_static_selectorELNS0_4arch9wavefront6targetE1EEEvT1_.kd
    .uniform_work_group_size: 1
    .uses_dynamic_stack: false
    .vgpr_count:     0
    .vgpr_spill_count: 0
    .wavefront_size: 64
  - .agpr_count:     0
    .args:
      - .offset:         0
        .size:           96
        .value_kind:     by_value
    .group_segment_fixed_size: 0
    .kernarg_segment_align: 8
    .kernarg_segment_size: 96
    .language:       OpenCL C
    .language_version:
      - 2
      - 0
    .max_flat_workgroup_size: 256
    .name:           _ZN7rocprim17ROCPRIM_400000_NS6detail17trampoline_kernelINS0_14default_configENS1_20scan_config_selectorIN3c104HalfEEEZZNS1_9scan_implILNS1_25lookback_scan_determinismE0ELb0ELb0ES3_PKS6_PS6_S6_ZZZN2at6native31launch_logcumsumexp_cuda_kernelERKNSD_10TensorBaseESH_lENKUlvE_clEvENKUlvE3_clEvEUlS6_S6_E_S6_EEDaPvRmT3_T4_T5_mT6_P12ihipStream_tbENKUlT_T0_E_clISt17integral_constantIbLb0EESY_EEDaST_SU_EUlST_E_NS1_11comp_targetILNS1_3genE10ELNS1_11target_archE1200ELNS1_3gpuE4ELNS1_3repE0EEENS1_30default_config_static_selectorELNS0_4arch9wavefront6targetE1EEEvT1_
    .private_segment_fixed_size: 0
    .sgpr_count:     6
    .sgpr_spill_count: 0
    .symbol:         _ZN7rocprim17ROCPRIM_400000_NS6detail17trampoline_kernelINS0_14default_configENS1_20scan_config_selectorIN3c104HalfEEEZZNS1_9scan_implILNS1_25lookback_scan_determinismE0ELb0ELb0ES3_PKS6_PS6_S6_ZZZN2at6native31launch_logcumsumexp_cuda_kernelERKNSD_10TensorBaseESH_lENKUlvE_clEvENKUlvE3_clEvEUlS6_S6_E_S6_EEDaPvRmT3_T4_T5_mT6_P12ihipStream_tbENKUlT_T0_E_clISt17integral_constantIbLb0EESY_EEDaST_SU_EUlST_E_NS1_11comp_targetILNS1_3genE10ELNS1_11target_archE1200ELNS1_3gpuE4ELNS1_3repE0EEENS1_30default_config_static_selectorELNS0_4arch9wavefront6targetE1EEEvT1_.kd
    .uniform_work_group_size: 1
    .uses_dynamic_stack: false
    .vgpr_count:     0
    .vgpr_spill_count: 0
    .wavefront_size: 64
  - .agpr_count:     0
    .args:
      - .offset:         0
        .size:           96
        .value_kind:     by_value
    .group_segment_fixed_size: 0
    .kernarg_segment_align: 8
    .kernarg_segment_size: 96
    .language:       OpenCL C
    .language_version:
      - 2
      - 0
    .max_flat_workgroup_size: 64
    .name:           _ZN7rocprim17ROCPRIM_400000_NS6detail17trampoline_kernelINS0_14default_configENS1_20scan_config_selectorIN3c104HalfEEEZZNS1_9scan_implILNS1_25lookback_scan_determinismE0ELb0ELb0ES3_PKS6_PS6_S6_ZZZN2at6native31launch_logcumsumexp_cuda_kernelERKNSD_10TensorBaseESH_lENKUlvE_clEvENKUlvE3_clEvEUlS6_S6_E_S6_EEDaPvRmT3_T4_T5_mT6_P12ihipStream_tbENKUlT_T0_E_clISt17integral_constantIbLb0EESY_EEDaST_SU_EUlST_E_NS1_11comp_targetILNS1_3genE9ELNS1_11target_archE1100ELNS1_3gpuE3ELNS1_3repE0EEENS1_30default_config_static_selectorELNS0_4arch9wavefront6targetE1EEEvT1_
    .private_segment_fixed_size: 0
    .sgpr_count:     6
    .sgpr_spill_count: 0
    .symbol:         _ZN7rocprim17ROCPRIM_400000_NS6detail17trampoline_kernelINS0_14default_configENS1_20scan_config_selectorIN3c104HalfEEEZZNS1_9scan_implILNS1_25lookback_scan_determinismE0ELb0ELb0ES3_PKS6_PS6_S6_ZZZN2at6native31launch_logcumsumexp_cuda_kernelERKNSD_10TensorBaseESH_lENKUlvE_clEvENKUlvE3_clEvEUlS6_S6_E_S6_EEDaPvRmT3_T4_T5_mT6_P12ihipStream_tbENKUlT_T0_E_clISt17integral_constantIbLb0EESY_EEDaST_SU_EUlST_E_NS1_11comp_targetILNS1_3genE9ELNS1_11target_archE1100ELNS1_3gpuE3ELNS1_3repE0EEENS1_30default_config_static_selectorELNS0_4arch9wavefront6targetE1EEEvT1_.kd
    .uniform_work_group_size: 1
    .uses_dynamic_stack: false
    .vgpr_count:     0
    .vgpr_spill_count: 0
    .wavefront_size: 64
  - .agpr_count:     0
    .args:
      - .offset:         0
        .size:           96
        .value_kind:     by_value
    .group_segment_fixed_size: 0
    .kernarg_segment_align: 8
    .kernarg_segment_size: 96
    .language:       OpenCL C
    .language_version:
      - 2
      - 0
    .max_flat_workgroup_size: 64
    .name:           _ZN7rocprim17ROCPRIM_400000_NS6detail17trampoline_kernelINS0_14default_configENS1_20scan_config_selectorIN3c104HalfEEEZZNS1_9scan_implILNS1_25lookback_scan_determinismE0ELb0ELb0ES3_PKS6_PS6_S6_ZZZN2at6native31launch_logcumsumexp_cuda_kernelERKNSD_10TensorBaseESH_lENKUlvE_clEvENKUlvE3_clEvEUlS6_S6_E_S6_EEDaPvRmT3_T4_T5_mT6_P12ihipStream_tbENKUlT_T0_E_clISt17integral_constantIbLb0EESY_EEDaST_SU_EUlST_E_NS1_11comp_targetILNS1_3genE8ELNS1_11target_archE1030ELNS1_3gpuE2ELNS1_3repE0EEENS1_30default_config_static_selectorELNS0_4arch9wavefront6targetE1EEEvT1_
    .private_segment_fixed_size: 0
    .sgpr_count:     6
    .sgpr_spill_count: 0
    .symbol:         _ZN7rocprim17ROCPRIM_400000_NS6detail17trampoline_kernelINS0_14default_configENS1_20scan_config_selectorIN3c104HalfEEEZZNS1_9scan_implILNS1_25lookback_scan_determinismE0ELb0ELb0ES3_PKS6_PS6_S6_ZZZN2at6native31launch_logcumsumexp_cuda_kernelERKNSD_10TensorBaseESH_lENKUlvE_clEvENKUlvE3_clEvEUlS6_S6_E_S6_EEDaPvRmT3_T4_T5_mT6_P12ihipStream_tbENKUlT_T0_E_clISt17integral_constantIbLb0EESY_EEDaST_SU_EUlST_E_NS1_11comp_targetILNS1_3genE8ELNS1_11target_archE1030ELNS1_3gpuE2ELNS1_3repE0EEENS1_30default_config_static_selectorELNS0_4arch9wavefront6targetE1EEEvT1_.kd
    .uniform_work_group_size: 1
    .uses_dynamic_stack: false
    .vgpr_count:     0
    .vgpr_spill_count: 0
    .wavefront_size: 64
  - .agpr_count:     0
    .args:
      - .offset:         0
        .size:           40
        .value_kind:     by_value
    .group_segment_fixed_size: 0
    .kernarg_segment_align: 8
    .kernarg_segment_size: 40
    .language:       OpenCL C
    .language_version:
      - 2
      - 0
    .max_flat_workgroup_size: 128
    .name:           _ZN7rocprim17ROCPRIM_400000_NS6detail17trampoline_kernelINS0_14default_configENS1_25transform_config_selectorIN3c104HalfELb1EEEZNS1_14transform_implILb1ES3_S7_PS6_S9_NS0_8identityIS6_EEEE10hipError_tT2_T3_mT4_P12ihipStream_tbEUlT_E_NS1_11comp_targetILNS1_3genE0ELNS1_11target_archE4294967295ELNS1_3gpuE0ELNS1_3repE0EEENS1_30default_config_static_selectorELNS0_4arch9wavefront6targetE1EEEvT1_
    .private_segment_fixed_size: 0
    .sgpr_count:     6
    .sgpr_spill_count: 0
    .symbol:         _ZN7rocprim17ROCPRIM_400000_NS6detail17trampoline_kernelINS0_14default_configENS1_25transform_config_selectorIN3c104HalfELb1EEEZNS1_14transform_implILb1ES3_S7_PS6_S9_NS0_8identityIS6_EEEE10hipError_tT2_T3_mT4_P12ihipStream_tbEUlT_E_NS1_11comp_targetILNS1_3genE0ELNS1_11target_archE4294967295ELNS1_3gpuE0ELNS1_3repE0EEENS1_30default_config_static_selectorELNS0_4arch9wavefront6targetE1EEEvT1_.kd
    .uniform_work_group_size: 1
    .uses_dynamic_stack: false
    .vgpr_count:     0
    .vgpr_spill_count: 0
    .wavefront_size: 64
  - .agpr_count:     0
    .args:
      - .offset:         0
        .size:           40
        .value_kind:     by_value
    .group_segment_fixed_size: 0
    .kernarg_segment_align: 8
    .kernarg_segment_size: 40
    .language:       OpenCL C
    .language_version:
      - 2
      - 0
    .max_flat_workgroup_size: 64
    .name:           _ZN7rocprim17ROCPRIM_400000_NS6detail17trampoline_kernelINS0_14default_configENS1_25transform_config_selectorIN3c104HalfELb1EEEZNS1_14transform_implILb1ES3_S7_PS6_S9_NS0_8identityIS6_EEEE10hipError_tT2_T3_mT4_P12ihipStream_tbEUlT_E_NS1_11comp_targetILNS1_3genE10ELNS1_11target_archE1201ELNS1_3gpuE5ELNS1_3repE0EEENS1_30default_config_static_selectorELNS0_4arch9wavefront6targetE1EEEvT1_
    .private_segment_fixed_size: 0
    .sgpr_count:     6
    .sgpr_spill_count: 0
    .symbol:         _ZN7rocprim17ROCPRIM_400000_NS6detail17trampoline_kernelINS0_14default_configENS1_25transform_config_selectorIN3c104HalfELb1EEEZNS1_14transform_implILb1ES3_S7_PS6_S9_NS0_8identityIS6_EEEE10hipError_tT2_T3_mT4_P12ihipStream_tbEUlT_E_NS1_11comp_targetILNS1_3genE10ELNS1_11target_archE1201ELNS1_3gpuE5ELNS1_3repE0EEENS1_30default_config_static_selectorELNS0_4arch9wavefront6targetE1EEEvT1_.kd
    .uniform_work_group_size: 1
    .uses_dynamic_stack: false
    .vgpr_count:     0
    .vgpr_spill_count: 0
    .wavefront_size: 64
  - .agpr_count:     0
    .args:
      - .offset:         0
        .size:           40
        .value_kind:     by_value
      - .offset:         40
        .size:           4
        .value_kind:     hidden_block_count_x
      - .offset:         44
        .size:           4
        .value_kind:     hidden_block_count_y
      - .offset:         48
        .size:           4
        .value_kind:     hidden_block_count_z
      - .offset:         52
        .size:           2
        .value_kind:     hidden_group_size_x
      - .offset:         54
        .size:           2
        .value_kind:     hidden_group_size_y
      - .offset:         56
        .size:           2
        .value_kind:     hidden_group_size_z
      - .offset:         58
        .size:           2
        .value_kind:     hidden_remainder_x
      - .offset:         60
        .size:           2
        .value_kind:     hidden_remainder_y
      - .offset:         62
        .size:           2
        .value_kind:     hidden_remainder_z
      - .offset:         80
        .size:           8
        .value_kind:     hidden_global_offset_x
      - .offset:         88
        .size:           8
        .value_kind:     hidden_global_offset_y
      - .offset:         96
        .size:           8
        .value_kind:     hidden_global_offset_z
      - .offset:         104
        .size:           2
        .value_kind:     hidden_grid_dims
    .group_segment_fixed_size: 0
    .kernarg_segment_align: 8
    .kernarg_segment_size: 296
    .language:       OpenCL C
    .language_version:
      - 2
      - 0
    .max_flat_workgroup_size: 256
    .name:           _ZN7rocprim17ROCPRIM_400000_NS6detail17trampoline_kernelINS0_14default_configENS1_25transform_config_selectorIN3c104HalfELb1EEEZNS1_14transform_implILb1ES3_S7_PS6_S9_NS0_8identityIS6_EEEE10hipError_tT2_T3_mT4_P12ihipStream_tbEUlT_E_NS1_11comp_targetILNS1_3genE5ELNS1_11target_archE942ELNS1_3gpuE9ELNS1_3repE0EEENS1_30default_config_static_selectorELNS0_4arch9wavefront6targetE1EEEvT1_
    .private_segment_fixed_size: 0
    .sgpr_count:     30
    .sgpr_spill_count: 0
    .symbol:         _ZN7rocprim17ROCPRIM_400000_NS6detail17trampoline_kernelINS0_14default_configENS1_25transform_config_selectorIN3c104HalfELb1EEEZNS1_14transform_implILb1ES3_S7_PS6_S9_NS0_8identityIS6_EEEE10hipError_tT2_T3_mT4_P12ihipStream_tbEUlT_E_NS1_11comp_targetILNS1_3genE5ELNS1_11target_archE942ELNS1_3gpuE9ELNS1_3repE0EEENS1_30default_config_static_selectorELNS0_4arch9wavefront6targetE1EEEvT1_.kd
    .uniform_work_group_size: 1
    .uses_dynamic_stack: false
    .vgpr_count:     11
    .vgpr_spill_count: 0
    .wavefront_size: 64
  - .agpr_count:     0
    .args:
      - .offset:         0
        .size:           40
        .value_kind:     by_value
    .group_segment_fixed_size: 0
    .kernarg_segment_align: 8
    .kernarg_segment_size: 40
    .language:       OpenCL C
    .language_version:
      - 2
      - 0
    .max_flat_workgroup_size: 1024
    .name:           _ZN7rocprim17ROCPRIM_400000_NS6detail17trampoline_kernelINS0_14default_configENS1_25transform_config_selectorIN3c104HalfELb1EEEZNS1_14transform_implILb1ES3_S7_PS6_S9_NS0_8identityIS6_EEEE10hipError_tT2_T3_mT4_P12ihipStream_tbEUlT_E_NS1_11comp_targetILNS1_3genE4ELNS1_11target_archE910ELNS1_3gpuE8ELNS1_3repE0EEENS1_30default_config_static_selectorELNS0_4arch9wavefront6targetE1EEEvT1_
    .private_segment_fixed_size: 0
    .sgpr_count:     6
    .sgpr_spill_count: 0
    .symbol:         _ZN7rocprim17ROCPRIM_400000_NS6detail17trampoline_kernelINS0_14default_configENS1_25transform_config_selectorIN3c104HalfELb1EEEZNS1_14transform_implILb1ES3_S7_PS6_S9_NS0_8identityIS6_EEEE10hipError_tT2_T3_mT4_P12ihipStream_tbEUlT_E_NS1_11comp_targetILNS1_3genE4ELNS1_11target_archE910ELNS1_3gpuE8ELNS1_3repE0EEENS1_30default_config_static_selectorELNS0_4arch9wavefront6targetE1EEEvT1_.kd
    .uniform_work_group_size: 1
    .uses_dynamic_stack: false
    .vgpr_count:     0
    .vgpr_spill_count: 0
    .wavefront_size: 64
  - .agpr_count:     0
    .args:
      - .offset:         0
        .size:           40
        .value_kind:     by_value
    .group_segment_fixed_size: 0
    .kernarg_segment_align: 8
    .kernarg_segment_size: 40
    .language:       OpenCL C
    .language_version:
      - 2
      - 0
    .max_flat_workgroup_size: 128
    .name:           _ZN7rocprim17ROCPRIM_400000_NS6detail17trampoline_kernelINS0_14default_configENS1_25transform_config_selectorIN3c104HalfELb1EEEZNS1_14transform_implILb1ES3_S7_PS6_S9_NS0_8identityIS6_EEEE10hipError_tT2_T3_mT4_P12ihipStream_tbEUlT_E_NS1_11comp_targetILNS1_3genE3ELNS1_11target_archE908ELNS1_3gpuE7ELNS1_3repE0EEENS1_30default_config_static_selectorELNS0_4arch9wavefront6targetE1EEEvT1_
    .private_segment_fixed_size: 0
    .sgpr_count:     6
    .sgpr_spill_count: 0
    .symbol:         _ZN7rocprim17ROCPRIM_400000_NS6detail17trampoline_kernelINS0_14default_configENS1_25transform_config_selectorIN3c104HalfELb1EEEZNS1_14transform_implILb1ES3_S7_PS6_S9_NS0_8identityIS6_EEEE10hipError_tT2_T3_mT4_P12ihipStream_tbEUlT_E_NS1_11comp_targetILNS1_3genE3ELNS1_11target_archE908ELNS1_3gpuE7ELNS1_3repE0EEENS1_30default_config_static_selectorELNS0_4arch9wavefront6targetE1EEEvT1_.kd
    .uniform_work_group_size: 1
    .uses_dynamic_stack: false
    .vgpr_count:     0
    .vgpr_spill_count: 0
    .wavefront_size: 64
  - .agpr_count:     0
    .args:
      - .offset:         0
        .size:           40
        .value_kind:     by_value
    .group_segment_fixed_size: 0
    .kernarg_segment_align: 8
    .kernarg_segment_size: 40
    .language:       OpenCL C
    .language_version:
      - 2
      - 0
    .max_flat_workgroup_size: 1024
    .name:           _ZN7rocprim17ROCPRIM_400000_NS6detail17trampoline_kernelINS0_14default_configENS1_25transform_config_selectorIN3c104HalfELb1EEEZNS1_14transform_implILb1ES3_S7_PS6_S9_NS0_8identityIS6_EEEE10hipError_tT2_T3_mT4_P12ihipStream_tbEUlT_E_NS1_11comp_targetILNS1_3genE2ELNS1_11target_archE906ELNS1_3gpuE6ELNS1_3repE0EEENS1_30default_config_static_selectorELNS0_4arch9wavefront6targetE1EEEvT1_
    .private_segment_fixed_size: 0
    .sgpr_count:     6
    .sgpr_spill_count: 0
    .symbol:         _ZN7rocprim17ROCPRIM_400000_NS6detail17trampoline_kernelINS0_14default_configENS1_25transform_config_selectorIN3c104HalfELb1EEEZNS1_14transform_implILb1ES3_S7_PS6_S9_NS0_8identityIS6_EEEE10hipError_tT2_T3_mT4_P12ihipStream_tbEUlT_E_NS1_11comp_targetILNS1_3genE2ELNS1_11target_archE906ELNS1_3gpuE6ELNS1_3repE0EEENS1_30default_config_static_selectorELNS0_4arch9wavefront6targetE1EEEvT1_.kd
    .uniform_work_group_size: 1
    .uses_dynamic_stack: false
    .vgpr_count:     0
    .vgpr_spill_count: 0
    .wavefront_size: 64
  - .agpr_count:     0
    .args:
      - .offset:         0
        .size:           40
        .value_kind:     by_value
    .group_segment_fixed_size: 0
    .kernarg_segment_align: 8
    .kernarg_segment_size: 40
    .language:       OpenCL C
    .language_version:
      - 2
      - 0
    .max_flat_workgroup_size: 1024
    .name:           _ZN7rocprim17ROCPRIM_400000_NS6detail17trampoline_kernelINS0_14default_configENS1_25transform_config_selectorIN3c104HalfELb1EEEZNS1_14transform_implILb1ES3_S7_PS6_S9_NS0_8identityIS6_EEEE10hipError_tT2_T3_mT4_P12ihipStream_tbEUlT_E_NS1_11comp_targetILNS1_3genE9ELNS1_11target_archE1100ELNS1_3gpuE3ELNS1_3repE0EEENS1_30default_config_static_selectorELNS0_4arch9wavefront6targetE1EEEvT1_
    .private_segment_fixed_size: 0
    .sgpr_count:     6
    .sgpr_spill_count: 0
    .symbol:         _ZN7rocprim17ROCPRIM_400000_NS6detail17trampoline_kernelINS0_14default_configENS1_25transform_config_selectorIN3c104HalfELb1EEEZNS1_14transform_implILb1ES3_S7_PS6_S9_NS0_8identityIS6_EEEE10hipError_tT2_T3_mT4_P12ihipStream_tbEUlT_E_NS1_11comp_targetILNS1_3genE9ELNS1_11target_archE1100ELNS1_3gpuE3ELNS1_3repE0EEENS1_30default_config_static_selectorELNS0_4arch9wavefront6targetE1EEEvT1_.kd
    .uniform_work_group_size: 1
    .uses_dynamic_stack: false
    .vgpr_count:     0
    .vgpr_spill_count: 0
    .wavefront_size: 64
  - .agpr_count:     0
    .args:
      - .offset:         0
        .size:           40
        .value_kind:     by_value
    .group_segment_fixed_size: 0
    .kernarg_segment_align: 8
    .kernarg_segment_size: 40
    .language:       OpenCL C
    .language_version:
      - 2
      - 0
    .max_flat_workgroup_size: 1024
    .name:           _ZN7rocprim17ROCPRIM_400000_NS6detail17trampoline_kernelINS0_14default_configENS1_25transform_config_selectorIN3c104HalfELb1EEEZNS1_14transform_implILb1ES3_S7_PS6_S9_NS0_8identityIS6_EEEE10hipError_tT2_T3_mT4_P12ihipStream_tbEUlT_E_NS1_11comp_targetILNS1_3genE8ELNS1_11target_archE1030ELNS1_3gpuE2ELNS1_3repE0EEENS1_30default_config_static_selectorELNS0_4arch9wavefront6targetE1EEEvT1_
    .private_segment_fixed_size: 0
    .sgpr_count:     6
    .sgpr_spill_count: 0
    .symbol:         _ZN7rocprim17ROCPRIM_400000_NS6detail17trampoline_kernelINS0_14default_configENS1_25transform_config_selectorIN3c104HalfELb1EEEZNS1_14transform_implILb1ES3_S7_PS6_S9_NS0_8identityIS6_EEEE10hipError_tT2_T3_mT4_P12ihipStream_tbEUlT_E_NS1_11comp_targetILNS1_3genE8ELNS1_11target_archE1030ELNS1_3gpuE2ELNS1_3repE0EEENS1_30default_config_static_selectorELNS0_4arch9wavefront6targetE1EEEvT1_.kd
    .uniform_work_group_size: 1
    .uses_dynamic_stack: false
    .vgpr_count:     0
    .vgpr_spill_count: 0
    .wavefront_size: 64
  - .agpr_count:     0
    .args:
      - .offset:         0
        .size:           32
        .value_kind:     by_value
    .group_segment_fixed_size: 0
    .kernarg_segment_align: 8
    .kernarg_segment_size: 32
    .language:       OpenCL C
    .language_version:
      - 2
      - 0
    .max_flat_workgroup_size: 128
    .name:           _ZN7rocprim17ROCPRIM_400000_NS6detail17trampoline_kernelINS0_14default_configENS1_20scan_config_selectorIN3c104HalfEEEZZNS1_9scan_implILNS1_25lookback_scan_determinismE0ELb0ELb0ES3_PKS6_PS6_S6_ZZZN2at6native31launch_logcumsumexp_cuda_kernelERKNSD_10TensorBaseESH_lENKUlvE_clEvENKUlvE3_clEvEUlS6_S6_E_S6_EEDaPvRmT3_T4_T5_mT6_P12ihipStream_tbENKUlT_T0_E_clISt17integral_constantIbLb0EESY_EEDaST_SU_EUlST_E0_NS1_11comp_targetILNS1_3genE0ELNS1_11target_archE4294967295ELNS1_3gpuE0ELNS1_3repE0EEENS1_30default_config_static_selectorELNS0_4arch9wavefront6targetE1EEEvT1_
    .private_segment_fixed_size: 0
    .sgpr_count:     6
    .sgpr_spill_count: 0
    .symbol:         _ZN7rocprim17ROCPRIM_400000_NS6detail17trampoline_kernelINS0_14default_configENS1_20scan_config_selectorIN3c104HalfEEEZZNS1_9scan_implILNS1_25lookback_scan_determinismE0ELb0ELb0ES3_PKS6_PS6_S6_ZZZN2at6native31launch_logcumsumexp_cuda_kernelERKNSD_10TensorBaseESH_lENKUlvE_clEvENKUlvE3_clEvEUlS6_S6_E_S6_EEDaPvRmT3_T4_T5_mT6_P12ihipStream_tbENKUlT_T0_E_clISt17integral_constantIbLb0EESY_EEDaST_SU_EUlST_E0_NS1_11comp_targetILNS1_3genE0ELNS1_11target_archE4294967295ELNS1_3gpuE0ELNS1_3repE0EEENS1_30default_config_static_selectorELNS0_4arch9wavefront6targetE1EEEvT1_.kd
    .uniform_work_group_size: 1
    .uses_dynamic_stack: false
    .vgpr_count:     0
    .vgpr_spill_count: 0
    .wavefront_size: 64
  - .agpr_count:     0
    .args:
      - .offset:         0
        .size:           32
        .value_kind:     by_value
    .group_segment_fixed_size: 12288
    .kernarg_segment_align: 8
    .kernarg_segment_size: 32
    .language:       OpenCL C
    .language_version:
      - 2
      - 0
    .max_flat_workgroup_size: 256
    .name:           _ZN7rocprim17ROCPRIM_400000_NS6detail17trampoline_kernelINS0_14default_configENS1_20scan_config_selectorIN3c104HalfEEEZZNS1_9scan_implILNS1_25lookback_scan_determinismE0ELb0ELb0ES3_PKS6_PS6_S6_ZZZN2at6native31launch_logcumsumexp_cuda_kernelERKNSD_10TensorBaseESH_lENKUlvE_clEvENKUlvE3_clEvEUlS6_S6_E_S6_EEDaPvRmT3_T4_T5_mT6_P12ihipStream_tbENKUlT_T0_E_clISt17integral_constantIbLb0EESY_EEDaST_SU_EUlST_E0_NS1_11comp_targetILNS1_3genE5ELNS1_11target_archE942ELNS1_3gpuE9ELNS1_3repE0EEENS1_30default_config_static_selectorELNS0_4arch9wavefront6targetE1EEEvT1_
    .private_segment_fixed_size: 0
    .sgpr_count:     106
    .sgpr_spill_count: 8
    .symbol:         _ZN7rocprim17ROCPRIM_400000_NS6detail17trampoline_kernelINS0_14default_configENS1_20scan_config_selectorIN3c104HalfEEEZZNS1_9scan_implILNS1_25lookback_scan_determinismE0ELb0ELb0ES3_PKS6_PS6_S6_ZZZN2at6native31launch_logcumsumexp_cuda_kernelERKNSD_10TensorBaseESH_lENKUlvE_clEvENKUlvE3_clEvEUlS6_S6_E_S6_EEDaPvRmT3_T4_T5_mT6_P12ihipStream_tbENKUlT_T0_E_clISt17integral_constantIbLb0EESY_EEDaST_SU_EUlST_E0_NS1_11comp_targetILNS1_3genE5ELNS1_11target_archE942ELNS1_3gpuE9ELNS1_3repE0EEENS1_30default_config_static_selectorELNS0_4arch9wavefront6targetE1EEEvT1_.kd
    .uniform_work_group_size: 1
    .uses_dynamic_stack: false
    .vgpr_count:     54
    .vgpr_spill_count: 0
    .wavefront_size: 64
  - .agpr_count:     0
    .args:
      - .offset:         0
        .size:           32
        .value_kind:     by_value
    .group_segment_fixed_size: 0
    .kernarg_segment_align: 8
    .kernarg_segment_size: 32
    .language:       OpenCL C
    .language_version:
      - 2
      - 0
    .max_flat_workgroup_size: 64
    .name:           _ZN7rocprim17ROCPRIM_400000_NS6detail17trampoline_kernelINS0_14default_configENS1_20scan_config_selectorIN3c104HalfEEEZZNS1_9scan_implILNS1_25lookback_scan_determinismE0ELb0ELb0ES3_PKS6_PS6_S6_ZZZN2at6native31launch_logcumsumexp_cuda_kernelERKNSD_10TensorBaseESH_lENKUlvE_clEvENKUlvE3_clEvEUlS6_S6_E_S6_EEDaPvRmT3_T4_T5_mT6_P12ihipStream_tbENKUlT_T0_E_clISt17integral_constantIbLb0EESY_EEDaST_SU_EUlST_E0_NS1_11comp_targetILNS1_3genE4ELNS1_11target_archE910ELNS1_3gpuE8ELNS1_3repE0EEENS1_30default_config_static_selectorELNS0_4arch9wavefront6targetE1EEEvT1_
    .private_segment_fixed_size: 0
    .sgpr_count:     6
    .sgpr_spill_count: 0
    .symbol:         _ZN7rocprim17ROCPRIM_400000_NS6detail17trampoline_kernelINS0_14default_configENS1_20scan_config_selectorIN3c104HalfEEEZZNS1_9scan_implILNS1_25lookback_scan_determinismE0ELb0ELb0ES3_PKS6_PS6_S6_ZZZN2at6native31launch_logcumsumexp_cuda_kernelERKNSD_10TensorBaseESH_lENKUlvE_clEvENKUlvE3_clEvEUlS6_S6_E_S6_EEDaPvRmT3_T4_T5_mT6_P12ihipStream_tbENKUlT_T0_E_clISt17integral_constantIbLb0EESY_EEDaST_SU_EUlST_E0_NS1_11comp_targetILNS1_3genE4ELNS1_11target_archE910ELNS1_3gpuE8ELNS1_3repE0EEENS1_30default_config_static_selectorELNS0_4arch9wavefront6targetE1EEEvT1_.kd
    .uniform_work_group_size: 1
    .uses_dynamic_stack: false
    .vgpr_count:     0
    .vgpr_spill_count: 0
    .wavefront_size: 64
  - .agpr_count:     0
    .args:
      - .offset:         0
        .size:           32
        .value_kind:     by_value
    .group_segment_fixed_size: 0
    .kernarg_segment_align: 8
    .kernarg_segment_size: 32
    .language:       OpenCL C
    .language_version:
      - 2
      - 0
    .max_flat_workgroup_size: 128
    .name:           _ZN7rocprim17ROCPRIM_400000_NS6detail17trampoline_kernelINS0_14default_configENS1_20scan_config_selectorIN3c104HalfEEEZZNS1_9scan_implILNS1_25lookback_scan_determinismE0ELb0ELb0ES3_PKS6_PS6_S6_ZZZN2at6native31launch_logcumsumexp_cuda_kernelERKNSD_10TensorBaseESH_lENKUlvE_clEvENKUlvE3_clEvEUlS6_S6_E_S6_EEDaPvRmT3_T4_T5_mT6_P12ihipStream_tbENKUlT_T0_E_clISt17integral_constantIbLb0EESY_EEDaST_SU_EUlST_E0_NS1_11comp_targetILNS1_3genE3ELNS1_11target_archE908ELNS1_3gpuE7ELNS1_3repE0EEENS1_30default_config_static_selectorELNS0_4arch9wavefront6targetE1EEEvT1_
    .private_segment_fixed_size: 0
    .sgpr_count:     6
    .sgpr_spill_count: 0
    .symbol:         _ZN7rocprim17ROCPRIM_400000_NS6detail17trampoline_kernelINS0_14default_configENS1_20scan_config_selectorIN3c104HalfEEEZZNS1_9scan_implILNS1_25lookback_scan_determinismE0ELb0ELb0ES3_PKS6_PS6_S6_ZZZN2at6native31launch_logcumsumexp_cuda_kernelERKNSD_10TensorBaseESH_lENKUlvE_clEvENKUlvE3_clEvEUlS6_S6_E_S6_EEDaPvRmT3_T4_T5_mT6_P12ihipStream_tbENKUlT_T0_E_clISt17integral_constantIbLb0EESY_EEDaST_SU_EUlST_E0_NS1_11comp_targetILNS1_3genE3ELNS1_11target_archE908ELNS1_3gpuE7ELNS1_3repE0EEENS1_30default_config_static_selectorELNS0_4arch9wavefront6targetE1EEEvT1_.kd
    .uniform_work_group_size: 1
    .uses_dynamic_stack: false
    .vgpr_count:     0
    .vgpr_spill_count: 0
    .wavefront_size: 64
  - .agpr_count:     0
    .args:
      - .offset:         0
        .size:           32
        .value_kind:     by_value
    .group_segment_fixed_size: 0
    .kernarg_segment_align: 8
    .kernarg_segment_size: 32
    .language:       OpenCL C
    .language_version:
      - 2
      - 0
    .max_flat_workgroup_size: 256
    .name:           _ZN7rocprim17ROCPRIM_400000_NS6detail17trampoline_kernelINS0_14default_configENS1_20scan_config_selectorIN3c104HalfEEEZZNS1_9scan_implILNS1_25lookback_scan_determinismE0ELb0ELb0ES3_PKS6_PS6_S6_ZZZN2at6native31launch_logcumsumexp_cuda_kernelERKNSD_10TensorBaseESH_lENKUlvE_clEvENKUlvE3_clEvEUlS6_S6_E_S6_EEDaPvRmT3_T4_T5_mT6_P12ihipStream_tbENKUlT_T0_E_clISt17integral_constantIbLb0EESY_EEDaST_SU_EUlST_E0_NS1_11comp_targetILNS1_3genE2ELNS1_11target_archE906ELNS1_3gpuE6ELNS1_3repE0EEENS1_30default_config_static_selectorELNS0_4arch9wavefront6targetE1EEEvT1_
    .private_segment_fixed_size: 0
    .sgpr_count:     6
    .sgpr_spill_count: 0
    .symbol:         _ZN7rocprim17ROCPRIM_400000_NS6detail17trampoline_kernelINS0_14default_configENS1_20scan_config_selectorIN3c104HalfEEEZZNS1_9scan_implILNS1_25lookback_scan_determinismE0ELb0ELb0ES3_PKS6_PS6_S6_ZZZN2at6native31launch_logcumsumexp_cuda_kernelERKNSD_10TensorBaseESH_lENKUlvE_clEvENKUlvE3_clEvEUlS6_S6_E_S6_EEDaPvRmT3_T4_T5_mT6_P12ihipStream_tbENKUlT_T0_E_clISt17integral_constantIbLb0EESY_EEDaST_SU_EUlST_E0_NS1_11comp_targetILNS1_3genE2ELNS1_11target_archE906ELNS1_3gpuE6ELNS1_3repE0EEENS1_30default_config_static_selectorELNS0_4arch9wavefront6targetE1EEEvT1_.kd
    .uniform_work_group_size: 1
    .uses_dynamic_stack: false
    .vgpr_count:     0
    .vgpr_spill_count: 0
    .wavefront_size: 64
  - .agpr_count:     0
    .args:
      - .offset:         0
        .size:           32
        .value_kind:     by_value
    .group_segment_fixed_size: 0
    .kernarg_segment_align: 8
    .kernarg_segment_size: 32
    .language:       OpenCL C
    .language_version:
      - 2
      - 0
    .max_flat_workgroup_size: 256
    .name:           _ZN7rocprim17ROCPRIM_400000_NS6detail17trampoline_kernelINS0_14default_configENS1_20scan_config_selectorIN3c104HalfEEEZZNS1_9scan_implILNS1_25lookback_scan_determinismE0ELb0ELb0ES3_PKS6_PS6_S6_ZZZN2at6native31launch_logcumsumexp_cuda_kernelERKNSD_10TensorBaseESH_lENKUlvE_clEvENKUlvE3_clEvEUlS6_S6_E_S6_EEDaPvRmT3_T4_T5_mT6_P12ihipStream_tbENKUlT_T0_E_clISt17integral_constantIbLb0EESY_EEDaST_SU_EUlST_E0_NS1_11comp_targetILNS1_3genE10ELNS1_11target_archE1201ELNS1_3gpuE5ELNS1_3repE0EEENS1_30default_config_static_selectorELNS0_4arch9wavefront6targetE1EEEvT1_
    .private_segment_fixed_size: 0
    .sgpr_count:     6
    .sgpr_spill_count: 0
    .symbol:         _ZN7rocprim17ROCPRIM_400000_NS6detail17trampoline_kernelINS0_14default_configENS1_20scan_config_selectorIN3c104HalfEEEZZNS1_9scan_implILNS1_25lookback_scan_determinismE0ELb0ELb0ES3_PKS6_PS6_S6_ZZZN2at6native31launch_logcumsumexp_cuda_kernelERKNSD_10TensorBaseESH_lENKUlvE_clEvENKUlvE3_clEvEUlS6_S6_E_S6_EEDaPvRmT3_T4_T5_mT6_P12ihipStream_tbENKUlT_T0_E_clISt17integral_constantIbLb0EESY_EEDaST_SU_EUlST_E0_NS1_11comp_targetILNS1_3genE10ELNS1_11target_archE1201ELNS1_3gpuE5ELNS1_3repE0EEENS1_30default_config_static_selectorELNS0_4arch9wavefront6targetE1EEEvT1_.kd
    .uniform_work_group_size: 1
    .uses_dynamic_stack: false
    .vgpr_count:     0
    .vgpr_spill_count: 0
    .wavefront_size: 64
  - .agpr_count:     0
    .args:
      - .offset:         0
        .size:           32
        .value_kind:     by_value
    .group_segment_fixed_size: 0
    .kernarg_segment_align: 8
    .kernarg_segment_size: 32
    .language:       OpenCL C
    .language_version:
      - 2
      - 0
    .max_flat_workgroup_size: 256
    .name:           _ZN7rocprim17ROCPRIM_400000_NS6detail17trampoline_kernelINS0_14default_configENS1_20scan_config_selectorIN3c104HalfEEEZZNS1_9scan_implILNS1_25lookback_scan_determinismE0ELb0ELb0ES3_PKS6_PS6_S6_ZZZN2at6native31launch_logcumsumexp_cuda_kernelERKNSD_10TensorBaseESH_lENKUlvE_clEvENKUlvE3_clEvEUlS6_S6_E_S6_EEDaPvRmT3_T4_T5_mT6_P12ihipStream_tbENKUlT_T0_E_clISt17integral_constantIbLb0EESY_EEDaST_SU_EUlST_E0_NS1_11comp_targetILNS1_3genE10ELNS1_11target_archE1200ELNS1_3gpuE4ELNS1_3repE0EEENS1_30default_config_static_selectorELNS0_4arch9wavefront6targetE1EEEvT1_
    .private_segment_fixed_size: 0
    .sgpr_count:     6
    .sgpr_spill_count: 0
    .symbol:         _ZN7rocprim17ROCPRIM_400000_NS6detail17trampoline_kernelINS0_14default_configENS1_20scan_config_selectorIN3c104HalfEEEZZNS1_9scan_implILNS1_25lookback_scan_determinismE0ELb0ELb0ES3_PKS6_PS6_S6_ZZZN2at6native31launch_logcumsumexp_cuda_kernelERKNSD_10TensorBaseESH_lENKUlvE_clEvENKUlvE3_clEvEUlS6_S6_E_S6_EEDaPvRmT3_T4_T5_mT6_P12ihipStream_tbENKUlT_T0_E_clISt17integral_constantIbLb0EESY_EEDaST_SU_EUlST_E0_NS1_11comp_targetILNS1_3genE10ELNS1_11target_archE1200ELNS1_3gpuE4ELNS1_3repE0EEENS1_30default_config_static_selectorELNS0_4arch9wavefront6targetE1EEEvT1_.kd
    .uniform_work_group_size: 1
    .uses_dynamic_stack: false
    .vgpr_count:     0
    .vgpr_spill_count: 0
    .wavefront_size: 64
  - .agpr_count:     0
    .args:
      - .offset:         0
        .size:           32
        .value_kind:     by_value
    .group_segment_fixed_size: 0
    .kernarg_segment_align: 8
    .kernarg_segment_size: 32
    .language:       OpenCL C
    .language_version:
      - 2
      - 0
    .max_flat_workgroup_size: 64
    .name:           _ZN7rocprim17ROCPRIM_400000_NS6detail17trampoline_kernelINS0_14default_configENS1_20scan_config_selectorIN3c104HalfEEEZZNS1_9scan_implILNS1_25lookback_scan_determinismE0ELb0ELb0ES3_PKS6_PS6_S6_ZZZN2at6native31launch_logcumsumexp_cuda_kernelERKNSD_10TensorBaseESH_lENKUlvE_clEvENKUlvE3_clEvEUlS6_S6_E_S6_EEDaPvRmT3_T4_T5_mT6_P12ihipStream_tbENKUlT_T0_E_clISt17integral_constantIbLb0EESY_EEDaST_SU_EUlST_E0_NS1_11comp_targetILNS1_3genE9ELNS1_11target_archE1100ELNS1_3gpuE3ELNS1_3repE0EEENS1_30default_config_static_selectorELNS0_4arch9wavefront6targetE1EEEvT1_
    .private_segment_fixed_size: 0
    .sgpr_count:     6
    .sgpr_spill_count: 0
    .symbol:         _ZN7rocprim17ROCPRIM_400000_NS6detail17trampoline_kernelINS0_14default_configENS1_20scan_config_selectorIN3c104HalfEEEZZNS1_9scan_implILNS1_25lookback_scan_determinismE0ELb0ELb0ES3_PKS6_PS6_S6_ZZZN2at6native31launch_logcumsumexp_cuda_kernelERKNSD_10TensorBaseESH_lENKUlvE_clEvENKUlvE3_clEvEUlS6_S6_E_S6_EEDaPvRmT3_T4_T5_mT6_P12ihipStream_tbENKUlT_T0_E_clISt17integral_constantIbLb0EESY_EEDaST_SU_EUlST_E0_NS1_11comp_targetILNS1_3genE9ELNS1_11target_archE1100ELNS1_3gpuE3ELNS1_3repE0EEENS1_30default_config_static_selectorELNS0_4arch9wavefront6targetE1EEEvT1_.kd
    .uniform_work_group_size: 1
    .uses_dynamic_stack: false
    .vgpr_count:     0
    .vgpr_spill_count: 0
    .wavefront_size: 64
  - .agpr_count:     0
    .args:
      - .offset:         0
        .size:           32
        .value_kind:     by_value
    .group_segment_fixed_size: 0
    .kernarg_segment_align: 8
    .kernarg_segment_size: 32
    .language:       OpenCL C
    .language_version:
      - 2
      - 0
    .max_flat_workgroup_size: 64
    .name:           _ZN7rocprim17ROCPRIM_400000_NS6detail17trampoline_kernelINS0_14default_configENS1_20scan_config_selectorIN3c104HalfEEEZZNS1_9scan_implILNS1_25lookback_scan_determinismE0ELb0ELb0ES3_PKS6_PS6_S6_ZZZN2at6native31launch_logcumsumexp_cuda_kernelERKNSD_10TensorBaseESH_lENKUlvE_clEvENKUlvE3_clEvEUlS6_S6_E_S6_EEDaPvRmT3_T4_T5_mT6_P12ihipStream_tbENKUlT_T0_E_clISt17integral_constantIbLb0EESY_EEDaST_SU_EUlST_E0_NS1_11comp_targetILNS1_3genE8ELNS1_11target_archE1030ELNS1_3gpuE2ELNS1_3repE0EEENS1_30default_config_static_selectorELNS0_4arch9wavefront6targetE1EEEvT1_
    .private_segment_fixed_size: 0
    .sgpr_count:     6
    .sgpr_spill_count: 0
    .symbol:         _ZN7rocprim17ROCPRIM_400000_NS6detail17trampoline_kernelINS0_14default_configENS1_20scan_config_selectorIN3c104HalfEEEZZNS1_9scan_implILNS1_25lookback_scan_determinismE0ELb0ELb0ES3_PKS6_PS6_S6_ZZZN2at6native31launch_logcumsumexp_cuda_kernelERKNSD_10TensorBaseESH_lENKUlvE_clEvENKUlvE3_clEvEUlS6_S6_E_S6_EEDaPvRmT3_T4_T5_mT6_P12ihipStream_tbENKUlT_T0_E_clISt17integral_constantIbLb0EESY_EEDaST_SU_EUlST_E0_NS1_11comp_targetILNS1_3genE8ELNS1_11target_archE1030ELNS1_3gpuE2ELNS1_3repE0EEENS1_30default_config_static_selectorELNS0_4arch9wavefront6targetE1EEEvT1_.kd
    .uniform_work_group_size: 1
    .uses_dynamic_stack: false
    .vgpr_count:     0
    .vgpr_spill_count: 0
    .wavefront_size: 64
  - .agpr_count:     0
    .args:
      - .address_space:  global
        .offset:         0
        .size:           8
        .value_kind:     global_buffer
      - .offset:         8
        .size:           4
        .value_kind:     by_value
      - .address_space:  global
        .offset:         16
        .size:           8
        .value_kind:     global_buffer
      - .offset:         24
        .size:           4
        .value_kind:     by_value
      - .address_space:  global
        .offset:         32
        .size:           8
        .value_kind:     global_buffer
      - .offset:         40
        .size:           4
        .value_kind:     hidden_block_count_x
      - .offset:         44
        .size:           4
        .value_kind:     hidden_block_count_y
      - .offset:         48
        .size:           4
        .value_kind:     hidden_block_count_z
      - .offset:         52
        .size:           2
        .value_kind:     hidden_group_size_x
      - .offset:         54
        .size:           2
        .value_kind:     hidden_group_size_y
      - .offset:         56
        .size:           2
        .value_kind:     hidden_group_size_z
      - .offset:         58
        .size:           2
        .value_kind:     hidden_remainder_x
      - .offset:         60
        .size:           2
        .value_kind:     hidden_remainder_y
      - .offset:         62
        .size:           2
        .value_kind:     hidden_remainder_z
      - .offset:         80
        .size:           8
        .value_kind:     hidden_global_offset_x
      - .offset:         88
        .size:           8
        .value_kind:     hidden_global_offset_y
      - .offset:         96
        .size:           8
        .value_kind:     hidden_global_offset_z
      - .offset:         104
        .size:           2
        .value_kind:     hidden_grid_dims
    .group_segment_fixed_size: 0
    .kernarg_segment_align: 8
    .kernarg_segment_size: 296
    .language:       OpenCL C
    .language_version:
      - 2
      - 0
    .max_flat_workgroup_size: 256
    .name:           _ZN7rocprim17ROCPRIM_400000_NS6detail31init_lookback_scan_state_kernelINS1_19lookback_scan_stateIN3c104HalfELb1ELb1EEENS1_16block_id_wrapperIjLb1EEEEEvT_jT0_jPNS9_10value_typeE
    .private_segment_fixed_size: 0
    .sgpr_count:     20
    .sgpr_spill_count: 0
    .symbol:         _ZN7rocprim17ROCPRIM_400000_NS6detail31init_lookback_scan_state_kernelINS1_19lookback_scan_stateIN3c104HalfELb1ELb1EEENS1_16block_id_wrapperIjLb1EEEEEvT_jT0_jPNS9_10value_typeE.kd
    .uniform_work_group_size: 1
    .uses_dynamic_stack: false
    .vgpr_count:     6
    .vgpr_spill_count: 0
    .wavefront_size: 64
  - .agpr_count:     0
    .args:
      - .offset:         0
        .size:           96
        .value_kind:     by_value
    .group_segment_fixed_size: 0
    .kernarg_segment_align: 8
    .kernarg_segment_size: 96
    .language:       OpenCL C
    .language_version:
      - 2
      - 0
    .max_flat_workgroup_size: 128
    .name:           _ZN7rocprim17ROCPRIM_400000_NS6detail17trampoline_kernelINS0_14default_configENS1_20scan_config_selectorIN3c104HalfEEEZZNS1_9scan_implILNS1_25lookback_scan_determinismE0ELb0ELb0ES3_PKS6_PS6_S6_ZZZN2at6native31launch_logcumsumexp_cuda_kernelERKNSD_10TensorBaseESH_lENKUlvE_clEvENKUlvE3_clEvEUlS6_S6_E_S6_EEDaPvRmT3_T4_T5_mT6_P12ihipStream_tbENKUlT_T0_E_clISt17integral_constantIbLb1EESY_EEDaST_SU_EUlST_E_NS1_11comp_targetILNS1_3genE0ELNS1_11target_archE4294967295ELNS1_3gpuE0ELNS1_3repE0EEENS1_30default_config_static_selectorELNS0_4arch9wavefront6targetE1EEEvT1_
    .private_segment_fixed_size: 0
    .sgpr_count:     6
    .sgpr_spill_count: 0
    .symbol:         _ZN7rocprim17ROCPRIM_400000_NS6detail17trampoline_kernelINS0_14default_configENS1_20scan_config_selectorIN3c104HalfEEEZZNS1_9scan_implILNS1_25lookback_scan_determinismE0ELb0ELb0ES3_PKS6_PS6_S6_ZZZN2at6native31launch_logcumsumexp_cuda_kernelERKNSD_10TensorBaseESH_lENKUlvE_clEvENKUlvE3_clEvEUlS6_S6_E_S6_EEDaPvRmT3_T4_T5_mT6_P12ihipStream_tbENKUlT_T0_E_clISt17integral_constantIbLb1EESY_EEDaST_SU_EUlST_E_NS1_11comp_targetILNS1_3genE0ELNS1_11target_archE4294967295ELNS1_3gpuE0ELNS1_3repE0EEENS1_30default_config_static_selectorELNS0_4arch9wavefront6targetE1EEEvT1_.kd
    .uniform_work_group_size: 1
    .uses_dynamic_stack: false
    .vgpr_count:     0
    .vgpr_spill_count: 0
    .wavefront_size: 64
  - .agpr_count:     0
    .args:
      - .offset:         0
        .size:           96
        .value_kind:     by_value
      - .offset:         96
        .size:           4
        .value_kind:     hidden_block_count_x
      - .offset:         100
        .size:           4
        .value_kind:     hidden_block_count_y
      - .offset:         104
        .size:           4
        .value_kind:     hidden_block_count_z
      - .offset:         108
        .size:           2
        .value_kind:     hidden_group_size_x
      - .offset:         110
        .size:           2
        .value_kind:     hidden_group_size_y
      - .offset:         112
        .size:           2
        .value_kind:     hidden_group_size_z
      - .offset:         114
        .size:           2
        .value_kind:     hidden_remainder_x
      - .offset:         116
        .size:           2
        .value_kind:     hidden_remainder_y
      - .offset:         118
        .size:           2
        .value_kind:     hidden_remainder_z
      - .offset:         136
        .size:           8
        .value_kind:     hidden_global_offset_x
      - .offset:         144
        .size:           8
        .value_kind:     hidden_global_offset_y
      - .offset:         152
        .size:           8
        .value_kind:     hidden_global_offset_z
      - .offset:         160
        .size:           2
        .value_kind:     hidden_grid_dims
    .group_segment_fixed_size: 12288
    .kernarg_segment_align: 8
    .kernarg_segment_size: 352
    .language:       OpenCL C
    .language_version:
      - 2
      - 0
    .max_flat_workgroup_size: 256
    .name:           _ZN7rocprim17ROCPRIM_400000_NS6detail17trampoline_kernelINS0_14default_configENS1_20scan_config_selectorIN3c104HalfEEEZZNS1_9scan_implILNS1_25lookback_scan_determinismE0ELb0ELb0ES3_PKS6_PS6_S6_ZZZN2at6native31launch_logcumsumexp_cuda_kernelERKNSD_10TensorBaseESH_lENKUlvE_clEvENKUlvE3_clEvEUlS6_S6_E_S6_EEDaPvRmT3_T4_T5_mT6_P12ihipStream_tbENKUlT_T0_E_clISt17integral_constantIbLb1EESY_EEDaST_SU_EUlST_E_NS1_11comp_targetILNS1_3genE5ELNS1_11target_archE942ELNS1_3gpuE9ELNS1_3repE0EEENS1_30default_config_static_selectorELNS0_4arch9wavefront6targetE1EEEvT1_
    .private_segment_fixed_size: 120
    .sgpr_count:     80
    .sgpr_spill_count: 0
    .symbol:         _ZN7rocprim17ROCPRIM_400000_NS6detail17trampoline_kernelINS0_14default_configENS1_20scan_config_selectorIN3c104HalfEEEZZNS1_9scan_implILNS1_25lookback_scan_determinismE0ELb0ELb0ES3_PKS6_PS6_S6_ZZZN2at6native31launch_logcumsumexp_cuda_kernelERKNSD_10TensorBaseESH_lENKUlvE_clEvENKUlvE3_clEvEUlS6_S6_E_S6_EEDaPvRmT3_T4_T5_mT6_P12ihipStream_tbENKUlT_T0_E_clISt17integral_constantIbLb1EESY_EEDaST_SU_EUlST_E_NS1_11comp_targetILNS1_3genE5ELNS1_11target_archE942ELNS1_3gpuE9ELNS1_3repE0EEENS1_30default_config_static_selectorELNS0_4arch9wavefront6targetE1EEEvT1_.kd
    .uniform_work_group_size: 1
    .uses_dynamic_stack: false
    .vgpr_count:     168
    .vgpr_spill_count: 0
    .wavefront_size: 64
  - .agpr_count:     0
    .args:
      - .offset:         0
        .size:           96
        .value_kind:     by_value
    .group_segment_fixed_size: 0
    .kernarg_segment_align: 8
    .kernarg_segment_size: 96
    .language:       OpenCL C
    .language_version:
      - 2
      - 0
    .max_flat_workgroup_size: 64
    .name:           _ZN7rocprim17ROCPRIM_400000_NS6detail17trampoline_kernelINS0_14default_configENS1_20scan_config_selectorIN3c104HalfEEEZZNS1_9scan_implILNS1_25lookback_scan_determinismE0ELb0ELb0ES3_PKS6_PS6_S6_ZZZN2at6native31launch_logcumsumexp_cuda_kernelERKNSD_10TensorBaseESH_lENKUlvE_clEvENKUlvE3_clEvEUlS6_S6_E_S6_EEDaPvRmT3_T4_T5_mT6_P12ihipStream_tbENKUlT_T0_E_clISt17integral_constantIbLb1EESY_EEDaST_SU_EUlST_E_NS1_11comp_targetILNS1_3genE4ELNS1_11target_archE910ELNS1_3gpuE8ELNS1_3repE0EEENS1_30default_config_static_selectorELNS0_4arch9wavefront6targetE1EEEvT1_
    .private_segment_fixed_size: 0
    .sgpr_count:     6
    .sgpr_spill_count: 0
    .symbol:         _ZN7rocprim17ROCPRIM_400000_NS6detail17trampoline_kernelINS0_14default_configENS1_20scan_config_selectorIN3c104HalfEEEZZNS1_9scan_implILNS1_25lookback_scan_determinismE0ELb0ELb0ES3_PKS6_PS6_S6_ZZZN2at6native31launch_logcumsumexp_cuda_kernelERKNSD_10TensorBaseESH_lENKUlvE_clEvENKUlvE3_clEvEUlS6_S6_E_S6_EEDaPvRmT3_T4_T5_mT6_P12ihipStream_tbENKUlT_T0_E_clISt17integral_constantIbLb1EESY_EEDaST_SU_EUlST_E_NS1_11comp_targetILNS1_3genE4ELNS1_11target_archE910ELNS1_3gpuE8ELNS1_3repE0EEENS1_30default_config_static_selectorELNS0_4arch9wavefront6targetE1EEEvT1_.kd
    .uniform_work_group_size: 1
    .uses_dynamic_stack: false
    .vgpr_count:     0
    .vgpr_spill_count: 0
    .wavefront_size: 64
  - .agpr_count:     0
    .args:
      - .offset:         0
        .size:           96
        .value_kind:     by_value
    .group_segment_fixed_size: 0
    .kernarg_segment_align: 8
    .kernarg_segment_size: 96
    .language:       OpenCL C
    .language_version:
      - 2
      - 0
    .max_flat_workgroup_size: 128
    .name:           _ZN7rocprim17ROCPRIM_400000_NS6detail17trampoline_kernelINS0_14default_configENS1_20scan_config_selectorIN3c104HalfEEEZZNS1_9scan_implILNS1_25lookback_scan_determinismE0ELb0ELb0ES3_PKS6_PS6_S6_ZZZN2at6native31launch_logcumsumexp_cuda_kernelERKNSD_10TensorBaseESH_lENKUlvE_clEvENKUlvE3_clEvEUlS6_S6_E_S6_EEDaPvRmT3_T4_T5_mT6_P12ihipStream_tbENKUlT_T0_E_clISt17integral_constantIbLb1EESY_EEDaST_SU_EUlST_E_NS1_11comp_targetILNS1_3genE3ELNS1_11target_archE908ELNS1_3gpuE7ELNS1_3repE0EEENS1_30default_config_static_selectorELNS0_4arch9wavefront6targetE1EEEvT1_
    .private_segment_fixed_size: 0
    .sgpr_count:     6
    .sgpr_spill_count: 0
    .symbol:         _ZN7rocprim17ROCPRIM_400000_NS6detail17trampoline_kernelINS0_14default_configENS1_20scan_config_selectorIN3c104HalfEEEZZNS1_9scan_implILNS1_25lookback_scan_determinismE0ELb0ELb0ES3_PKS6_PS6_S6_ZZZN2at6native31launch_logcumsumexp_cuda_kernelERKNSD_10TensorBaseESH_lENKUlvE_clEvENKUlvE3_clEvEUlS6_S6_E_S6_EEDaPvRmT3_T4_T5_mT6_P12ihipStream_tbENKUlT_T0_E_clISt17integral_constantIbLb1EESY_EEDaST_SU_EUlST_E_NS1_11comp_targetILNS1_3genE3ELNS1_11target_archE908ELNS1_3gpuE7ELNS1_3repE0EEENS1_30default_config_static_selectorELNS0_4arch9wavefront6targetE1EEEvT1_.kd
    .uniform_work_group_size: 1
    .uses_dynamic_stack: false
    .vgpr_count:     0
    .vgpr_spill_count: 0
    .wavefront_size: 64
  - .agpr_count:     0
    .args:
      - .offset:         0
        .size:           96
        .value_kind:     by_value
    .group_segment_fixed_size: 0
    .kernarg_segment_align: 8
    .kernarg_segment_size: 96
    .language:       OpenCL C
    .language_version:
      - 2
      - 0
    .max_flat_workgroup_size: 256
    .name:           _ZN7rocprim17ROCPRIM_400000_NS6detail17trampoline_kernelINS0_14default_configENS1_20scan_config_selectorIN3c104HalfEEEZZNS1_9scan_implILNS1_25lookback_scan_determinismE0ELb0ELb0ES3_PKS6_PS6_S6_ZZZN2at6native31launch_logcumsumexp_cuda_kernelERKNSD_10TensorBaseESH_lENKUlvE_clEvENKUlvE3_clEvEUlS6_S6_E_S6_EEDaPvRmT3_T4_T5_mT6_P12ihipStream_tbENKUlT_T0_E_clISt17integral_constantIbLb1EESY_EEDaST_SU_EUlST_E_NS1_11comp_targetILNS1_3genE2ELNS1_11target_archE906ELNS1_3gpuE6ELNS1_3repE0EEENS1_30default_config_static_selectorELNS0_4arch9wavefront6targetE1EEEvT1_
    .private_segment_fixed_size: 0
    .sgpr_count:     6
    .sgpr_spill_count: 0
    .symbol:         _ZN7rocprim17ROCPRIM_400000_NS6detail17trampoline_kernelINS0_14default_configENS1_20scan_config_selectorIN3c104HalfEEEZZNS1_9scan_implILNS1_25lookback_scan_determinismE0ELb0ELb0ES3_PKS6_PS6_S6_ZZZN2at6native31launch_logcumsumexp_cuda_kernelERKNSD_10TensorBaseESH_lENKUlvE_clEvENKUlvE3_clEvEUlS6_S6_E_S6_EEDaPvRmT3_T4_T5_mT6_P12ihipStream_tbENKUlT_T0_E_clISt17integral_constantIbLb1EESY_EEDaST_SU_EUlST_E_NS1_11comp_targetILNS1_3genE2ELNS1_11target_archE906ELNS1_3gpuE6ELNS1_3repE0EEENS1_30default_config_static_selectorELNS0_4arch9wavefront6targetE1EEEvT1_.kd
    .uniform_work_group_size: 1
    .uses_dynamic_stack: false
    .vgpr_count:     0
    .vgpr_spill_count: 0
    .wavefront_size: 64
  - .agpr_count:     0
    .args:
      - .offset:         0
        .size:           96
        .value_kind:     by_value
    .group_segment_fixed_size: 0
    .kernarg_segment_align: 8
    .kernarg_segment_size: 96
    .language:       OpenCL C
    .language_version:
      - 2
      - 0
    .max_flat_workgroup_size: 256
    .name:           _ZN7rocprim17ROCPRIM_400000_NS6detail17trampoline_kernelINS0_14default_configENS1_20scan_config_selectorIN3c104HalfEEEZZNS1_9scan_implILNS1_25lookback_scan_determinismE0ELb0ELb0ES3_PKS6_PS6_S6_ZZZN2at6native31launch_logcumsumexp_cuda_kernelERKNSD_10TensorBaseESH_lENKUlvE_clEvENKUlvE3_clEvEUlS6_S6_E_S6_EEDaPvRmT3_T4_T5_mT6_P12ihipStream_tbENKUlT_T0_E_clISt17integral_constantIbLb1EESY_EEDaST_SU_EUlST_E_NS1_11comp_targetILNS1_3genE10ELNS1_11target_archE1201ELNS1_3gpuE5ELNS1_3repE0EEENS1_30default_config_static_selectorELNS0_4arch9wavefront6targetE1EEEvT1_
    .private_segment_fixed_size: 0
    .sgpr_count:     6
    .sgpr_spill_count: 0
    .symbol:         _ZN7rocprim17ROCPRIM_400000_NS6detail17trampoline_kernelINS0_14default_configENS1_20scan_config_selectorIN3c104HalfEEEZZNS1_9scan_implILNS1_25lookback_scan_determinismE0ELb0ELb0ES3_PKS6_PS6_S6_ZZZN2at6native31launch_logcumsumexp_cuda_kernelERKNSD_10TensorBaseESH_lENKUlvE_clEvENKUlvE3_clEvEUlS6_S6_E_S6_EEDaPvRmT3_T4_T5_mT6_P12ihipStream_tbENKUlT_T0_E_clISt17integral_constantIbLb1EESY_EEDaST_SU_EUlST_E_NS1_11comp_targetILNS1_3genE10ELNS1_11target_archE1201ELNS1_3gpuE5ELNS1_3repE0EEENS1_30default_config_static_selectorELNS0_4arch9wavefront6targetE1EEEvT1_.kd
    .uniform_work_group_size: 1
    .uses_dynamic_stack: false
    .vgpr_count:     0
    .vgpr_spill_count: 0
    .wavefront_size: 64
  - .agpr_count:     0
    .args:
      - .offset:         0
        .size:           96
        .value_kind:     by_value
    .group_segment_fixed_size: 0
    .kernarg_segment_align: 8
    .kernarg_segment_size: 96
    .language:       OpenCL C
    .language_version:
      - 2
      - 0
    .max_flat_workgroup_size: 256
    .name:           _ZN7rocprim17ROCPRIM_400000_NS6detail17trampoline_kernelINS0_14default_configENS1_20scan_config_selectorIN3c104HalfEEEZZNS1_9scan_implILNS1_25lookback_scan_determinismE0ELb0ELb0ES3_PKS6_PS6_S6_ZZZN2at6native31launch_logcumsumexp_cuda_kernelERKNSD_10TensorBaseESH_lENKUlvE_clEvENKUlvE3_clEvEUlS6_S6_E_S6_EEDaPvRmT3_T4_T5_mT6_P12ihipStream_tbENKUlT_T0_E_clISt17integral_constantIbLb1EESY_EEDaST_SU_EUlST_E_NS1_11comp_targetILNS1_3genE10ELNS1_11target_archE1200ELNS1_3gpuE4ELNS1_3repE0EEENS1_30default_config_static_selectorELNS0_4arch9wavefront6targetE1EEEvT1_
    .private_segment_fixed_size: 0
    .sgpr_count:     6
    .sgpr_spill_count: 0
    .symbol:         _ZN7rocprim17ROCPRIM_400000_NS6detail17trampoline_kernelINS0_14default_configENS1_20scan_config_selectorIN3c104HalfEEEZZNS1_9scan_implILNS1_25lookback_scan_determinismE0ELb0ELb0ES3_PKS6_PS6_S6_ZZZN2at6native31launch_logcumsumexp_cuda_kernelERKNSD_10TensorBaseESH_lENKUlvE_clEvENKUlvE3_clEvEUlS6_S6_E_S6_EEDaPvRmT3_T4_T5_mT6_P12ihipStream_tbENKUlT_T0_E_clISt17integral_constantIbLb1EESY_EEDaST_SU_EUlST_E_NS1_11comp_targetILNS1_3genE10ELNS1_11target_archE1200ELNS1_3gpuE4ELNS1_3repE0EEENS1_30default_config_static_selectorELNS0_4arch9wavefront6targetE1EEEvT1_.kd
    .uniform_work_group_size: 1
    .uses_dynamic_stack: false
    .vgpr_count:     0
    .vgpr_spill_count: 0
    .wavefront_size: 64
  - .agpr_count:     0
    .args:
      - .offset:         0
        .size:           96
        .value_kind:     by_value
    .group_segment_fixed_size: 0
    .kernarg_segment_align: 8
    .kernarg_segment_size: 96
    .language:       OpenCL C
    .language_version:
      - 2
      - 0
    .max_flat_workgroup_size: 64
    .name:           _ZN7rocprim17ROCPRIM_400000_NS6detail17trampoline_kernelINS0_14default_configENS1_20scan_config_selectorIN3c104HalfEEEZZNS1_9scan_implILNS1_25lookback_scan_determinismE0ELb0ELb0ES3_PKS6_PS6_S6_ZZZN2at6native31launch_logcumsumexp_cuda_kernelERKNSD_10TensorBaseESH_lENKUlvE_clEvENKUlvE3_clEvEUlS6_S6_E_S6_EEDaPvRmT3_T4_T5_mT6_P12ihipStream_tbENKUlT_T0_E_clISt17integral_constantIbLb1EESY_EEDaST_SU_EUlST_E_NS1_11comp_targetILNS1_3genE9ELNS1_11target_archE1100ELNS1_3gpuE3ELNS1_3repE0EEENS1_30default_config_static_selectorELNS0_4arch9wavefront6targetE1EEEvT1_
    .private_segment_fixed_size: 0
    .sgpr_count:     6
    .sgpr_spill_count: 0
    .symbol:         _ZN7rocprim17ROCPRIM_400000_NS6detail17trampoline_kernelINS0_14default_configENS1_20scan_config_selectorIN3c104HalfEEEZZNS1_9scan_implILNS1_25lookback_scan_determinismE0ELb0ELb0ES3_PKS6_PS6_S6_ZZZN2at6native31launch_logcumsumexp_cuda_kernelERKNSD_10TensorBaseESH_lENKUlvE_clEvENKUlvE3_clEvEUlS6_S6_E_S6_EEDaPvRmT3_T4_T5_mT6_P12ihipStream_tbENKUlT_T0_E_clISt17integral_constantIbLb1EESY_EEDaST_SU_EUlST_E_NS1_11comp_targetILNS1_3genE9ELNS1_11target_archE1100ELNS1_3gpuE3ELNS1_3repE0EEENS1_30default_config_static_selectorELNS0_4arch9wavefront6targetE1EEEvT1_.kd
    .uniform_work_group_size: 1
    .uses_dynamic_stack: false
    .vgpr_count:     0
    .vgpr_spill_count: 0
    .wavefront_size: 64
  - .agpr_count:     0
    .args:
      - .offset:         0
        .size:           96
        .value_kind:     by_value
    .group_segment_fixed_size: 0
    .kernarg_segment_align: 8
    .kernarg_segment_size: 96
    .language:       OpenCL C
    .language_version:
      - 2
      - 0
    .max_flat_workgroup_size: 64
    .name:           _ZN7rocprim17ROCPRIM_400000_NS6detail17trampoline_kernelINS0_14default_configENS1_20scan_config_selectorIN3c104HalfEEEZZNS1_9scan_implILNS1_25lookback_scan_determinismE0ELb0ELb0ES3_PKS6_PS6_S6_ZZZN2at6native31launch_logcumsumexp_cuda_kernelERKNSD_10TensorBaseESH_lENKUlvE_clEvENKUlvE3_clEvEUlS6_S6_E_S6_EEDaPvRmT3_T4_T5_mT6_P12ihipStream_tbENKUlT_T0_E_clISt17integral_constantIbLb1EESY_EEDaST_SU_EUlST_E_NS1_11comp_targetILNS1_3genE8ELNS1_11target_archE1030ELNS1_3gpuE2ELNS1_3repE0EEENS1_30default_config_static_selectorELNS0_4arch9wavefront6targetE1EEEvT1_
    .private_segment_fixed_size: 0
    .sgpr_count:     6
    .sgpr_spill_count: 0
    .symbol:         _ZN7rocprim17ROCPRIM_400000_NS6detail17trampoline_kernelINS0_14default_configENS1_20scan_config_selectorIN3c104HalfEEEZZNS1_9scan_implILNS1_25lookback_scan_determinismE0ELb0ELb0ES3_PKS6_PS6_S6_ZZZN2at6native31launch_logcumsumexp_cuda_kernelERKNSD_10TensorBaseESH_lENKUlvE_clEvENKUlvE3_clEvEUlS6_S6_E_S6_EEDaPvRmT3_T4_T5_mT6_P12ihipStream_tbENKUlT_T0_E_clISt17integral_constantIbLb1EESY_EEDaST_SU_EUlST_E_NS1_11comp_targetILNS1_3genE8ELNS1_11target_archE1030ELNS1_3gpuE2ELNS1_3repE0EEENS1_30default_config_static_selectorELNS0_4arch9wavefront6targetE1EEEvT1_.kd
    .uniform_work_group_size: 1
    .uses_dynamic_stack: false
    .vgpr_count:     0
    .vgpr_spill_count: 0
    .wavefront_size: 64
  - .agpr_count:     0
    .args:
      - .offset:         0
        .size:           32
        .value_kind:     by_value
    .group_segment_fixed_size: 0
    .kernarg_segment_align: 8
    .kernarg_segment_size: 32
    .language:       OpenCL C
    .language_version:
      - 2
      - 0
    .max_flat_workgroup_size: 128
    .name:           _ZN7rocprim17ROCPRIM_400000_NS6detail17trampoline_kernelINS0_14default_configENS1_20scan_config_selectorIN3c104HalfEEEZZNS1_9scan_implILNS1_25lookback_scan_determinismE0ELb0ELb0ES3_PKS6_PS6_S6_ZZZN2at6native31launch_logcumsumexp_cuda_kernelERKNSD_10TensorBaseESH_lENKUlvE_clEvENKUlvE3_clEvEUlS6_S6_E_S6_EEDaPvRmT3_T4_T5_mT6_P12ihipStream_tbENKUlT_T0_E_clISt17integral_constantIbLb1EESY_EEDaST_SU_EUlST_E0_NS1_11comp_targetILNS1_3genE0ELNS1_11target_archE4294967295ELNS1_3gpuE0ELNS1_3repE0EEENS1_30default_config_static_selectorELNS0_4arch9wavefront6targetE1EEEvT1_
    .private_segment_fixed_size: 0
    .sgpr_count:     6
    .sgpr_spill_count: 0
    .symbol:         _ZN7rocprim17ROCPRIM_400000_NS6detail17trampoline_kernelINS0_14default_configENS1_20scan_config_selectorIN3c104HalfEEEZZNS1_9scan_implILNS1_25lookback_scan_determinismE0ELb0ELb0ES3_PKS6_PS6_S6_ZZZN2at6native31launch_logcumsumexp_cuda_kernelERKNSD_10TensorBaseESH_lENKUlvE_clEvENKUlvE3_clEvEUlS6_S6_E_S6_EEDaPvRmT3_T4_T5_mT6_P12ihipStream_tbENKUlT_T0_E_clISt17integral_constantIbLb1EESY_EEDaST_SU_EUlST_E0_NS1_11comp_targetILNS1_3genE0ELNS1_11target_archE4294967295ELNS1_3gpuE0ELNS1_3repE0EEENS1_30default_config_static_selectorELNS0_4arch9wavefront6targetE1EEEvT1_.kd
    .uniform_work_group_size: 1
    .uses_dynamic_stack: false
    .vgpr_count:     0
    .vgpr_spill_count: 0
    .wavefront_size: 64
  - .agpr_count:     0
    .args:
      - .offset:         0
        .size:           32
        .value_kind:     by_value
    .group_segment_fixed_size: 12288
    .kernarg_segment_align: 8
    .kernarg_segment_size: 32
    .language:       OpenCL C
    .language_version:
      - 2
      - 0
    .max_flat_workgroup_size: 256
    .name:           _ZN7rocprim17ROCPRIM_400000_NS6detail17trampoline_kernelINS0_14default_configENS1_20scan_config_selectorIN3c104HalfEEEZZNS1_9scan_implILNS1_25lookback_scan_determinismE0ELb0ELb0ES3_PKS6_PS6_S6_ZZZN2at6native31launch_logcumsumexp_cuda_kernelERKNSD_10TensorBaseESH_lENKUlvE_clEvENKUlvE3_clEvEUlS6_S6_E_S6_EEDaPvRmT3_T4_T5_mT6_P12ihipStream_tbENKUlT_T0_E_clISt17integral_constantIbLb1EESY_EEDaST_SU_EUlST_E0_NS1_11comp_targetILNS1_3genE5ELNS1_11target_archE942ELNS1_3gpuE9ELNS1_3repE0EEENS1_30default_config_static_selectorELNS0_4arch9wavefront6targetE1EEEvT1_
    .private_segment_fixed_size: 0
    .sgpr_count:     106
    .sgpr_spill_count: 8
    .symbol:         _ZN7rocprim17ROCPRIM_400000_NS6detail17trampoline_kernelINS0_14default_configENS1_20scan_config_selectorIN3c104HalfEEEZZNS1_9scan_implILNS1_25lookback_scan_determinismE0ELb0ELb0ES3_PKS6_PS6_S6_ZZZN2at6native31launch_logcumsumexp_cuda_kernelERKNSD_10TensorBaseESH_lENKUlvE_clEvENKUlvE3_clEvEUlS6_S6_E_S6_EEDaPvRmT3_T4_T5_mT6_P12ihipStream_tbENKUlT_T0_E_clISt17integral_constantIbLb1EESY_EEDaST_SU_EUlST_E0_NS1_11comp_targetILNS1_3genE5ELNS1_11target_archE942ELNS1_3gpuE9ELNS1_3repE0EEENS1_30default_config_static_selectorELNS0_4arch9wavefront6targetE1EEEvT1_.kd
    .uniform_work_group_size: 1
    .uses_dynamic_stack: false
    .vgpr_count:     54
    .vgpr_spill_count: 0
    .wavefront_size: 64
  - .agpr_count:     0
    .args:
      - .offset:         0
        .size:           32
        .value_kind:     by_value
    .group_segment_fixed_size: 0
    .kernarg_segment_align: 8
    .kernarg_segment_size: 32
    .language:       OpenCL C
    .language_version:
      - 2
      - 0
    .max_flat_workgroup_size: 64
    .name:           _ZN7rocprim17ROCPRIM_400000_NS6detail17trampoline_kernelINS0_14default_configENS1_20scan_config_selectorIN3c104HalfEEEZZNS1_9scan_implILNS1_25lookback_scan_determinismE0ELb0ELb0ES3_PKS6_PS6_S6_ZZZN2at6native31launch_logcumsumexp_cuda_kernelERKNSD_10TensorBaseESH_lENKUlvE_clEvENKUlvE3_clEvEUlS6_S6_E_S6_EEDaPvRmT3_T4_T5_mT6_P12ihipStream_tbENKUlT_T0_E_clISt17integral_constantIbLb1EESY_EEDaST_SU_EUlST_E0_NS1_11comp_targetILNS1_3genE4ELNS1_11target_archE910ELNS1_3gpuE8ELNS1_3repE0EEENS1_30default_config_static_selectorELNS0_4arch9wavefront6targetE1EEEvT1_
    .private_segment_fixed_size: 0
    .sgpr_count:     6
    .sgpr_spill_count: 0
    .symbol:         _ZN7rocprim17ROCPRIM_400000_NS6detail17trampoline_kernelINS0_14default_configENS1_20scan_config_selectorIN3c104HalfEEEZZNS1_9scan_implILNS1_25lookback_scan_determinismE0ELb0ELb0ES3_PKS6_PS6_S6_ZZZN2at6native31launch_logcumsumexp_cuda_kernelERKNSD_10TensorBaseESH_lENKUlvE_clEvENKUlvE3_clEvEUlS6_S6_E_S6_EEDaPvRmT3_T4_T5_mT6_P12ihipStream_tbENKUlT_T0_E_clISt17integral_constantIbLb1EESY_EEDaST_SU_EUlST_E0_NS1_11comp_targetILNS1_3genE4ELNS1_11target_archE910ELNS1_3gpuE8ELNS1_3repE0EEENS1_30default_config_static_selectorELNS0_4arch9wavefront6targetE1EEEvT1_.kd
    .uniform_work_group_size: 1
    .uses_dynamic_stack: false
    .vgpr_count:     0
    .vgpr_spill_count: 0
    .wavefront_size: 64
  - .agpr_count:     0
    .args:
      - .offset:         0
        .size:           32
        .value_kind:     by_value
    .group_segment_fixed_size: 0
    .kernarg_segment_align: 8
    .kernarg_segment_size: 32
    .language:       OpenCL C
    .language_version:
      - 2
      - 0
    .max_flat_workgroup_size: 128
    .name:           _ZN7rocprim17ROCPRIM_400000_NS6detail17trampoline_kernelINS0_14default_configENS1_20scan_config_selectorIN3c104HalfEEEZZNS1_9scan_implILNS1_25lookback_scan_determinismE0ELb0ELb0ES3_PKS6_PS6_S6_ZZZN2at6native31launch_logcumsumexp_cuda_kernelERKNSD_10TensorBaseESH_lENKUlvE_clEvENKUlvE3_clEvEUlS6_S6_E_S6_EEDaPvRmT3_T4_T5_mT6_P12ihipStream_tbENKUlT_T0_E_clISt17integral_constantIbLb1EESY_EEDaST_SU_EUlST_E0_NS1_11comp_targetILNS1_3genE3ELNS1_11target_archE908ELNS1_3gpuE7ELNS1_3repE0EEENS1_30default_config_static_selectorELNS0_4arch9wavefront6targetE1EEEvT1_
    .private_segment_fixed_size: 0
    .sgpr_count:     6
    .sgpr_spill_count: 0
    .symbol:         _ZN7rocprim17ROCPRIM_400000_NS6detail17trampoline_kernelINS0_14default_configENS1_20scan_config_selectorIN3c104HalfEEEZZNS1_9scan_implILNS1_25lookback_scan_determinismE0ELb0ELb0ES3_PKS6_PS6_S6_ZZZN2at6native31launch_logcumsumexp_cuda_kernelERKNSD_10TensorBaseESH_lENKUlvE_clEvENKUlvE3_clEvEUlS6_S6_E_S6_EEDaPvRmT3_T4_T5_mT6_P12ihipStream_tbENKUlT_T0_E_clISt17integral_constantIbLb1EESY_EEDaST_SU_EUlST_E0_NS1_11comp_targetILNS1_3genE3ELNS1_11target_archE908ELNS1_3gpuE7ELNS1_3repE0EEENS1_30default_config_static_selectorELNS0_4arch9wavefront6targetE1EEEvT1_.kd
    .uniform_work_group_size: 1
    .uses_dynamic_stack: false
    .vgpr_count:     0
    .vgpr_spill_count: 0
    .wavefront_size: 64
  - .agpr_count:     0
    .args:
      - .offset:         0
        .size:           32
        .value_kind:     by_value
    .group_segment_fixed_size: 0
    .kernarg_segment_align: 8
    .kernarg_segment_size: 32
    .language:       OpenCL C
    .language_version:
      - 2
      - 0
    .max_flat_workgroup_size: 256
    .name:           _ZN7rocprim17ROCPRIM_400000_NS6detail17trampoline_kernelINS0_14default_configENS1_20scan_config_selectorIN3c104HalfEEEZZNS1_9scan_implILNS1_25lookback_scan_determinismE0ELb0ELb0ES3_PKS6_PS6_S6_ZZZN2at6native31launch_logcumsumexp_cuda_kernelERKNSD_10TensorBaseESH_lENKUlvE_clEvENKUlvE3_clEvEUlS6_S6_E_S6_EEDaPvRmT3_T4_T5_mT6_P12ihipStream_tbENKUlT_T0_E_clISt17integral_constantIbLb1EESY_EEDaST_SU_EUlST_E0_NS1_11comp_targetILNS1_3genE2ELNS1_11target_archE906ELNS1_3gpuE6ELNS1_3repE0EEENS1_30default_config_static_selectorELNS0_4arch9wavefront6targetE1EEEvT1_
    .private_segment_fixed_size: 0
    .sgpr_count:     6
    .sgpr_spill_count: 0
    .symbol:         _ZN7rocprim17ROCPRIM_400000_NS6detail17trampoline_kernelINS0_14default_configENS1_20scan_config_selectorIN3c104HalfEEEZZNS1_9scan_implILNS1_25lookback_scan_determinismE0ELb0ELb0ES3_PKS6_PS6_S6_ZZZN2at6native31launch_logcumsumexp_cuda_kernelERKNSD_10TensorBaseESH_lENKUlvE_clEvENKUlvE3_clEvEUlS6_S6_E_S6_EEDaPvRmT3_T4_T5_mT6_P12ihipStream_tbENKUlT_T0_E_clISt17integral_constantIbLb1EESY_EEDaST_SU_EUlST_E0_NS1_11comp_targetILNS1_3genE2ELNS1_11target_archE906ELNS1_3gpuE6ELNS1_3repE0EEENS1_30default_config_static_selectorELNS0_4arch9wavefront6targetE1EEEvT1_.kd
    .uniform_work_group_size: 1
    .uses_dynamic_stack: false
    .vgpr_count:     0
    .vgpr_spill_count: 0
    .wavefront_size: 64
  - .agpr_count:     0
    .args:
      - .offset:         0
        .size:           32
        .value_kind:     by_value
    .group_segment_fixed_size: 0
    .kernarg_segment_align: 8
    .kernarg_segment_size: 32
    .language:       OpenCL C
    .language_version:
      - 2
      - 0
    .max_flat_workgroup_size: 256
    .name:           _ZN7rocprim17ROCPRIM_400000_NS6detail17trampoline_kernelINS0_14default_configENS1_20scan_config_selectorIN3c104HalfEEEZZNS1_9scan_implILNS1_25lookback_scan_determinismE0ELb0ELb0ES3_PKS6_PS6_S6_ZZZN2at6native31launch_logcumsumexp_cuda_kernelERKNSD_10TensorBaseESH_lENKUlvE_clEvENKUlvE3_clEvEUlS6_S6_E_S6_EEDaPvRmT3_T4_T5_mT6_P12ihipStream_tbENKUlT_T0_E_clISt17integral_constantIbLb1EESY_EEDaST_SU_EUlST_E0_NS1_11comp_targetILNS1_3genE10ELNS1_11target_archE1201ELNS1_3gpuE5ELNS1_3repE0EEENS1_30default_config_static_selectorELNS0_4arch9wavefront6targetE1EEEvT1_
    .private_segment_fixed_size: 0
    .sgpr_count:     6
    .sgpr_spill_count: 0
    .symbol:         _ZN7rocprim17ROCPRIM_400000_NS6detail17trampoline_kernelINS0_14default_configENS1_20scan_config_selectorIN3c104HalfEEEZZNS1_9scan_implILNS1_25lookback_scan_determinismE0ELb0ELb0ES3_PKS6_PS6_S6_ZZZN2at6native31launch_logcumsumexp_cuda_kernelERKNSD_10TensorBaseESH_lENKUlvE_clEvENKUlvE3_clEvEUlS6_S6_E_S6_EEDaPvRmT3_T4_T5_mT6_P12ihipStream_tbENKUlT_T0_E_clISt17integral_constantIbLb1EESY_EEDaST_SU_EUlST_E0_NS1_11comp_targetILNS1_3genE10ELNS1_11target_archE1201ELNS1_3gpuE5ELNS1_3repE0EEENS1_30default_config_static_selectorELNS0_4arch9wavefront6targetE1EEEvT1_.kd
    .uniform_work_group_size: 1
    .uses_dynamic_stack: false
    .vgpr_count:     0
    .vgpr_spill_count: 0
    .wavefront_size: 64
  - .agpr_count:     0
    .args:
      - .offset:         0
        .size:           32
        .value_kind:     by_value
    .group_segment_fixed_size: 0
    .kernarg_segment_align: 8
    .kernarg_segment_size: 32
    .language:       OpenCL C
    .language_version:
      - 2
      - 0
    .max_flat_workgroup_size: 256
    .name:           _ZN7rocprim17ROCPRIM_400000_NS6detail17trampoline_kernelINS0_14default_configENS1_20scan_config_selectorIN3c104HalfEEEZZNS1_9scan_implILNS1_25lookback_scan_determinismE0ELb0ELb0ES3_PKS6_PS6_S6_ZZZN2at6native31launch_logcumsumexp_cuda_kernelERKNSD_10TensorBaseESH_lENKUlvE_clEvENKUlvE3_clEvEUlS6_S6_E_S6_EEDaPvRmT3_T4_T5_mT6_P12ihipStream_tbENKUlT_T0_E_clISt17integral_constantIbLb1EESY_EEDaST_SU_EUlST_E0_NS1_11comp_targetILNS1_3genE10ELNS1_11target_archE1200ELNS1_3gpuE4ELNS1_3repE0EEENS1_30default_config_static_selectorELNS0_4arch9wavefront6targetE1EEEvT1_
    .private_segment_fixed_size: 0
    .sgpr_count:     6
    .sgpr_spill_count: 0
    .symbol:         _ZN7rocprim17ROCPRIM_400000_NS6detail17trampoline_kernelINS0_14default_configENS1_20scan_config_selectorIN3c104HalfEEEZZNS1_9scan_implILNS1_25lookback_scan_determinismE0ELb0ELb0ES3_PKS6_PS6_S6_ZZZN2at6native31launch_logcumsumexp_cuda_kernelERKNSD_10TensorBaseESH_lENKUlvE_clEvENKUlvE3_clEvEUlS6_S6_E_S6_EEDaPvRmT3_T4_T5_mT6_P12ihipStream_tbENKUlT_T0_E_clISt17integral_constantIbLb1EESY_EEDaST_SU_EUlST_E0_NS1_11comp_targetILNS1_3genE10ELNS1_11target_archE1200ELNS1_3gpuE4ELNS1_3repE0EEENS1_30default_config_static_selectorELNS0_4arch9wavefront6targetE1EEEvT1_.kd
    .uniform_work_group_size: 1
    .uses_dynamic_stack: false
    .vgpr_count:     0
    .vgpr_spill_count: 0
    .wavefront_size: 64
  - .agpr_count:     0
    .args:
      - .offset:         0
        .size:           32
        .value_kind:     by_value
    .group_segment_fixed_size: 0
    .kernarg_segment_align: 8
    .kernarg_segment_size: 32
    .language:       OpenCL C
    .language_version:
      - 2
      - 0
    .max_flat_workgroup_size: 64
    .name:           _ZN7rocprim17ROCPRIM_400000_NS6detail17trampoline_kernelINS0_14default_configENS1_20scan_config_selectorIN3c104HalfEEEZZNS1_9scan_implILNS1_25lookback_scan_determinismE0ELb0ELb0ES3_PKS6_PS6_S6_ZZZN2at6native31launch_logcumsumexp_cuda_kernelERKNSD_10TensorBaseESH_lENKUlvE_clEvENKUlvE3_clEvEUlS6_S6_E_S6_EEDaPvRmT3_T4_T5_mT6_P12ihipStream_tbENKUlT_T0_E_clISt17integral_constantIbLb1EESY_EEDaST_SU_EUlST_E0_NS1_11comp_targetILNS1_3genE9ELNS1_11target_archE1100ELNS1_3gpuE3ELNS1_3repE0EEENS1_30default_config_static_selectorELNS0_4arch9wavefront6targetE1EEEvT1_
    .private_segment_fixed_size: 0
    .sgpr_count:     6
    .sgpr_spill_count: 0
    .symbol:         _ZN7rocprim17ROCPRIM_400000_NS6detail17trampoline_kernelINS0_14default_configENS1_20scan_config_selectorIN3c104HalfEEEZZNS1_9scan_implILNS1_25lookback_scan_determinismE0ELb0ELb0ES3_PKS6_PS6_S6_ZZZN2at6native31launch_logcumsumexp_cuda_kernelERKNSD_10TensorBaseESH_lENKUlvE_clEvENKUlvE3_clEvEUlS6_S6_E_S6_EEDaPvRmT3_T4_T5_mT6_P12ihipStream_tbENKUlT_T0_E_clISt17integral_constantIbLb1EESY_EEDaST_SU_EUlST_E0_NS1_11comp_targetILNS1_3genE9ELNS1_11target_archE1100ELNS1_3gpuE3ELNS1_3repE0EEENS1_30default_config_static_selectorELNS0_4arch9wavefront6targetE1EEEvT1_.kd
    .uniform_work_group_size: 1
    .uses_dynamic_stack: false
    .vgpr_count:     0
    .vgpr_spill_count: 0
    .wavefront_size: 64
  - .agpr_count:     0
    .args:
      - .offset:         0
        .size:           32
        .value_kind:     by_value
    .group_segment_fixed_size: 0
    .kernarg_segment_align: 8
    .kernarg_segment_size: 32
    .language:       OpenCL C
    .language_version:
      - 2
      - 0
    .max_flat_workgroup_size: 64
    .name:           _ZN7rocprim17ROCPRIM_400000_NS6detail17trampoline_kernelINS0_14default_configENS1_20scan_config_selectorIN3c104HalfEEEZZNS1_9scan_implILNS1_25lookback_scan_determinismE0ELb0ELb0ES3_PKS6_PS6_S6_ZZZN2at6native31launch_logcumsumexp_cuda_kernelERKNSD_10TensorBaseESH_lENKUlvE_clEvENKUlvE3_clEvEUlS6_S6_E_S6_EEDaPvRmT3_T4_T5_mT6_P12ihipStream_tbENKUlT_T0_E_clISt17integral_constantIbLb1EESY_EEDaST_SU_EUlST_E0_NS1_11comp_targetILNS1_3genE8ELNS1_11target_archE1030ELNS1_3gpuE2ELNS1_3repE0EEENS1_30default_config_static_selectorELNS0_4arch9wavefront6targetE1EEEvT1_
    .private_segment_fixed_size: 0
    .sgpr_count:     6
    .sgpr_spill_count: 0
    .symbol:         _ZN7rocprim17ROCPRIM_400000_NS6detail17trampoline_kernelINS0_14default_configENS1_20scan_config_selectorIN3c104HalfEEEZZNS1_9scan_implILNS1_25lookback_scan_determinismE0ELb0ELb0ES3_PKS6_PS6_S6_ZZZN2at6native31launch_logcumsumexp_cuda_kernelERKNSD_10TensorBaseESH_lENKUlvE_clEvENKUlvE3_clEvEUlS6_S6_E_S6_EEDaPvRmT3_T4_T5_mT6_P12ihipStream_tbENKUlT_T0_E_clISt17integral_constantIbLb1EESY_EEDaST_SU_EUlST_E0_NS1_11comp_targetILNS1_3genE8ELNS1_11target_archE1030ELNS1_3gpuE2ELNS1_3repE0EEENS1_30default_config_static_selectorELNS0_4arch9wavefront6targetE1EEEvT1_.kd
    .uniform_work_group_size: 1
    .uses_dynamic_stack: false
    .vgpr_count:     0
    .vgpr_spill_count: 0
    .wavefront_size: 64
  - .agpr_count:     0
    .args:
      - .address_space:  global
        .offset:         0
        .size:           8
        .value_kind:     global_buffer
      - .offset:         8
        .size:           4
        .value_kind:     by_value
      - .offset:         12
        .size:           1
        .value_kind:     by_value
      - .offset:         16
        .size:           4
        .value_kind:     by_value
      - .address_space:  global
        .offset:         24
        .size:           8
        .value_kind:     global_buffer
      - .offset:         32
        .size:           4
        .value_kind:     hidden_block_count_x
      - .offset:         36
        .size:           4
        .value_kind:     hidden_block_count_y
      - .offset:         40
        .size:           4
        .value_kind:     hidden_block_count_z
      - .offset:         44
        .size:           2
        .value_kind:     hidden_group_size_x
      - .offset:         46
        .size:           2
        .value_kind:     hidden_group_size_y
      - .offset:         48
        .size:           2
        .value_kind:     hidden_group_size_z
      - .offset:         50
        .size:           2
        .value_kind:     hidden_remainder_x
      - .offset:         52
        .size:           2
        .value_kind:     hidden_remainder_y
      - .offset:         54
        .size:           2
        .value_kind:     hidden_remainder_z
      - .offset:         72
        .size:           8
        .value_kind:     hidden_global_offset_x
      - .offset:         80
        .size:           8
        .value_kind:     hidden_global_offset_y
      - .offset:         88
        .size:           8
        .value_kind:     hidden_global_offset_z
      - .offset:         96
        .size:           2
        .value_kind:     hidden_grid_dims
    .group_segment_fixed_size: 0
    .kernarg_segment_align: 8
    .kernarg_segment_size: 288
    .language:       OpenCL C
    .language_version:
      - 2
      - 0
    .max_flat_workgroup_size: 256
    .name:           _ZN7rocprim17ROCPRIM_400000_NS6detail31init_lookback_scan_state_kernelINS1_19lookback_scan_stateIN3c104HalfELb1ELb1EEENS1_16block_id_wrapperIjLb0EEEEEvT_jT0_jPNS9_10value_typeE
    .private_segment_fixed_size: 0
    .sgpr_count:     18
    .sgpr_spill_count: 0
    .symbol:         _ZN7rocprim17ROCPRIM_400000_NS6detail31init_lookback_scan_state_kernelINS1_19lookback_scan_stateIN3c104HalfELb1ELb1EEENS1_16block_id_wrapperIjLb0EEEEEvT_jT0_jPNS9_10value_typeE.kd
    .uniform_work_group_size: 1
    .uses_dynamic_stack: false
    .vgpr_count:     6
    .vgpr_spill_count: 0
    .wavefront_size: 64
  - .agpr_count:     0
    .args:
      - .offset:         0
        .size:           96
        .value_kind:     by_value
    .group_segment_fixed_size: 0
    .kernarg_segment_align: 8
    .kernarg_segment_size: 96
    .language:       OpenCL C
    .language_version:
      - 2
      - 0
    .max_flat_workgroup_size: 128
    .name:           _ZN7rocprim17ROCPRIM_400000_NS6detail17trampoline_kernelINS0_14default_configENS1_20scan_config_selectorIN3c104HalfEEEZZNS1_9scan_implILNS1_25lookback_scan_determinismE0ELb0ELb0ES3_PKS6_PS6_S6_ZZZN2at6native31launch_logcumsumexp_cuda_kernelERKNSD_10TensorBaseESH_lENKUlvE_clEvENKUlvE3_clEvEUlS6_S6_E_S6_EEDaPvRmT3_T4_T5_mT6_P12ihipStream_tbENKUlT_T0_E_clISt17integral_constantIbLb1EESX_IbLb0EEEEDaST_SU_EUlST_E_NS1_11comp_targetILNS1_3genE0ELNS1_11target_archE4294967295ELNS1_3gpuE0ELNS1_3repE0EEENS1_30default_config_static_selectorELNS0_4arch9wavefront6targetE1EEEvT1_
    .private_segment_fixed_size: 0
    .sgpr_count:     6
    .sgpr_spill_count: 0
    .symbol:         _ZN7rocprim17ROCPRIM_400000_NS6detail17trampoline_kernelINS0_14default_configENS1_20scan_config_selectorIN3c104HalfEEEZZNS1_9scan_implILNS1_25lookback_scan_determinismE0ELb0ELb0ES3_PKS6_PS6_S6_ZZZN2at6native31launch_logcumsumexp_cuda_kernelERKNSD_10TensorBaseESH_lENKUlvE_clEvENKUlvE3_clEvEUlS6_S6_E_S6_EEDaPvRmT3_T4_T5_mT6_P12ihipStream_tbENKUlT_T0_E_clISt17integral_constantIbLb1EESX_IbLb0EEEEDaST_SU_EUlST_E_NS1_11comp_targetILNS1_3genE0ELNS1_11target_archE4294967295ELNS1_3gpuE0ELNS1_3repE0EEENS1_30default_config_static_selectorELNS0_4arch9wavefront6targetE1EEEvT1_.kd
    .uniform_work_group_size: 1
    .uses_dynamic_stack: false
    .vgpr_count:     0
    .vgpr_spill_count: 0
    .wavefront_size: 64
  - .agpr_count:     0
    .args:
      - .offset:         0
        .size:           96
        .value_kind:     by_value
      - .offset:         96
        .size:           4
        .value_kind:     hidden_block_count_x
      - .offset:         100
        .size:           4
        .value_kind:     hidden_block_count_y
      - .offset:         104
        .size:           4
        .value_kind:     hidden_block_count_z
      - .offset:         108
        .size:           2
        .value_kind:     hidden_group_size_x
      - .offset:         110
        .size:           2
        .value_kind:     hidden_group_size_y
      - .offset:         112
        .size:           2
        .value_kind:     hidden_group_size_z
      - .offset:         114
        .size:           2
        .value_kind:     hidden_remainder_x
      - .offset:         116
        .size:           2
        .value_kind:     hidden_remainder_y
      - .offset:         118
        .size:           2
        .value_kind:     hidden_remainder_z
      - .offset:         136
        .size:           8
        .value_kind:     hidden_global_offset_x
      - .offset:         144
        .size:           8
        .value_kind:     hidden_global_offset_y
      - .offset:         152
        .size:           8
        .value_kind:     hidden_global_offset_z
      - .offset:         160
        .size:           2
        .value_kind:     hidden_grid_dims
    .group_segment_fixed_size: 12288
    .kernarg_segment_align: 8
    .kernarg_segment_size: 352
    .language:       OpenCL C
    .language_version:
      - 2
      - 0
    .max_flat_workgroup_size: 256
    .name:           _ZN7rocprim17ROCPRIM_400000_NS6detail17trampoline_kernelINS0_14default_configENS1_20scan_config_selectorIN3c104HalfEEEZZNS1_9scan_implILNS1_25lookback_scan_determinismE0ELb0ELb0ES3_PKS6_PS6_S6_ZZZN2at6native31launch_logcumsumexp_cuda_kernelERKNSD_10TensorBaseESH_lENKUlvE_clEvENKUlvE3_clEvEUlS6_S6_E_S6_EEDaPvRmT3_T4_T5_mT6_P12ihipStream_tbENKUlT_T0_E_clISt17integral_constantIbLb1EESX_IbLb0EEEEDaST_SU_EUlST_E_NS1_11comp_targetILNS1_3genE5ELNS1_11target_archE942ELNS1_3gpuE9ELNS1_3repE0EEENS1_30default_config_static_selectorELNS0_4arch9wavefront6targetE1EEEvT1_
    .private_segment_fixed_size: 120
    .sgpr_count:     80
    .sgpr_spill_count: 0
    .symbol:         _ZN7rocprim17ROCPRIM_400000_NS6detail17trampoline_kernelINS0_14default_configENS1_20scan_config_selectorIN3c104HalfEEEZZNS1_9scan_implILNS1_25lookback_scan_determinismE0ELb0ELb0ES3_PKS6_PS6_S6_ZZZN2at6native31launch_logcumsumexp_cuda_kernelERKNSD_10TensorBaseESH_lENKUlvE_clEvENKUlvE3_clEvEUlS6_S6_E_S6_EEDaPvRmT3_T4_T5_mT6_P12ihipStream_tbENKUlT_T0_E_clISt17integral_constantIbLb1EESX_IbLb0EEEEDaST_SU_EUlST_E_NS1_11comp_targetILNS1_3genE5ELNS1_11target_archE942ELNS1_3gpuE9ELNS1_3repE0EEENS1_30default_config_static_selectorELNS0_4arch9wavefront6targetE1EEEvT1_.kd
    .uniform_work_group_size: 1
    .uses_dynamic_stack: false
    .vgpr_count:     165
    .vgpr_spill_count: 0
    .wavefront_size: 64
  - .agpr_count:     0
    .args:
      - .offset:         0
        .size:           96
        .value_kind:     by_value
    .group_segment_fixed_size: 0
    .kernarg_segment_align: 8
    .kernarg_segment_size: 96
    .language:       OpenCL C
    .language_version:
      - 2
      - 0
    .max_flat_workgroup_size: 64
    .name:           _ZN7rocprim17ROCPRIM_400000_NS6detail17trampoline_kernelINS0_14default_configENS1_20scan_config_selectorIN3c104HalfEEEZZNS1_9scan_implILNS1_25lookback_scan_determinismE0ELb0ELb0ES3_PKS6_PS6_S6_ZZZN2at6native31launch_logcumsumexp_cuda_kernelERKNSD_10TensorBaseESH_lENKUlvE_clEvENKUlvE3_clEvEUlS6_S6_E_S6_EEDaPvRmT3_T4_T5_mT6_P12ihipStream_tbENKUlT_T0_E_clISt17integral_constantIbLb1EESX_IbLb0EEEEDaST_SU_EUlST_E_NS1_11comp_targetILNS1_3genE4ELNS1_11target_archE910ELNS1_3gpuE8ELNS1_3repE0EEENS1_30default_config_static_selectorELNS0_4arch9wavefront6targetE1EEEvT1_
    .private_segment_fixed_size: 0
    .sgpr_count:     6
    .sgpr_spill_count: 0
    .symbol:         _ZN7rocprim17ROCPRIM_400000_NS6detail17trampoline_kernelINS0_14default_configENS1_20scan_config_selectorIN3c104HalfEEEZZNS1_9scan_implILNS1_25lookback_scan_determinismE0ELb0ELb0ES3_PKS6_PS6_S6_ZZZN2at6native31launch_logcumsumexp_cuda_kernelERKNSD_10TensorBaseESH_lENKUlvE_clEvENKUlvE3_clEvEUlS6_S6_E_S6_EEDaPvRmT3_T4_T5_mT6_P12ihipStream_tbENKUlT_T0_E_clISt17integral_constantIbLb1EESX_IbLb0EEEEDaST_SU_EUlST_E_NS1_11comp_targetILNS1_3genE4ELNS1_11target_archE910ELNS1_3gpuE8ELNS1_3repE0EEENS1_30default_config_static_selectorELNS0_4arch9wavefront6targetE1EEEvT1_.kd
    .uniform_work_group_size: 1
    .uses_dynamic_stack: false
    .vgpr_count:     0
    .vgpr_spill_count: 0
    .wavefront_size: 64
  - .agpr_count:     0
    .args:
      - .offset:         0
        .size:           96
        .value_kind:     by_value
    .group_segment_fixed_size: 0
    .kernarg_segment_align: 8
    .kernarg_segment_size: 96
    .language:       OpenCL C
    .language_version:
      - 2
      - 0
    .max_flat_workgroup_size: 128
    .name:           _ZN7rocprim17ROCPRIM_400000_NS6detail17trampoline_kernelINS0_14default_configENS1_20scan_config_selectorIN3c104HalfEEEZZNS1_9scan_implILNS1_25lookback_scan_determinismE0ELb0ELb0ES3_PKS6_PS6_S6_ZZZN2at6native31launch_logcumsumexp_cuda_kernelERKNSD_10TensorBaseESH_lENKUlvE_clEvENKUlvE3_clEvEUlS6_S6_E_S6_EEDaPvRmT3_T4_T5_mT6_P12ihipStream_tbENKUlT_T0_E_clISt17integral_constantIbLb1EESX_IbLb0EEEEDaST_SU_EUlST_E_NS1_11comp_targetILNS1_3genE3ELNS1_11target_archE908ELNS1_3gpuE7ELNS1_3repE0EEENS1_30default_config_static_selectorELNS0_4arch9wavefront6targetE1EEEvT1_
    .private_segment_fixed_size: 0
    .sgpr_count:     6
    .sgpr_spill_count: 0
    .symbol:         _ZN7rocprim17ROCPRIM_400000_NS6detail17trampoline_kernelINS0_14default_configENS1_20scan_config_selectorIN3c104HalfEEEZZNS1_9scan_implILNS1_25lookback_scan_determinismE0ELb0ELb0ES3_PKS6_PS6_S6_ZZZN2at6native31launch_logcumsumexp_cuda_kernelERKNSD_10TensorBaseESH_lENKUlvE_clEvENKUlvE3_clEvEUlS6_S6_E_S6_EEDaPvRmT3_T4_T5_mT6_P12ihipStream_tbENKUlT_T0_E_clISt17integral_constantIbLb1EESX_IbLb0EEEEDaST_SU_EUlST_E_NS1_11comp_targetILNS1_3genE3ELNS1_11target_archE908ELNS1_3gpuE7ELNS1_3repE0EEENS1_30default_config_static_selectorELNS0_4arch9wavefront6targetE1EEEvT1_.kd
    .uniform_work_group_size: 1
    .uses_dynamic_stack: false
    .vgpr_count:     0
    .vgpr_spill_count: 0
    .wavefront_size: 64
  - .agpr_count:     0
    .args:
      - .offset:         0
        .size:           96
        .value_kind:     by_value
    .group_segment_fixed_size: 0
    .kernarg_segment_align: 8
    .kernarg_segment_size: 96
    .language:       OpenCL C
    .language_version:
      - 2
      - 0
    .max_flat_workgroup_size: 256
    .name:           _ZN7rocprim17ROCPRIM_400000_NS6detail17trampoline_kernelINS0_14default_configENS1_20scan_config_selectorIN3c104HalfEEEZZNS1_9scan_implILNS1_25lookback_scan_determinismE0ELb0ELb0ES3_PKS6_PS6_S6_ZZZN2at6native31launch_logcumsumexp_cuda_kernelERKNSD_10TensorBaseESH_lENKUlvE_clEvENKUlvE3_clEvEUlS6_S6_E_S6_EEDaPvRmT3_T4_T5_mT6_P12ihipStream_tbENKUlT_T0_E_clISt17integral_constantIbLb1EESX_IbLb0EEEEDaST_SU_EUlST_E_NS1_11comp_targetILNS1_3genE2ELNS1_11target_archE906ELNS1_3gpuE6ELNS1_3repE0EEENS1_30default_config_static_selectorELNS0_4arch9wavefront6targetE1EEEvT1_
    .private_segment_fixed_size: 0
    .sgpr_count:     6
    .sgpr_spill_count: 0
    .symbol:         _ZN7rocprim17ROCPRIM_400000_NS6detail17trampoline_kernelINS0_14default_configENS1_20scan_config_selectorIN3c104HalfEEEZZNS1_9scan_implILNS1_25lookback_scan_determinismE0ELb0ELb0ES3_PKS6_PS6_S6_ZZZN2at6native31launch_logcumsumexp_cuda_kernelERKNSD_10TensorBaseESH_lENKUlvE_clEvENKUlvE3_clEvEUlS6_S6_E_S6_EEDaPvRmT3_T4_T5_mT6_P12ihipStream_tbENKUlT_T0_E_clISt17integral_constantIbLb1EESX_IbLb0EEEEDaST_SU_EUlST_E_NS1_11comp_targetILNS1_3genE2ELNS1_11target_archE906ELNS1_3gpuE6ELNS1_3repE0EEENS1_30default_config_static_selectorELNS0_4arch9wavefront6targetE1EEEvT1_.kd
    .uniform_work_group_size: 1
    .uses_dynamic_stack: false
    .vgpr_count:     0
    .vgpr_spill_count: 0
    .wavefront_size: 64
  - .agpr_count:     0
    .args:
      - .offset:         0
        .size:           96
        .value_kind:     by_value
    .group_segment_fixed_size: 0
    .kernarg_segment_align: 8
    .kernarg_segment_size: 96
    .language:       OpenCL C
    .language_version:
      - 2
      - 0
    .max_flat_workgroup_size: 256
    .name:           _ZN7rocprim17ROCPRIM_400000_NS6detail17trampoline_kernelINS0_14default_configENS1_20scan_config_selectorIN3c104HalfEEEZZNS1_9scan_implILNS1_25lookback_scan_determinismE0ELb0ELb0ES3_PKS6_PS6_S6_ZZZN2at6native31launch_logcumsumexp_cuda_kernelERKNSD_10TensorBaseESH_lENKUlvE_clEvENKUlvE3_clEvEUlS6_S6_E_S6_EEDaPvRmT3_T4_T5_mT6_P12ihipStream_tbENKUlT_T0_E_clISt17integral_constantIbLb1EESX_IbLb0EEEEDaST_SU_EUlST_E_NS1_11comp_targetILNS1_3genE10ELNS1_11target_archE1201ELNS1_3gpuE5ELNS1_3repE0EEENS1_30default_config_static_selectorELNS0_4arch9wavefront6targetE1EEEvT1_
    .private_segment_fixed_size: 0
    .sgpr_count:     6
    .sgpr_spill_count: 0
    .symbol:         _ZN7rocprim17ROCPRIM_400000_NS6detail17trampoline_kernelINS0_14default_configENS1_20scan_config_selectorIN3c104HalfEEEZZNS1_9scan_implILNS1_25lookback_scan_determinismE0ELb0ELb0ES3_PKS6_PS6_S6_ZZZN2at6native31launch_logcumsumexp_cuda_kernelERKNSD_10TensorBaseESH_lENKUlvE_clEvENKUlvE3_clEvEUlS6_S6_E_S6_EEDaPvRmT3_T4_T5_mT6_P12ihipStream_tbENKUlT_T0_E_clISt17integral_constantIbLb1EESX_IbLb0EEEEDaST_SU_EUlST_E_NS1_11comp_targetILNS1_3genE10ELNS1_11target_archE1201ELNS1_3gpuE5ELNS1_3repE0EEENS1_30default_config_static_selectorELNS0_4arch9wavefront6targetE1EEEvT1_.kd
    .uniform_work_group_size: 1
    .uses_dynamic_stack: false
    .vgpr_count:     0
    .vgpr_spill_count: 0
    .wavefront_size: 64
  - .agpr_count:     0
    .args:
      - .offset:         0
        .size:           96
        .value_kind:     by_value
    .group_segment_fixed_size: 0
    .kernarg_segment_align: 8
    .kernarg_segment_size: 96
    .language:       OpenCL C
    .language_version:
      - 2
      - 0
    .max_flat_workgroup_size: 256
    .name:           _ZN7rocprim17ROCPRIM_400000_NS6detail17trampoline_kernelINS0_14default_configENS1_20scan_config_selectorIN3c104HalfEEEZZNS1_9scan_implILNS1_25lookback_scan_determinismE0ELb0ELb0ES3_PKS6_PS6_S6_ZZZN2at6native31launch_logcumsumexp_cuda_kernelERKNSD_10TensorBaseESH_lENKUlvE_clEvENKUlvE3_clEvEUlS6_S6_E_S6_EEDaPvRmT3_T4_T5_mT6_P12ihipStream_tbENKUlT_T0_E_clISt17integral_constantIbLb1EESX_IbLb0EEEEDaST_SU_EUlST_E_NS1_11comp_targetILNS1_3genE10ELNS1_11target_archE1200ELNS1_3gpuE4ELNS1_3repE0EEENS1_30default_config_static_selectorELNS0_4arch9wavefront6targetE1EEEvT1_
    .private_segment_fixed_size: 0
    .sgpr_count:     6
    .sgpr_spill_count: 0
    .symbol:         _ZN7rocprim17ROCPRIM_400000_NS6detail17trampoline_kernelINS0_14default_configENS1_20scan_config_selectorIN3c104HalfEEEZZNS1_9scan_implILNS1_25lookback_scan_determinismE0ELb0ELb0ES3_PKS6_PS6_S6_ZZZN2at6native31launch_logcumsumexp_cuda_kernelERKNSD_10TensorBaseESH_lENKUlvE_clEvENKUlvE3_clEvEUlS6_S6_E_S6_EEDaPvRmT3_T4_T5_mT6_P12ihipStream_tbENKUlT_T0_E_clISt17integral_constantIbLb1EESX_IbLb0EEEEDaST_SU_EUlST_E_NS1_11comp_targetILNS1_3genE10ELNS1_11target_archE1200ELNS1_3gpuE4ELNS1_3repE0EEENS1_30default_config_static_selectorELNS0_4arch9wavefront6targetE1EEEvT1_.kd
    .uniform_work_group_size: 1
    .uses_dynamic_stack: false
    .vgpr_count:     0
    .vgpr_spill_count: 0
    .wavefront_size: 64
  - .agpr_count:     0
    .args:
      - .offset:         0
        .size:           96
        .value_kind:     by_value
    .group_segment_fixed_size: 0
    .kernarg_segment_align: 8
    .kernarg_segment_size: 96
    .language:       OpenCL C
    .language_version:
      - 2
      - 0
    .max_flat_workgroup_size: 64
    .name:           _ZN7rocprim17ROCPRIM_400000_NS6detail17trampoline_kernelINS0_14default_configENS1_20scan_config_selectorIN3c104HalfEEEZZNS1_9scan_implILNS1_25lookback_scan_determinismE0ELb0ELb0ES3_PKS6_PS6_S6_ZZZN2at6native31launch_logcumsumexp_cuda_kernelERKNSD_10TensorBaseESH_lENKUlvE_clEvENKUlvE3_clEvEUlS6_S6_E_S6_EEDaPvRmT3_T4_T5_mT6_P12ihipStream_tbENKUlT_T0_E_clISt17integral_constantIbLb1EESX_IbLb0EEEEDaST_SU_EUlST_E_NS1_11comp_targetILNS1_3genE9ELNS1_11target_archE1100ELNS1_3gpuE3ELNS1_3repE0EEENS1_30default_config_static_selectorELNS0_4arch9wavefront6targetE1EEEvT1_
    .private_segment_fixed_size: 0
    .sgpr_count:     6
    .sgpr_spill_count: 0
    .symbol:         _ZN7rocprim17ROCPRIM_400000_NS6detail17trampoline_kernelINS0_14default_configENS1_20scan_config_selectorIN3c104HalfEEEZZNS1_9scan_implILNS1_25lookback_scan_determinismE0ELb0ELb0ES3_PKS6_PS6_S6_ZZZN2at6native31launch_logcumsumexp_cuda_kernelERKNSD_10TensorBaseESH_lENKUlvE_clEvENKUlvE3_clEvEUlS6_S6_E_S6_EEDaPvRmT3_T4_T5_mT6_P12ihipStream_tbENKUlT_T0_E_clISt17integral_constantIbLb1EESX_IbLb0EEEEDaST_SU_EUlST_E_NS1_11comp_targetILNS1_3genE9ELNS1_11target_archE1100ELNS1_3gpuE3ELNS1_3repE0EEENS1_30default_config_static_selectorELNS0_4arch9wavefront6targetE1EEEvT1_.kd
    .uniform_work_group_size: 1
    .uses_dynamic_stack: false
    .vgpr_count:     0
    .vgpr_spill_count: 0
    .wavefront_size: 64
  - .agpr_count:     0
    .args:
      - .offset:         0
        .size:           96
        .value_kind:     by_value
    .group_segment_fixed_size: 0
    .kernarg_segment_align: 8
    .kernarg_segment_size: 96
    .language:       OpenCL C
    .language_version:
      - 2
      - 0
    .max_flat_workgroup_size: 64
    .name:           _ZN7rocprim17ROCPRIM_400000_NS6detail17trampoline_kernelINS0_14default_configENS1_20scan_config_selectorIN3c104HalfEEEZZNS1_9scan_implILNS1_25lookback_scan_determinismE0ELb0ELb0ES3_PKS6_PS6_S6_ZZZN2at6native31launch_logcumsumexp_cuda_kernelERKNSD_10TensorBaseESH_lENKUlvE_clEvENKUlvE3_clEvEUlS6_S6_E_S6_EEDaPvRmT3_T4_T5_mT6_P12ihipStream_tbENKUlT_T0_E_clISt17integral_constantIbLb1EESX_IbLb0EEEEDaST_SU_EUlST_E_NS1_11comp_targetILNS1_3genE8ELNS1_11target_archE1030ELNS1_3gpuE2ELNS1_3repE0EEENS1_30default_config_static_selectorELNS0_4arch9wavefront6targetE1EEEvT1_
    .private_segment_fixed_size: 0
    .sgpr_count:     6
    .sgpr_spill_count: 0
    .symbol:         _ZN7rocprim17ROCPRIM_400000_NS6detail17trampoline_kernelINS0_14default_configENS1_20scan_config_selectorIN3c104HalfEEEZZNS1_9scan_implILNS1_25lookback_scan_determinismE0ELb0ELb0ES3_PKS6_PS6_S6_ZZZN2at6native31launch_logcumsumexp_cuda_kernelERKNSD_10TensorBaseESH_lENKUlvE_clEvENKUlvE3_clEvEUlS6_S6_E_S6_EEDaPvRmT3_T4_T5_mT6_P12ihipStream_tbENKUlT_T0_E_clISt17integral_constantIbLb1EESX_IbLb0EEEEDaST_SU_EUlST_E_NS1_11comp_targetILNS1_3genE8ELNS1_11target_archE1030ELNS1_3gpuE2ELNS1_3repE0EEENS1_30default_config_static_selectorELNS0_4arch9wavefront6targetE1EEEvT1_.kd
    .uniform_work_group_size: 1
    .uses_dynamic_stack: false
    .vgpr_count:     0
    .vgpr_spill_count: 0
    .wavefront_size: 64
  - .agpr_count:     0
    .args:
      - .offset:         0
        .size:           32
        .value_kind:     by_value
    .group_segment_fixed_size: 0
    .kernarg_segment_align: 8
    .kernarg_segment_size: 32
    .language:       OpenCL C
    .language_version:
      - 2
      - 0
    .max_flat_workgroup_size: 128
    .name:           _ZN7rocprim17ROCPRIM_400000_NS6detail17trampoline_kernelINS0_14default_configENS1_20scan_config_selectorIN3c104HalfEEEZZNS1_9scan_implILNS1_25lookback_scan_determinismE0ELb0ELb0ES3_PKS6_PS6_S6_ZZZN2at6native31launch_logcumsumexp_cuda_kernelERKNSD_10TensorBaseESH_lENKUlvE_clEvENKUlvE3_clEvEUlS6_S6_E_S6_EEDaPvRmT3_T4_T5_mT6_P12ihipStream_tbENKUlT_T0_E_clISt17integral_constantIbLb1EESX_IbLb0EEEEDaST_SU_EUlST_E0_NS1_11comp_targetILNS1_3genE0ELNS1_11target_archE4294967295ELNS1_3gpuE0ELNS1_3repE0EEENS1_30default_config_static_selectorELNS0_4arch9wavefront6targetE1EEEvT1_
    .private_segment_fixed_size: 0
    .sgpr_count:     6
    .sgpr_spill_count: 0
    .symbol:         _ZN7rocprim17ROCPRIM_400000_NS6detail17trampoline_kernelINS0_14default_configENS1_20scan_config_selectorIN3c104HalfEEEZZNS1_9scan_implILNS1_25lookback_scan_determinismE0ELb0ELb0ES3_PKS6_PS6_S6_ZZZN2at6native31launch_logcumsumexp_cuda_kernelERKNSD_10TensorBaseESH_lENKUlvE_clEvENKUlvE3_clEvEUlS6_S6_E_S6_EEDaPvRmT3_T4_T5_mT6_P12ihipStream_tbENKUlT_T0_E_clISt17integral_constantIbLb1EESX_IbLb0EEEEDaST_SU_EUlST_E0_NS1_11comp_targetILNS1_3genE0ELNS1_11target_archE4294967295ELNS1_3gpuE0ELNS1_3repE0EEENS1_30default_config_static_selectorELNS0_4arch9wavefront6targetE1EEEvT1_.kd
    .uniform_work_group_size: 1
    .uses_dynamic_stack: false
    .vgpr_count:     0
    .vgpr_spill_count: 0
    .wavefront_size: 64
  - .agpr_count:     0
    .args:
      - .offset:         0
        .size:           32
        .value_kind:     by_value
    .group_segment_fixed_size: 12288
    .kernarg_segment_align: 8
    .kernarg_segment_size: 32
    .language:       OpenCL C
    .language_version:
      - 2
      - 0
    .max_flat_workgroup_size: 256
    .name:           _ZN7rocprim17ROCPRIM_400000_NS6detail17trampoline_kernelINS0_14default_configENS1_20scan_config_selectorIN3c104HalfEEEZZNS1_9scan_implILNS1_25lookback_scan_determinismE0ELb0ELb0ES3_PKS6_PS6_S6_ZZZN2at6native31launch_logcumsumexp_cuda_kernelERKNSD_10TensorBaseESH_lENKUlvE_clEvENKUlvE3_clEvEUlS6_S6_E_S6_EEDaPvRmT3_T4_T5_mT6_P12ihipStream_tbENKUlT_T0_E_clISt17integral_constantIbLb1EESX_IbLb0EEEEDaST_SU_EUlST_E0_NS1_11comp_targetILNS1_3genE5ELNS1_11target_archE942ELNS1_3gpuE9ELNS1_3repE0EEENS1_30default_config_static_selectorELNS0_4arch9wavefront6targetE1EEEvT1_
    .private_segment_fixed_size: 0
    .sgpr_count:     106
    .sgpr_spill_count: 8
    .symbol:         _ZN7rocprim17ROCPRIM_400000_NS6detail17trampoline_kernelINS0_14default_configENS1_20scan_config_selectorIN3c104HalfEEEZZNS1_9scan_implILNS1_25lookback_scan_determinismE0ELb0ELb0ES3_PKS6_PS6_S6_ZZZN2at6native31launch_logcumsumexp_cuda_kernelERKNSD_10TensorBaseESH_lENKUlvE_clEvENKUlvE3_clEvEUlS6_S6_E_S6_EEDaPvRmT3_T4_T5_mT6_P12ihipStream_tbENKUlT_T0_E_clISt17integral_constantIbLb1EESX_IbLb0EEEEDaST_SU_EUlST_E0_NS1_11comp_targetILNS1_3genE5ELNS1_11target_archE942ELNS1_3gpuE9ELNS1_3repE0EEENS1_30default_config_static_selectorELNS0_4arch9wavefront6targetE1EEEvT1_.kd
    .uniform_work_group_size: 1
    .uses_dynamic_stack: false
    .vgpr_count:     54
    .vgpr_spill_count: 0
    .wavefront_size: 64
  - .agpr_count:     0
    .args:
      - .offset:         0
        .size:           32
        .value_kind:     by_value
    .group_segment_fixed_size: 0
    .kernarg_segment_align: 8
    .kernarg_segment_size: 32
    .language:       OpenCL C
    .language_version:
      - 2
      - 0
    .max_flat_workgroup_size: 64
    .name:           _ZN7rocprim17ROCPRIM_400000_NS6detail17trampoline_kernelINS0_14default_configENS1_20scan_config_selectorIN3c104HalfEEEZZNS1_9scan_implILNS1_25lookback_scan_determinismE0ELb0ELb0ES3_PKS6_PS6_S6_ZZZN2at6native31launch_logcumsumexp_cuda_kernelERKNSD_10TensorBaseESH_lENKUlvE_clEvENKUlvE3_clEvEUlS6_S6_E_S6_EEDaPvRmT3_T4_T5_mT6_P12ihipStream_tbENKUlT_T0_E_clISt17integral_constantIbLb1EESX_IbLb0EEEEDaST_SU_EUlST_E0_NS1_11comp_targetILNS1_3genE4ELNS1_11target_archE910ELNS1_3gpuE8ELNS1_3repE0EEENS1_30default_config_static_selectorELNS0_4arch9wavefront6targetE1EEEvT1_
    .private_segment_fixed_size: 0
    .sgpr_count:     6
    .sgpr_spill_count: 0
    .symbol:         _ZN7rocprim17ROCPRIM_400000_NS6detail17trampoline_kernelINS0_14default_configENS1_20scan_config_selectorIN3c104HalfEEEZZNS1_9scan_implILNS1_25lookback_scan_determinismE0ELb0ELb0ES3_PKS6_PS6_S6_ZZZN2at6native31launch_logcumsumexp_cuda_kernelERKNSD_10TensorBaseESH_lENKUlvE_clEvENKUlvE3_clEvEUlS6_S6_E_S6_EEDaPvRmT3_T4_T5_mT6_P12ihipStream_tbENKUlT_T0_E_clISt17integral_constantIbLb1EESX_IbLb0EEEEDaST_SU_EUlST_E0_NS1_11comp_targetILNS1_3genE4ELNS1_11target_archE910ELNS1_3gpuE8ELNS1_3repE0EEENS1_30default_config_static_selectorELNS0_4arch9wavefront6targetE1EEEvT1_.kd
    .uniform_work_group_size: 1
    .uses_dynamic_stack: false
    .vgpr_count:     0
    .vgpr_spill_count: 0
    .wavefront_size: 64
  - .agpr_count:     0
    .args:
      - .offset:         0
        .size:           32
        .value_kind:     by_value
    .group_segment_fixed_size: 0
    .kernarg_segment_align: 8
    .kernarg_segment_size: 32
    .language:       OpenCL C
    .language_version:
      - 2
      - 0
    .max_flat_workgroup_size: 128
    .name:           _ZN7rocprim17ROCPRIM_400000_NS6detail17trampoline_kernelINS0_14default_configENS1_20scan_config_selectorIN3c104HalfEEEZZNS1_9scan_implILNS1_25lookback_scan_determinismE0ELb0ELb0ES3_PKS6_PS6_S6_ZZZN2at6native31launch_logcumsumexp_cuda_kernelERKNSD_10TensorBaseESH_lENKUlvE_clEvENKUlvE3_clEvEUlS6_S6_E_S6_EEDaPvRmT3_T4_T5_mT6_P12ihipStream_tbENKUlT_T0_E_clISt17integral_constantIbLb1EESX_IbLb0EEEEDaST_SU_EUlST_E0_NS1_11comp_targetILNS1_3genE3ELNS1_11target_archE908ELNS1_3gpuE7ELNS1_3repE0EEENS1_30default_config_static_selectorELNS0_4arch9wavefront6targetE1EEEvT1_
    .private_segment_fixed_size: 0
    .sgpr_count:     6
    .sgpr_spill_count: 0
    .symbol:         _ZN7rocprim17ROCPRIM_400000_NS6detail17trampoline_kernelINS0_14default_configENS1_20scan_config_selectorIN3c104HalfEEEZZNS1_9scan_implILNS1_25lookback_scan_determinismE0ELb0ELb0ES3_PKS6_PS6_S6_ZZZN2at6native31launch_logcumsumexp_cuda_kernelERKNSD_10TensorBaseESH_lENKUlvE_clEvENKUlvE3_clEvEUlS6_S6_E_S6_EEDaPvRmT3_T4_T5_mT6_P12ihipStream_tbENKUlT_T0_E_clISt17integral_constantIbLb1EESX_IbLb0EEEEDaST_SU_EUlST_E0_NS1_11comp_targetILNS1_3genE3ELNS1_11target_archE908ELNS1_3gpuE7ELNS1_3repE0EEENS1_30default_config_static_selectorELNS0_4arch9wavefront6targetE1EEEvT1_.kd
    .uniform_work_group_size: 1
    .uses_dynamic_stack: false
    .vgpr_count:     0
    .vgpr_spill_count: 0
    .wavefront_size: 64
  - .agpr_count:     0
    .args:
      - .offset:         0
        .size:           32
        .value_kind:     by_value
    .group_segment_fixed_size: 0
    .kernarg_segment_align: 8
    .kernarg_segment_size: 32
    .language:       OpenCL C
    .language_version:
      - 2
      - 0
    .max_flat_workgroup_size: 256
    .name:           _ZN7rocprim17ROCPRIM_400000_NS6detail17trampoline_kernelINS0_14default_configENS1_20scan_config_selectorIN3c104HalfEEEZZNS1_9scan_implILNS1_25lookback_scan_determinismE0ELb0ELb0ES3_PKS6_PS6_S6_ZZZN2at6native31launch_logcumsumexp_cuda_kernelERKNSD_10TensorBaseESH_lENKUlvE_clEvENKUlvE3_clEvEUlS6_S6_E_S6_EEDaPvRmT3_T4_T5_mT6_P12ihipStream_tbENKUlT_T0_E_clISt17integral_constantIbLb1EESX_IbLb0EEEEDaST_SU_EUlST_E0_NS1_11comp_targetILNS1_3genE2ELNS1_11target_archE906ELNS1_3gpuE6ELNS1_3repE0EEENS1_30default_config_static_selectorELNS0_4arch9wavefront6targetE1EEEvT1_
    .private_segment_fixed_size: 0
    .sgpr_count:     6
    .sgpr_spill_count: 0
    .symbol:         _ZN7rocprim17ROCPRIM_400000_NS6detail17trampoline_kernelINS0_14default_configENS1_20scan_config_selectorIN3c104HalfEEEZZNS1_9scan_implILNS1_25lookback_scan_determinismE0ELb0ELb0ES3_PKS6_PS6_S6_ZZZN2at6native31launch_logcumsumexp_cuda_kernelERKNSD_10TensorBaseESH_lENKUlvE_clEvENKUlvE3_clEvEUlS6_S6_E_S6_EEDaPvRmT3_T4_T5_mT6_P12ihipStream_tbENKUlT_T0_E_clISt17integral_constantIbLb1EESX_IbLb0EEEEDaST_SU_EUlST_E0_NS1_11comp_targetILNS1_3genE2ELNS1_11target_archE906ELNS1_3gpuE6ELNS1_3repE0EEENS1_30default_config_static_selectorELNS0_4arch9wavefront6targetE1EEEvT1_.kd
    .uniform_work_group_size: 1
    .uses_dynamic_stack: false
    .vgpr_count:     0
    .vgpr_spill_count: 0
    .wavefront_size: 64
  - .agpr_count:     0
    .args:
      - .offset:         0
        .size:           32
        .value_kind:     by_value
    .group_segment_fixed_size: 0
    .kernarg_segment_align: 8
    .kernarg_segment_size: 32
    .language:       OpenCL C
    .language_version:
      - 2
      - 0
    .max_flat_workgroup_size: 256
    .name:           _ZN7rocprim17ROCPRIM_400000_NS6detail17trampoline_kernelINS0_14default_configENS1_20scan_config_selectorIN3c104HalfEEEZZNS1_9scan_implILNS1_25lookback_scan_determinismE0ELb0ELb0ES3_PKS6_PS6_S6_ZZZN2at6native31launch_logcumsumexp_cuda_kernelERKNSD_10TensorBaseESH_lENKUlvE_clEvENKUlvE3_clEvEUlS6_S6_E_S6_EEDaPvRmT3_T4_T5_mT6_P12ihipStream_tbENKUlT_T0_E_clISt17integral_constantIbLb1EESX_IbLb0EEEEDaST_SU_EUlST_E0_NS1_11comp_targetILNS1_3genE10ELNS1_11target_archE1201ELNS1_3gpuE5ELNS1_3repE0EEENS1_30default_config_static_selectorELNS0_4arch9wavefront6targetE1EEEvT1_
    .private_segment_fixed_size: 0
    .sgpr_count:     6
    .sgpr_spill_count: 0
    .symbol:         _ZN7rocprim17ROCPRIM_400000_NS6detail17trampoline_kernelINS0_14default_configENS1_20scan_config_selectorIN3c104HalfEEEZZNS1_9scan_implILNS1_25lookback_scan_determinismE0ELb0ELb0ES3_PKS6_PS6_S6_ZZZN2at6native31launch_logcumsumexp_cuda_kernelERKNSD_10TensorBaseESH_lENKUlvE_clEvENKUlvE3_clEvEUlS6_S6_E_S6_EEDaPvRmT3_T4_T5_mT6_P12ihipStream_tbENKUlT_T0_E_clISt17integral_constantIbLb1EESX_IbLb0EEEEDaST_SU_EUlST_E0_NS1_11comp_targetILNS1_3genE10ELNS1_11target_archE1201ELNS1_3gpuE5ELNS1_3repE0EEENS1_30default_config_static_selectorELNS0_4arch9wavefront6targetE1EEEvT1_.kd
    .uniform_work_group_size: 1
    .uses_dynamic_stack: false
    .vgpr_count:     0
    .vgpr_spill_count: 0
    .wavefront_size: 64
  - .agpr_count:     0
    .args:
      - .offset:         0
        .size:           32
        .value_kind:     by_value
    .group_segment_fixed_size: 0
    .kernarg_segment_align: 8
    .kernarg_segment_size: 32
    .language:       OpenCL C
    .language_version:
      - 2
      - 0
    .max_flat_workgroup_size: 256
    .name:           _ZN7rocprim17ROCPRIM_400000_NS6detail17trampoline_kernelINS0_14default_configENS1_20scan_config_selectorIN3c104HalfEEEZZNS1_9scan_implILNS1_25lookback_scan_determinismE0ELb0ELb0ES3_PKS6_PS6_S6_ZZZN2at6native31launch_logcumsumexp_cuda_kernelERKNSD_10TensorBaseESH_lENKUlvE_clEvENKUlvE3_clEvEUlS6_S6_E_S6_EEDaPvRmT3_T4_T5_mT6_P12ihipStream_tbENKUlT_T0_E_clISt17integral_constantIbLb1EESX_IbLb0EEEEDaST_SU_EUlST_E0_NS1_11comp_targetILNS1_3genE10ELNS1_11target_archE1200ELNS1_3gpuE4ELNS1_3repE0EEENS1_30default_config_static_selectorELNS0_4arch9wavefront6targetE1EEEvT1_
    .private_segment_fixed_size: 0
    .sgpr_count:     6
    .sgpr_spill_count: 0
    .symbol:         _ZN7rocprim17ROCPRIM_400000_NS6detail17trampoline_kernelINS0_14default_configENS1_20scan_config_selectorIN3c104HalfEEEZZNS1_9scan_implILNS1_25lookback_scan_determinismE0ELb0ELb0ES3_PKS6_PS6_S6_ZZZN2at6native31launch_logcumsumexp_cuda_kernelERKNSD_10TensorBaseESH_lENKUlvE_clEvENKUlvE3_clEvEUlS6_S6_E_S6_EEDaPvRmT3_T4_T5_mT6_P12ihipStream_tbENKUlT_T0_E_clISt17integral_constantIbLb1EESX_IbLb0EEEEDaST_SU_EUlST_E0_NS1_11comp_targetILNS1_3genE10ELNS1_11target_archE1200ELNS1_3gpuE4ELNS1_3repE0EEENS1_30default_config_static_selectorELNS0_4arch9wavefront6targetE1EEEvT1_.kd
    .uniform_work_group_size: 1
    .uses_dynamic_stack: false
    .vgpr_count:     0
    .vgpr_spill_count: 0
    .wavefront_size: 64
  - .agpr_count:     0
    .args:
      - .offset:         0
        .size:           32
        .value_kind:     by_value
    .group_segment_fixed_size: 0
    .kernarg_segment_align: 8
    .kernarg_segment_size: 32
    .language:       OpenCL C
    .language_version:
      - 2
      - 0
    .max_flat_workgroup_size: 64
    .name:           _ZN7rocprim17ROCPRIM_400000_NS6detail17trampoline_kernelINS0_14default_configENS1_20scan_config_selectorIN3c104HalfEEEZZNS1_9scan_implILNS1_25lookback_scan_determinismE0ELb0ELb0ES3_PKS6_PS6_S6_ZZZN2at6native31launch_logcumsumexp_cuda_kernelERKNSD_10TensorBaseESH_lENKUlvE_clEvENKUlvE3_clEvEUlS6_S6_E_S6_EEDaPvRmT3_T4_T5_mT6_P12ihipStream_tbENKUlT_T0_E_clISt17integral_constantIbLb1EESX_IbLb0EEEEDaST_SU_EUlST_E0_NS1_11comp_targetILNS1_3genE9ELNS1_11target_archE1100ELNS1_3gpuE3ELNS1_3repE0EEENS1_30default_config_static_selectorELNS0_4arch9wavefront6targetE1EEEvT1_
    .private_segment_fixed_size: 0
    .sgpr_count:     6
    .sgpr_spill_count: 0
    .symbol:         _ZN7rocprim17ROCPRIM_400000_NS6detail17trampoline_kernelINS0_14default_configENS1_20scan_config_selectorIN3c104HalfEEEZZNS1_9scan_implILNS1_25lookback_scan_determinismE0ELb0ELb0ES3_PKS6_PS6_S6_ZZZN2at6native31launch_logcumsumexp_cuda_kernelERKNSD_10TensorBaseESH_lENKUlvE_clEvENKUlvE3_clEvEUlS6_S6_E_S6_EEDaPvRmT3_T4_T5_mT6_P12ihipStream_tbENKUlT_T0_E_clISt17integral_constantIbLb1EESX_IbLb0EEEEDaST_SU_EUlST_E0_NS1_11comp_targetILNS1_3genE9ELNS1_11target_archE1100ELNS1_3gpuE3ELNS1_3repE0EEENS1_30default_config_static_selectorELNS0_4arch9wavefront6targetE1EEEvT1_.kd
    .uniform_work_group_size: 1
    .uses_dynamic_stack: false
    .vgpr_count:     0
    .vgpr_spill_count: 0
    .wavefront_size: 64
  - .agpr_count:     0
    .args:
      - .offset:         0
        .size:           32
        .value_kind:     by_value
    .group_segment_fixed_size: 0
    .kernarg_segment_align: 8
    .kernarg_segment_size: 32
    .language:       OpenCL C
    .language_version:
      - 2
      - 0
    .max_flat_workgroup_size: 64
    .name:           _ZN7rocprim17ROCPRIM_400000_NS6detail17trampoline_kernelINS0_14default_configENS1_20scan_config_selectorIN3c104HalfEEEZZNS1_9scan_implILNS1_25lookback_scan_determinismE0ELb0ELb0ES3_PKS6_PS6_S6_ZZZN2at6native31launch_logcumsumexp_cuda_kernelERKNSD_10TensorBaseESH_lENKUlvE_clEvENKUlvE3_clEvEUlS6_S6_E_S6_EEDaPvRmT3_T4_T5_mT6_P12ihipStream_tbENKUlT_T0_E_clISt17integral_constantIbLb1EESX_IbLb0EEEEDaST_SU_EUlST_E0_NS1_11comp_targetILNS1_3genE8ELNS1_11target_archE1030ELNS1_3gpuE2ELNS1_3repE0EEENS1_30default_config_static_selectorELNS0_4arch9wavefront6targetE1EEEvT1_
    .private_segment_fixed_size: 0
    .sgpr_count:     6
    .sgpr_spill_count: 0
    .symbol:         _ZN7rocprim17ROCPRIM_400000_NS6detail17trampoline_kernelINS0_14default_configENS1_20scan_config_selectorIN3c104HalfEEEZZNS1_9scan_implILNS1_25lookback_scan_determinismE0ELb0ELb0ES3_PKS6_PS6_S6_ZZZN2at6native31launch_logcumsumexp_cuda_kernelERKNSD_10TensorBaseESH_lENKUlvE_clEvENKUlvE3_clEvEUlS6_S6_E_S6_EEDaPvRmT3_T4_T5_mT6_P12ihipStream_tbENKUlT_T0_E_clISt17integral_constantIbLb1EESX_IbLb0EEEEDaST_SU_EUlST_E0_NS1_11comp_targetILNS1_3genE8ELNS1_11target_archE1030ELNS1_3gpuE2ELNS1_3repE0EEENS1_30default_config_static_selectorELNS0_4arch9wavefront6targetE1EEEvT1_.kd
    .uniform_work_group_size: 1
    .uses_dynamic_stack: false
    .vgpr_count:     0
    .vgpr_spill_count: 0
    .wavefront_size: 64
  - .agpr_count:     0
    .args:
      - .address_space:  global
        .offset:         0
        .size:           8
        .value_kind:     global_buffer
      - .offset:         8
        .size:           4
        .value_kind:     by_value
      - .address_space:  global
        .offset:         16
        .size:           8
        .value_kind:     global_buffer
      - .offset:         24
        .size:           4
        .value_kind:     by_value
      - .address_space:  global
        .offset:         32
        .size:           8
        .value_kind:     global_buffer
      - .offset:         40
        .size:           4
        .value_kind:     hidden_block_count_x
      - .offset:         44
        .size:           4
        .value_kind:     hidden_block_count_y
      - .offset:         48
        .size:           4
        .value_kind:     hidden_block_count_z
      - .offset:         52
        .size:           2
        .value_kind:     hidden_group_size_x
      - .offset:         54
        .size:           2
        .value_kind:     hidden_group_size_y
      - .offset:         56
        .size:           2
        .value_kind:     hidden_group_size_z
      - .offset:         58
        .size:           2
        .value_kind:     hidden_remainder_x
      - .offset:         60
        .size:           2
        .value_kind:     hidden_remainder_y
      - .offset:         62
        .size:           2
        .value_kind:     hidden_remainder_z
      - .offset:         80
        .size:           8
        .value_kind:     hidden_global_offset_x
      - .offset:         88
        .size:           8
        .value_kind:     hidden_global_offset_y
      - .offset:         96
        .size:           8
        .value_kind:     hidden_global_offset_z
      - .offset:         104
        .size:           2
        .value_kind:     hidden_grid_dims
    .group_segment_fixed_size: 0
    .kernarg_segment_align: 8
    .kernarg_segment_size: 296
    .language:       OpenCL C
    .language_version:
      - 2
      - 0
    .max_flat_workgroup_size: 256
    .name:           _ZN7rocprim17ROCPRIM_400000_NS6detail31init_lookback_scan_state_kernelINS1_19lookback_scan_stateIN3c104HalfELb0ELb1EEENS1_16block_id_wrapperIjLb1EEEEEvT_jT0_jPNS9_10value_typeE
    .private_segment_fixed_size: 0
    .sgpr_count:     17
    .sgpr_spill_count: 0
    .symbol:         _ZN7rocprim17ROCPRIM_400000_NS6detail31init_lookback_scan_state_kernelINS1_19lookback_scan_stateIN3c104HalfELb0ELb1EEENS1_16block_id_wrapperIjLb1EEEEEvT_jT0_jPNS9_10value_typeE.kd
    .uniform_work_group_size: 1
    .uses_dynamic_stack: false
    .vgpr_count:     6
    .vgpr_spill_count: 0
    .wavefront_size: 64
  - .agpr_count:     0
    .args:
      - .offset:         0
        .size:           96
        .value_kind:     by_value
    .group_segment_fixed_size: 0
    .kernarg_segment_align: 8
    .kernarg_segment_size: 96
    .language:       OpenCL C
    .language_version:
      - 2
      - 0
    .max_flat_workgroup_size: 128
    .name:           _ZN7rocprim17ROCPRIM_400000_NS6detail17trampoline_kernelINS0_14default_configENS1_20scan_config_selectorIN3c104HalfEEEZZNS1_9scan_implILNS1_25lookback_scan_determinismE0ELb0ELb0ES3_PKS6_PS6_S6_ZZZN2at6native31launch_logcumsumexp_cuda_kernelERKNSD_10TensorBaseESH_lENKUlvE_clEvENKUlvE3_clEvEUlS6_S6_E_S6_EEDaPvRmT3_T4_T5_mT6_P12ihipStream_tbENKUlT_T0_E_clISt17integral_constantIbLb0EESX_IbLb1EEEEDaST_SU_EUlST_E_NS1_11comp_targetILNS1_3genE0ELNS1_11target_archE4294967295ELNS1_3gpuE0ELNS1_3repE0EEENS1_30default_config_static_selectorELNS0_4arch9wavefront6targetE1EEEvT1_
    .private_segment_fixed_size: 0
    .sgpr_count:     6
    .sgpr_spill_count: 0
    .symbol:         _ZN7rocprim17ROCPRIM_400000_NS6detail17trampoline_kernelINS0_14default_configENS1_20scan_config_selectorIN3c104HalfEEEZZNS1_9scan_implILNS1_25lookback_scan_determinismE0ELb0ELb0ES3_PKS6_PS6_S6_ZZZN2at6native31launch_logcumsumexp_cuda_kernelERKNSD_10TensorBaseESH_lENKUlvE_clEvENKUlvE3_clEvEUlS6_S6_E_S6_EEDaPvRmT3_T4_T5_mT6_P12ihipStream_tbENKUlT_T0_E_clISt17integral_constantIbLb0EESX_IbLb1EEEEDaST_SU_EUlST_E_NS1_11comp_targetILNS1_3genE0ELNS1_11target_archE4294967295ELNS1_3gpuE0ELNS1_3repE0EEENS1_30default_config_static_selectorELNS0_4arch9wavefront6targetE1EEEvT1_.kd
    .uniform_work_group_size: 1
    .uses_dynamic_stack: false
    .vgpr_count:     0
    .vgpr_spill_count: 0
    .wavefront_size: 64
  - .agpr_count:     0
    .args:
      - .offset:         0
        .size:           96
        .value_kind:     by_value
      - .offset:         96
        .size:           4
        .value_kind:     hidden_block_count_x
      - .offset:         100
        .size:           4
        .value_kind:     hidden_block_count_y
      - .offset:         104
        .size:           4
        .value_kind:     hidden_block_count_z
      - .offset:         108
        .size:           2
        .value_kind:     hidden_group_size_x
      - .offset:         110
        .size:           2
        .value_kind:     hidden_group_size_y
      - .offset:         112
        .size:           2
        .value_kind:     hidden_group_size_z
      - .offset:         114
        .size:           2
        .value_kind:     hidden_remainder_x
      - .offset:         116
        .size:           2
        .value_kind:     hidden_remainder_y
      - .offset:         118
        .size:           2
        .value_kind:     hidden_remainder_z
      - .offset:         136
        .size:           8
        .value_kind:     hidden_global_offset_x
      - .offset:         144
        .size:           8
        .value_kind:     hidden_global_offset_y
      - .offset:         152
        .size:           8
        .value_kind:     hidden_global_offset_z
      - .offset:         160
        .size:           2
        .value_kind:     hidden_grid_dims
    .group_segment_fixed_size: 12288
    .kernarg_segment_align: 8
    .kernarg_segment_size: 352
    .language:       OpenCL C
    .language_version:
      - 2
      - 0
    .max_flat_workgroup_size: 256
    .name:           _ZN7rocprim17ROCPRIM_400000_NS6detail17trampoline_kernelINS0_14default_configENS1_20scan_config_selectorIN3c104HalfEEEZZNS1_9scan_implILNS1_25lookback_scan_determinismE0ELb0ELb0ES3_PKS6_PS6_S6_ZZZN2at6native31launch_logcumsumexp_cuda_kernelERKNSD_10TensorBaseESH_lENKUlvE_clEvENKUlvE3_clEvEUlS6_S6_E_S6_EEDaPvRmT3_T4_T5_mT6_P12ihipStream_tbENKUlT_T0_E_clISt17integral_constantIbLb0EESX_IbLb1EEEEDaST_SU_EUlST_E_NS1_11comp_targetILNS1_3genE5ELNS1_11target_archE942ELNS1_3gpuE9ELNS1_3repE0EEENS1_30default_config_static_selectorELNS0_4arch9wavefront6targetE1EEEvT1_
    .private_segment_fixed_size: 120
    .sgpr_count:     80
    .sgpr_spill_count: 0
    .symbol:         _ZN7rocprim17ROCPRIM_400000_NS6detail17trampoline_kernelINS0_14default_configENS1_20scan_config_selectorIN3c104HalfEEEZZNS1_9scan_implILNS1_25lookback_scan_determinismE0ELb0ELb0ES3_PKS6_PS6_S6_ZZZN2at6native31launch_logcumsumexp_cuda_kernelERKNSD_10TensorBaseESH_lENKUlvE_clEvENKUlvE3_clEvEUlS6_S6_E_S6_EEDaPvRmT3_T4_T5_mT6_P12ihipStream_tbENKUlT_T0_E_clISt17integral_constantIbLb0EESX_IbLb1EEEEDaST_SU_EUlST_E_NS1_11comp_targetILNS1_3genE5ELNS1_11target_archE942ELNS1_3gpuE9ELNS1_3repE0EEENS1_30default_config_static_selectorELNS0_4arch9wavefront6targetE1EEEvT1_.kd
    .uniform_work_group_size: 1
    .uses_dynamic_stack: false
    .vgpr_count:     168
    .vgpr_spill_count: 0
    .wavefront_size: 64
  - .agpr_count:     0
    .args:
      - .offset:         0
        .size:           96
        .value_kind:     by_value
    .group_segment_fixed_size: 0
    .kernarg_segment_align: 8
    .kernarg_segment_size: 96
    .language:       OpenCL C
    .language_version:
      - 2
      - 0
    .max_flat_workgroup_size: 64
    .name:           _ZN7rocprim17ROCPRIM_400000_NS6detail17trampoline_kernelINS0_14default_configENS1_20scan_config_selectorIN3c104HalfEEEZZNS1_9scan_implILNS1_25lookback_scan_determinismE0ELb0ELb0ES3_PKS6_PS6_S6_ZZZN2at6native31launch_logcumsumexp_cuda_kernelERKNSD_10TensorBaseESH_lENKUlvE_clEvENKUlvE3_clEvEUlS6_S6_E_S6_EEDaPvRmT3_T4_T5_mT6_P12ihipStream_tbENKUlT_T0_E_clISt17integral_constantIbLb0EESX_IbLb1EEEEDaST_SU_EUlST_E_NS1_11comp_targetILNS1_3genE4ELNS1_11target_archE910ELNS1_3gpuE8ELNS1_3repE0EEENS1_30default_config_static_selectorELNS0_4arch9wavefront6targetE1EEEvT1_
    .private_segment_fixed_size: 0
    .sgpr_count:     6
    .sgpr_spill_count: 0
    .symbol:         _ZN7rocprim17ROCPRIM_400000_NS6detail17trampoline_kernelINS0_14default_configENS1_20scan_config_selectorIN3c104HalfEEEZZNS1_9scan_implILNS1_25lookback_scan_determinismE0ELb0ELb0ES3_PKS6_PS6_S6_ZZZN2at6native31launch_logcumsumexp_cuda_kernelERKNSD_10TensorBaseESH_lENKUlvE_clEvENKUlvE3_clEvEUlS6_S6_E_S6_EEDaPvRmT3_T4_T5_mT6_P12ihipStream_tbENKUlT_T0_E_clISt17integral_constantIbLb0EESX_IbLb1EEEEDaST_SU_EUlST_E_NS1_11comp_targetILNS1_3genE4ELNS1_11target_archE910ELNS1_3gpuE8ELNS1_3repE0EEENS1_30default_config_static_selectorELNS0_4arch9wavefront6targetE1EEEvT1_.kd
    .uniform_work_group_size: 1
    .uses_dynamic_stack: false
    .vgpr_count:     0
    .vgpr_spill_count: 0
    .wavefront_size: 64
  - .agpr_count:     0
    .args:
      - .offset:         0
        .size:           96
        .value_kind:     by_value
    .group_segment_fixed_size: 0
    .kernarg_segment_align: 8
    .kernarg_segment_size: 96
    .language:       OpenCL C
    .language_version:
      - 2
      - 0
    .max_flat_workgroup_size: 128
    .name:           _ZN7rocprim17ROCPRIM_400000_NS6detail17trampoline_kernelINS0_14default_configENS1_20scan_config_selectorIN3c104HalfEEEZZNS1_9scan_implILNS1_25lookback_scan_determinismE0ELb0ELb0ES3_PKS6_PS6_S6_ZZZN2at6native31launch_logcumsumexp_cuda_kernelERKNSD_10TensorBaseESH_lENKUlvE_clEvENKUlvE3_clEvEUlS6_S6_E_S6_EEDaPvRmT3_T4_T5_mT6_P12ihipStream_tbENKUlT_T0_E_clISt17integral_constantIbLb0EESX_IbLb1EEEEDaST_SU_EUlST_E_NS1_11comp_targetILNS1_3genE3ELNS1_11target_archE908ELNS1_3gpuE7ELNS1_3repE0EEENS1_30default_config_static_selectorELNS0_4arch9wavefront6targetE1EEEvT1_
    .private_segment_fixed_size: 0
    .sgpr_count:     6
    .sgpr_spill_count: 0
    .symbol:         _ZN7rocprim17ROCPRIM_400000_NS6detail17trampoline_kernelINS0_14default_configENS1_20scan_config_selectorIN3c104HalfEEEZZNS1_9scan_implILNS1_25lookback_scan_determinismE0ELb0ELb0ES3_PKS6_PS6_S6_ZZZN2at6native31launch_logcumsumexp_cuda_kernelERKNSD_10TensorBaseESH_lENKUlvE_clEvENKUlvE3_clEvEUlS6_S6_E_S6_EEDaPvRmT3_T4_T5_mT6_P12ihipStream_tbENKUlT_T0_E_clISt17integral_constantIbLb0EESX_IbLb1EEEEDaST_SU_EUlST_E_NS1_11comp_targetILNS1_3genE3ELNS1_11target_archE908ELNS1_3gpuE7ELNS1_3repE0EEENS1_30default_config_static_selectorELNS0_4arch9wavefront6targetE1EEEvT1_.kd
    .uniform_work_group_size: 1
    .uses_dynamic_stack: false
    .vgpr_count:     0
    .vgpr_spill_count: 0
    .wavefront_size: 64
  - .agpr_count:     0
    .args:
      - .offset:         0
        .size:           96
        .value_kind:     by_value
    .group_segment_fixed_size: 0
    .kernarg_segment_align: 8
    .kernarg_segment_size: 96
    .language:       OpenCL C
    .language_version:
      - 2
      - 0
    .max_flat_workgroup_size: 256
    .name:           _ZN7rocprim17ROCPRIM_400000_NS6detail17trampoline_kernelINS0_14default_configENS1_20scan_config_selectorIN3c104HalfEEEZZNS1_9scan_implILNS1_25lookback_scan_determinismE0ELb0ELb0ES3_PKS6_PS6_S6_ZZZN2at6native31launch_logcumsumexp_cuda_kernelERKNSD_10TensorBaseESH_lENKUlvE_clEvENKUlvE3_clEvEUlS6_S6_E_S6_EEDaPvRmT3_T4_T5_mT6_P12ihipStream_tbENKUlT_T0_E_clISt17integral_constantIbLb0EESX_IbLb1EEEEDaST_SU_EUlST_E_NS1_11comp_targetILNS1_3genE2ELNS1_11target_archE906ELNS1_3gpuE6ELNS1_3repE0EEENS1_30default_config_static_selectorELNS0_4arch9wavefront6targetE1EEEvT1_
    .private_segment_fixed_size: 0
    .sgpr_count:     6
    .sgpr_spill_count: 0
    .symbol:         _ZN7rocprim17ROCPRIM_400000_NS6detail17trampoline_kernelINS0_14default_configENS1_20scan_config_selectorIN3c104HalfEEEZZNS1_9scan_implILNS1_25lookback_scan_determinismE0ELb0ELb0ES3_PKS6_PS6_S6_ZZZN2at6native31launch_logcumsumexp_cuda_kernelERKNSD_10TensorBaseESH_lENKUlvE_clEvENKUlvE3_clEvEUlS6_S6_E_S6_EEDaPvRmT3_T4_T5_mT6_P12ihipStream_tbENKUlT_T0_E_clISt17integral_constantIbLb0EESX_IbLb1EEEEDaST_SU_EUlST_E_NS1_11comp_targetILNS1_3genE2ELNS1_11target_archE906ELNS1_3gpuE6ELNS1_3repE0EEENS1_30default_config_static_selectorELNS0_4arch9wavefront6targetE1EEEvT1_.kd
    .uniform_work_group_size: 1
    .uses_dynamic_stack: false
    .vgpr_count:     0
    .vgpr_spill_count: 0
    .wavefront_size: 64
  - .agpr_count:     0
    .args:
      - .offset:         0
        .size:           96
        .value_kind:     by_value
    .group_segment_fixed_size: 0
    .kernarg_segment_align: 8
    .kernarg_segment_size: 96
    .language:       OpenCL C
    .language_version:
      - 2
      - 0
    .max_flat_workgroup_size: 256
    .name:           _ZN7rocprim17ROCPRIM_400000_NS6detail17trampoline_kernelINS0_14default_configENS1_20scan_config_selectorIN3c104HalfEEEZZNS1_9scan_implILNS1_25lookback_scan_determinismE0ELb0ELb0ES3_PKS6_PS6_S6_ZZZN2at6native31launch_logcumsumexp_cuda_kernelERKNSD_10TensorBaseESH_lENKUlvE_clEvENKUlvE3_clEvEUlS6_S6_E_S6_EEDaPvRmT3_T4_T5_mT6_P12ihipStream_tbENKUlT_T0_E_clISt17integral_constantIbLb0EESX_IbLb1EEEEDaST_SU_EUlST_E_NS1_11comp_targetILNS1_3genE10ELNS1_11target_archE1201ELNS1_3gpuE5ELNS1_3repE0EEENS1_30default_config_static_selectorELNS0_4arch9wavefront6targetE1EEEvT1_
    .private_segment_fixed_size: 0
    .sgpr_count:     6
    .sgpr_spill_count: 0
    .symbol:         _ZN7rocprim17ROCPRIM_400000_NS6detail17trampoline_kernelINS0_14default_configENS1_20scan_config_selectorIN3c104HalfEEEZZNS1_9scan_implILNS1_25lookback_scan_determinismE0ELb0ELb0ES3_PKS6_PS6_S6_ZZZN2at6native31launch_logcumsumexp_cuda_kernelERKNSD_10TensorBaseESH_lENKUlvE_clEvENKUlvE3_clEvEUlS6_S6_E_S6_EEDaPvRmT3_T4_T5_mT6_P12ihipStream_tbENKUlT_T0_E_clISt17integral_constantIbLb0EESX_IbLb1EEEEDaST_SU_EUlST_E_NS1_11comp_targetILNS1_3genE10ELNS1_11target_archE1201ELNS1_3gpuE5ELNS1_3repE0EEENS1_30default_config_static_selectorELNS0_4arch9wavefront6targetE1EEEvT1_.kd
    .uniform_work_group_size: 1
    .uses_dynamic_stack: false
    .vgpr_count:     0
    .vgpr_spill_count: 0
    .wavefront_size: 64
  - .agpr_count:     0
    .args:
      - .offset:         0
        .size:           96
        .value_kind:     by_value
    .group_segment_fixed_size: 0
    .kernarg_segment_align: 8
    .kernarg_segment_size: 96
    .language:       OpenCL C
    .language_version:
      - 2
      - 0
    .max_flat_workgroup_size: 256
    .name:           _ZN7rocprim17ROCPRIM_400000_NS6detail17trampoline_kernelINS0_14default_configENS1_20scan_config_selectorIN3c104HalfEEEZZNS1_9scan_implILNS1_25lookback_scan_determinismE0ELb0ELb0ES3_PKS6_PS6_S6_ZZZN2at6native31launch_logcumsumexp_cuda_kernelERKNSD_10TensorBaseESH_lENKUlvE_clEvENKUlvE3_clEvEUlS6_S6_E_S6_EEDaPvRmT3_T4_T5_mT6_P12ihipStream_tbENKUlT_T0_E_clISt17integral_constantIbLb0EESX_IbLb1EEEEDaST_SU_EUlST_E_NS1_11comp_targetILNS1_3genE10ELNS1_11target_archE1200ELNS1_3gpuE4ELNS1_3repE0EEENS1_30default_config_static_selectorELNS0_4arch9wavefront6targetE1EEEvT1_
    .private_segment_fixed_size: 0
    .sgpr_count:     6
    .sgpr_spill_count: 0
    .symbol:         _ZN7rocprim17ROCPRIM_400000_NS6detail17trampoline_kernelINS0_14default_configENS1_20scan_config_selectorIN3c104HalfEEEZZNS1_9scan_implILNS1_25lookback_scan_determinismE0ELb0ELb0ES3_PKS6_PS6_S6_ZZZN2at6native31launch_logcumsumexp_cuda_kernelERKNSD_10TensorBaseESH_lENKUlvE_clEvENKUlvE3_clEvEUlS6_S6_E_S6_EEDaPvRmT3_T4_T5_mT6_P12ihipStream_tbENKUlT_T0_E_clISt17integral_constantIbLb0EESX_IbLb1EEEEDaST_SU_EUlST_E_NS1_11comp_targetILNS1_3genE10ELNS1_11target_archE1200ELNS1_3gpuE4ELNS1_3repE0EEENS1_30default_config_static_selectorELNS0_4arch9wavefront6targetE1EEEvT1_.kd
    .uniform_work_group_size: 1
    .uses_dynamic_stack: false
    .vgpr_count:     0
    .vgpr_spill_count: 0
    .wavefront_size: 64
  - .agpr_count:     0
    .args:
      - .offset:         0
        .size:           96
        .value_kind:     by_value
    .group_segment_fixed_size: 0
    .kernarg_segment_align: 8
    .kernarg_segment_size: 96
    .language:       OpenCL C
    .language_version:
      - 2
      - 0
    .max_flat_workgroup_size: 64
    .name:           _ZN7rocprim17ROCPRIM_400000_NS6detail17trampoline_kernelINS0_14default_configENS1_20scan_config_selectorIN3c104HalfEEEZZNS1_9scan_implILNS1_25lookback_scan_determinismE0ELb0ELb0ES3_PKS6_PS6_S6_ZZZN2at6native31launch_logcumsumexp_cuda_kernelERKNSD_10TensorBaseESH_lENKUlvE_clEvENKUlvE3_clEvEUlS6_S6_E_S6_EEDaPvRmT3_T4_T5_mT6_P12ihipStream_tbENKUlT_T0_E_clISt17integral_constantIbLb0EESX_IbLb1EEEEDaST_SU_EUlST_E_NS1_11comp_targetILNS1_3genE9ELNS1_11target_archE1100ELNS1_3gpuE3ELNS1_3repE0EEENS1_30default_config_static_selectorELNS0_4arch9wavefront6targetE1EEEvT1_
    .private_segment_fixed_size: 0
    .sgpr_count:     6
    .sgpr_spill_count: 0
    .symbol:         _ZN7rocprim17ROCPRIM_400000_NS6detail17trampoline_kernelINS0_14default_configENS1_20scan_config_selectorIN3c104HalfEEEZZNS1_9scan_implILNS1_25lookback_scan_determinismE0ELb0ELb0ES3_PKS6_PS6_S6_ZZZN2at6native31launch_logcumsumexp_cuda_kernelERKNSD_10TensorBaseESH_lENKUlvE_clEvENKUlvE3_clEvEUlS6_S6_E_S6_EEDaPvRmT3_T4_T5_mT6_P12ihipStream_tbENKUlT_T0_E_clISt17integral_constantIbLb0EESX_IbLb1EEEEDaST_SU_EUlST_E_NS1_11comp_targetILNS1_3genE9ELNS1_11target_archE1100ELNS1_3gpuE3ELNS1_3repE0EEENS1_30default_config_static_selectorELNS0_4arch9wavefront6targetE1EEEvT1_.kd
    .uniform_work_group_size: 1
    .uses_dynamic_stack: false
    .vgpr_count:     0
    .vgpr_spill_count: 0
    .wavefront_size: 64
  - .agpr_count:     0
    .args:
      - .offset:         0
        .size:           96
        .value_kind:     by_value
    .group_segment_fixed_size: 0
    .kernarg_segment_align: 8
    .kernarg_segment_size: 96
    .language:       OpenCL C
    .language_version:
      - 2
      - 0
    .max_flat_workgroup_size: 64
    .name:           _ZN7rocprim17ROCPRIM_400000_NS6detail17trampoline_kernelINS0_14default_configENS1_20scan_config_selectorIN3c104HalfEEEZZNS1_9scan_implILNS1_25lookback_scan_determinismE0ELb0ELb0ES3_PKS6_PS6_S6_ZZZN2at6native31launch_logcumsumexp_cuda_kernelERKNSD_10TensorBaseESH_lENKUlvE_clEvENKUlvE3_clEvEUlS6_S6_E_S6_EEDaPvRmT3_T4_T5_mT6_P12ihipStream_tbENKUlT_T0_E_clISt17integral_constantIbLb0EESX_IbLb1EEEEDaST_SU_EUlST_E_NS1_11comp_targetILNS1_3genE8ELNS1_11target_archE1030ELNS1_3gpuE2ELNS1_3repE0EEENS1_30default_config_static_selectorELNS0_4arch9wavefront6targetE1EEEvT1_
    .private_segment_fixed_size: 0
    .sgpr_count:     6
    .sgpr_spill_count: 0
    .symbol:         _ZN7rocprim17ROCPRIM_400000_NS6detail17trampoline_kernelINS0_14default_configENS1_20scan_config_selectorIN3c104HalfEEEZZNS1_9scan_implILNS1_25lookback_scan_determinismE0ELb0ELb0ES3_PKS6_PS6_S6_ZZZN2at6native31launch_logcumsumexp_cuda_kernelERKNSD_10TensorBaseESH_lENKUlvE_clEvENKUlvE3_clEvEUlS6_S6_E_S6_EEDaPvRmT3_T4_T5_mT6_P12ihipStream_tbENKUlT_T0_E_clISt17integral_constantIbLb0EESX_IbLb1EEEEDaST_SU_EUlST_E_NS1_11comp_targetILNS1_3genE8ELNS1_11target_archE1030ELNS1_3gpuE2ELNS1_3repE0EEENS1_30default_config_static_selectorELNS0_4arch9wavefront6targetE1EEEvT1_.kd
    .uniform_work_group_size: 1
    .uses_dynamic_stack: false
    .vgpr_count:     0
    .vgpr_spill_count: 0
    .wavefront_size: 64
  - .agpr_count:     0
    .args:
      - .offset:         0
        .size:           32
        .value_kind:     by_value
    .group_segment_fixed_size: 0
    .kernarg_segment_align: 8
    .kernarg_segment_size: 32
    .language:       OpenCL C
    .language_version:
      - 2
      - 0
    .max_flat_workgroup_size: 128
    .name:           _ZN7rocprim17ROCPRIM_400000_NS6detail17trampoline_kernelINS0_14default_configENS1_20scan_config_selectorIN3c104HalfEEEZZNS1_9scan_implILNS1_25lookback_scan_determinismE0ELb0ELb0ES3_PKS6_PS6_S6_ZZZN2at6native31launch_logcumsumexp_cuda_kernelERKNSD_10TensorBaseESH_lENKUlvE_clEvENKUlvE3_clEvEUlS6_S6_E_S6_EEDaPvRmT3_T4_T5_mT6_P12ihipStream_tbENKUlT_T0_E_clISt17integral_constantIbLb0EESX_IbLb1EEEEDaST_SU_EUlST_E0_NS1_11comp_targetILNS1_3genE0ELNS1_11target_archE4294967295ELNS1_3gpuE0ELNS1_3repE0EEENS1_30default_config_static_selectorELNS0_4arch9wavefront6targetE1EEEvT1_
    .private_segment_fixed_size: 0
    .sgpr_count:     6
    .sgpr_spill_count: 0
    .symbol:         _ZN7rocprim17ROCPRIM_400000_NS6detail17trampoline_kernelINS0_14default_configENS1_20scan_config_selectorIN3c104HalfEEEZZNS1_9scan_implILNS1_25lookback_scan_determinismE0ELb0ELb0ES3_PKS6_PS6_S6_ZZZN2at6native31launch_logcumsumexp_cuda_kernelERKNSD_10TensorBaseESH_lENKUlvE_clEvENKUlvE3_clEvEUlS6_S6_E_S6_EEDaPvRmT3_T4_T5_mT6_P12ihipStream_tbENKUlT_T0_E_clISt17integral_constantIbLb0EESX_IbLb1EEEEDaST_SU_EUlST_E0_NS1_11comp_targetILNS1_3genE0ELNS1_11target_archE4294967295ELNS1_3gpuE0ELNS1_3repE0EEENS1_30default_config_static_selectorELNS0_4arch9wavefront6targetE1EEEvT1_.kd
    .uniform_work_group_size: 1
    .uses_dynamic_stack: false
    .vgpr_count:     0
    .vgpr_spill_count: 0
    .wavefront_size: 64
  - .agpr_count:     0
    .args:
      - .offset:         0
        .size:           32
        .value_kind:     by_value
    .group_segment_fixed_size: 12288
    .kernarg_segment_align: 8
    .kernarg_segment_size: 32
    .language:       OpenCL C
    .language_version:
      - 2
      - 0
    .max_flat_workgroup_size: 256
    .name:           _ZN7rocprim17ROCPRIM_400000_NS6detail17trampoline_kernelINS0_14default_configENS1_20scan_config_selectorIN3c104HalfEEEZZNS1_9scan_implILNS1_25lookback_scan_determinismE0ELb0ELb0ES3_PKS6_PS6_S6_ZZZN2at6native31launch_logcumsumexp_cuda_kernelERKNSD_10TensorBaseESH_lENKUlvE_clEvENKUlvE3_clEvEUlS6_S6_E_S6_EEDaPvRmT3_T4_T5_mT6_P12ihipStream_tbENKUlT_T0_E_clISt17integral_constantIbLb0EESX_IbLb1EEEEDaST_SU_EUlST_E0_NS1_11comp_targetILNS1_3genE5ELNS1_11target_archE942ELNS1_3gpuE9ELNS1_3repE0EEENS1_30default_config_static_selectorELNS0_4arch9wavefront6targetE1EEEvT1_
    .private_segment_fixed_size: 0
    .sgpr_count:     106
    .sgpr_spill_count: 8
    .symbol:         _ZN7rocprim17ROCPRIM_400000_NS6detail17trampoline_kernelINS0_14default_configENS1_20scan_config_selectorIN3c104HalfEEEZZNS1_9scan_implILNS1_25lookback_scan_determinismE0ELb0ELb0ES3_PKS6_PS6_S6_ZZZN2at6native31launch_logcumsumexp_cuda_kernelERKNSD_10TensorBaseESH_lENKUlvE_clEvENKUlvE3_clEvEUlS6_S6_E_S6_EEDaPvRmT3_T4_T5_mT6_P12ihipStream_tbENKUlT_T0_E_clISt17integral_constantIbLb0EESX_IbLb1EEEEDaST_SU_EUlST_E0_NS1_11comp_targetILNS1_3genE5ELNS1_11target_archE942ELNS1_3gpuE9ELNS1_3repE0EEENS1_30default_config_static_selectorELNS0_4arch9wavefront6targetE1EEEvT1_.kd
    .uniform_work_group_size: 1
    .uses_dynamic_stack: false
    .vgpr_count:     54
    .vgpr_spill_count: 0
    .wavefront_size: 64
  - .agpr_count:     0
    .args:
      - .offset:         0
        .size:           32
        .value_kind:     by_value
    .group_segment_fixed_size: 0
    .kernarg_segment_align: 8
    .kernarg_segment_size: 32
    .language:       OpenCL C
    .language_version:
      - 2
      - 0
    .max_flat_workgroup_size: 64
    .name:           _ZN7rocprim17ROCPRIM_400000_NS6detail17trampoline_kernelINS0_14default_configENS1_20scan_config_selectorIN3c104HalfEEEZZNS1_9scan_implILNS1_25lookback_scan_determinismE0ELb0ELb0ES3_PKS6_PS6_S6_ZZZN2at6native31launch_logcumsumexp_cuda_kernelERKNSD_10TensorBaseESH_lENKUlvE_clEvENKUlvE3_clEvEUlS6_S6_E_S6_EEDaPvRmT3_T4_T5_mT6_P12ihipStream_tbENKUlT_T0_E_clISt17integral_constantIbLb0EESX_IbLb1EEEEDaST_SU_EUlST_E0_NS1_11comp_targetILNS1_3genE4ELNS1_11target_archE910ELNS1_3gpuE8ELNS1_3repE0EEENS1_30default_config_static_selectorELNS0_4arch9wavefront6targetE1EEEvT1_
    .private_segment_fixed_size: 0
    .sgpr_count:     6
    .sgpr_spill_count: 0
    .symbol:         _ZN7rocprim17ROCPRIM_400000_NS6detail17trampoline_kernelINS0_14default_configENS1_20scan_config_selectorIN3c104HalfEEEZZNS1_9scan_implILNS1_25lookback_scan_determinismE0ELb0ELb0ES3_PKS6_PS6_S6_ZZZN2at6native31launch_logcumsumexp_cuda_kernelERKNSD_10TensorBaseESH_lENKUlvE_clEvENKUlvE3_clEvEUlS6_S6_E_S6_EEDaPvRmT3_T4_T5_mT6_P12ihipStream_tbENKUlT_T0_E_clISt17integral_constantIbLb0EESX_IbLb1EEEEDaST_SU_EUlST_E0_NS1_11comp_targetILNS1_3genE4ELNS1_11target_archE910ELNS1_3gpuE8ELNS1_3repE0EEENS1_30default_config_static_selectorELNS0_4arch9wavefront6targetE1EEEvT1_.kd
    .uniform_work_group_size: 1
    .uses_dynamic_stack: false
    .vgpr_count:     0
    .vgpr_spill_count: 0
    .wavefront_size: 64
  - .agpr_count:     0
    .args:
      - .offset:         0
        .size:           32
        .value_kind:     by_value
    .group_segment_fixed_size: 0
    .kernarg_segment_align: 8
    .kernarg_segment_size: 32
    .language:       OpenCL C
    .language_version:
      - 2
      - 0
    .max_flat_workgroup_size: 128
    .name:           _ZN7rocprim17ROCPRIM_400000_NS6detail17trampoline_kernelINS0_14default_configENS1_20scan_config_selectorIN3c104HalfEEEZZNS1_9scan_implILNS1_25lookback_scan_determinismE0ELb0ELb0ES3_PKS6_PS6_S6_ZZZN2at6native31launch_logcumsumexp_cuda_kernelERKNSD_10TensorBaseESH_lENKUlvE_clEvENKUlvE3_clEvEUlS6_S6_E_S6_EEDaPvRmT3_T4_T5_mT6_P12ihipStream_tbENKUlT_T0_E_clISt17integral_constantIbLb0EESX_IbLb1EEEEDaST_SU_EUlST_E0_NS1_11comp_targetILNS1_3genE3ELNS1_11target_archE908ELNS1_3gpuE7ELNS1_3repE0EEENS1_30default_config_static_selectorELNS0_4arch9wavefront6targetE1EEEvT1_
    .private_segment_fixed_size: 0
    .sgpr_count:     6
    .sgpr_spill_count: 0
    .symbol:         _ZN7rocprim17ROCPRIM_400000_NS6detail17trampoline_kernelINS0_14default_configENS1_20scan_config_selectorIN3c104HalfEEEZZNS1_9scan_implILNS1_25lookback_scan_determinismE0ELb0ELb0ES3_PKS6_PS6_S6_ZZZN2at6native31launch_logcumsumexp_cuda_kernelERKNSD_10TensorBaseESH_lENKUlvE_clEvENKUlvE3_clEvEUlS6_S6_E_S6_EEDaPvRmT3_T4_T5_mT6_P12ihipStream_tbENKUlT_T0_E_clISt17integral_constantIbLb0EESX_IbLb1EEEEDaST_SU_EUlST_E0_NS1_11comp_targetILNS1_3genE3ELNS1_11target_archE908ELNS1_3gpuE7ELNS1_3repE0EEENS1_30default_config_static_selectorELNS0_4arch9wavefront6targetE1EEEvT1_.kd
    .uniform_work_group_size: 1
    .uses_dynamic_stack: false
    .vgpr_count:     0
    .vgpr_spill_count: 0
    .wavefront_size: 64
  - .agpr_count:     0
    .args:
      - .offset:         0
        .size:           32
        .value_kind:     by_value
    .group_segment_fixed_size: 0
    .kernarg_segment_align: 8
    .kernarg_segment_size: 32
    .language:       OpenCL C
    .language_version:
      - 2
      - 0
    .max_flat_workgroup_size: 256
    .name:           _ZN7rocprim17ROCPRIM_400000_NS6detail17trampoline_kernelINS0_14default_configENS1_20scan_config_selectorIN3c104HalfEEEZZNS1_9scan_implILNS1_25lookback_scan_determinismE0ELb0ELb0ES3_PKS6_PS6_S6_ZZZN2at6native31launch_logcumsumexp_cuda_kernelERKNSD_10TensorBaseESH_lENKUlvE_clEvENKUlvE3_clEvEUlS6_S6_E_S6_EEDaPvRmT3_T4_T5_mT6_P12ihipStream_tbENKUlT_T0_E_clISt17integral_constantIbLb0EESX_IbLb1EEEEDaST_SU_EUlST_E0_NS1_11comp_targetILNS1_3genE2ELNS1_11target_archE906ELNS1_3gpuE6ELNS1_3repE0EEENS1_30default_config_static_selectorELNS0_4arch9wavefront6targetE1EEEvT1_
    .private_segment_fixed_size: 0
    .sgpr_count:     6
    .sgpr_spill_count: 0
    .symbol:         _ZN7rocprim17ROCPRIM_400000_NS6detail17trampoline_kernelINS0_14default_configENS1_20scan_config_selectorIN3c104HalfEEEZZNS1_9scan_implILNS1_25lookback_scan_determinismE0ELb0ELb0ES3_PKS6_PS6_S6_ZZZN2at6native31launch_logcumsumexp_cuda_kernelERKNSD_10TensorBaseESH_lENKUlvE_clEvENKUlvE3_clEvEUlS6_S6_E_S6_EEDaPvRmT3_T4_T5_mT6_P12ihipStream_tbENKUlT_T0_E_clISt17integral_constantIbLb0EESX_IbLb1EEEEDaST_SU_EUlST_E0_NS1_11comp_targetILNS1_3genE2ELNS1_11target_archE906ELNS1_3gpuE6ELNS1_3repE0EEENS1_30default_config_static_selectorELNS0_4arch9wavefront6targetE1EEEvT1_.kd
    .uniform_work_group_size: 1
    .uses_dynamic_stack: false
    .vgpr_count:     0
    .vgpr_spill_count: 0
    .wavefront_size: 64
  - .agpr_count:     0
    .args:
      - .offset:         0
        .size:           32
        .value_kind:     by_value
    .group_segment_fixed_size: 0
    .kernarg_segment_align: 8
    .kernarg_segment_size: 32
    .language:       OpenCL C
    .language_version:
      - 2
      - 0
    .max_flat_workgroup_size: 256
    .name:           _ZN7rocprim17ROCPRIM_400000_NS6detail17trampoline_kernelINS0_14default_configENS1_20scan_config_selectorIN3c104HalfEEEZZNS1_9scan_implILNS1_25lookback_scan_determinismE0ELb0ELb0ES3_PKS6_PS6_S6_ZZZN2at6native31launch_logcumsumexp_cuda_kernelERKNSD_10TensorBaseESH_lENKUlvE_clEvENKUlvE3_clEvEUlS6_S6_E_S6_EEDaPvRmT3_T4_T5_mT6_P12ihipStream_tbENKUlT_T0_E_clISt17integral_constantIbLb0EESX_IbLb1EEEEDaST_SU_EUlST_E0_NS1_11comp_targetILNS1_3genE10ELNS1_11target_archE1201ELNS1_3gpuE5ELNS1_3repE0EEENS1_30default_config_static_selectorELNS0_4arch9wavefront6targetE1EEEvT1_
    .private_segment_fixed_size: 0
    .sgpr_count:     6
    .sgpr_spill_count: 0
    .symbol:         _ZN7rocprim17ROCPRIM_400000_NS6detail17trampoline_kernelINS0_14default_configENS1_20scan_config_selectorIN3c104HalfEEEZZNS1_9scan_implILNS1_25lookback_scan_determinismE0ELb0ELb0ES3_PKS6_PS6_S6_ZZZN2at6native31launch_logcumsumexp_cuda_kernelERKNSD_10TensorBaseESH_lENKUlvE_clEvENKUlvE3_clEvEUlS6_S6_E_S6_EEDaPvRmT3_T4_T5_mT6_P12ihipStream_tbENKUlT_T0_E_clISt17integral_constantIbLb0EESX_IbLb1EEEEDaST_SU_EUlST_E0_NS1_11comp_targetILNS1_3genE10ELNS1_11target_archE1201ELNS1_3gpuE5ELNS1_3repE0EEENS1_30default_config_static_selectorELNS0_4arch9wavefront6targetE1EEEvT1_.kd
    .uniform_work_group_size: 1
    .uses_dynamic_stack: false
    .vgpr_count:     0
    .vgpr_spill_count: 0
    .wavefront_size: 64
  - .agpr_count:     0
    .args:
      - .offset:         0
        .size:           32
        .value_kind:     by_value
    .group_segment_fixed_size: 0
    .kernarg_segment_align: 8
    .kernarg_segment_size: 32
    .language:       OpenCL C
    .language_version:
      - 2
      - 0
    .max_flat_workgroup_size: 256
    .name:           _ZN7rocprim17ROCPRIM_400000_NS6detail17trampoline_kernelINS0_14default_configENS1_20scan_config_selectorIN3c104HalfEEEZZNS1_9scan_implILNS1_25lookback_scan_determinismE0ELb0ELb0ES3_PKS6_PS6_S6_ZZZN2at6native31launch_logcumsumexp_cuda_kernelERKNSD_10TensorBaseESH_lENKUlvE_clEvENKUlvE3_clEvEUlS6_S6_E_S6_EEDaPvRmT3_T4_T5_mT6_P12ihipStream_tbENKUlT_T0_E_clISt17integral_constantIbLb0EESX_IbLb1EEEEDaST_SU_EUlST_E0_NS1_11comp_targetILNS1_3genE10ELNS1_11target_archE1200ELNS1_3gpuE4ELNS1_3repE0EEENS1_30default_config_static_selectorELNS0_4arch9wavefront6targetE1EEEvT1_
    .private_segment_fixed_size: 0
    .sgpr_count:     6
    .sgpr_spill_count: 0
    .symbol:         _ZN7rocprim17ROCPRIM_400000_NS6detail17trampoline_kernelINS0_14default_configENS1_20scan_config_selectorIN3c104HalfEEEZZNS1_9scan_implILNS1_25lookback_scan_determinismE0ELb0ELb0ES3_PKS6_PS6_S6_ZZZN2at6native31launch_logcumsumexp_cuda_kernelERKNSD_10TensorBaseESH_lENKUlvE_clEvENKUlvE3_clEvEUlS6_S6_E_S6_EEDaPvRmT3_T4_T5_mT6_P12ihipStream_tbENKUlT_T0_E_clISt17integral_constantIbLb0EESX_IbLb1EEEEDaST_SU_EUlST_E0_NS1_11comp_targetILNS1_3genE10ELNS1_11target_archE1200ELNS1_3gpuE4ELNS1_3repE0EEENS1_30default_config_static_selectorELNS0_4arch9wavefront6targetE1EEEvT1_.kd
    .uniform_work_group_size: 1
    .uses_dynamic_stack: false
    .vgpr_count:     0
    .vgpr_spill_count: 0
    .wavefront_size: 64
  - .agpr_count:     0
    .args:
      - .offset:         0
        .size:           32
        .value_kind:     by_value
    .group_segment_fixed_size: 0
    .kernarg_segment_align: 8
    .kernarg_segment_size: 32
    .language:       OpenCL C
    .language_version:
      - 2
      - 0
    .max_flat_workgroup_size: 64
    .name:           _ZN7rocprim17ROCPRIM_400000_NS6detail17trampoline_kernelINS0_14default_configENS1_20scan_config_selectorIN3c104HalfEEEZZNS1_9scan_implILNS1_25lookback_scan_determinismE0ELb0ELb0ES3_PKS6_PS6_S6_ZZZN2at6native31launch_logcumsumexp_cuda_kernelERKNSD_10TensorBaseESH_lENKUlvE_clEvENKUlvE3_clEvEUlS6_S6_E_S6_EEDaPvRmT3_T4_T5_mT6_P12ihipStream_tbENKUlT_T0_E_clISt17integral_constantIbLb0EESX_IbLb1EEEEDaST_SU_EUlST_E0_NS1_11comp_targetILNS1_3genE9ELNS1_11target_archE1100ELNS1_3gpuE3ELNS1_3repE0EEENS1_30default_config_static_selectorELNS0_4arch9wavefront6targetE1EEEvT1_
    .private_segment_fixed_size: 0
    .sgpr_count:     6
    .sgpr_spill_count: 0
    .symbol:         _ZN7rocprim17ROCPRIM_400000_NS6detail17trampoline_kernelINS0_14default_configENS1_20scan_config_selectorIN3c104HalfEEEZZNS1_9scan_implILNS1_25lookback_scan_determinismE0ELb0ELb0ES3_PKS6_PS6_S6_ZZZN2at6native31launch_logcumsumexp_cuda_kernelERKNSD_10TensorBaseESH_lENKUlvE_clEvENKUlvE3_clEvEUlS6_S6_E_S6_EEDaPvRmT3_T4_T5_mT6_P12ihipStream_tbENKUlT_T0_E_clISt17integral_constantIbLb0EESX_IbLb1EEEEDaST_SU_EUlST_E0_NS1_11comp_targetILNS1_3genE9ELNS1_11target_archE1100ELNS1_3gpuE3ELNS1_3repE0EEENS1_30default_config_static_selectorELNS0_4arch9wavefront6targetE1EEEvT1_.kd
    .uniform_work_group_size: 1
    .uses_dynamic_stack: false
    .vgpr_count:     0
    .vgpr_spill_count: 0
    .wavefront_size: 64
  - .agpr_count:     0
    .args:
      - .offset:         0
        .size:           32
        .value_kind:     by_value
    .group_segment_fixed_size: 0
    .kernarg_segment_align: 8
    .kernarg_segment_size: 32
    .language:       OpenCL C
    .language_version:
      - 2
      - 0
    .max_flat_workgroup_size: 64
    .name:           _ZN7rocprim17ROCPRIM_400000_NS6detail17trampoline_kernelINS0_14default_configENS1_20scan_config_selectorIN3c104HalfEEEZZNS1_9scan_implILNS1_25lookback_scan_determinismE0ELb0ELb0ES3_PKS6_PS6_S6_ZZZN2at6native31launch_logcumsumexp_cuda_kernelERKNSD_10TensorBaseESH_lENKUlvE_clEvENKUlvE3_clEvEUlS6_S6_E_S6_EEDaPvRmT3_T4_T5_mT6_P12ihipStream_tbENKUlT_T0_E_clISt17integral_constantIbLb0EESX_IbLb1EEEEDaST_SU_EUlST_E0_NS1_11comp_targetILNS1_3genE8ELNS1_11target_archE1030ELNS1_3gpuE2ELNS1_3repE0EEENS1_30default_config_static_selectorELNS0_4arch9wavefront6targetE1EEEvT1_
    .private_segment_fixed_size: 0
    .sgpr_count:     6
    .sgpr_spill_count: 0
    .symbol:         _ZN7rocprim17ROCPRIM_400000_NS6detail17trampoline_kernelINS0_14default_configENS1_20scan_config_selectorIN3c104HalfEEEZZNS1_9scan_implILNS1_25lookback_scan_determinismE0ELb0ELb0ES3_PKS6_PS6_S6_ZZZN2at6native31launch_logcumsumexp_cuda_kernelERKNSD_10TensorBaseESH_lENKUlvE_clEvENKUlvE3_clEvEUlS6_S6_E_S6_EEDaPvRmT3_T4_T5_mT6_P12ihipStream_tbENKUlT_T0_E_clISt17integral_constantIbLb0EESX_IbLb1EEEEDaST_SU_EUlST_E0_NS1_11comp_targetILNS1_3genE8ELNS1_11target_archE1030ELNS1_3gpuE2ELNS1_3repE0EEENS1_30default_config_static_selectorELNS0_4arch9wavefront6targetE1EEEvT1_.kd
    .uniform_work_group_size: 1
    .uses_dynamic_stack: false
    .vgpr_count:     0
    .vgpr_spill_count: 0
    .wavefront_size: 64
  - .agpr_count:     0
    .args:
      - .address_space:  global
        .offset:         0
        .size:           8
        .value_kind:     global_buffer
      - .address_space:  global
        .offset:         8
        .size:           8
        .value_kind:     global_buffer
      - .offset:         16
        .size:           4
        .value_kind:     by_value
      - .offset:         20
        .size:           4
        .value_kind:     by_value
      - .offset:         24
        .size:           4
        .value_kind:     by_value
      - .offset:         28
        .size:           2
        .value_kind:     by_value
      - .offset:         30
        .size:           1
        .value_kind:     by_value
      - .offset:         32
        .size:           4
        .value_kind:     hidden_block_count_x
      - .offset:         36
        .size:           4
        .value_kind:     hidden_block_count_y
      - .offset:         40
        .size:           4
        .value_kind:     hidden_block_count_z
      - .offset:         44
        .size:           2
        .value_kind:     hidden_group_size_x
      - .offset:         46
        .size:           2
        .value_kind:     hidden_group_size_y
      - .offset:         48
        .size:           2
        .value_kind:     hidden_group_size_z
      - .offset:         50
        .size:           2
        .value_kind:     hidden_remainder_x
      - .offset:         52
        .size:           2
        .value_kind:     hidden_remainder_y
      - .offset:         54
        .size:           2
        .value_kind:     hidden_remainder_z
      - .offset:         72
        .size:           8
        .value_kind:     hidden_global_offset_x
      - .offset:         80
        .size:           8
        .value_kind:     hidden_global_offset_y
      - .offset:         88
        .size:           8
        .value_kind:     hidden_global_offset_z
      - .offset:         96
        .size:           2
        .value_kind:     hidden_grid_dims
      - .offset:         152
        .size:           4
        .value_kind:     hidden_dynamic_lds_size
    .group_segment_fixed_size: 0
    .kernarg_segment_align: 8
    .kernarg_segment_size: 288
    .language:       OpenCL C
    .language_version:
      - 2
      - 0
    .max_flat_workgroup_size: 1024
    .name:           _ZN2at6native32tensor_kernel_scan_innermost_dimIN3c104HalfEZZZNS0_31launch_logcumsumexp_cuda_kernelERKNS_10TensorBaseES6_lENKUlvE_clEvENKUlvE3_clEvEUlS3_S3_E_EEvPT_PKSA_jjjSA_T0_
    .private_segment_fixed_size: 0
    .sgpr_count:     50
    .sgpr_spill_count: 0
    .symbol:         _ZN2at6native32tensor_kernel_scan_innermost_dimIN3c104HalfEZZZNS0_31launch_logcumsumexp_cuda_kernelERKNS_10TensorBaseES6_lENKUlvE_clEvENKUlvE3_clEvEUlS3_S3_E_EEvPT_PKSA_jjjSA_T0_.kd
    .uniform_work_group_size: 1
    .uses_dynamic_stack: false
    .vgpr_count:     40
    .vgpr_spill_count: 0
    .wavefront_size: 64
  - .agpr_count:     0
    .args:
      - .address_space:  global
        .offset:         0
        .size:           8
        .value_kind:     global_buffer
      - .address_space:  global
        .offset:         8
        .size:           8
        .value_kind:     global_buffer
      - .offset:         16
        .size:           4
        .value_kind:     by_value
      - .offset:         20
        .size:           4
        .value_kind:     by_value
      - .offset:         24
        .size:           4
        .value_kind:     by_value
      - .offset:         28
        .size:           2
        .value_kind:     by_value
      - .offset:         30
        .size:           1
        .value_kind:     by_value
      - .offset:         32
        .size:           4
        .value_kind:     hidden_block_count_x
      - .offset:         36
        .size:           4
        .value_kind:     hidden_block_count_y
      - .offset:         40
        .size:           4
        .value_kind:     hidden_block_count_z
      - .offset:         44
        .size:           2
        .value_kind:     hidden_group_size_x
      - .offset:         46
        .size:           2
        .value_kind:     hidden_group_size_y
      - .offset:         48
        .size:           2
        .value_kind:     hidden_group_size_z
      - .offset:         50
        .size:           2
        .value_kind:     hidden_remainder_x
      - .offset:         52
        .size:           2
        .value_kind:     hidden_remainder_y
      - .offset:         54
        .size:           2
        .value_kind:     hidden_remainder_z
      - .offset:         72
        .size:           8
        .value_kind:     hidden_global_offset_x
      - .offset:         80
        .size:           8
        .value_kind:     hidden_global_offset_y
      - .offset:         88
        .size:           8
        .value_kind:     hidden_global_offset_z
      - .offset:         96
        .size:           2
        .value_kind:     hidden_grid_dims
    .group_segment_fixed_size: 0
    .kernarg_segment_align: 8
    .kernarg_segment_size: 288
    .language:       OpenCL C
    .language_version:
      - 2
      - 0
    .max_flat_workgroup_size: 1024
    .name:           _ZN2at6native28tensor_kernel_scan_outer_dimIN3c104HalfEjZZZNS0_31launch_logcumsumexp_cuda_kernelERKNS_10TensorBaseES6_lENKUlvE_clEvENKUlvE3_clEvEUlS3_S3_E_EEvPT_PKSA_jjjSA_T1_
    .private_segment_fixed_size: 0
    .sgpr_count:     50
    .sgpr_spill_count: 0
    .symbol:         _ZN2at6native28tensor_kernel_scan_outer_dimIN3c104HalfEjZZZNS0_31launch_logcumsumexp_cuda_kernelERKNS_10TensorBaseES6_lENKUlvE_clEvENKUlvE3_clEvEUlS3_S3_E_EEvPT_PKSA_jjjSA_T1_.kd
    .uniform_work_group_size: 1
    .uses_dynamic_stack: false
    .vgpr_count:     27
    .vgpr_spill_count: 0
    .wavefront_size: 64
  - .agpr_count:     0
    .args:
      - .address_space:  global
        .offset:         0
        .size:           8
        .value_kind:     global_buffer
      - .address_space:  global
        .offset:         8
        .size:           8
        .value_kind:     global_buffer
      - .offset:         16
        .size:           4
        .value_kind:     by_value
      - .offset:         20
        .size:           4
        .value_kind:     by_value
      - .offset:         24
        .size:           4
        .value_kind:     by_value
      - .offset:         28
        .size:           2
        .value_kind:     by_value
      - .offset:         30
        .size:           1
        .value_kind:     by_value
      - .offset:         32
        .size:           4
        .value_kind:     hidden_block_count_x
      - .offset:         36
        .size:           4
        .value_kind:     hidden_block_count_y
      - .offset:         40
        .size:           4
        .value_kind:     hidden_block_count_z
      - .offset:         44
        .size:           2
        .value_kind:     hidden_group_size_x
      - .offset:         46
        .size:           2
        .value_kind:     hidden_group_size_y
      - .offset:         48
        .size:           2
        .value_kind:     hidden_group_size_z
      - .offset:         50
        .size:           2
        .value_kind:     hidden_remainder_x
      - .offset:         52
        .size:           2
        .value_kind:     hidden_remainder_y
      - .offset:         54
        .size:           2
        .value_kind:     hidden_remainder_z
      - .offset:         72
        .size:           8
        .value_kind:     hidden_global_offset_x
      - .offset:         80
        .size:           8
        .value_kind:     hidden_global_offset_y
      - .offset:         88
        .size:           8
        .value_kind:     hidden_global_offset_z
      - .offset:         96
        .size:           2
        .value_kind:     hidden_grid_dims
    .group_segment_fixed_size: 0
    .kernarg_segment_align: 8
    .kernarg_segment_size: 288
    .language:       OpenCL C
    .language_version:
      - 2
      - 0
    .max_flat_workgroup_size: 1024
    .name:           _ZN2at6native28tensor_kernel_scan_outer_dimIN3c104HalfEmZZZNS0_31launch_logcumsumexp_cuda_kernelERKNS_10TensorBaseES6_lENKUlvE_clEvENKUlvE3_clEvEUlS3_S3_E_EEvPT_PKSA_jjjSA_T1_
    .private_segment_fixed_size: 0
    .sgpr_count:     48
    .sgpr_spill_count: 0
    .symbol:         _ZN2at6native28tensor_kernel_scan_outer_dimIN3c104HalfEmZZZNS0_31launch_logcumsumexp_cuda_kernelERKNS_10TensorBaseES6_lENKUlvE_clEvENKUlvE3_clEvEUlS3_S3_E_EEvPT_PKSA_jjjSA_T1_.kd
    .uniform_work_group_size: 1
    .uses_dynamic_stack: false
    .vgpr_count:     27
    .vgpr_spill_count: 0
    .wavefront_size: 64
  - .agpr_count:     0
    .args:
      - .address_space:  global
        .offset:         0
        .size:           8
        .value_kind:     global_buffer
      - .offset:         8
        .size:           4
        .value_kind:     by_value
      - .offset:         12
        .size:           1
        .value_kind:     by_value
      - .offset:         16
        .size:           4
        .value_kind:     by_value
      - .address_space:  global
        .offset:         24
        .size:           8
        .value_kind:     global_buffer
      - .offset:         32
        .size:           4
        .value_kind:     hidden_block_count_x
      - .offset:         36
        .size:           4
        .value_kind:     hidden_block_count_y
      - .offset:         40
        .size:           4
        .value_kind:     hidden_block_count_z
      - .offset:         44
        .size:           2
        .value_kind:     hidden_group_size_x
      - .offset:         46
        .size:           2
        .value_kind:     hidden_group_size_y
      - .offset:         48
        .size:           2
        .value_kind:     hidden_group_size_z
      - .offset:         50
        .size:           2
        .value_kind:     hidden_remainder_x
      - .offset:         52
        .size:           2
        .value_kind:     hidden_remainder_y
      - .offset:         54
        .size:           2
        .value_kind:     hidden_remainder_z
      - .offset:         72
        .size:           8
        .value_kind:     hidden_global_offset_x
      - .offset:         80
        .size:           8
        .value_kind:     hidden_global_offset_y
      - .offset:         88
        .size:           8
        .value_kind:     hidden_global_offset_z
      - .offset:         96
        .size:           2
        .value_kind:     hidden_grid_dims
    .group_segment_fixed_size: 0
    .kernarg_segment_align: 8
    .kernarg_segment_size: 288
    .language:       OpenCL C
    .language_version:
      - 2
      - 0
    .max_flat_workgroup_size: 256
    .name:           _ZN7rocprim17ROCPRIM_400000_NS6detail31init_lookback_scan_state_kernelINS1_19lookback_scan_stateIN3c108BFloat16ELb0ELb1EEENS1_16block_id_wrapperIjLb0EEEEEvT_jT0_jPNS9_10value_typeE
    .private_segment_fixed_size: 0
    .sgpr_count:     15
    .sgpr_spill_count: 0
    .symbol:         _ZN7rocprim17ROCPRIM_400000_NS6detail31init_lookback_scan_state_kernelINS1_19lookback_scan_stateIN3c108BFloat16ELb0ELb1EEENS1_16block_id_wrapperIjLb0EEEEEvT_jT0_jPNS9_10value_typeE.kd
    .uniform_work_group_size: 1
    .uses_dynamic_stack: false
    .vgpr_count:     6
    .vgpr_spill_count: 0
    .wavefront_size: 64
  - .agpr_count:     0
    .args:
      - .offset:         0
        .size:           96
        .value_kind:     by_value
    .group_segment_fixed_size: 0
    .kernarg_segment_align: 8
    .kernarg_segment_size: 96
    .language:       OpenCL C
    .language_version:
      - 2
      - 0
    .max_flat_workgroup_size: 128
    .name:           _ZN7rocprim17ROCPRIM_400000_NS6detail17trampoline_kernelINS0_14default_configENS1_20scan_config_selectorIN3c108BFloat16EEEZZNS1_9scan_implILNS1_25lookback_scan_determinismE0ELb0ELb0ES3_PKS6_PS6_S6_ZZZN2at6native31launch_logcumsumexp_cuda_kernelERKNSD_10TensorBaseESH_lENKUlvE_clEvENKUlvE4_clEvEUlS6_S6_E_S6_EEDaPvRmT3_T4_T5_mT6_P12ihipStream_tbENKUlT_T0_E_clISt17integral_constantIbLb0EESY_EEDaST_SU_EUlST_E_NS1_11comp_targetILNS1_3genE0ELNS1_11target_archE4294967295ELNS1_3gpuE0ELNS1_3repE0EEENS1_30default_config_static_selectorELNS0_4arch9wavefront6targetE1EEEvT1_
    .private_segment_fixed_size: 0
    .sgpr_count:     6
    .sgpr_spill_count: 0
    .symbol:         _ZN7rocprim17ROCPRIM_400000_NS6detail17trampoline_kernelINS0_14default_configENS1_20scan_config_selectorIN3c108BFloat16EEEZZNS1_9scan_implILNS1_25lookback_scan_determinismE0ELb0ELb0ES3_PKS6_PS6_S6_ZZZN2at6native31launch_logcumsumexp_cuda_kernelERKNSD_10TensorBaseESH_lENKUlvE_clEvENKUlvE4_clEvEUlS6_S6_E_S6_EEDaPvRmT3_T4_T5_mT6_P12ihipStream_tbENKUlT_T0_E_clISt17integral_constantIbLb0EESY_EEDaST_SU_EUlST_E_NS1_11comp_targetILNS1_3genE0ELNS1_11target_archE4294967295ELNS1_3gpuE0ELNS1_3repE0EEENS1_30default_config_static_selectorELNS0_4arch9wavefront6targetE1EEEvT1_.kd
    .uniform_work_group_size: 1
    .uses_dynamic_stack: false
    .vgpr_count:     0
    .vgpr_spill_count: 0
    .wavefront_size: 64
  - .agpr_count:     0
    .args:
      - .offset:         0
        .size:           96
        .value_kind:     by_value
      - .offset:         96
        .size:           4
        .value_kind:     hidden_block_count_x
      - .offset:         100
        .size:           4
        .value_kind:     hidden_block_count_y
      - .offset:         104
        .size:           4
        .value_kind:     hidden_block_count_z
      - .offset:         108
        .size:           2
        .value_kind:     hidden_group_size_x
      - .offset:         110
        .size:           2
        .value_kind:     hidden_group_size_y
      - .offset:         112
        .size:           2
        .value_kind:     hidden_group_size_z
      - .offset:         114
        .size:           2
        .value_kind:     hidden_remainder_x
      - .offset:         116
        .size:           2
        .value_kind:     hidden_remainder_y
      - .offset:         118
        .size:           2
        .value_kind:     hidden_remainder_z
      - .offset:         136
        .size:           8
        .value_kind:     hidden_global_offset_x
      - .offset:         144
        .size:           8
        .value_kind:     hidden_global_offset_y
      - .offset:         152
        .size:           8
        .value_kind:     hidden_global_offset_z
      - .offset:         160
        .size:           2
        .value_kind:     hidden_grid_dims
    .group_segment_fixed_size: 12288
    .kernarg_segment_align: 8
    .kernarg_segment_size: 352
    .language:       OpenCL C
    .language_version:
      - 2
      - 0
    .max_flat_workgroup_size: 256
    .name:           _ZN7rocprim17ROCPRIM_400000_NS6detail17trampoline_kernelINS0_14default_configENS1_20scan_config_selectorIN3c108BFloat16EEEZZNS1_9scan_implILNS1_25lookback_scan_determinismE0ELb0ELb0ES3_PKS6_PS6_S6_ZZZN2at6native31launch_logcumsumexp_cuda_kernelERKNSD_10TensorBaseESH_lENKUlvE_clEvENKUlvE4_clEvEUlS6_S6_E_S6_EEDaPvRmT3_T4_T5_mT6_P12ihipStream_tbENKUlT_T0_E_clISt17integral_constantIbLb0EESY_EEDaST_SU_EUlST_E_NS1_11comp_targetILNS1_3genE5ELNS1_11target_archE942ELNS1_3gpuE9ELNS1_3repE0EEENS1_30default_config_static_selectorELNS0_4arch9wavefront6targetE1EEEvT1_
    .private_segment_fixed_size: 120
    .sgpr_count:     80
    .sgpr_spill_count: 0
    .symbol:         _ZN7rocprim17ROCPRIM_400000_NS6detail17trampoline_kernelINS0_14default_configENS1_20scan_config_selectorIN3c108BFloat16EEEZZNS1_9scan_implILNS1_25lookback_scan_determinismE0ELb0ELb0ES3_PKS6_PS6_S6_ZZZN2at6native31launch_logcumsumexp_cuda_kernelERKNSD_10TensorBaseESH_lENKUlvE_clEvENKUlvE4_clEvEUlS6_S6_E_S6_EEDaPvRmT3_T4_T5_mT6_P12ihipStream_tbENKUlT_T0_E_clISt17integral_constantIbLb0EESY_EEDaST_SU_EUlST_E_NS1_11comp_targetILNS1_3genE5ELNS1_11target_archE942ELNS1_3gpuE9ELNS1_3repE0EEENS1_30default_config_static_selectorELNS0_4arch9wavefront6targetE1EEEvT1_.kd
    .uniform_work_group_size: 1
    .uses_dynamic_stack: false
    .vgpr_count:     214
    .vgpr_spill_count: 0
    .wavefront_size: 64
  - .agpr_count:     0
    .args:
      - .offset:         0
        .size:           96
        .value_kind:     by_value
    .group_segment_fixed_size: 0
    .kernarg_segment_align: 8
    .kernarg_segment_size: 96
    .language:       OpenCL C
    .language_version:
      - 2
      - 0
    .max_flat_workgroup_size: 64
    .name:           _ZN7rocprim17ROCPRIM_400000_NS6detail17trampoline_kernelINS0_14default_configENS1_20scan_config_selectorIN3c108BFloat16EEEZZNS1_9scan_implILNS1_25lookback_scan_determinismE0ELb0ELb0ES3_PKS6_PS6_S6_ZZZN2at6native31launch_logcumsumexp_cuda_kernelERKNSD_10TensorBaseESH_lENKUlvE_clEvENKUlvE4_clEvEUlS6_S6_E_S6_EEDaPvRmT3_T4_T5_mT6_P12ihipStream_tbENKUlT_T0_E_clISt17integral_constantIbLb0EESY_EEDaST_SU_EUlST_E_NS1_11comp_targetILNS1_3genE4ELNS1_11target_archE910ELNS1_3gpuE8ELNS1_3repE0EEENS1_30default_config_static_selectorELNS0_4arch9wavefront6targetE1EEEvT1_
    .private_segment_fixed_size: 0
    .sgpr_count:     6
    .sgpr_spill_count: 0
    .symbol:         _ZN7rocprim17ROCPRIM_400000_NS6detail17trampoline_kernelINS0_14default_configENS1_20scan_config_selectorIN3c108BFloat16EEEZZNS1_9scan_implILNS1_25lookback_scan_determinismE0ELb0ELb0ES3_PKS6_PS6_S6_ZZZN2at6native31launch_logcumsumexp_cuda_kernelERKNSD_10TensorBaseESH_lENKUlvE_clEvENKUlvE4_clEvEUlS6_S6_E_S6_EEDaPvRmT3_T4_T5_mT6_P12ihipStream_tbENKUlT_T0_E_clISt17integral_constantIbLb0EESY_EEDaST_SU_EUlST_E_NS1_11comp_targetILNS1_3genE4ELNS1_11target_archE910ELNS1_3gpuE8ELNS1_3repE0EEENS1_30default_config_static_selectorELNS0_4arch9wavefront6targetE1EEEvT1_.kd
    .uniform_work_group_size: 1
    .uses_dynamic_stack: false
    .vgpr_count:     0
    .vgpr_spill_count: 0
    .wavefront_size: 64
  - .agpr_count:     0
    .args:
      - .offset:         0
        .size:           96
        .value_kind:     by_value
    .group_segment_fixed_size: 0
    .kernarg_segment_align: 8
    .kernarg_segment_size: 96
    .language:       OpenCL C
    .language_version:
      - 2
      - 0
    .max_flat_workgroup_size: 128
    .name:           _ZN7rocprim17ROCPRIM_400000_NS6detail17trampoline_kernelINS0_14default_configENS1_20scan_config_selectorIN3c108BFloat16EEEZZNS1_9scan_implILNS1_25lookback_scan_determinismE0ELb0ELb0ES3_PKS6_PS6_S6_ZZZN2at6native31launch_logcumsumexp_cuda_kernelERKNSD_10TensorBaseESH_lENKUlvE_clEvENKUlvE4_clEvEUlS6_S6_E_S6_EEDaPvRmT3_T4_T5_mT6_P12ihipStream_tbENKUlT_T0_E_clISt17integral_constantIbLb0EESY_EEDaST_SU_EUlST_E_NS1_11comp_targetILNS1_3genE3ELNS1_11target_archE908ELNS1_3gpuE7ELNS1_3repE0EEENS1_30default_config_static_selectorELNS0_4arch9wavefront6targetE1EEEvT1_
    .private_segment_fixed_size: 0
    .sgpr_count:     6
    .sgpr_spill_count: 0
    .symbol:         _ZN7rocprim17ROCPRIM_400000_NS6detail17trampoline_kernelINS0_14default_configENS1_20scan_config_selectorIN3c108BFloat16EEEZZNS1_9scan_implILNS1_25lookback_scan_determinismE0ELb0ELb0ES3_PKS6_PS6_S6_ZZZN2at6native31launch_logcumsumexp_cuda_kernelERKNSD_10TensorBaseESH_lENKUlvE_clEvENKUlvE4_clEvEUlS6_S6_E_S6_EEDaPvRmT3_T4_T5_mT6_P12ihipStream_tbENKUlT_T0_E_clISt17integral_constantIbLb0EESY_EEDaST_SU_EUlST_E_NS1_11comp_targetILNS1_3genE3ELNS1_11target_archE908ELNS1_3gpuE7ELNS1_3repE0EEENS1_30default_config_static_selectorELNS0_4arch9wavefront6targetE1EEEvT1_.kd
    .uniform_work_group_size: 1
    .uses_dynamic_stack: false
    .vgpr_count:     0
    .vgpr_spill_count: 0
    .wavefront_size: 64
  - .agpr_count:     0
    .args:
      - .offset:         0
        .size:           96
        .value_kind:     by_value
    .group_segment_fixed_size: 0
    .kernarg_segment_align: 8
    .kernarg_segment_size: 96
    .language:       OpenCL C
    .language_version:
      - 2
      - 0
    .max_flat_workgroup_size: 256
    .name:           _ZN7rocprim17ROCPRIM_400000_NS6detail17trampoline_kernelINS0_14default_configENS1_20scan_config_selectorIN3c108BFloat16EEEZZNS1_9scan_implILNS1_25lookback_scan_determinismE0ELb0ELb0ES3_PKS6_PS6_S6_ZZZN2at6native31launch_logcumsumexp_cuda_kernelERKNSD_10TensorBaseESH_lENKUlvE_clEvENKUlvE4_clEvEUlS6_S6_E_S6_EEDaPvRmT3_T4_T5_mT6_P12ihipStream_tbENKUlT_T0_E_clISt17integral_constantIbLb0EESY_EEDaST_SU_EUlST_E_NS1_11comp_targetILNS1_3genE2ELNS1_11target_archE906ELNS1_3gpuE6ELNS1_3repE0EEENS1_30default_config_static_selectorELNS0_4arch9wavefront6targetE1EEEvT1_
    .private_segment_fixed_size: 0
    .sgpr_count:     6
    .sgpr_spill_count: 0
    .symbol:         _ZN7rocprim17ROCPRIM_400000_NS6detail17trampoline_kernelINS0_14default_configENS1_20scan_config_selectorIN3c108BFloat16EEEZZNS1_9scan_implILNS1_25lookback_scan_determinismE0ELb0ELb0ES3_PKS6_PS6_S6_ZZZN2at6native31launch_logcumsumexp_cuda_kernelERKNSD_10TensorBaseESH_lENKUlvE_clEvENKUlvE4_clEvEUlS6_S6_E_S6_EEDaPvRmT3_T4_T5_mT6_P12ihipStream_tbENKUlT_T0_E_clISt17integral_constantIbLb0EESY_EEDaST_SU_EUlST_E_NS1_11comp_targetILNS1_3genE2ELNS1_11target_archE906ELNS1_3gpuE6ELNS1_3repE0EEENS1_30default_config_static_selectorELNS0_4arch9wavefront6targetE1EEEvT1_.kd
    .uniform_work_group_size: 1
    .uses_dynamic_stack: false
    .vgpr_count:     0
    .vgpr_spill_count: 0
    .wavefront_size: 64
  - .agpr_count:     0
    .args:
      - .offset:         0
        .size:           96
        .value_kind:     by_value
    .group_segment_fixed_size: 0
    .kernarg_segment_align: 8
    .kernarg_segment_size: 96
    .language:       OpenCL C
    .language_version:
      - 2
      - 0
    .max_flat_workgroup_size: 256
    .name:           _ZN7rocprim17ROCPRIM_400000_NS6detail17trampoline_kernelINS0_14default_configENS1_20scan_config_selectorIN3c108BFloat16EEEZZNS1_9scan_implILNS1_25lookback_scan_determinismE0ELb0ELb0ES3_PKS6_PS6_S6_ZZZN2at6native31launch_logcumsumexp_cuda_kernelERKNSD_10TensorBaseESH_lENKUlvE_clEvENKUlvE4_clEvEUlS6_S6_E_S6_EEDaPvRmT3_T4_T5_mT6_P12ihipStream_tbENKUlT_T0_E_clISt17integral_constantIbLb0EESY_EEDaST_SU_EUlST_E_NS1_11comp_targetILNS1_3genE10ELNS1_11target_archE1201ELNS1_3gpuE5ELNS1_3repE0EEENS1_30default_config_static_selectorELNS0_4arch9wavefront6targetE1EEEvT1_
    .private_segment_fixed_size: 0
    .sgpr_count:     6
    .sgpr_spill_count: 0
    .symbol:         _ZN7rocprim17ROCPRIM_400000_NS6detail17trampoline_kernelINS0_14default_configENS1_20scan_config_selectorIN3c108BFloat16EEEZZNS1_9scan_implILNS1_25lookback_scan_determinismE0ELb0ELb0ES3_PKS6_PS6_S6_ZZZN2at6native31launch_logcumsumexp_cuda_kernelERKNSD_10TensorBaseESH_lENKUlvE_clEvENKUlvE4_clEvEUlS6_S6_E_S6_EEDaPvRmT3_T4_T5_mT6_P12ihipStream_tbENKUlT_T0_E_clISt17integral_constantIbLb0EESY_EEDaST_SU_EUlST_E_NS1_11comp_targetILNS1_3genE10ELNS1_11target_archE1201ELNS1_3gpuE5ELNS1_3repE0EEENS1_30default_config_static_selectorELNS0_4arch9wavefront6targetE1EEEvT1_.kd
    .uniform_work_group_size: 1
    .uses_dynamic_stack: false
    .vgpr_count:     0
    .vgpr_spill_count: 0
    .wavefront_size: 64
  - .agpr_count:     0
    .args:
      - .offset:         0
        .size:           96
        .value_kind:     by_value
    .group_segment_fixed_size: 0
    .kernarg_segment_align: 8
    .kernarg_segment_size: 96
    .language:       OpenCL C
    .language_version:
      - 2
      - 0
    .max_flat_workgroup_size: 256
    .name:           _ZN7rocprim17ROCPRIM_400000_NS6detail17trampoline_kernelINS0_14default_configENS1_20scan_config_selectorIN3c108BFloat16EEEZZNS1_9scan_implILNS1_25lookback_scan_determinismE0ELb0ELb0ES3_PKS6_PS6_S6_ZZZN2at6native31launch_logcumsumexp_cuda_kernelERKNSD_10TensorBaseESH_lENKUlvE_clEvENKUlvE4_clEvEUlS6_S6_E_S6_EEDaPvRmT3_T4_T5_mT6_P12ihipStream_tbENKUlT_T0_E_clISt17integral_constantIbLb0EESY_EEDaST_SU_EUlST_E_NS1_11comp_targetILNS1_3genE10ELNS1_11target_archE1200ELNS1_3gpuE4ELNS1_3repE0EEENS1_30default_config_static_selectorELNS0_4arch9wavefront6targetE1EEEvT1_
    .private_segment_fixed_size: 0
    .sgpr_count:     6
    .sgpr_spill_count: 0
    .symbol:         _ZN7rocprim17ROCPRIM_400000_NS6detail17trampoline_kernelINS0_14default_configENS1_20scan_config_selectorIN3c108BFloat16EEEZZNS1_9scan_implILNS1_25lookback_scan_determinismE0ELb0ELb0ES3_PKS6_PS6_S6_ZZZN2at6native31launch_logcumsumexp_cuda_kernelERKNSD_10TensorBaseESH_lENKUlvE_clEvENKUlvE4_clEvEUlS6_S6_E_S6_EEDaPvRmT3_T4_T5_mT6_P12ihipStream_tbENKUlT_T0_E_clISt17integral_constantIbLb0EESY_EEDaST_SU_EUlST_E_NS1_11comp_targetILNS1_3genE10ELNS1_11target_archE1200ELNS1_3gpuE4ELNS1_3repE0EEENS1_30default_config_static_selectorELNS0_4arch9wavefront6targetE1EEEvT1_.kd
    .uniform_work_group_size: 1
    .uses_dynamic_stack: false
    .vgpr_count:     0
    .vgpr_spill_count: 0
    .wavefront_size: 64
  - .agpr_count:     0
    .args:
      - .offset:         0
        .size:           96
        .value_kind:     by_value
    .group_segment_fixed_size: 0
    .kernarg_segment_align: 8
    .kernarg_segment_size: 96
    .language:       OpenCL C
    .language_version:
      - 2
      - 0
    .max_flat_workgroup_size: 64
    .name:           _ZN7rocprim17ROCPRIM_400000_NS6detail17trampoline_kernelINS0_14default_configENS1_20scan_config_selectorIN3c108BFloat16EEEZZNS1_9scan_implILNS1_25lookback_scan_determinismE0ELb0ELb0ES3_PKS6_PS6_S6_ZZZN2at6native31launch_logcumsumexp_cuda_kernelERKNSD_10TensorBaseESH_lENKUlvE_clEvENKUlvE4_clEvEUlS6_S6_E_S6_EEDaPvRmT3_T4_T5_mT6_P12ihipStream_tbENKUlT_T0_E_clISt17integral_constantIbLb0EESY_EEDaST_SU_EUlST_E_NS1_11comp_targetILNS1_3genE9ELNS1_11target_archE1100ELNS1_3gpuE3ELNS1_3repE0EEENS1_30default_config_static_selectorELNS0_4arch9wavefront6targetE1EEEvT1_
    .private_segment_fixed_size: 0
    .sgpr_count:     6
    .sgpr_spill_count: 0
    .symbol:         _ZN7rocprim17ROCPRIM_400000_NS6detail17trampoline_kernelINS0_14default_configENS1_20scan_config_selectorIN3c108BFloat16EEEZZNS1_9scan_implILNS1_25lookback_scan_determinismE0ELb0ELb0ES3_PKS6_PS6_S6_ZZZN2at6native31launch_logcumsumexp_cuda_kernelERKNSD_10TensorBaseESH_lENKUlvE_clEvENKUlvE4_clEvEUlS6_S6_E_S6_EEDaPvRmT3_T4_T5_mT6_P12ihipStream_tbENKUlT_T0_E_clISt17integral_constantIbLb0EESY_EEDaST_SU_EUlST_E_NS1_11comp_targetILNS1_3genE9ELNS1_11target_archE1100ELNS1_3gpuE3ELNS1_3repE0EEENS1_30default_config_static_selectorELNS0_4arch9wavefront6targetE1EEEvT1_.kd
    .uniform_work_group_size: 1
    .uses_dynamic_stack: false
    .vgpr_count:     0
    .vgpr_spill_count: 0
    .wavefront_size: 64
  - .agpr_count:     0
    .args:
      - .offset:         0
        .size:           96
        .value_kind:     by_value
    .group_segment_fixed_size: 0
    .kernarg_segment_align: 8
    .kernarg_segment_size: 96
    .language:       OpenCL C
    .language_version:
      - 2
      - 0
    .max_flat_workgroup_size: 64
    .name:           _ZN7rocprim17ROCPRIM_400000_NS6detail17trampoline_kernelINS0_14default_configENS1_20scan_config_selectorIN3c108BFloat16EEEZZNS1_9scan_implILNS1_25lookback_scan_determinismE0ELb0ELb0ES3_PKS6_PS6_S6_ZZZN2at6native31launch_logcumsumexp_cuda_kernelERKNSD_10TensorBaseESH_lENKUlvE_clEvENKUlvE4_clEvEUlS6_S6_E_S6_EEDaPvRmT3_T4_T5_mT6_P12ihipStream_tbENKUlT_T0_E_clISt17integral_constantIbLb0EESY_EEDaST_SU_EUlST_E_NS1_11comp_targetILNS1_3genE8ELNS1_11target_archE1030ELNS1_3gpuE2ELNS1_3repE0EEENS1_30default_config_static_selectorELNS0_4arch9wavefront6targetE1EEEvT1_
    .private_segment_fixed_size: 0
    .sgpr_count:     6
    .sgpr_spill_count: 0
    .symbol:         _ZN7rocprim17ROCPRIM_400000_NS6detail17trampoline_kernelINS0_14default_configENS1_20scan_config_selectorIN3c108BFloat16EEEZZNS1_9scan_implILNS1_25lookback_scan_determinismE0ELb0ELb0ES3_PKS6_PS6_S6_ZZZN2at6native31launch_logcumsumexp_cuda_kernelERKNSD_10TensorBaseESH_lENKUlvE_clEvENKUlvE4_clEvEUlS6_S6_E_S6_EEDaPvRmT3_T4_T5_mT6_P12ihipStream_tbENKUlT_T0_E_clISt17integral_constantIbLb0EESY_EEDaST_SU_EUlST_E_NS1_11comp_targetILNS1_3genE8ELNS1_11target_archE1030ELNS1_3gpuE2ELNS1_3repE0EEENS1_30default_config_static_selectorELNS0_4arch9wavefront6targetE1EEEvT1_.kd
    .uniform_work_group_size: 1
    .uses_dynamic_stack: false
    .vgpr_count:     0
    .vgpr_spill_count: 0
    .wavefront_size: 64
  - .agpr_count:     0
    .args:
      - .offset:         0
        .size:           40
        .value_kind:     by_value
    .group_segment_fixed_size: 0
    .kernarg_segment_align: 8
    .kernarg_segment_size: 40
    .language:       OpenCL C
    .language_version:
      - 2
      - 0
    .max_flat_workgroup_size: 128
    .name:           _ZN7rocprim17ROCPRIM_400000_NS6detail17trampoline_kernelINS0_14default_configENS1_25transform_config_selectorIN3c108BFloat16ELb1EEEZNS1_14transform_implILb1ES3_S7_PS6_S9_NS0_8identityIS6_EEEE10hipError_tT2_T3_mT4_P12ihipStream_tbEUlT_E_NS1_11comp_targetILNS1_3genE0ELNS1_11target_archE4294967295ELNS1_3gpuE0ELNS1_3repE0EEENS1_30default_config_static_selectorELNS0_4arch9wavefront6targetE1EEEvT1_
    .private_segment_fixed_size: 0
    .sgpr_count:     6
    .sgpr_spill_count: 0
    .symbol:         _ZN7rocprim17ROCPRIM_400000_NS6detail17trampoline_kernelINS0_14default_configENS1_25transform_config_selectorIN3c108BFloat16ELb1EEEZNS1_14transform_implILb1ES3_S7_PS6_S9_NS0_8identityIS6_EEEE10hipError_tT2_T3_mT4_P12ihipStream_tbEUlT_E_NS1_11comp_targetILNS1_3genE0ELNS1_11target_archE4294967295ELNS1_3gpuE0ELNS1_3repE0EEENS1_30default_config_static_selectorELNS0_4arch9wavefront6targetE1EEEvT1_.kd
    .uniform_work_group_size: 1
    .uses_dynamic_stack: false
    .vgpr_count:     0
    .vgpr_spill_count: 0
    .wavefront_size: 64
  - .agpr_count:     0
    .args:
      - .offset:         0
        .size:           40
        .value_kind:     by_value
    .group_segment_fixed_size: 0
    .kernarg_segment_align: 8
    .kernarg_segment_size: 40
    .language:       OpenCL C
    .language_version:
      - 2
      - 0
    .max_flat_workgroup_size: 64
    .name:           _ZN7rocprim17ROCPRIM_400000_NS6detail17trampoline_kernelINS0_14default_configENS1_25transform_config_selectorIN3c108BFloat16ELb1EEEZNS1_14transform_implILb1ES3_S7_PS6_S9_NS0_8identityIS6_EEEE10hipError_tT2_T3_mT4_P12ihipStream_tbEUlT_E_NS1_11comp_targetILNS1_3genE10ELNS1_11target_archE1201ELNS1_3gpuE5ELNS1_3repE0EEENS1_30default_config_static_selectorELNS0_4arch9wavefront6targetE1EEEvT1_
    .private_segment_fixed_size: 0
    .sgpr_count:     6
    .sgpr_spill_count: 0
    .symbol:         _ZN7rocprim17ROCPRIM_400000_NS6detail17trampoline_kernelINS0_14default_configENS1_25transform_config_selectorIN3c108BFloat16ELb1EEEZNS1_14transform_implILb1ES3_S7_PS6_S9_NS0_8identityIS6_EEEE10hipError_tT2_T3_mT4_P12ihipStream_tbEUlT_E_NS1_11comp_targetILNS1_3genE10ELNS1_11target_archE1201ELNS1_3gpuE5ELNS1_3repE0EEENS1_30default_config_static_selectorELNS0_4arch9wavefront6targetE1EEEvT1_.kd
    .uniform_work_group_size: 1
    .uses_dynamic_stack: false
    .vgpr_count:     0
    .vgpr_spill_count: 0
    .wavefront_size: 64
  - .agpr_count:     0
    .args:
      - .offset:         0
        .size:           40
        .value_kind:     by_value
      - .offset:         40
        .size:           4
        .value_kind:     hidden_block_count_x
      - .offset:         44
        .size:           4
        .value_kind:     hidden_block_count_y
      - .offset:         48
        .size:           4
        .value_kind:     hidden_block_count_z
      - .offset:         52
        .size:           2
        .value_kind:     hidden_group_size_x
      - .offset:         54
        .size:           2
        .value_kind:     hidden_group_size_y
      - .offset:         56
        .size:           2
        .value_kind:     hidden_group_size_z
      - .offset:         58
        .size:           2
        .value_kind:     hidden_remainder_x
      - .offset:         60
        .size:           2
        .value_kind:     hidden_remainder_y
      - .offset:         62
        .size:           2
        .value_kind:     hidden_remainder_z
      - .offset:         80
        .size:           8
        .value_kind:     hidden_global_offset_x
      - .offset:         88
        .size:           8
        .value_kind:     hidden_global_offset_y
      - .offset:         96
        .size:           8
        .value_kind:     hidden_global_offset_z
      - .offset:         104
        .size:           2
        .value_kind:     hidden_grid_dims
    .group_segment_fixed_size: 0
    .kernarg_segment_align: 8
    .kernarg_segment_size: 296
    .language:       OpenCL C
    .language_version:
      - 2
      - 0
    .max_flat_workgroup_size: 256
    .name:           _ZN7rocprim17ROCPRIM_400000_NS6detail17trampoline_kernelINS0_14default_configENS1_25transform_config_selectorIN3c108BFloat16ELb1EEEZNS1_14transform_implILb1ES3_S7_PS6_S9_NS0_8identityIS6_EEEE10hipError_tT2_T3_mT4_P12ihipStream_tbEUlT_E_NS1_11comp_targetILNS1_3genE5ELNS1_11target_archE942ELNS1_3gpuE9ELNS1_3repE0EEENS1_30default_config_static_selectorELNS0_4arch9wavefront6targetE1EEEvT1_
    .private_segment_fixed_size: 0
    .sgpr_count:     30
    .sgpr_spill_count: 0
    .symbol:         _ZN7rocprim17ROCPRIM_400000_NS6detail17trampoline_kernelINS0_14default_configENS1_25transform_config_selectorIN3c108BFloat16ELb1EEEZNS1_14transform_implILb1ES3_S7_PS6_S9_NS0_8identityIS6_EEEE10hipError_tT2_T3_mT4_P12ihipStream_tbEUlT_E_NS1_11comp_targetILNS1_3genE5ELNS1_11target_archE942ELNS1_3gpuE9ELNS1_3repE0EEENS1_30default_config_static_selectorELNS0_4arch9wavefront6targetE1EEEvT1_.kd
    .uniform_work_group_size: 1
    .uses_dynamic_stack: false
    .vgpr_count:     11
    .vgpr_spill_count: 0
    .wavefront_size: 64
  - .agpr_count:     0
    .args:
      - .offset:         0
        .size:           40
        .value_kind:     by_value
    .group_segment_fixed_size: 0
    .kernarg_segment_align: 8
    .kernarg_segment_size: 40
    .language:       OpenCL C
    .language_version:
      - 2
      - 0
    .max_flat_workgroup_size: 1024
    .name:           _ZN7rocprim17ROCPRIM_400000_NS6detail17trampoline_kernelINS0_14default_configENS1_25transform_config_selectorIN3c108BFloat16ELb1EEEZNS1_14transform_implILb1ES3_S7_PS6_S9_NS0_8identityIS6_EEEE10hipError_tT2_T3_mT4_P12ihipStream_tbEUlT_E_NS1_11comp_targetILNS1_3genE4ELNS1_11target_archE910ELNS1_3gpuE8ELNS1_3repE0EEENS1_30default_config_static_selectorELNS0_4arch9wavefront6targetE1EEEvT1_
    .private_segment_fixed_size: 0
    .sgpr_count:     6
    .sgpr_spill_count: 0
    .symbol:         _ZN7rocprim17ROCPRIM_400000_NS6detail17trampoline_kernelINS0_14default_configENS1_25transform_config_selectorIN3c108BFloat16ELb1EEEZNS1_14transform_implILb1ES3_S7_PS6_S9_NS0_8identityIS6_EEEE10hipError_tT2_T3_mT4_P12ihipStream_tbEUlT_E_NS1_11comp_targetILNS1_3genE4ELNS1_11target_archE910ELNS1_3gpuE8ELNS1_3repE0EEENS1_30default_config_static_selectorELNS0_4arch9wavefront6targetE1EEEvT1_.kd
    .uniform_work_group_size: 1
    .uses_dynamic_stack: false
    .vgpr_count:     0
    .vgpr_spill_count: 0
    .wavefront_size: 64
  - .agpr_count:     0
    .args:
      - .offset:         0
        .size:           40
        .value_kind:     by_value
    .group_segment_fixed_size: 0
    .kernarg_segment_align: 8
    .kernarg_segment_size: 40
    .language:       OpenCL C
    .language_version:
      - 2
      - 0
    .max_flat_workgroup_size: 128
    .name:           _ZN7rocprim17ROCPRIM_400000_NS6detail17trampoline_kernelINS0_14default_configENS1_25transform_config_selectorIN3c108BFloat16ELb1EEEZNS1_14transform_implILb1ES3_S7_PS6_S9_NS0_8identityIS6_EEEE10hipError_tT2_T3_mT4_P12ihipStream_tbEUlT_E_NS1_11comp_targetILNS1_3genE3ELNS1_11target_archE908ELNS1_3gpuE7ELNS1_3repE0EEENS1_30default_config_static_selectorELNS0_4arch9wavefront6targetE1EEEvT1_
    .private_segment_fixed_size: 0
    .sgpr_count:     6
    .sgpr_spill_count: 0
    .symbol:         _ZN7rocprim17ROCPRIM_400000_NS6detail17trampoline_kernelINS0_14default_configENS1_25transform_config_selectorIN3c108BFloat16ELb1EEEZNS1_14transform_implILb1ES3_S7_PS6_S9_NS0_8identityIS6_EEEE10hipError_tT2_T3_mT4_P12ihipStream_tbEUlT_E_NS1_11comp_targetILNS1_3genE3ELNS1_11target_archE908ELNS1_3gpuE7ELNS1_3repE0EEENS1_30default_config_static_selectorELNS0_4arch9wavefront6targetE1EEEvT1_.kd
    .uniform_work_group_size: 1
    .uses_dynamic_stack: false
    .vgpr_count:     0
    .vgpr_spill_count: 0
    .wavefront_size: 64
  - .agpr_count:     0
    .args:
      - .offset:         0
        .size:           40
        .value_kind:     by_value
    .group_segment_fixed_size: 0
    .kernarg_segment_align: 8
    .kernarg_segment_size: 40
    .language:       OpenCL C
    .language_version:
      - 2
      - 0
    .max_flat_workgroup_size: 1024
    .name:           _ZN7rocprim17ROCPRIM_400000_NS6detail17trampoline_kernelINS0_14default_configENS1_25transform_config_selectorIN3c108BFloat16ELb1EEEZNS1_14transform_implILb1ES3_S7_PS6_S9_NS0_8identityIS6_EEEE10hipError_tT2_T3_mT4_P12ihipStream_tbEUlT_E_NS1_11comp_targetILNS1_3genE2ELNS1_11target_archE906ELNS1_3gpuE6ELNS1_3repE0EEENS1_30default_config_static_selectorELNS0_4arch9wavefront6targetE1EEEvT1_
    .private_segment_fixed_size: 0
    .sgpr_count:     6
    .sgpr_spill_count: 0
    .symbol:         _ZN7rocprim17ROCPRIM_400000_NS6detail17trampoline_kernelINS0_14default_configENS1_25transform_config_selectorIN3c108BFloat16ELb1EEEZNS1_14transform_implILb1ES3_S7_PS6_S9_NS0_8identityIS6_EEEE10hipError_tT2_T3_mT4_P12ihipStream_tbEUlT_E_NS1_11comp_targetILNS1_3genE2ELNS1_11target_archE906ELNS1_3gpuE6ELNS1_3repE0EEENS1_30default_config_static_selectorELNS0_4arch9wavefront6targetE1EEEvT1_.kd
    .uniform_work_group_size: 1
    .uses_dynamic_stack: false
    .vgpr_count:     0
    .vgpr_spill_count: 0
    .wavefront_size: 64
  - .agpr_count:     0
    .args:
      - .offset:         0
        .size:           40
        .value_kind:     by_value
    .group_segment_fixed_size: 0
    .kernarg_segment_align: 8
    .kernarg_segment_size: 40
    .language:       OpenCL C
    .language_version:
      - 2
      - 0
    .max_flat_workgroup_size: 1024
    .name:           _ZN7rocprim17ROCPRIM_400000_NS6detail17trampoline_kernelINS0_14default_configENS1_25transform_config_selectorIN3c108BFloat16ELb1EEEZNS1_14transform_implILb1ES3_S7_PS6_S9_NS0_8identityIS6_EEEE10hipError_tT2_T3_mT4_P12ihipStream_tbEUlT_E_NS1_11comp_targetILNS1_3genE9ELNS1_11target_archE1100ELNS1_3gpuE3ELNS1_3repE0EEENS1_30default_config_static_selectorELNS0_4arch9wavefront6targetE1EEEvT1_
    .private_segment_fixed_size: 0
    .sgpr_count:     6
    .sgpr_spill_count: 0
    .symbol:         _ZN7rocprim17ROCPRIM_400000_NS6detail17trampoline_kernelINS0_14default_configENS1_25transform_config_selectorIN3c108BFloat16ELb1EEEZNS1_14transform_implILb1ES3_S7_PS6_S9_NS0_8identityIS6_EEEE10hipError_tT2_T3_mT4_P12ihipStream_tbEUlT_E_NS1_11comp_targetILNS1_3genE9ELNS1_11target_archE1100ELNS1_3gpuE3ELNS1_3repE0EEENS1_30default_config_static_selectorELNS0_4arch9wavefront6targetE1EEEvT1_.kd
    .uniform_work_group_size: 1
    .uses_dynamic_stack: false
    .vgpr_count:     0
    .vgpr_spill_count: 0
    .wavefront_size: 64
  - .agpr_count:     0
    .args:
      - .offset:         0
        .size:           40
        .value_kind:     by_value
    .group_segment_fixed_size: 0
    .kernarg_segment_align: 8
    .kernarg_segment_size: 40
    .language:       OpenCL C
    .language_version:
      - 2
      - 0
    .max_flat_workgroup_size: 1024
    .name:           _ZN7rocprim17ROCPRIM_400000_NS6detail17trampoline_kernelINS0_14default_configENS1_25transform_config_selectorIN3c108BFloat16ELb1EEEZNS1_14transform_implILb1ES3_S7_PS6_S9_NS0_8identityIS6_EEEE10hipError_tT2_T3_mT4_P12ihipStream_tbEUlT_E_NS1_11comp_targetILNS1_3genE8ELNS1_11target_archE1030ELNS1_3gpuE2ELNS1_3repE0EEENS1_30default_config_static_selectorELNS0_4arch9wavefront6targetE1EEEvT1_
    .private_segment_fixed_size: 0
    .sgpr_count:     6
    .sgpr_spill_count: 0
    .symbol:         _ZN7rocprim17ROCPRIM_400000_NS6detail17trampoline_kernelINS0_14default_configENS1_25transform_config_selectorIN3c108BFloat16ELb1EEEZNS1_14transform_implILb1ES3_S7_PS6_S9_NS0_8identityIS6_EEEE10hipError_tT2_T3_mT4_P12ihipStream_tbEUlT_E_NS1_11comp_targetILNS1_3genE8ELNS1_11target_archE1030ELNS1_3gpuE2ELNS1_3repE0EEENS1_30default_config_static_selectorELNS0_4arch9wavefront6targetE1EEEvT1_.kd
    .uniform_work_group_size: 1
    .uses_dynamic_stack: false
    .vgpr_count:     0
    .vgpr_spill_count: 0
    .wavefront_size: 64
  - .agpr_count:     0
    .args:
      - .offset:         0
        .size:           32
        .value_kind:     by_value
    .group_segment_fixed_size: 0
    .kernarg_segment_align: 8
    .kernarg_segment_size: 32
    .language:       OpenCL C
    .language_version:
      - 2
      - 0
    .max_flat_workgroup_size: 128
    .name:           _ZN7rocprim17ROCPRIM_400000_NS6detail17trampoline_kernelINS0_14default_configENS1_20scan_config_selectorIN3c108BFloat16EEEZZNS1_9scan_implILNS1_25lookback_scan_determinismE0ELb0ELb0ES3_PKS6_PS6_S6_ZZZN2at6native31launch_logcumsumexp_cuda_kernelERKNSD_10TensorBaseESH_lENKUlvE_clEvENKUlvE4_clEvEUlS6_S6_E_S6_EEDaPvRmT3_T4_T5_mT6_P12ihipStream_tbENKUlT_T0_E_clISt17integral_constantIbLb0EESY_EEDaST_SU_EUlST_E0_NS1_11comp_targetILNS1_3genE0ELNS1_11target_archE4294967295ELNS1_3gpuE0ELNS1_3repE0EEENS1_30default_config_static_selectorELNS0_4arch9wavefront6targetE1EEEvT1_
    .private_segment_fixed_size: 0
    .sgpr_count:     6
    .sgpr_spill_count: 0
    .symbol:         _ZN7rocprim17ROCPRIM_400000_NS6detail17trampoline_kernelINS0_14default_configENS1_20scan_config_selectorIN3c108BFloat16EEEZZNS1_9scan_implILNS1_25lookback_scan_determinismE0ELb0ELb0ES3_PKS6_PS6_S6_ZZZN2at6native31launch_logcumsumexp_cuda_kernelERKNSD_10TensorBaseESH_lENKUlvE_clEvENKUlvE4_clEvEUlS6_S6_E_S6_EEDaPvRmT3_T4_T5_mT6_P12ihipStream_tbENKUlT_T0_E_clISt17integral_constantIbLb0EESY_EEDaST_SU_EUlST_E0_NS1_11comp_targetILNS1_3genE0ELNS1_11target_archE4294967295ELNS1_3gpuE0ELNS1_3repE0EEENS1_30default_config_static_selectorELNS0_4arch9wavefront6targetE1EEEvT1_.kd
    .uniform_work_group_size: 1
    .uses_dynamic_stack: false
    .vgpr_count:     0
    .vgpr_spill_count: 0
    .wavefront_size: 64
  - .agpr_count:     0
    .args:
      - .offset:         0
        .size:           32
        .value_kind:     by_value
    .group_segment_fixed_size: 12288
    .kernarg_segment_align: 8
    .kernarg_segment_size: 32
    .language:       OpenCL C
    .language_version:
      - 2
      - 0
    .max_flat_workgroup_size: 256
    .name:           _ZN7rocprim17ROCPRIM_400000_NS6detail17trampoline_kernelINS0_14default_configENS1_20scan_config_selectorIN3c108BFloat16EEEZZNS1_9scan_implILNS1_25lookback_scan_determinismE0ELb0ELb0ES3_PKS6_PS6_S6_ZZZN2at6native31launch_logcumsumexp_cuda_kernelERKNSD_10TensorBaseESH_lENKUlvE_clEvENKUlvE4_clEvEUlS6_S6_E_S6_EEDaPvRmT3_T4_T5_mT6_P12ihipStream_tbENKUlT_T0_E_clISt17integral_constantIbLb0EESY_EEDaST_SU_EUlST_E0_NS1_11comp_targetILNS1_3genE5ELNS1_11target_archE942ELNS1_3gpuE9ELNS1_3repE0EEENS1_30default_config_static_selectorELNS0_4arch9wavefront6targetE1EEEvT1_
    .private_segment_fixed_size: 0
    .sgpr_count:     106
    .sgpr_spill_count: 8
    .symbol:         _ZN7rocprim17ROCPRIM_400000_NS6detail17trampoline_kernelINS0_14default_configENS1_20scan_config_selectorIN3c108BFloat16EEEZZNS1_9scan_implILNS1_25lookback_scan_determinismE0ELb0ELb0ES3_PKS6_PS6_S6_ZZZN2at6native31launch_logcumsumexp_cuda_kernelERKNSD_10TensorBaseESH_lENKUlvE_clEvENKUlvE4_clEvEUlS6_S6_E_S6_EEDaPvRmT3_T4_T5_mT6_P12ihipStream_tbENKUlT_T0_E_clISt17integral_constantIbLb0EESY_EEDaST_SU_EUlST_E0_NS1_11comp_targetILNS1_3genE5ELNS1_11target_archE942ELNS1_3gpuE9ELNS1_3repE0EEENS1_30default_config_static_selectorELNS0_4arch9wavefront6targetE1EEEvT1_.kd
    .uniform_work_group_size: 1
    .uses_dynamic_stack: false
    .vgpr_count:     78
    .vgpr_spill_count: 0
    .wavefront_size: 64
  - .agpr_count:     0
    .args:
      - .offset:         0
        .size:           32
        .value_kind:     by_value
    .group_segment_fixed_size: 0
    .kernarg_segment_align: 8
    .kernarg_segment_size: 32
    .language:       OpenCL C
    .language_version:
      - 2
      - 0
    .max_flat_workgroup_size: 64
    .name:           _ZN7rocprim17ROCPRIM_400000_NS6detail17trampoline_kernelINS0_14default_configENS1_20scan_config_selectorIN3c108BFloat16EEEZZNS1_9scan_implILNS1_25lookback_scan_determinismE0ELb0ELb0ES3_PKS6_PS6_S6_ZZZN2at6native31launch_logcumsumexp_cuda_kernelERKNSD_10TensorBaseESH_lENKUlvE_clEvENKUlvE4_clEvEUlS6_S6_E_S6_EEDaPvRmT3_T4_T5_mT6_P12ihipStream_tbENKUlT_T0_E_clISt17integral_constantIbLb0EESY_EEDaST_SU_EUlST_E0_NS1_11comp_targetILNS1_3genE4ELNS1_11target_archE910ELNS1_3gpuE8ELNS1_3repE0EEENS1_30default_config_static_selectorELNS0_4arch9wavefront6targetE1EEEvT1_
    .private_segment_fixed_size: 0
    .sgpr_count:     6
    .sgpr_spill_count: 0
    .symbol:         _ZN7rocprim17ROCPRIM_400000_NS6detail17trampoline_kernelINS0_14default_configENS1_20scan_config_selectorIN3c108BFloat16EEEZZNS1_9scan_implILNS1_25lookback_scan_determinismE0ELb0ELb0ES3_PKS6_PS6_S6_ZZZN2at6native31launch_logcumsumexp_cuda_kernelERKNSD_10TensorBaseESH_lENKUlvE_clEvENKUlvE4_clEvEUlS6_S6_E_S6_EEDaPvRmT3_T4_T5_mT6_P12ihipStream_tbENKUlT_T0_E_clISt17integral_constantIbLb0EESY_EEDaST_SU_EUlST_E0_NS1_11comp_targetILNS1_3genE4ELNS1_11target_archE910ELNS1_3gpuE8ELNS1_3repE0EEENS1_30default_config_static_selectorELNS0_4arch9wavefront6targetE1EEEvT1_.kd
    .uniform_work_group_size: 1
    .uses_dynamic_stack: false
    .vgpr_count:     0
    .vgpr_spill_count: 0
    .wavefront_size: 64
  - .agpr_count:     0
    .args:
      - .offset:         0
        .size:           32
        .value_kind:     by_value
    .group_segment_fixed_size: 0
    .kernarg_segment_align: 8
    .kernarg_segment_size: 32
    .language:       OpenCL C
    .language_version:
      - 2
      - 0
    .max_flat_workgroup_size: 128
    .name:           _ZN7rocprim17ROCPRIM_400000_NS6detail17trampoline_kernelINS0_14default_configENS1_20scan_config_selectorIN3c108BFloat16EEEZZNS1_9scan_implILNS1_25lookback_scan_determinismE0ELb0ELb0ES3_PKS6_PS6_S6_ZZZN2at6native31launch_logcumsumexp_cuda_kernelERKNSD_10TensorBaseESH_lENKUlvE_clEvENKUlvE4_clEvEUlS6_S6_E_S6_EEDaPvRmT3_T4_T5_mT6_P12ihipStream_tbENKUlT_T0_E_clISt17integral_constantIbLb0EESY_EEDaST_SU_EUlST_E0_NS1_11comp_targetILNS1_3genE3ELNS1_11target_archE908ELNS1_3gpuE7ELNS1_3repE0EEENS1_30default_config_static_selectorELNS0_4arch9wavefront6targetE1EEEvT1_
    .private_segment_fixed_size: 0
    .sgpr_count:     6
    .sgpr_spill_count: 0
    .symbol:         _ZN7rocprim17ROCPRIM_400000_NS6detail17trampoline_kernelINS0_14default_configENS1_20scan_config_selectorIN3c108BFloat16EEEZZNS1_9scan_implILNS1_25lookback_scan_determinismE0ELb0ELb0ES3_PKS6_PS6_S6_ZZZN2at6native31launch_logcumsumexp_cuda_kernelERKNSD_10TensorBaseESH_lENKUlvE_clEvENKUlvE4_clEvEUlS6_S6_E_S6_EEDaPvRmT3_T4_T5_mT6_P12ihipStream_tbENKUlT_T0_E_clISt17integral_constantIbLb0EESY_EEDaST_SU_EUlST_E0_NS1_11comp_targetILNS1_3genE3ELNS1_11target_archE908ELNS1_3gpuE7ELNS1_3repE0EEENS1_30default_config_static_selectorELNS0_4arch9wavefront6targetE1EEEvT1_.kd
    .uniform_work_group_size: 1
    .uses_dynamic_stack: false
    .vgpr_count:     0
    .vgpr_spill_count: 0
    .wavefront_size: 64
  - .agpr_count:     0
    .args:
      - .offset:         0
        .size:           32
        .value_kind:     by_value
    .group_segment_fixed_size: 0
    .kernarg_segment_align: 8
    .kernarg_segment_size: 32
    .language:       OpenCL C
    .language_version:
      - 2
      - 0
    .max_flat_workgroup_size: 256
    .name:           _ZN7rocprim17ROCPRIM_400000_NS6detail17trampoline_kernelINS0_14default_configENS1_20scan_config_selectorIN3c108BFloat16EEEZZNS1_9scan_implILNS1_25lookback_scan_determinismE0ELb0ELb0ES3_PKS6_PS6_S6_ZZZN2at6native31launch_logcumsumexp_cuda_kernelERKNSD_10TensorBaseESH_lENKUlvE_clEvENKUlvE4_clEvEUlS6_S6_E_S6_EEDaPvRmT3_T4_T5_mT6_P12ihipStream_tbENKUlT_T0_E_clISt17integral_constantIbLb0EESY_EEDaST_SU_EUlST_E0_NS1_11comp_targetILNS1_3genE2ELNS1_11target_archE906ELNS1_3gpuE6ELNS1_3repE0EEENS1_30default_config_static_selectorELNS0_4arch9wavefront6targetE1EEEvT1_
    .private_segment_fixed_size: 0
    .sgpr_count:     6
    .sgpr_spill_count: 0
    .symbol:         _ZN7rocprim17ROCPRIM_400000_NS6detail17trampoline_kernelINS0_14default_configENS1_20scan_config_selectorIN3c108BFloat16EEEZZNS1_9scan_implILNS1_25lookback_scan_determinismE0ELb0ELb0ES3_PKS6_PS6_S6_ZZZN2at6native31launch_logcumsumexp_cuda_kernelERKNSD_10TensorBaseESH_lENKUlvE_clEvENKUlvE4_clEvEUlS6_S6_E_S6_EEDaPvRmT3_T4_T5_mT6_P12ihipStream_tbENKUlT_T0_E_clISt17integral_constantIbLb0EESY_EEDaST_SU_EUlST_E0_NS1_11comp_targetILNS1_3genE2ELNS1_11target_archE906ELNS1_3gpuE6ELNS1_3repE0EEENS1_30default_config_static_selectorELNS0_4arch9wavefront6targetE1EEEvT1_.kd
    .uniform_work_group_size: 1
    .uses_dynamic_stack: false
    .vgpr_count:     0
    .vgpr_spill_count: 0
    .wavefront_size: 64
  - .agpr_count:     0
    .args:
      - .offset:         0
        .size:           32
        .value_kind:     by_value
    .group_segment_fixed_size: 0
    .kernarg_segment_align: 8
    .kernarg_segment_size: 32
    .language:       OpenCL C
    .language_version:
      - 2
      - 0
    .max_flat_workgroup_size: 256
    .name:           _ZN7rocprim17ROCPRIM_400000_NS6detail17trampoline_kernelINS0_14default_configENS1_20scan_config_selectorIN3c108BFloat16EEEZZNS1_9scan_implILNS1_25lookback_scan_determinismE0ELb0ELb0ES3_PKS6_PS6_S6_ZZZN2at6native31launch_logcumsumexp_cuda_kernelERKNSD_10TensorBaseESH_lENKUlvE_clEvENKUlvE4_clEvEUlS6_S6_E_S6_EEDaPvRmT3_T4_T5_mT6_P12ihipStream_tbENKUlT_T0_E_clISt17integral_constantIbLb0EESY_EEDaST_SU_EUlST_E0_NS1_11comp_targetILNS1_3genE10ELNS1_11target_archE1201ELNS1_3gpuE5ELNS1_3repE0EEENS1_30default_config_static_selectorELNS0_4arch9wavefront6targetE1EEEvT1_
    .private_segment_fixed_size: 0
    .sgpr_count:     6
    .sgpr_spill_count: 0
    .symbol:         _ZN7rocprim17ROCPRIM_400000_NS6detail17trampoline_kernelINS0_14default_configENS1_20scan_config_selectorIN3c108BFloat16EEEZZNS1_9scan_implILNS1_25lookback_scan_determinismE0ELb0ELb0ES3_PKS6_PS6_S6_ZZZN2at6native31launch_logcumsumexp_cuda_kernelERKNSD_10TensorBaseESH_lENKUlvE_clEvENKUlvE4_clEvEUlS6_S6_E_S6_EEDaPvRmT3_T4_T5_mT6_P12ihipStream_tbENKUlT_T0_E_clISt17integral_constantIbLb0EESY_EEDaST_SU_EUlST_E0_NS1_11comp_targetILNS1_3genE10ELNS1_11target_archE1201ELNS1_3gpuE5ELNS1_3repE0EEENS1_30default_config_static_selectorELNS0_4arch9wavefront6targetE1EEEvT1_.kd
    .uniform_work_group_size: 1
    .uses_dynamic_stack: false
    .vgpr_count:     0
    .vgpr_spill_count: 0
    .wavefront_size: 64
  - .agpr_count:     0
    .args:
      - .offset:         0
        .size:           32
        .value_kind:     by_value
    .group_segment_fixed_size: 0
    .kernarg_segment_align: 8
    .kernarg_segment_size: 32
    .language:       OpenCL C
    .language_version:
      - 2
      - 0
    .max_flat_workgroup_size: 256
    .name:           _ZN7rocprim17ROCPRIM_400000_NS6detail17trampoline_kernelINS0_14default_configENS1_20scan_config_selectorIN3c108BFloat16EEEZZNS1_9scan_implILNS1_25lookback_scan_determinismE0ELb0ELb0ES3_PKS6_PS6_S6_ZZZN2at6native31launch_logcumsumexp_cuda_kernelERKNSD_10TensorBaseESH_lENKUlvE_clEvENKUlvE4_clEvEUlS6_S6_E_S6_EEDaPvRmT3_T4_T5_mT6_P12ihipStream_tbENKUlT_T0_E_clISt17integral_constantIbLb0EESY_EEDaST_SU_EUlST_E0_NS1_11comp_targetILNS1_3genE10ELNS1_11target_archE1200ELNS1_3gpuE4ELNS1_3repE0EEENS1_30default_config_static_selectorELNS0_4arch9wavefront6targetE1EEEvT1_
    .private_segment_fixed_size: 0
    .sgpr_count:     6
    .sgpr_spill_count: 0
    .symbol:         _ZN7rocprim17ROCPRIM_400000_NS6detail17trampoline_kernelINS0_14default_configENS1_20scan_config_selectorIN3c108BFloat16EEEZZNS1_9scan_implILNS1_25lookback_scan_determinismE0ELb0ELb0ES3_PKS6_PS6_S6_ZZZN2at6native31launch_logcumsumexp_cuda_kernelERKNSD_10TensorBaseESH_lENKUlvE_clEvENKUlvE4_clEvEUlS6_S6_E_S6_EEDaPvRmT3_T4_T5_mT6_P12ihipStream_tbENKUlT_T0_E_clISt17integral_constantIbLb0EESY_EEDaST_SU_EUlST_E0_NS1_11comp_targetILNS1_3genE10ELNS1_11target_archE1200ELNS1_3gpuE4ELNS1_3repE0EEENS1_30default_config_static_selectorELNS0_4arch9wavefront6targetE1EEEvT1_.kd
    .uniform_work_group_size: 1
    .uses_dynamic_stack: false
    .vgpr_count:     0
    .vgpr_spill_count: 0
    .wavefront_size: 64
  - .agpr_count:     0
    .args:
      - .offset:         0
        .size:           32
        .value_kind:     by_value
    .group_segment_fixed_size: 0
    .kernarg_segment_align: 8
    .kernarg_segment_size: 32
    .language:       OpenCL C
    .language_version:
      - 2
      - 0
    .max_flat_workgroup_size: 64
    .name:           _ZN7rocprim17ROCPRIM_400000_NS6detail17trampoline_kernelINS0_14default_configENS1_20scan_config_selectorIN3c108BFloat16EEEZZNS1_9scan_implILNS1_25lookback_scan_determinismE0ELb0ELb0ES3_PKS6_PS6_S6_ZZZN2at6native31launch_logcumsumexp_cuda_kernelERKNSD_10TensorBaseESH_lENKUlvE_clEvENKUlvE4_clEvEUlS6_S6_E_S6_EEDaPvRmT3_T4_T5_mT6_P12ihipStream_tbENKUlT_T0_E_clISt17integral_constantIbLb0EESY_EEDaST_SU_EUlST_E0_NS1_11comp_targetILNS1_3genE9ELNS1_11target_archE1100ELNS1_3gpuE3ELNS1_3repE0EEENS1_30default_config_static_selectorELNS0_4arch9wavefront6targetE1EEEvT1_
    .private_segment_fixed_size: 0
    .sgpr_count:     6
    .sgpr_spill_count: 0
    .symbol:         _ZN7rocprim17ROCPRIM_400000_NS6detail17trampoline_kernelINS0_14default_configENS1_20scan_config_selectorIN3c108BFloat16EEEZZNS1_9scan_implILNS1_25lookback_scan_determinismE0ELb0ELb0ES3_PKS6_PS6_S6_ZZZN2at6native31launch_logcumsumexp_cuda_kernelERKNSD_10TensorBaseESH_lENKUlvE_clEvENKUlvE4_clEvEUlS6_S6_E_S6_EEDaPvRmT3_T4_T5_mT6_P12ihipStream_tbENKUlT_T0_E_clISt17integral_constantIbLb0EESY_EEDaST_SU_EUlST_E0_NS1_11comp_targetILNS1_3genE9ELNS1_11target_archE1100ELNS1_3gpuE3ELNS1_3repE0EEENS1_30default_config_static_selectorELNS0_4arch9wavefront6targetE1EEEvT1_.kd
    .uniform_work_group_size: 1
    .uses_dynamic_stack: false
    .vgpr_count:     0
    .vgpr_spill_count: 0
    .wavefront_size: 64
  - .agpr_count:     0
    .args:
      - .offset:         0
        .size:           32
        .value_kind:     by_value
    .group_segment_fixed_size: 0
    .kernarg_segment_align: 8
    .kernarg_segment_size: 32
    .language:       OpenCL C
    .language_version:
      - 2
      - 0
    .max_flat_workgroup_size: 64
    .name:           _ZN7rocprim17ROCPRIM_400000_NS6detail17trampoline_kernelINS0_14default_configENS1_20scan_config_selectorIN3c108BFloat16EEEZZNS1_9scan_implILNS1_25lookback_scan_determinismE0ELb0ELb0ES3_PKS6_PS6_S6_ZZZN2at6native31launch_logcumsumexp_cuda_kernelERKNSD_10TensorBaseESH_lENKUlvE_clEvENKUlvE4_clEvEUlS6_S6_E_S6_EEDaPvRmT3_T4_T5_mT6_P12ihipStream_tbENKUlT_T0_E_clISt17integral_constantIbLb0EESY_EEDaST_SU_EUlST_E0_NS1_11comp_targetILNS1_3genE8ELNS1_11target_archE1030ELNS1_3gpuE2ELNS1_3repE0EEENS1_30default_config_static_selectorELNS0_4arch9wavefront6targetE1EEEvT1_
    .private_segment_fixed_size: 0
    .sgpr_count:     6
    .sgpr_spill_count: 0
    .symbol:         _ZN7rocprim17ROCPRIM_400000_NS6detail17trampoline_kernelINS0_14default_configENS1_20scan_config_selectorIN3c108BFloat16EEEZZNS1_9scan_implILNS1_25lookback_scan_determinismE0ELb0ELb0ES3_PKS6_PS6_S6_ZZZN2at6native31launch_logcumsumexp_cuda_kernelERKNSD_10TensorBaseESH_lENKUlvE_clEvENKUlvE4_clEvEUlS6_S6_E_S6_EEDaPvRmT3_T4_T5_mT6_P12ihipStream_tbENKUlT_T0_E_clISt17integral_constantIbLb0EESY_EEDaST_SU_EUlST_E0_NS1_11comp_targetILNS1_3genE8ELNS1_11target_archE1030ELNS1_3gpuE2ELNS1_3repE0EEENS1_30default_config_static_selectorELNS0_4arch9wavefront6targetE1EEEvT1_.kd
    .uniform_work_group_size: 1
    .uses_dynamic_stack: false
    .vgpr_count:     0
    .vgpr_spill_count: 0
    .wavefront_size: 64
  - .agpr_count:     0
    .args:
      - .address_space:  global
        .offset:         0
        .size:           8
        .value_kind:     global_buffer
      - .offset:         8
        .size:           4
        .value_kind:     by_value
      - .address_space:  global
        .offset:         16
        .size:           8
        .value_kind:     global_buffer
      - .offset:         24
        .size:           4
        .value_kind:     by_value
      - .address_space:  global
        .offset:         32
        .size:           8
        .value_kind:     global_buffer
      - .offset:         40
        .size:           4
        .value_kind:     hidden_block_count_x
      - .offset:         44
        .size:           4
        .value_kind:     hidden_block_count_y
      - .offset:         48
        .size:           4
        .value_kind:     hidden_block_count_z
      - .offset:         52
        .size:           2
        .value_kind:     hidden_group_size_x
      - .offset:         54
        .size:           2
        .value_kind:     hidden_group_size_y
      - .offset:         56
        .size:           2
        .value_kind:     hidden_group_size_z
      - .offset:         58
        .size:           2
        .value_kind:     hidden_remainder_x
      - .offset:         60
        .size:           2
        .value_kind:     hidden_remainder_y
      - .offset:         62
        .size:           2
        .value_kind:     hidden_remainder_z
      - .offset:         80
        .size:           8
        .value_kind:     hidden_global_offset_x
      - .offset:         88
        .size:           8
        .value_kind:     hidden_global_offset_y
      - .offset:         96
        .size:           8
        .value_kind:     hidden_global_offset_z
      - .offset:         104
        .size:           2
        .value_kind:     hidden_grid_dims
    .group_segment_fixed_size: 0
    .kernarg_segment_align: 8
    .kernarg_segment_size: 296
    .language:       OpenCL C
    .language_version:
      - 2
      - 0
    .max_flat_workgroup_size: 256
    .name:           _ZN7rocprim17ROCPRIM_400000_NS6detail31init_lookback_scan_state_kernelINS1_19lookback_scan_stateIN3c108BFloat16ELb1ELb1EEENS1_16block_id_wrapperIjLb1EEEEEvT_jT0_jPNS9_10value_typeE
    .private_segment_fixed_size: 0
    .sgpr_count:     20
    .sgpr_spill_count: 0
    .symbol:         _ZN7rocprim17ROCPRIM_400000_NS6detail31init_lookback_scan_state_kernelINS1_19lookback_scan_stateIN3c108BFloat16ELb1ELb1EEENS1_16block_id_wrapperIjLb1EEEEEvT_jT0_jPNS9_10value_typeE.kd
    .uniform_work_group_size: 1
    .uses_dynamic_stack: false
    .vgpr_count:     6
    .vgpr_spill_count: 0
    .wavefront_size: 64
  - .agpr_count:     0
    .args:
      - .offset:         0
        .size:           96
        .value_kind:     by_value
    .group_segment_fixed_size: 0
    .kernarg_segment_align: 8
    .kernarg_segment_size: 96
    .language:       OpenCL C
    .language_version:
      - 2
      - 0
    .max_flat_workgroup_size: 128
    .name:           _ZN7rocprim17ROCPRIM_400000_NS6detail17trampoline_kernelINS0_14default_configENS1_20scan_config_selectorIN3c108BFloat16EEEZZNS1_9scan_implILNS1_25lookback_scan_determinismE0ELb0ELb0ES3_PKS6_PS6_S6_ZZZN2at6native31launch_logcumsumexp_cuda_kernelERKNSD_10TensorBaseESH_lENKUlvE_clEvENKUlvE4_clEvEUlS6_S6_E_S6_EEDaPvRmT3_T4_T5_mT6_P12ihipStream_tbENKUlT_T0_E_clISt17integral_constantIbLb1EESY_EEDaST_SU_EUlST_E_NS1_11comp_targetILNS1_3genE0ELNS1_11target_archE4294967295ELNS1_3gpuE0ELNS1_3repE0EEENS1_30default_config_static_selectorELNS0_4arch9wavefront6targetE1EEEvT1_
    .private_segment_fixed_size: 0
    .sgpr_count:     6
    .sgpr_spill_count: 0
    .symbol:         _ZN7rocprim17ROCPRIM_400000_NS6detail17trampoline_kernelINS0_14default_configENS1_20scan_config_selectorIN3c108BFloat16EEEZZNS1_9scan_implILNS1_25lookback_scan_determinismE0ELb0ELb0ES3_PKS6_PS6_S6_ZZZN2at6native31launch_logcumsumexp_cuda_kernelERKNSD_10TensorBaseESH_lENKUlvE_clEvENKUlvE4_clEvEUlS6_S6_E_S6_EEDaPvRmT3_T4_T5_mT6_P12ihipStream_tbENKUlT_T0_E_clISt17integral_constantIbLb1EESY_EEDaST_SU_EUlST_E_NS1_11comp_targetILNS1_3genE0ELNS1_11target_archE4294967295ELNS1_3gpuE0ELNS1_3repE0EEENS1_30default_config_static_selectorELNS0_4arch9wavefront6targetE1EEEvT1_.kd
    .uniform_work_group_size: 1
    .uses_dynamic_stack: false
    .vgpr_count:     0
    .vgpr_spill_count: 0
    .wavefront_size: 64
  - .agpr_count:     0
    .args:
      - .offset:         0
        .size:           96
        .value_kind:     by_value
      - .offset:         96
        .size:           4
        .value_kind:     hidden_block_count_x
      - .offset:         100
        .size:           4
        .value_kind:     hidden_block_count_y
      - .offset:         104
        .size:           4
        .value_kind:     hidden_block_count_z
      - .offset:         108
        .size:           2
        .value_kind:     hidden_group_size_x
      - .offset:         110
        .size:           2
        .value_kind:     hidden_group_size_y
      - .offset:         112
        .size:           2
        .value_kind:     hidden_group_size_z
      - .offset:         114
        .size:           2
        .value_kind:     hidden_remainder_x
      - .offset:         116
        .size:           2
        .value_kind:     hidden_remainder_y
      - .offset:         118
        .size:           2
        .value_kind:     hidden_remainder_z
      - .offset:         136
        .size:           8
        .value_kind:     hidden_global_offset_x
      - .offset:         144
        .size:           8
        .value_kind:     hidden_global_offset_y
      - .offset:         152
        .size:           8
        .value_kind:     hidden_global_offset_z
      - .offset:         160
        .size:           2
        .value_kind:     hidden_grid_dims
    .group_segment_fixed_size: 12288
    .kernarg_segment_align: 8
    .kernarg_segment_size: 352
    .language:       OpenCL C
    .language_version:
      - 2
      - 0
    .max_flat_workgroup_size: 256
    .name:           _ZN7rocprim17ROCPRIM_400000_NS6detail17trampoline_kernelINS0_14default_configENS1_20scan_config_selectorIN3c108BFloat16EEEZZNS1_9scan_implILNS1_25lookback_scan_determinismE0ELb0ELb0ES3_PKS6_PS6_S6_ZZZN2at6native31launch_logcumsumexp_cuda_kernelERKNSD_10TensorBaseESH_lENKUlvE_clEvENKUlvE4_clEvEUlS6_S6_E_S6_EEDaPvRmT3_T4_T5_mT6_P12ihipStream_tbENKUlT_T0_E_clISt17integral_constantIbLb1EESY_EEDaST_SU_EUlST_E_NS1_11comp_targetILNS1_3genE5ELNS1_11target_archE942ELNS1_3gpuE9ELNS1_3repE0EEENS1_30default_config_static_selectorELNS0_4arch9wavefront6targetE1EEEvT1_
    .private_segment_fixed_size: 120
    .sgpr_count:     82
    .sgpr_spill_count: 0
    .symbol:         _ZN7rocprim17ROCPRIM_400000_NS6detail17trampoline_kernelINS0_14default_configENS1_20scan_config_selectorIN3c108BFloat16EEEZZNS1_9scan_implILNS1_25lookback_scan_determinismE0ELb0ELb0ES3_PKS6_PS6_S6_ZZZN2at6native31launch_logcumsumexp_cuda_kernelERKNSD_10TensorBaseESH_lENKUlvE_clEvENKUlvE4_clEvEUlS6_S6_E_S6_EEDaPvRmT3_T4_T5_mT6_P12ihipStream_tbENKUlT_T0_E_clISt17integral_constantIbLb1EESY_EEDaST_SU_EUlST_E_NS1_11comp_targetILNS1_3genE5ELNS1_11target_archE942ELNS1_3gpuE9ELNS1_3repE0EEENS1_30default_config_static_selectorELNS0_4arch9wavefront6targetE1EEEvT1_.kd
    .uniform_work_group_size: 1
    .uses_dynamic_stack: false
    .vgpr_count:     225
    .vgpr_spill_count: 0
    .wavefront_size: 64
  - .agpr_count:     0
    .args:
      - .offset:         0
        .size:           96
        .value_kind:     by_value
    .group_segment_fixed_size: 0
    .kernarg_segment_align: 8
    .kernarg_segment_size: 96
    .language:       OpenCL C
    .language_version:
      - 2
      - 0
    .max_flat_workgroup_size: 64
    .name:           _ZN7rocprim17ROCPRIM_400000_NS6detail17trampoline_kernelINS0_14default_configENS1_20scan_config_selectorIN3c108BFloat16EEEZZNS1_9scan_implILNS1_25lookback_scan_determinismE0ELb0ELb0ES3_PKS6_PS6_S6_ZZZN2at6native31launch_logcumsumexp_cuda_kernelERKNSD_10TensorBaseESH_lENKUlvE_clEvENKUlvE4_clEvEUlS6_S6_E_S6_EEDaPvRmT3_T4_T5_mT6_P12ihipStream_tbENKUlT_T0_E_clISt17integral_constantIbLb1EESY_EEDaST_SU_EUlST_E_NS1_11comp_targetILNS1_3genE4ELNS1_11target_archE910ELNS1_3gpuE8ELNS1_3repE0EEENS1_30default_config_static_selectorELNS0_4arch9wavefront6targetE1EEEvT1_
    .private_segment_fixed_size: 0
    .sgpr_count:     6
    .sgpr_spill_count: 0
    .symbol:         _ZN7rocprim17ROCPRIM_400000_NS6detail17trampoline_kernelINS0_14default_configENS1_20scan_config_selectorIN3c108BFloat16EEEZZNS1_9scan_implILNS1_25lookback_scan_determinismE0ELb0ELb0ES3_PKS6_PS6_S6_ZZZN2at6native31launch_logcumsumexp_cuda_kernelERKNSD_10TensorBaseESH_lENKUlvE_clEvENKUlvE4_clEvEUlS6_S6_E_S6_EEDaPvRmT3_T4_T5_mT6_P12ihipStream_tbENKUlT_T0_E_clISt17integral_constantIbLb1EESY_EEDaST_SU_EUlST_E_NS1_11comp_targetILNS1_3genE4ELNS1_11target_archE910ELNS1_3gpuE8ELNS1_3repE0EEENS1_30default_config_static_selectorELNS0_4arch9wavefront6targetE1EEEvT1_.kd
    .uniform_work_group_size: 1
    .uses_dynamic_stack: false
    .vgpr_count:     0
    .vgpr_spill_count: 0
    .wavefront_size: 64
  - .agpr_count:     0
    .args:
      - .offset:         0
        .size:           96
        .value_kind:     by_value
    .group_segment_fixed_size: 0
    .kernarg_segment_align: 8
    .kernarg_segment_size: 96
    .language:       OpenCL C
    .language_version:
      - 2
      - 0
    .max_flat_workgroup_size: 128
    .name:           _ZN7rocprim17ROCPRIM_400000_NS6detail17trampoline_kernelINS0_14default_configENS1_20scan_config_selectorIN3c108BFloat16EEEZZNS1_9scan_implILNS1_25lookback_scan_determinismE0ELb0ELb0ES3_PKS6_PS6_S6_ZZZN2at6native31launch_logcumsumexp_cuda_kernelERKNSD_10TensorBaseESH_lENKUlvE_clEvENKUlvE4_clEvEUlS6_S6_E_S6_EEDaPvRmT3_T4_T5_mT6_P12ihipStream_tbENKUlT_T0_E_clISt17integral_constantIbLb1EESY_EEDaST_SU_EUlST_E_NS1_11comp_targetILNS1_3genE3ELNS1_11target_archE908ELNS1_3gpuE7ELNS1_3repE0EEENS1_30default_config_static_selectorELNS0_4arch9wavefront6targetE1EEEvT1_
    .private_segment_fixed_size: 0
    .sgpr_count:     6
    .sgpr_spill_count: 0
    .symbol:         _ZN7rocprim17ROCPRIM_400000_NS6detail17trampoline_kernelINS0_14default_configENS1_20scan_config_selectorIN3c108BFloat16EEEZZNS1_9scan_implILNS1_25lookback_scan_determinismE0ELb0ELb0ES3_PKS6_PS6_S6_ZZZN2at6native31launch_logcumsumexp_cuda_kernelERKNSD_10TensorBaseESH_lENKUlvE_clEvENKUlvE4_clEvEUlS6_S6_E_S6_EEDaPvRmT3_T4_T5_mT6_P12ihipStream_tbENKUlT_T0_E_clISt17integral_constantIbLb1EESY_EEDaST_SU_EUlST_E_NS1_11comp_targetILNS1_3genE3ELNS1_11target_archE908ELNS1_3gpuE7ELNS1_3repE0EEENS1_30default_config_static_selectorELNS0_4arch9wavefront6targetE1EEEvT1_.kd
    .uniform_work_group_size: 1
    .uses_dynamic_stack: false
    .vgpr_count:     0
    .vgpr_spill_count: 0
    .wavefront_size: 64
  - .agpr_count:     0
    .args:
      - .offset:         0
        .size:           96
        .value_kind:     by_value
    .group_segment_fixed_size: 0
    .kernarg_segment_align: 8
    .kernarg_segment_size: 96
    .language:       OpenCL C
    .language_version:
      - 2
      - 0
    .max_flat_workgroup_size: 256
    .name:           _ZN7rocprim17ROCPRIM_400000_NS6detail17trampoline_kernelINS0_14default_configENS1_20scan_config_selectorIN3c108BFloat16EEEZZNS1_9scan_implILNS1_25lookback_scan_determinismE0ELb0ELb0ES3_PKS6_PS6_S6_ZZZN2at6native31launch_logcumsumexp_cuda_kernelERKNSD_10TensorBaseESH_lENKUlvE_clEvENKUlvE4_clEvEUlS6_S6_E_S6_EEDaPvRmT3_T4_T5_mT6_P12ihipStream_tbENKUlT_T0_E_clISt17integral_constantIbLb1EESY_EEDaST_SU_EUlST_E_NS1_11comp_targetILNS1_3genE2ELNS1_11target_archE906ELNS1_3gpuE6ELNS1_3repE0EEENS1_30default_config_static_selectorELNS0_4arch9wavefront6targetE1EEEvT1_
    .private_segment_fixed_size: 0
    .sgpr_count:     6
    .sgpr_spill_count: 0
    .symbol:         _ZN7rocprim17ROCPRIM_400000_NS6detail17trampoline_kernelINS0_14default_configENS1_20scan_config_selectorIN3c108BFloat16EEEZZNS1_9scan_implILNS1_25lookback_scan_determinismE0ELb0ELb0ES3_PKS6_PS6_S6_ZZZN2at6native31launch_logcumsumexp_cuda_kernelERKNSD_10TensorBaseESH_lENKUlvE_clEvENKUlvE4_clEvEUlS6_S6_E_S6_EEDaPvRmT3_T4_T5_mT6_P12ihipStream_tbENKUlT_T0_E_clISt17integral_constantIbLb1EESY_EEDaST_SU_EUlST_E_NS1_11comp_targetILNS1_3genE2ELNS1_11target_archE906ELNS1_3gpuE6ELNS1_3repE0EEENS1_30default_config_static_selectorELNS0_4arch9wavefront6targetE1EEEvT1_.kd
    .uniform_work_group_size: 1
    .uses_dynamic_stack: false
    .vgpr_count:     0
    .vgpr_spill_count: 0
    .wavefront_size: 64
  - .agpr_count:     0
    .args:
      - .offset:         0
        .size:           96
        .value_kind:     by_value
    .group_segment_fixed_size: 0
    .kernarg_segment_align: 8
    .kernarg_segment_size: 96
    .language:       OpenCL C
    .language_version:
      - 2
      - 0
    .max_flat_workgroup_size: 256
    .name:           _ZN7rocprim17ROCPRIM_400000_NS6detail17trampoline_kernelINS0_14default_configENS1_20scan_config_selectorIN3c108BFloat16EEEZZNS1_9scan_implILNS1_25lookback_scan_determinismE0ELb0ELb0ES3_PKS6_PS6_S6_ZZZN2at6native31launch_logcumsumexp_cuda_kernelERKNSD_10TensorBaseESH_lENKUlvE_clEvENKUlvE4_clEvEUlS6_S6_E_S6_EEDaPvRmT3_T4_T5_mT6_P12ihipStream_tbENKUlT_T0_E_clISt17integral_constantIbLb1EESY_EEDaST_SU_EUlST_E_NS1_11comp_targetILNS1_3genE10ELNS1_11target_archE1201ELNS1_3gpuE5ELNS1_3repE0EEENS1_30default_config_static_selectorELNS0_4arch9wavefront6targetE1EEEvT1_
    .private_segment_fixed_size: 0
    .sgpr_count:     6
    .sgpr_spill_count: 0
    .symbol:         _ZN7rocprim17ROCPRIM_400000_NS6detail17trampoline_kernelINS0_14default_configENS1_20scan_config_selectorIN3c108BFloat16EEEZZNS1_9scan_implILNS1_25lookback_scan_determinismE0ELb0ELb0ES3_PKS6_PS6_S6_ZZZN2at6native31launch_logcumsumexp_cuda_kernelERKNSD_10TensorBaseESH_lENKUlvE_clEvENKUlvE4_clEvEUlS6_S6_E_S6_EEDaPvRmT3_T4_T5_mT6_P12ihipStream_tbENKUlT_T0_E_clISt17integral_constantIbLb1EESY_EEDaST_SU_EUlST_E_NS1_11comp_targetILNS1_3genE10ELNS1_11target_archE1201ELNS1_3gpuE5ELNS1_3repE0EEENS1_30default_config_static_selectorELNS0_4arch9wavefront6targetE1EEEvT1_.kd
    .uniform_work_group_size: 1
    .uses_dynamic_stack: false
    .vgpr_count:     0
    .vgpr_spill_count: 0
    .wavefront_size: 64
  - .agpr_count:     0
    .args:
      - .offset:         0
        .size:           96
        .value_kind:     by_value
    .group_segment_fixed_size: 0
    .kernarg_segment_align: 8
    .kernarg_segment_size: 96
    .language:       OpenCL C
    .language_version:
      - 2
      - 0
    .max_flat_workgroup_size: 256
    .name:           _ZN7rocprim17ROCPRIM_400000_NS6detail17trampoline_kernelINS0_14default_configENS1_20scan_config_selectorIN3c108BFloat16EEEZZNS1_9scan_implILNS1_25lookback_scan_determinismE0ELb0ELb0ES3_PKS6_PS6_S6_ZZZN2at6native31launch_logcumsumexp_cuda_kernelERKNSD_10TensorBaseESH_lENKUlvE_clEvENKUlvE4_clEvEUlS6_S6_E_S6_EEDaPvRmT3_T4_T5_mT6_P12ihipStream_tbENKUlT_T0_E_clISt17integral_constantIbLb1EESY_EEDaST_SU_EUlST_E_NS1_11comp_targetILNS1_3genE10ELNS1_11target_archE1200ELNS1_3gpuE4ELNS1_3repE0EEENS1_30default_config_static_selectorELNS0_4arch9wavefront6targetE1EEEvT1_
    .private_segment_fixed_size: 0
    .sgpr_count:     6
    .sgpr_spill_count: 0
    .symbol:         _ZN7rocprim17ROCPRIM_400000_NS6detail17trampoline_kernelINS0_14default_configENS1_20scan_config_selectorIN3c108BFloat16EEEZZNS1_9scan_implILNS1_25lookback_scan_determinismE0ELb0ELb0ES3_PKS6_PS6_S6_ZZZN2at6native31launch_logcumsumexp_cuda_kernelERKNSD_10TensorBaseESH_lENKUlvE_clEvENKUlvE4_clEvEUlS6_S6_E_S6_EEDaPvRmT3_T4_T5_mT6_P12ihipStream_tbENKUlT_T0_E_clISt17integral_constantIbLb1EESY_EEDaST_SU_EUlST_E_NS1_11comp_targetILNS1_3genE10ELNS1_11target_archE1200ELNS1_3gpuE4ELNS1_3repE0EEENS1_30default_config_static_selectorELNS0_4arch9wavefront6targetE1EEEvT1_.kd
    .uniform_work_group_size: 1
    .uses_dynamic_stack: false
    .vgpr_count:     0
    .vgpr_spill_count: 0
    .wavefront_size: 64
  - .agpr_count:     0
    .args:
      - .offset:         0
        .size:           96
        .value_kind:     by_value
    .group_segment_fixed_size: 0
    .kernarg_segment_align: 8
    .kernarg_segment_size: 96
    .language:       OpenCL C
    .language_version:
      - 2
      - 0
    .max_flat_workgroup_size: 64
    .name:           _ZN7rocprim17ROCPRIM_400000_NS6detail17trampoline_kernelINS0_14default_configENS1_20scan_config_selectorIN3c108BFloat16EEEZZNS1_9scan_implILNS1_25lookback_scan_determinismE0ELb0ELb0ES3_PKS6_PS6_S6_ZZZN2at6native31launch_logcumsumexp_cuda_kernelERKNSD_10TensorBaseESH_lENKUlvE_clEvENKUlvE4_clEvEUlS6_S6_E_S6_EEDaPvRmT3_T4_T5_mT6_P12ihipStream_tbENKUlT_T0_E_clISt17integral_constantIbLb1EESY_EEDaST_SU_EUlST_E_NS1_11comp_targetILNS1_3genE9ELNS1_11target_archE1100ELNS1_3gpuE3ELNS1_3repE0EEENS1_30default_config_static_selectorELNS0_4arch9wavefront6targetE1EEEvT1_
    .private_segment_fixed_size: 0
    .sgpr_count:     6
    .sgpr_spill_count: 0
    .symbol:         _ZN7rocprim17ROCPRIM_400000_NS6detail17trampoline_kernelINS0_14default_configENS1_20scan_config_selectorIN3c108BFloat16EEEZZNS1_9scan_implILNS1_25lookback_scan_determinismE0ELb0ELb0ES3_PKS6_PS6_S6_ZZZN2at6native31launch_logcumsumexp_cuda_kernelERKNSD_10TensorBaseESH_lENKUlvE_clEvENKUlvE4_clEvEUlS6_S6_E_S6_EEDaPvRmT3_T4_T5_mT6_P12ihipStream_tbENKUlT_T0_E_clISt17integral_constantIbLb1EESY_EEDaST_SU_EUlST_E_NS1_11comp_targetILNS1_3genE9ELNS1_11target_archE1100ELNS1_3gpuE3ELNS1_3repE0EEENS1_30default_config_static_selectorELNS0_4arch9wavefront6targetE1EEEvT1_.kd
    .uniform_work_group_size: 1
    .uses_dynamic_stack: false
    .vgpr_count:     0
    .vgpr_spill_count: 0
    .wavefront_size: 64
  - .agpr_count:     0
    .args:
      - .offset:         0
        .size:           96
        .value_kind:     by_value
    .group_segment_fixed_size: 0
    .kernarg_segment_align: 8
    .kernarg_segment_size: 96
    .language:       OpenCL C
    .language_version:
      - 2
      - 0
    .max_flat_workgroup_size: 64
    .name:           _ZN7rocprim17ROCPRIM_400000_NS6detail17trampoline_kernelINS0_14default_configENS1_20scan_config_selectorIN3c108BFloat16EEEZZNS1_9scan_implILNS1_25lookback_scan_determinismE0ELb0ELb0ES3_PKS6_PS6_S6_ZZZN2at6native31launch_logcumsumexp_cuda_kernelERKNSD_10TensorBaseESH_lENKUlvE_clEvENKUlvE4_clEvEUlS6_S6_E_S6_EEDaPvRmT3_T4_T5_mT6_P12ihipStream_tbENKUlT_T0_E_clISt17integral_constantIbLb1EESY_EEDaST_SU_EUlST_E_NS1_11comp_targetILNS1_3genE8ELNS1_11target_archE1030ELNS1_3gpuE2ELNS1_3repE0EEENS1_30default_config_static_selectorELNS0_4arch9wavefront6targetE1EEEvT1_
    .private_segment_fixed_size: 0
    .sgpr_count:     6
    .sgpr_spill_count: 0
    .symbol:         _ZN7rocprim17ROCPRIM_400000_NS6detail17trampoline_kernelINS0_14default_configENS1_20scan_config_selectorIN3c108BFloat16EEEZZNS1_9scan_implILNS1_25lookback_scan_determinismE0ELb0ELb0ES3_PKS6_PS6_S6_ZZZN2at6native31launch_logcumsumexp_cuda_kernelERKNSD_10TensorBaseESH_lENKUlvE_clEvENKUlvE4_clEvEUlS6_S6_E_S6_EEDaPvRmT3_T4_T5_mT6_P12ihipStream_tbENKUlT_T0_E_clISt17integral_constantIbLb1EESY_EEDaST_SU_EUlST_E_NS1_11comp_targetILNS1_3genE8ELNS1_11target_archE1030ELNS1_3gpuE2ELNS1_3repE0EEENS1_30default_config_static_selectorELNS0_4arch9wavefront6targetE1EEEvT1_.kd
    .uniform_work_group_size: 1
    .uses_dynamic_stack: false
    .vgpr_count:     0
    .vgpr_spill_count: 0
    .wavefront_size: 64
  - .agpr_count:     0
    .args:
      - .offset:         0
        .size:           32
        .value_kind:     by_value
    .group_segment_fixed_size: 0
    .kernarg_segment_align: 8
    .kernarg_segment_size: 32
    .language:       OpenCL C
    .language_version:
      - 2
      - 0
    .max_flat_workgroup_size: 128
    .name:           _ZN7rocprim17ROCPRIM_400000_NS6detail17trampoline_kernelINS0_14default_configENS1_20scan_config_selectorIN3c108BFloat16EEEZZNS1_9scan_implILNS1_25lookback_scan_determinismE0ELb0ELb0ES3_PKS6_PS6_S6_ZZZN2at6native31launch_logcumsumexp_cuda_kernelERKNSD_10TensorBaseESH_lENKUlvE_clEvENKUlvE4_clEvEUlS6_S6_E_S6_EEDaPvRmT3_T4_T5_mT6_P12ihipStream_tbENKUlT_T0_E_clISt17integral_constantIbLb1EESY_EEDaST_SU_EUlST_E0_NS1_11comp_targetILNS1_3genE0ELNS1_11target_archE4294967295ELNS1_3gpuE0ELNS1_3repE0EEENS1_30default_config_static_selectorELNS0_4arch9wavefront6targetE1EEEvT1_
    .private_segment_fixed_size: 0
    .sgpr_count:     6
    .sgpr_spill_count: 0
    .symbol:         _ZN7rocprim17ROCPRIM_400000_NS6detail17trampoline_kernelINS0_14default_configENS1_20scan_config_selectorIN3c108BFloat16EEEZZNS1_9scan_implILNS1_25lookback_scan_determinismE0ELb0ELb0ES3_PKS6_PS6_S6_ZZZN2at6native31launch_logcumsumexp_cuda_kernelERKNSD_10TensorBaseESH_lENKUlvE_clEvENKUlvE4_clEvEUlS6_S6_E_S6_EEDaPvRmT3_T4_T5_mT6_P12ihipStream_tbENKUlT_T0_E_clISt17integral_constantIbLb1EESY_EEDaST_SU_EUlST_E0_NS1_11comp_targetILNS1_3genE0ELNS1_11target_archE4294967295ELNS1_3gpuE0ELNS1_3repE0EEENS1_30default_config_static_selectorELNS0_4arch9wavefront6targetE1EEEvT1_.kd
    .uniform_work_group_size: 1
    .uses_dynamic_stack: false
    .vgpr_count:     0
    .vgpr_spill_count: 0
    .wavefront_size: 64
  - .agpr_count:     0
    .args:
      - .offset:         0
        .size:           32
        .value_kind:     by_value
    .group_segment_fixed_size: 12288
    .kernarg_segment_align: 8
    .kernarg_segment_size: 32
    .language:       OpenCL C
    .language_version:
      - 2
      - 0
    .max_flat_workgroup_size: 256
    .name:           _ZN7rocprim17ROCPRIM_400000_NS6detail17trampoline_kernelINS0_14default_configENS1_20scan_config_selectorIN3c108BFloat16EEEZZNS1_9scan_implILNS1_25lookback_scan_determinismE0ELb0ELb0ES3_PKS6_PS6_S6_ZZZN2at6native31launch_logcumsumexp_cuda_kernelERKNSD_10TensorBaseESH_lENKUlvE_clEvENKUlvE4_clEvEUlS6_S6_E_S6_EEDaPvRmT3_T4_T5_mT6_P12ihipStream_tbENKUlT_T0_E_clISt17integral_constantIbLb1EESY_EEDaST_SU_EUlST_E0_NS1_11comp_targetILNS1_3genE5ELNS1_11target_archE942ELNS1_3gpuE9ELNS1_3repE0EEENS1_30default_config_static_selectorELNS0_4arch9wavefront6targetE1EEEvT1_
    .private_segment_fixed_size: 0
    .sgpr_count:     106
    .sgpr_spill_count: 8
    .symbol:         _ZN7rocprim17ROCPRIM_400000_NS6detail17trampoline_kernelINS0_14default_configENS1_20scan_config_selectorIN3c108BFloat16EEEZZNS1_9scan_implILNS1_25lookback_scan_determinismE0ELb0ELb0ES3_PKS6_PS6_S6_ZZZN2at6native31launch_logcumsumexp_cuda_kernelERKNSD_10TensorBaseESH_lENKUlvE_clEvENKUlvE4_clEvEUlS6_S6_E_S6_EEDaPvRmT3_T4_T5_mT6_P12ihipStream_tbENKUlT_T0_E_clISt17integral_constantIbLb1EESY_EEDaST_SU_EUlST_E0_NS1_11comp_targetILNS1_3genE5ELNS1_11target_archE942ELNS1_3gpuE9ELNS1_3repE0EEENS1_30default_config_static_selectorELNS0_4arch9wavefront6targetE1EEEvT1_.kd
    .uniform_work_group_size: 1
    .uses_dynamic_stack: false
    .vgpr_count:     78
    .vgpr_spill_count: 0
    .wavefront_size: 64
  - .agpr_count:     0
    .args:
      - .offset:         0
        .size:           32
        .value_kind:     by_value
    .group_segment_fixed_size: 0
    .kernarg_segment_align: 8
    .kernarg_segment_size: 32
    .language:       OpenCL C
    .language_version:
      - 2
      - 0
    .max_flat_workgroup_size: 64
    .name:           _ZN7rocprim17ROCPRIM_400000_NS6detail17trampoline_kernelINS0_14default_configENS1_20scan_config_selectorIN3c108BFloat16EEEZZNS1_9scan_implILNS1_25lookback_scan_determinismE0ELb0ELb0ES3_PKS6_PS6_S6_ZZZN2at6native31launch_logcumsumexp_cuda_kernelERKNSD_10TensorBaseESH_lENKUlvE_clEvENKUlvE4_clEvEUlS6_S6_E_S6_EEDaPvRmT3_T4_T5_mT6_P12ihipStream_tbENKUlT_T0_E_clISt17integral_constantIbLb1EESY_EEDaST_SU_EUlST_E0_NS1_11comp_targetILNS1_3genE4ELNS1_11target_archE910ELNS1_3gpuE8ELNS1_3repE0EEENS1_30default_config_static_selectorELNS0_4arch9wavefront6targetE1EEEvT1_
    .private_segment_fixed_size: 0
    .sgpr_count:     6
    .sgpr_spill_count: 0
    .symbol:         _ZN7rocprim17ROCPRIM_400000_NS6detail17trampoline_kernelINS0_14default_configENS1_20scan_config_selectorIN3c108BFloat16EEEZZNS1_9scan_implILNS1_25lookback_scan_determinismE0ELb0ELb0ES3_PKS6_PS6_S6_ZZZN2at6native31launch_logcumsumexp_cuda_kernelERKNSD_10TensorBaseESH_lENKUlvE_clEvENKUlvE4_clEvEUlS6_S6_E_S6_EEDaPvRmT3_T4_T5_mT6_P12ihipStream_tbENKUlT_T0_E_clISt17integral_constantIbLb1EESY_EEDaST_SU_EUlST_E0_NS1_11comp_targetILNS1_3genE4ELNS1_11target_archE910ELNS1_3gpuE8ELNS1_3repE0EEENS1_30default_config_static_selectorELNS0_4arch9wavefront6targetE1EEEvT1_.kd
    .uniform_work_group_size: 1
    .uses_dynamic_stack: false
    .vgpr_count:     0
    .vgpr_spill_count: 0
    .wavefront_size: 64
  - .agpr_count:     0
    .args:
      - .offset:         0
        .size:           32
        .value_kind:     by_value
    .group_segment_fixed_size: 0
    .kernarg_segment_align: 8
    .kernarg_segment_size: 32
    .language:       OpenCL C
    .language_version:
      - 2
      - 0
    .max_flat_workgroup_size: 128
    .name:           _ZN7rocprim17ROCPRIM_400000_NS6detail17trampoline_kernelINS0_14default_configENS1_20scan_config_selectorIN3c108BFloat16EEEZZNS1_9scan_implILNS1_25lookback_scan_determinismE0ELb0ELb0ES3_PKS6_PS6_S6_ZZZN2at6native31launch_logcumsumexp_cuda_kernelERKNSD_10TensorBaseESH_lENKUlvE_clEvENKUlvE4_clEvEUlS6_S6_E_S6_EEDaPvRmT3_T4_T5_mT6_P12ihipStream_tbENKUlT_T0_E_clISt17integral_constantIbLb1EESY_EEDaST_SU_EUlST_E0_NS1_11comp_targetILNS1_3genE3ELNS1_11target_archE908ELNS1_3gpuE7ELNS1_3repE0EEENS1_30default_config_static_selectorELNS0_4arch9wavefront6targetE1EEEvT1_
    .private_segment_fixed_size: 0
    .sgpr_count:     6
    .sgpr_spill_count: 0
    .symbol:         _ZN7rocprim17ROCPRIM_400000_NS6detail17trampoline_kernelINS0_14default_configENS1_20scan_config_selectorIN3c108BFloat16EEEZZNS1_9scan_implILNS1_25lookback_scan_determinismE0ELb0ELb0ES3_PKS6_PS6_S6_ZZZN2at6native31launch_logcumsumexp_cuda_kernelERKNSD_10TensorBaseESH_lENKUlvE_clEvENKUlvE4_clEvEUlS6_S6_E_S6_EEDaPvRmT3_T4_T5_mT6_P12ihipStream_tbENKUlT_T0_E_clISt17integral_constantIbLb1EESY_EEDaST_SU_EUlST_E0_NS1_11comp_targetILNS1_3genE3ELNS1_11target_archE908ELNS1_3gpuE7ELNS1_3repE0EEENS1_30default_config_static_selectorELNS0_4arch9wavefront6targetE1EEEvT1_.kd
    .uniform_work_group_size: 1
    .uses_dynamic_stack: false
    .vgpr_count:     0
    .vgpr_spill_count: 0
    .wavefront_size: 64
  - .agpr_count:     0
    .args:
      - .offset:         0
        .size:           32
        .value_kind:     by_value
    .group_segment_fixed_size: 0
    .kernarg_segment_align: 8
    .kernarg_segment_size: 32
    .language:       OpenCL C
    .language_version:
      - 2
      - 0
    .max_flat_workgroup_size: 256
    .name:           _ZN7rocprim17ROCPRIM_400000_NS6detail17trampoline_kernelINS0_14default_configENS1_20scan_config_selectorIN3c108BFloat16EEEZZNS1_9scan_implILNS1_25lookback_scan_determinismE0ELb0ELb0ES3_PKS6_PS6_S6_ZZZN2at6native31launch_logcumsumexp_cuda_kernelERKNSD_10TensorBaseESH_lENKUlvE_clEvENKUlvE4_clEvEUlS6_S6_E_S6_EEDaPvRmT3_T4_T5_mT6_P12ihipStream_tbENKUlT_T0_E_clISt17integral_constantIbLb1EESY_EEDaST_SU_EUlST_E0_NS1_11comp_targetILNS1_3genE2ELNS1_11target_archE906ELNS1_3gpuE6ELNS1_3repE0EEENS1_30default_config_static_selectorELNS0_4arch9wavefront6targetE1EEEvT1_
    .private_segment_fixed_size: 0
    .sgpr_count:     6
    .sgpr_spill_count: 0
    .symbol:         _ZN7rocprim17ROCPRIM_400000_NS6detail17trampoline_kernelINS0_14default_configENS1_20scan_config_selectorIN3c108BFloat16EEEZZNS1_9scan_implILNS1_25lookback_scan_determinismE0ELb0ELb0ES3_PKS6_PS6_S6_ZZZN2at6native31launch_logcumsumexp_cuda_kernelERKNSD_10TensorBaseESH_lENKUlvE_clEvENKUlvE4_clEvEUlS6_S6_E_S6_EEDaPvRmT3_T4_T5_mT6_P12ihipStream_tbENKUlT_T0_E_clISt17integral_constantIbLb1EESY_EEDaST_SU_EUlST_E0_NS1_11comp_targetILNS1_3genE2ELNS1_11target_archE906ELNS1_3gpuE6ELNS1_3repE0EEENS1_30default_config_static_selectorELNS0_4arch9wavefront6targetE1EEEvT1_.kd
    .uniform_work_group_size: 1
    .uses_dynamic_stack: false
    .vgpr_count:     0
    .vgpr_spill_count: 0
    .wavefront_size: 64
  - .agpr_count:     0
    .args:
      - .offset:         0
        .size:           32
        .value_kind:     by_value
    .group_segment_fixed_size: 0
    .kernarg_segment_align: 8
    .kernarg_segment_size: 32
    .language:       OpenCL C
    .language_version:
      - 2
      - 0
    .max_flat_workgroup_size: 256
    .name:           _ZN7rocprim17ROCPRIM_400000_NS6detail17trampoline_kernelINS0_14default_configENS1_20scan_config_selectorIN3c108BFloat16EEEZZNS1_9scan_implILNS1_25lookback_scan_determinismE0ELb0ELb0ES3_PKS6_PS6_S6_ZZZN2at6native31launch_logcumsumexp_cuda_kernelERKNSD_10TensorBaseESH_lENKUlvE_clEvENKUlvE4_clEvEUlS6_S6_E_S6_EEDaPvRmT3_T4_T5_mT6_P12ihipStream_tbENKUlT_T0_E_clISt17integral_constantIbLb1EESY_EEDaST_SU_EUlST_E0_NS1_11comp_targetILNS1_3genE10ELNS1_11target_archE1201ELNS1_3gpuE5ELNS1_3repE0EEENS1_30default_config_static_selectorELNS0_4arch9wavefront6targetE1EEEvT1_
    .private_segment_fixed_size: 0
    .sgpr_count:     6
    .sgpr_spill_count: 0
    .symbol:         _ZN7rocprim17ROCPRIM_400000_NS6detail17trampoline_kernelINS0_14default_configENS1_20scan_config_selectorIN3c108BFloat16EEEZZNS1_9scan_implILNS1_25lookback_scan_determinismE0ELb0ELb0ES3_PKS6_PS6_S6_ZZZN2at6native31launch_logcumsumexp_cuda_kernelERKNSD_10TensorBaseESH_lENKUlvE_clEvENKUlvE4_clEvEUlS6_S6_E_S6_EEDaPvRmT3_T4_T5_mT6_P12ihipStream_tbENKUlT_T0_E_clISt17integral_constantIbLb1EESY_EEDaST_SU_EUlST_E0_NS1_11comp_targetILNS1_3genE10ELNS1_11target_archE1201ELNS1_3gpuE5ELNS1_3repE0EEENS1_30default_config_static_selectorELNS0_4arch9wavefront6targetE1EEEvT1_.kd
    .uniform_work_group_size: 1
    .uses_dynamic_stack: false
    .vgpr_count:     0
    .vgpr_spill_count: 0
    .wavefront_size: 64
  - .agpr_count:     0
    .args:
      - .offset:         0
        .size:           32
        .value_kind:     by_value
    .group_segment_fixed_size: 0
    .kernarg_segment_align: 8
    .kernarg_segment_size: 32
    .language:       OpenCL C
    .language_version:
      - 2
      - 0
    .max_flat_workgroup_size: 256
    .name:           _ZN7rocprim17ROCPRIM_400000_NS6detail17trampoline_kernelINS0_14default_configENS1_20scan_config_selectorIN3c108BFloat16EEEZZNS1_9scan_implILNS1_25lookback_scan_determinismE0ELb0ELb0ES3_PKS6_PS6_S6_ZZZN2at6native31launch_logcumsumexp_cuda_kernelERKNSD_10TensorBaseESH_lENKUlvE_clEvENKUlvE4_clEvEUlS6_S6_E_S6_EEDaPvRmT3_T4_T5_mT6_P12ihipStream_tbENKUlT_T0_E_clISt17integral_constantIbLb1EESY_EEDaST_SU_EUlST_E0_NS1_11comp_targetILNS1_3genE10ELNS1_11target_archE1200ELNS1_3gpuE4ELNS1_3repE0EEENS1_30default_config_static_selectorELNS0_4arch9wavefront6targetE1EEEvT1_
    .private_segment_fixed_size: 0
    .sgpr_count:     6
    .sgpr_spill_count: 0
    .symbol:         _ZN7rocprim17ROCPRIM_400000_NS6detail17trampoline_kernelINS0_14default_configENS1_20scan_config_selectorIN3c108BFloat16EEEZZNS1_9scan_implILNS1_25lookback_scan_determinismE0ELb0ELb0ES3_PKS6_PS6_S6_ZZZN2at6native31launch_logcumsumexp_cuda_kernelERKNSD_10TensorBaseESH_lENKUlvE_clEvENKUlvE4_clEvEUlS6_S6_E_S6_EEDaPvRmT3_T4_T5_mT6_P12ihipStream_tbENKUlT_T0_E_clISt17integral_constantIbLb1EESY_EEDaST_SU_EUlST_E0_NS1_11comp_targetILNS1_3genE10ELNS1_11target_archE1200ELNS1_3gpuE4ELNS1_3repE0EEENS1_30default_config_static_selectorELNS0_4arch9wavefront6targetE1EEEvT1_.kd
    .uniform_work_group_size: 1
    .uses_dynamic_stack: false
    .vgpr_count:     0
    .vgpr_spill_count: 0
    .wavefront_size: 64
  - .agpr_count:     0
    .args:
      - .offset:         0
        .size:           32
        .value_kind:     by_value
    .group_segment_fixed_size: 0
    .kernarg_segment_align: 8
    .kernarg_segment_size: 32
    .language:       OpenCL C
    .language_version:
      - 2
      - 0
    .max_flat_workgroup_size: 64
    .name:           _ZN7rocprim17ROCPRIM_400000_NS6detail17trampoline_kernelINS0_14default_configENS1_20scan_config_selectorIN3c108BFloat16EEEZZNS1_9scan_implILNS1_25lookback_scan_determinismE0ELb0ELb0ES3_PKS6_PS6_S6_ZZZN2at6native31launch_logcumsumexp_cuda_kernelERKNSD_10TensorBaseESH_lENKUlvE_clEvENKUlvE4_clEvEUlS6_S6_E_S6_EEDaPvRmT3_T4_T5_mT6_P12ihipStream_tbENKUlT_T0_E_clISt17integral_constantIbLb1EESY_EEDaST_SU_EUlST_E0_NS1_11comp_targetILNS1_3genE9ELNS1_11target_archE1100ELNS1_3gpuE3ELNS1_3repE0EEENS1_30default_config_static_selectorELNS0_4arch9wavefront6targetE1EEEvT1_
    .private_segment_fixed_size: 0
    .sgpr_count:     6
    .sgpr_spill_count: 0
    .symbol:         _ZN7rocprim17ROCPRIM_400000_NS6detail17trampoline_kernelINS0_14default_configENS1_20scan_config_selectorIN3c108BFloat16EEEZZNS1_9scan_implILNS1_25lookback_scan_determinismE0ELb0ELb0ES3_PKS6_PS6_S6_ZZZN2at6native31launch_logcumsumexp_cuda_kernelERKNSD_10TensorBaseESH_lENKUlvE_clEvENKUlvE4_clEvEUlS6_S6_E_S6_EEDaPvRmT3_T4_T5_mT6_P12ihipStream_tbENKUlT_T0_E_clISt17integral_constantIbLb1EESY_EEDaST_SU_EUlST_E0_NS1_11comp_targetILNS1_3genE9ELNS1_11target_archE1100ELNS1_3gpuE3ELNS1_3repE0EEENS1_30default_config_static_selectorELNS0_4arch9wavefront6targetE1EEEvT1_.kd
    .uniform_work_group_size: 1
    .uses_dynamic_stack: false
    .vgpr_count:     0
    .vgpr_spill_count: 0
    .wavefront_size: 64
  - .agpr_count:     0
    .args:
      - .offset:         0
        .size:           32
        .value_kind:     by_value
    .group_segment_fixed_size: 0
    .kernarg_segment_align: 8
    .kernarg_segment_size: 32
    .language:       OpenCL C
    .language_version:
      - 2
      - 0
    .max_flat_workgroup_size: 64
    .name:           _ZN7rocprim17ROCPRIM_400000_NS6detail17trampoline_kernelINS0_14default_configENS1_20scan_config_selectorIN3c108BFloat16EEEZZNS1_9scan_implILNS1_25lookback_scan_determinismE0ELb0ELb0ES3_PKS6_PS6_S6_ZZZN2at6native31launch_logcumsumexp_cuda_kernelERKNSD_10TensorBaseESH_lENKUlvE_clEvENKUlvE4_clEvEUlS6_S6_E_S6_EEDaPvRmT3_T4_T5_mT6_P12ihipStream_tbENKUlT_T0_E_clISt17integral_constantIbLb1EESY_EEDaST_SU_EUlST_E0_NS1_11comp_targetILNS1_3genE8ELNS1_11target_archE1030ELNS1_3gpuE2ELNS1_3repE0EEENS1_30default_config_static_selectorELNS0_4arch9wavefront6targetE1EEEvT1_
    .private_segment_fixed_size: 0
    .sgpr_count:     6
    .sgpr_spill_count: 0
    .symbol:         _ZN7rocprim17ROCPRIM_400000_NS6detail17trampoline_kernelINS0_14default_configENS1_20scan_config_selectorIN3c108BFloat16EEEZZNS1_9scan_implILNS1_25lookback_scan_determinismE0ELb0ELb0ES3_PKS6_PS6_S6_ZZZN2at6native31launch_logcumsumexp_cuda_kernelERKNSD_10TensorBaseESH_lENKUlvE_clEvENKUlvE4_clEvEUlS6_S6_E_S6_EEDaPvRmT3_T4_T5_mT6_P12ihipStream_tbENKUlT_T0_E_clISt17integral_constantIbLb1EESY_EEDaST_SU_EUlST_E0_NS1_11comp_targetILNS1_3genE8ELNS1_11target_archE1030ELNS1_3gpuE2ELNS1_3repE0EEENS1_30default_config_static_selectorELNS0_4arch9wavefront6targetE1EEEvT1_.kd
    .uniform_work_group_size: 1
    .uses_dynamic_stack: false
    .vgpr_count:     0
    .vgpr_spill_count: 0
    .wavefront_size: 64
  - .agpr_count:     0
    .args:
      - .address_space:  global
        .offset:         0
        .size:           8
        .value_kind:     global_buffer
      - .offset:         8
        .size:           4
        .value_kind:     by_value
      - .offset:         12
        .size:           1
        .value_kind:     by_value
      - .offset:         16
        .size:           4
        .value_kind:     by_value
      - .address_space:  global
        .offset:         24
        .size:           8
        .value_kind:     global_buffer
      - .offset:         32
        .size:           4
        .value_kind:     hidden_block_count_x
      - .offset:         36
        .size:           4
        .value_kind:     hidden_block_count_y
      - .offset:         40
        .size:           4
        .value_kind:     hidden_block_count_z
      - .offset:         44
        .size:           2
        .value_kind:     hidden_group_size_x
      - .offset:         46
        .size:           2
        .value_kind:     hidden_group_size_y
      - .offset:         48
        .size:           2
        .value_kind:     hidden_group_size_z
      - .offset:         50
        .size:           2
        .value_kind:     hidden_remainder_x
      - .offset:         52
        .size:           2
        .value_kind:     hidden_remainder_y
      - .offset:         54
        .size:           2
        .value_kind:     hidden_remainder_z
      - .offset:         72
        .size:           8
        .value_kind:     hidden_global_offset_x
      - .offset:         80
        .size:           8
        .value_kind:     hidden_global_offset_y
      - .offset:         88
        .size:           8
        .value_kind:     hidden_global_offset_z
      - .offset:         96
        .size:           2
        .value_kind:     hidden_grid_dims
    .group_segment_fixed_size: 0
    .kernarg_segment_align: 8
    .kernarg_segment_size: 288
    .language:       OpenCL C
    .language_version:
      - 2
      - 0
    .max_flat_workgroup_size: 256
    .name:           _ZN7rocprim17ROCPRIM_400000_NS6detail31init_lookback_scan_state_kernelINS1_19lookback_scan_stateIN3c108BFloat16ELb1ELb1EEENS1_16block_id_wrapperIjLb0EEEEEvT_jT0_jPNS9_10value_typeE
    .private_segment_fixed_size: 0
    .sgpr_count:     18
    .sgpr_spill_count: 0
    .symbol:         _ZN7rocprim17ROCPRIM_400000_NS6detail31init_lookback_scan_state_kernelINS1_19lookback_scan_stateIN3c108BFloat16ELb1ELb1EEENS1_16block_id_wrapperIjLb0EEEEEvT_jT0_jPNS9_10value_typeE.kd
    .uniform_work_group_size: 1
    .uses_dynamic_stack: false
    .vgpr_count:     6
    .vgpr_spill_count: 0
    .wavefront_size: 64
  - .agpr_count:     0
    .args:
      - .offset:         0
        .size:           96
        .value_kind:     by_value
    .group_segment_fixed_size: 0
    .kernarg_segment_align: 8
    .kernarg_segment_size: 96
    .language:       OpenCL C
    .language_version:
      - 2
      - 0
    .max_flat_workgroup_size: 128
    .name:           _ZN7rocprim17ROCPRIM_400000_NS6detail17trampoline_kernelINS0_14default_configENS1_20scan_config_selectorIN3c108BFloat16EEEZZNS1_9scan_implILNS1_25lookback_scan_determinismE0ELb0ELb0ES3_PKS6_PS6_S6_ZZZN2at6native31launch_logcumsumexp_cuda_kernelERKNSD_10TensorBaseESH_lENKUlvE_clEvENKUlvE4_clEvEUlS6_S6_E_S6_EEDaPvRmT3_T4_T5_mT6_P12ihipStream_tbENKUlT_T0_E_clISt17integral_constantIbLb1EESX_IbLb0EEEEDaST_SU_EUlST_E_NS1_11comp_targetILNS1_3genE0ELNS1_11target_archE4294967295ELNS1_3gpuE0ELNS1_3repE0EEENS1_30default_config_static_selectorELNS0_4arch9wavefront6targetE1EEEvT1_
    .private_segment_fixed_size: 0
    .sgpr_count:     6
    .sgpr_spill_count: 0
    .symbol:         _ZN7rocprim17ROCPRIM_400000_NS6detail17trampoline_kernelINS0_14default_configENS1_20scan_config_selectorIN3c108BFloat16EEEZZNS1_9scan_implILNS1_25lookback_scan_determinismE0ELb0ELb0ES3_PKS6_PS6_S6_ZZZN2at6native31launch_logcumsumexp_cuda_kernelERKNSD_10TensorBaseESH_lENKUlvE_clEvENKUlvE4_clEvEUlS6_S6_E_S6_EEDaPvRmT3_T4_T5_mT6_P12ihipStream_tbENKUlT_T0_E_clISt17integral_constantIbLb1EESX_IbLb0EEEEDaST_SU_EUlST_E_NS1_11comp_targetILNS1_3genE0ELNS1_11target_archE4294967295ELNS1_3gpuE0ELNS1_3repE0EEENS1_30default_config_static_selectorELNS0_4arch9wavefront6targetE1EEEvT1_.kd
    .uniform_work_group_size: 1
    .uses_dynamic_stack: false
    .vgpr_count:     0
    .vgpr_spill_count: 0
    .wavefront_size: 64
  - .agpr_count:     0
    .args:
      - .offset:         0
        .size:           96
        .value_kind:     by_value
      - .offset:         96
        .size:           4
        .value_kind:     hidden_block_count_x
      - .offset:         100
        .size:           4
        .value_kind:     hidden_block_count_y
      - .offset:         104
        .size:           4
        .value_kind:     hidden_block_count_z
      - .offset:         108
        .size:           2
        .value_kind:     hidden_group_size_x
      - .offset:         110
        .size:           2
        .value_kind:     hidden_group_size_y
      - .offset:         112
        .size:           2
        .value_kind:     hidden_group_size_z
      - .offset:         114
        .size:           2
        .value_kind:     hidden_remainder_x
      - .offset:         116
        .size:           2
        .value_kind:     hidden_remainder_y
      - .offset:         118
        .size:           2
        .value_kind:     hidden_remainder_z
      - .offset:         136
        .size:           8
        .value_kind:     hidden_global_offset_x
      - .offset:         144
        .size:           8
        .value_kind:     hidden_global_offset_y
      - .offset:         152
        .size:           8
        .value_kind:     hidden_global_offset_z
      - .offset:         160
        .size:           2
        .value_kind:     hidden_grid_dims
    .group_segment_fixed_size: 12288
    .kernarg_segment_align: 8
    .kernarg_segment_size: 352
    .language:       OpenCL C
    .language_version:
      - 2
      - 0
    .max_flat_workgroup_size: 256
    .name:           _ZN7rocprim17ROCPRIM_400000_NS6detail17trampoline_kernelINS0_14default_configENS1_20scan_config_selectorIN3c108BFloat16EEEZZNS1_9scan_implILNS1_25lookback_scan_determinismE0ELb0ELb0ES3_PKS6_PS6_S6_ZZZN2at6native31launch_logcumsumexp_cuda_kernelERKNSD_10TensorBaseESH_lENKUlvE_clEvENKUlvE4_clEvEUlS6_S6_E_S6_EEDaPvRmT3_T4_T5_mT6_P12ihipStream_tbENKUlT_T0_E_clISt17integral_constantIbLb1EESX_IbLb0EEEEDaST_SU_EUlST_E_NS1_11comp_targetILNS1_3genE5ELNS1_11target_archE942ELNS1_3gpuE9ELNS1_3repE0EEENS1_30default_config_static_selectorELNS0_4arch9wavefront6targetE1EEEvT1_
    .private_segment_fixed_size: 120
    .sgpr_count:     80
    .sgpr_spill_count: 0
    .symbol:         _ZN7rocprim17ROCPRIM_400000_NS6detail17trampoline_kernelINS0_14default_configENS1_20scan_config_selectorIN3c108BFloat16EEEZZNS1_9scan_implILNS1_25lookback_scan_determinismE0ELb0ELb0ES3_PKS6_PS6_S6_ZZZN2at6native31launch_logcumsumexp_cuda_kernelERKNSD_10TensorBaseESH_lENKUlvE_clEvENKUlvE4_clEvEUlS6_S6_E_S6_EEDaPvRmT3_T4_T5_mT6_P12ihipStream_tbENKUlT_T0_E_clISt17integral_constantIbLb1EESX_IbLb0EEEEDaST_SU_EUlST_E_NS1_11comp_targetILNS1_3genE5ELNS1_11target_archE942ELNS1_3gpuE9ELNS1_3repE0EEENS1_30default_config_static_selectorELNS0_4arch9wavefront6targetE1EEEvT1_.kd
    .uniform_work_group_size: 1
    .uses_dynamic_stack: false
    .vgpr_count:     214
    .vgpr_spill_count: 0
    .wavefront_size: 64
  - .agpr_count:     0
    .args:
      - .offset:         0
        .size:           96
        .value_kind:     by_value
    .group_segment_fixed_size: 0
    .kernarg_segment_align: 8
    .kernarg_segment_size: 96
    .language:       OpenCL C
    .language_version:
      - 2
      - 0
    .max_flat_workgroup_size: 64
    .name:           _ZN7rocprim17ROCPRIM_400000_NS6detail17trampoline_kernelINS0_14default_configENS1_20scan_config_selectorIN3c108BFloat16EEEZZNS1_9scan_implILNS1_25lookback_scan_determinismE0ELb0ELb0ES3_PKS6_PS6_S6_ZZZN2at6native31launch_logcumsumexp_cuda_kernelERKNSD_10TensorBaseESH_lENKUlvE_clEvENKUlvE4_clEvEUlS6_S6_E_S6_EEDaPvRmT3_T4_T5_mT6_P12ihipStream_tbENKUlT_T0_E_clISt17integral_constantIbLb1EESX_IbLb0EEEEDaST_SU_EUlST_E_NS1_11comp_targetILNS1_3genE4ELNS1_11target_archE910ELNS1_3gpuE8ELNS1_3repE0EEENS1_30default_config_static_selectorELNS0_4arch9wavefront6targetE1EEEvT1_
    .private_segment_fixed_size: 0
    .sgpr_count:     6
    .sgpr_spill_count: 0
    .symbol:         _ZN7rocprim17ROCPRIM_400000_NS6detail17trampoline_kernelINS0_14default_configENS1_20scan_config_selectorIN3c108BFloat16EEEZZNS1_9scan_implILNS1_25lookback_scan_determinismE0ELb0ELb0ES3_PKS6_PS6_S6_ZZZN2at6native31launch_logcumsumexp_cuda_kernelERKNSD_10TensorBaseESH_lENKUlvE_clEvENKUlvE4_clEvEUlS6_S6_E_S6_EEDaPvRmT3_T4_T5_mT6_P12ihipStream_tbENKUlT_T0_E_clISt17integral_constantIbLb1EESX_IbLb0EEEEDaST_SU_EUlST_E_NS1_11comp_targetILNS1_3genE4ELNS1_11target_archE910ELNS1_3gpuE8ELNS1_3repE0EEENS1_30default_config_static_selectorELNS0_4arch9wavefront6targetE1EEEvT1_.kd
    .uniform_work_group_size: 1
    .uses_dynamic_stack: false
    .vgpr_count:     0
    .vgpr_spill_count: 0
    .wavefront_size: 64
  - .agpr_count:     0
    .args:
      - .offset:         0
        .size:           96
        .value_kind:     by_value
    .group_segment_fixed_size: 0
    .kernarg_segment_align: 8
    .kernarg_segment_size: 96
    .language:       OpenCL C
    .language_version:
      - 2
      - 0
    .max_flat_workgroup_size: 128
    .name:           _ZN7rocprim17ROCPRIM_400000_NS6detail17trampoline_kernelINS0_14default_configENS1_20scan_config_selectorIN3c108BFloat16EEEZZNS1_9scan_implILNS1_25lookback_scan_determinismE0ELb0ELb0ES3_PKS6_PS6_S6_ZZZN2at6native31launch_logcumsumexp_cuda_kernelERKNSD_10TensorBaseESH_lENKUlvE_clEvENKUlvE4_clEvEUlS6_S6_E_S6_EEDaPvRmT3_T4_T5_mT6_P12ihipStream_tbENKUlT_T0_E_clISt17integral_constantIbLb1EESX_IbLb0EEEEDaST_SU_EUlST_E_NS1_11comp_targetILNS1_3genE3ELNS1_11target_archE908ELNS1_3gpuE7ELNS1_3repE0EEENS1_30default_config_static_selectorELNS0_4arch9wavefront6targetE1EEEvT1_
    .private_segment_fixed_size: 0
    .sgpr_count:     6
    .sgpr_spill_count: 0
    .symbol:         _ZN7rocprim17ROCPRIM_400000_NS6detail17trampoline_kernelINS0_14default_configENS1_20scan_config_selectorIN3c108BFloat16EEEZZNS1_9scan_implILNS1_25lookback_scan_determinismE0ELb0ELb0ES3_PKS6_PS6_S6_ZZZN2at6native31launch_logcumsumexp_cuda_kernelERKNSD_10TensorBaseESH_lENKUlvE_clEvENKUlvE4_clEvEUlS6_S6_E_S6_EEDaPvRmT3_T4_T5_mT6_P12ihipStream_tbENKUlT_T0_E_clISt17integral_constantIbLb1EESX_IbLb0EEEEDaST_SU_EUlST_E_NS1_11comp_targetILNS1_3genE3ELNS1_11target_archE908ELNS1_3gpuE7ELNS1_3repE0EEENS1_30default_config_static_selectorELNS0_4arch9wavefront6targetE1EEEvT1_.kd
    .uniform_work_group_size: 1
    .uses_dynamic_stack: false
    .vgpr_count:     0
    .vgpr_spill_count: 0
    .wavefront_size: 64
  - .agpr_count:     0
    .args:
      - .offset:         0
        .size:           96
        .value_kind:     by_value
    .group_segment_fixed_size: 0
    .kernarg_segment_align: 8
    .kernarg_segment_size: 96
    .language:       OpenCL C
    .language_version:
      - 2
      - 0
    .max_flat_workgroup_size: 256
    .name:           _ZN7rocprim17ROCPRIM_400000_NS6detail17trampoline_kernelINS0_14default_configENS1_20scan_config_selectorIN3c108BFloat16EEEZZNS1_9scan_implILNS1_25lookback_scan_determinismE0ELb0ELb0ES3_PKS6_PS6_S6_ZZZN2at6native31launch_logcumsumexp_cuda_kernelERKNSD_10TensorBaseESH_lENKUlvE_clEvENKUlvE4_clEvEUlS6_S6_E_S6_EEDaPvRmT3_T4_T5_mT6_P12ihipStream_tbENKUlT_T0_E_clISt17integral_constantIbLb1EESX_IbLb0EEEEDaST_SU_EUlST_E_NS1_11comp_targetILNS1_3genE2ELNS1_11target_archE906ELNS1_3gpuE6ELNS1_3repE0EEENS1_30default_config_static_selectorELNS0_4arch9wavefront6targetE1EEEvT1_
    .private_segment_fixed_size: 0
    .sgpr_count:     6
    .sgpr_spill_count: 0
    .symbol:         _ZN7rocprim17ROCPRIM_400000_NS6detail17trampoline_kernelINS0_14default_configENS1_20scan_config_selectorIN3c108BFloat16EEEZZNS1_9scan_implILNS1_25lookback_scan_determinismE0ELb0ELb0ES3_PKS6_PS6_S6_ZZZN2at6native31launch_logcumsumexp_cuda_kernelERKNSD_10TensorBaseESH_lENKUlvE_clEvENKUlvE4_clEvEUlS6_S6_E_S6_EEDaPvRmT3_T4_T5_mT6_P12ihipStream_tbENKUlT_T0_E_clISt17integral_constantIbLb1EESX_IbLb0EEEEDaST_SU_EUlST_E_NS1_11comp_targetILNS1_3genE2ELNS1_11target_archE906ELNS1_3gpuE6ELNS1_3repE0EEENS1_30default_config_static_selectorELNS0_4arch9wavefront6targetE1EEEvT1_.kd
    .uniform_work_group_size: 1
    .uses_dynamic_stack: false
    .vgpr_count:     0
    .vgpr_spill_count: 0
    .wavefront_size: 64
  - .agpr_count:     0
    .args:
      - .offset:         0
        .size:           96
        .value_kind:     by_value
    .group_segment_fixed_size: 0
    .kernarg_segment_align: 8
    .kernarg_segment_size: 96
    .language:       OpenCL C
    .language_version:
      - 2
      - 0
    .max_flat_workgroup_size: 256
    .name:           _ZN7rocprim17ROCPRIM_400000_NS6detail17trampoline_kernelINS0_14default_configENS1_20scan_config_selectorIN3c108BFloat16EEEZZNS1_9scan_implILNS1_25lookback_scan_determinismE0ELb0ELb0ES3_PKS6_PS6_S6_ZZZN2at6native31launch_logcumsumexp_cuda_kernelERKNSD_10TensorBaseESH_lENKUlvE_clEvENKUlvE4_clEvEUlS6_S6_E_S6_EEDaPvRmT3_T4_T5_mT6_P12ihipStream_tbENKUlT_T0_E_clISt17integral_constantIbLb1EESX_IbLb0EEEEDaST_SU_EUlST_E_NS1_11comp_targetILNS1_3genE10ELNS1_11target_archE1201ELNS1_3gpuE5ELNS1_3repE0EEENS1_30default_config_static_selectorELNS0_4arch9wavefront6targetE1EEEvT1_
    .private_segment_fixed_size: 0
    .sgpr_count:     6
    .sgpr_spill_count: 0
    .symbol:         _ZN7rocprim17ROCPRIM_400000_NS6detail17trampoline_kernelINS0_14default_configENS1_20scan_config_selectorIN3c108BFloat16EEEZZNS1_9scan_implILNS1_25lookback_scan_determinismE0ELb0ELb0ES3_PKS6_PS6_S6_ZZZN2at6native31launch_logcumsumexp_cuda_kernelERKNSD_10TensorBaseESH_lENKUlvE_clEvENKUlvE4_clEvEUlS6_S6_E_S6_EEDaPvRmT3_T4_T5_mT6_P12ihipStream_tbENKUlT_T0_E_clISt17integral_constantIbLb1EESX_IbLb0EEEEDaST_SU_EUlST_E_NS1_11comp_targetILNS1_3genE10ELNS1_11target_archE1201ELNS1_3gpuE5ELNS1_3repE0EEENS1_30default_config_static_selectorELNS0_4arch9wavefront6targetE1EEEvT1_.kd
    .uniform_work_group_size: 1
    .uses_dynamic_stack: false
    .vgpr_count:     0
    .vgpr_spill_count: 0
    .wavefront_size: 64
  - .agpr_count:     0
    .args:
      - .offset:         0
        .size:           96
        .value_kind:     by_value
    .group_segment_fixed_size: 0
    .kernarg_segment_align: 8
    .kernarg_segment_size: 96
    .language:       OpenCL C
    .language_version:
      - 2
      - 0
    .max_flat_workgroup_size: 256
    .name:           _ZN7rocprim17ROCPRIM_400000_NS6detail17trampoline_kernelINS0_14default_configENS1_20scan_config_selectorIN3c108BFloat16EEEZZNS1_9scan_implILNS1_25lookback_scan_determinismE0ELb0ELb0ES3_PKS6_PS6_S6_ZZZN2at6native31launch_logcumsumexp_cuda_kernelERKNSD_10TensorBaseESH_lENKUlvE_clEvENKUlvE4_clEvEUlS6_S6_E_S6_EEDaPvRmT3_T4_T5_mT6_P12ihipStream_tbENKUlT_T0_E_clISt17integral_constantIbLb1EESX_IbLb0EEEEDaST_SU_EUlST_E_NS1_11comp_targetILNS1_3genE10ELNS1_11target_archE1200ELNS1_3gpuE4ELNS1_3repE0EEENS1_30default_config_static_selectorELNS0_4arch9wavefront6targetE1EEEvT1_
    .private_segment_fixed_size: 0
    .sgpr_count:     6
    .sgpr_spill_count: 0
    .symbol:         _ZN7rocprim17ROCPRIM_400000_NS6detail17trampoline_kernelINS0_14default_configENS1_20scan_config_selectorIN3c108BFloat16EEEZZNS1_9scan_implILNS1_25lookback_scan_determinismE0ELb0ELb0ES3_PKS6_PS6_S6_ZZZN2at6native31launch_logcumsumexp_cuda_kernelERKNSD_10TensorBaseESH_lENKUlvE_clEvENKUlvE4_clEvEUlS6_S6_E_S6_EEDaPvRmT3_T4_T5_mT6_P12ihipStream_tbENKUlT_T0_E_clISt17integral_constantIbLb1EESX_IbLb0EEEEDaST_SU_EUlST_E_NS1_11comp_targetILNS1_3genE10ELNS1_11target_archE1200ELNS1_3gpuE4ELNS1_3repE0EEENS1_30default_config_static_selectorELNS0_4arch9wavefront6targetE1EEEvT1_.kd
    .uniform_work_group_size: 1
    .uses_dynamic_stack: false
    .vgpr_count:     0
    .vgpr_spill_count: 0
    .wavefront_size: 64
  - .agpr_count:     0
    .args:
      - .offset:         0
        .size:           96
        .value_kind:     by_value
    .group_segment_fixed_size: 0
    .kernarg_segment_align: 8
    .kernarg_segment_size: 96
    .language:       OpenCL C
    .language_version:
      - 2
      - 0
    .max_flat_workgroup_size: 64
    .name:           _ZN7rocprim17ROCPRIM_400000_NS6detail17trampoline_kernelINS0_14default_configENS1_20scan_config_selectorIN3c108BFloat16EEEZZNS1_9scan_implILNS1_25lookback_scan_determinismE0ELb0ELb0ES3_PKS6_PS6_S6_ZZZN2at6native31launch_logcumsumexp_cuda_kernelERKNSD_10TensorBaseESH_lENKUlvE_clEvENKUlvE4_clEvEUlS6_S6_E_S6_EEDaPvRmT3_T4_T5_mT6_P12ihipStream_tbENKUlT_T0_E_clISt17integral_constantIbLb1EESX_IbLb0EEEEDaST_SU_EUlST_E_NS1_11comp_targetILNS1_3genE9ELNS1_11target_archE1100ELNS1_3gpuE3ELNS1_3repE0EEENS1_30default_config_static_selectorELNS0_4arch9wavefront6targetE1EEEvT1_
    .private_segment_fixed_size: 0
    .sgpr_count:     6
    .sgpr_spill_count: 0
    .symbol:         _ZN7rocprim17ROCPRIM_400000_NS6detail17trampoline_kernelINS0_14default_configENS1_20scan_config_selectorIN3c108BFloat16EEEZZNS1_9scan_implILNS1_25lookback_scan_determinismE0ELb0ELb0ES3_PKS6_PS6_S6_ZZZN2at6native31launch_logcumsumexp_cuda_kernelERKNSD_10TensorBaseESH_lENKUlvE_clEvENKUlvE4_clEvEUlS6_S6_E_S6_EEDaPvRmT3_T4_T5_mT6_P12ihipStream_tbENKUlT_T0_E_clISt17integral_constantIbLb1EESX_IbLb0EEEEDaST_SU_EUlST_E_NS1_11comp_targetILNS1_3genE9ELNS1_11target_archE1100ELNS1_3gpuE3ELNS1_3repE0EEENS1_30default_config_static_selectorELNS0_4arch9wavefront6targetE1EEEvT1_.kd
    .uniform_work_group_size: 1
    .uses_dynamic_stack: false
    .vgpr_count:     0
    .vgpr_spill_count: 0
    .wavefront_size: 64
  - .agpr_count:     0
    .args:
      - .offset:         0
        .size:           96
        .value_kind:     by_value
    .group_segment_fixed_size: 0
    .kernarg_segment_align: 8
    .kernarg_segment_size: 96
    .language:       OpenCL C
    .language_version:
      - 2
      - 0
    .max_flat_workgroup_size: 64
    .name:           _ZN7rocprim17ROCPRIM_400000_NS6detail17trampoline_kernelINS0_14default_configENS1_20scan_config_selectorIN3c108BFloat16EEEZZNS1_9scan_implILNS1_25lookback_scan_determinismE0ELb0ELb0ES3_PKS6_PS6_S6_ZZZN2at6native31launch_logcumsumexp_cuda_kernelERKNSD_10TensorBaseESH_lENKUlvE_clEvENKUlvE4_clEvEUlS6_S6_E_S6_EEDaPvRmT3_T4_T5_mT6_P12ihipStream_tbENKUlT_T0_E_clISt17integral_constantIbLb1EESX_IbLb0EEEEDaST_SU_EUlST_E_NS1_11comp_targetILNS1_3genE8ELNS1_11target_archE1030ELNS1_3gpuE2ELNS1_3repE0EEENS1_30default_config_static_selectorELNS0_4arch9wavefront6targetE1EEEvT1_
    .private_segment_fixed_size: 0
    .sgpr_count:     6
    .sgpr_spill_count: 0
    .symbol:         _ZN7rocprim17ROCPRIM_400000_NS6detail17trampoline_kernelINS0_14default_configENS1_20scan_config_selectorIN3c108BFloat16EEEZZNS1_9scan_implILNS1_25lookback_scan_determinismE0ELb0ELb0ES3_PKS6_PS6_S6_ZZZN2at6native31launch_logcumsumexp_cuda_kernelERKNSD_10TensorBaseESH_lENKUlvE_clEvENKUlvE4_clEvEUlS6_S6_E_S6_EEDaPvRmT3_T4_T5_mT6_P12ihipStream_tbENKUlT_T0_E_clISt17integral_constantIbLb1EESX_IbLb0EEEEDaST_SU_EUlST_E_NS1_11comp_targetILNS1_3genE8ELNS1_11target_archE1030ELNS1_3gpuE2ELNS1_3repE0EEENS1_30default_config_static_selectorELNS0_4arch9wavefront6targetE1EEEvT1_.kd
    .uniform_work_group_size: 1
    .uses_dynamic_stack: false
    .vgpr_count:     0
    .vgpr_spill_count: 0
    .wavefront_size: 64
  - .agpr_count:     0
    .args:
      - .offset:         0
        .size:           32
        .value_kind:     by_value
    .group_segment_fixed_size: 0
    .kernarg_segment_align: 8
    .kernarg_segment_size: 32
    .language:       OpenCL C
    .language_version:
      - 2
      - 0
    .max_flat_workgroup_size: 128
    .name:           _ZN7rocprim17ROCPRIM_400000_NS6detail17trampoline_kernelINS0_14default_configENS1_20scan_config_selectorIN3c108BFloat16EEEZZNS1_9scan_implILNS1_25lookback_scan_determinismE0ELb0ELb0ES3_PKS6_PS6_S6_ZZZN2at6native31launch_logcumsumexp_cuda_kernelERKNSD_10TensorBaseESH_lENKUlvE_clEvENKUlvE4_clEvEUlS6_S6_E_S6_EEDaPvRmT3_T4_T5_mT6_P12ihipStream_tbENKUlT_T0_E_clISt17integral_constantIbLb1EESX_IbLb0EEEEDaST_SU_EUlST_E0_NS1_11comp_targetILNS1_3genE0ELNS1_11target_archE4294967295ELNS1_3gpuE0ELNS1_3repE0EEENS1_30default_config_static_selectorELNS0_4arch9wavefront6targetE1EEEvT1_
    .private_segment_fixed_size: 0
    .sgpr_count:     6
    .sgpr_spill_count: 0
    .symbol:         _ZN7rocprim17ROCPRIM_400000_NS6detail17trampoline_kernelINS0_14default_configENS1_20scan_config_selectorIN3c108BFloat16EEEZZNS1_9scan_implILNS1_25lookback_scan_determinismE0ELb0ELb0ES3_PKS6_PS6_S6_ZZZN2at6native31launch_logcumsumexp_cuda_kernelERKNSD_10TensorBaseESH_lENKUlvE_clEvENKUlvE4_clEvEUlS6_S6_E_S6_EEDaPvRmT3_T4_T5_mT6_P12ihipStream_tbENKUlT_T0_E_clISt17integral_constantIbLb1EESX_IbLb0EEEEDaST_SU_EUlST_E0_NS1_11comp_targetILNS1_3genE0ELNS1_11target_archE4294967295ELNS1_3gpuE0ELNS1_3repE0EEENS1_30default_config_static_selectorELNS0_4arch9wavefront6targetE1EEEvT1_.kd
    .uniform_work_group_size: 1
    .uses_dynamic_stack: false
    .vgpr_count:     0
    .vgpr_spill_count: 0
    .wavefront_size: 64
  - .agpr_count:     0
    .args:
      - .offset:         0
        .size:           32
        .value_kind:     by_value
    .group_segment_fixed_size: 12288
    .kernarg_segment_align: 8
    .kernarg_segment_size: 32
    .language:       OpenCL C
    .language_version:
      - 2
      - 0
    .max_flat_workgroup_size: 256
    .name:           _ZN7rocprim17ROCPRIM_400000_NS6detail17trampoline_kernelINS0_14default_configENS1_20scan_config_selectorIN3c108BFloat16EEEZZNS1_9scan_implILNS1_25lookback_scan_determinismE0ELb0ELb0ES3_PKS6_PS6_S6_ZZZN2at6native31launch_logcumsumexp_cuda_kernelERKNSD_10TensorBaseESH_lENKUlvE_clEvENKUlvE4_clEvEUlS6_S6_E_S6_EEDaPvRmT3_T4_T5_mT6_P12ihipStream_tbENKUlT_T0_E_clISt17integral_constantIbLb1EESX_IbLb0EEEEDaST_SU_EUlST_E0_NS1_11comp_targetILNS1_3genE5ELNS1_11target_archE942ELNS1_3gpuE9ELNS1_3repE0EEENS1_30default_config_static_selectorELNS0_4arch9wavefront6targetE1EEEvT1_
    .private_segment_fixed_size: 0
    .sgpr_count:     106
    .sgpr_spill_count: 8
    .symbol:         _ZN7rocprim17ROCPRIM_400000_NS6detail17trampoline_kernelINS0_14default_configENS1_20scan_config_selectorIN3c108BFloat16EEEZZNS1_9scan_implILNS1_25lookback_scan_determinismE0ELb0ELb0ES3_PKS6_PS6_S6_ZZZN2at6native31launch_logcumsumexp_cuda_kernelERKNSD_10TensorBaseESH_lENKUlvE_clEvENKUlvE4_clEvEUlS6_S6_E_S6_EEDaPvRmT3_T4_T5_mT6_P12ihipStream_tbENKUlT_T0_E_clISt17integral_constantIbLb1EESX_IbLb0EEEEDaST_SU_EUlST_E0_NS1_11comp_targetILNS1_3genE5ELNS1_11target_archE942ELNS1_3gpuE9ELNS1_3repE0EEENS1_30default_config_static_selectorELNS0_4arch9wavefront6targetE1EEEvT1_.kd
    .uniform_work_group_size: 1
    .uses_dynamic_stack: false
    .vgpr_count:     78
    .vgpr_spill_count: 0
    .wavefront_size: 64
  - .agpr_count:     0
    .args:
      - .offset:         0
        .size:           32
        .value_kind:     by_value
    .group_segment_fixed_size: 0
    .kernarg_segment_align: 8
    .kernarg_segment_size: 32
    .language:       OpenCL C
    .language_version:
      - 2
      - 0
    .max_flat_workgroup_size: 64
    .name:           _ZN7rocprim17ROCPRIM_400000_NS6detail17trampoline_kernelINS0_14default_configENS1_20scan_config_selectorIN3c108BFloat16EEEZZNS1_9scan_implILNS1_25lookback_scan_determinismE0ELb0ELb0ES3_PKS6_PS6_S6_ZZZN2at6native31launch_logcumsumexp_cuda_kernelERKNSD_10TensorBaseESH_lENKUlvE_clEvENKUlvE4_clEvEUlS6_S6_E_S6_EEDaPvRmT3_T4_T5_mT6_P12ihipStream_tbENKUlT_T0_E_clISt17integral_constantIbLb1EESX_IbLb0EEEEDaST_SU_EUlST_E0_NS1_11comp_targetILNS1_3genE4ELNS1_11target_archE910ELNS1_3gpuE8ELNS1_3repE0EEENS1_30default_config_static_selectorELNS0_4arch9wavefront6targetE1EEEvT1_
    .private_segment_fixed_size: 0
    .sgpr_count:     6
    .sgpr_spill_count: 0
    .symbol:         _ZN7rocprim17ROCPRIM_400000_NS6detail17trampoline_kernelINS0_14default_configENS1_20scan_config_selectorIN3c108BFloat16EEEZZNS1_9scan_implILNS1_25lookback_scan_determinismE0ELb0ELb0ES3_PKS6_PS6_S6_ZZZN2at6native31launch_logcumsumexp_cuda_kernelERKNSD_10TensorBaseESH_lENKUlvE_clEvENKUlvE4_clEvEUlS6_S6_E_S6_EEDaPvRmT3_T4_T5_mT6_P12ihipStream_tbENKUlT_T0_E_clISt17integral_constantIbLb1EESX_IbLb0EEEEDaST_SU_EUlST_E0_NS1_11comp_targetILNS1_3genE4ELNS1_11target_archE910ELNS1_3gpuE8ELNS1_3repE0EEENS1_30default_config_static_selectorELNS0_4arch9wavefront6targetE1EEEvT1_.kd
    .uniform_work_group_size: 1
    .uses_dynamic_stack: false
    .vgpr_count:     0
    .vgpr_spill_count: 0
    .wavefront_size: 64
  - .agpr_count:     0
    .args:
      - .offset:         0
        .size:           32
        .value_kind:     by_value
    .group_segment_fixed_size: 0
    .kernarg_segment_align: 8
    .kernarg_segment_size: 32
    .language:       OpenCL C
    .language_version:
      - 2
      - 0
    .max_flat_workgroup_size: 128
    .name:           _ZN7rocprim17ROCPRIM_400000_NS6detail17trampoline_kernelINS0_14default_configENS1_20scan_config_selectorIN3c108BFloat16EEEZZNS1_9scan_implILNS1_25lookback_scan_determinismE0ELb0ELb0ES3_PKS6_PS6_S6_ZZZN2at6native31launch_logcumsumexp_cuda_kernelERKNSD_10TensorBaseESH_lENKUlvE_clEvENKUlvE4_clEvEUlS6_S6_E_S6_EEDaPvRmT3_T4_T5_mT6_P12ihipStream_tbENKUlT_T0_E_clISt17integral_constantIbLb1EESX_IbLb0EEEEDaST_SU_EUlST_E0_NS1_11comp_targetILNS1_3genE3ELNS1_11target_archE908ELNS1_3gpuE7ELNS1_3repE0EEENS1_30default_config_static_selectorELNS0_4arch9wavefront6targetE1EEEvT1_
    .private_segment_fixed_size: 0
    .sgpr_count:     6
    .sgpr_spill_count: 0
    .symbol:         _ZN7rocprim17ROCPRIM_400000_NS6detail17trampoline_kernelINS0_14default_configENS1_20scan_config_selectorIN3c108BFloat16EEEZZNS1_9scan_implILNS1_25lookback_scan_determinismE0ELb0ELb0ES3_PKS6_PS6_S6_ZZZN2at6native31launch_logcumsumexp_cuda_kernelERKNSD_10TensorBaseESH_lENKUlvE_clEvENKUlvE4_clEvEUlS6_S6_E_S6_EEDaPvRmT3_T4_T5_mT6_P12ihipStream_tbENKUlT_T0_E_clISt17integral_constantIbLb1EESX_IbLb0EEEEDaST_SU_EUlST_E0_NS1_11comp_targetILNS1_3genE3ELNS1_11target_archE908ELNS1_3gpuE7ELNS1_3repE0EEENS1_30default_config_static_selectorELNS0_4arch9wavefront6targetE1EEEvT1_.kd
    .uniform_work_group_size: 1
    .uses_dynamic_stack: false
    .vgpr_count:     0
    .vgpr_spill_count: 0
    .wavefront_size: 64
  - .agpr_count:     0
    .args:
      - .offset:         0
        .size:           32
        .value_kind:     by_value
    .group_segment_fixed_size: 0
    .kernarg_segment_align: 8
    .kernarg_segment_size: 32
    .language:       OpenCL C
    .language_version:
      - 2
      - 0
    .max_flat_workgroup_size: 256
    .name:           _ZN7rocprim17ROCPRIM_400000_NS6detail17trampoline_kernelINS0_14default_configENS1_20scan_config_selectorIN3c108BFloat16EEEZZNS1_9scan_implILNS1_25lookback_scan_determinismE0ELb0ELb0ES3_PKS6_PS6_S6_ZZZN2at6native31launch_logcumsumexp_cuda_kernelERKNSD_10TensorBaseESH_lENKUlvE_clEvENKUlvE4_clEvEUlS6_S6_E_S6_EEDaPvRmT3_T4_T5_mT6_P12ihipStream_tbENKUlT_T0_E_clISt17integral_constantIbLb1EESX_IbLb0EEEEDaST_SU_EUlST_E0_NS1_11comp_targetILNS1_3genE2ELNS1_11target_archE906ELNS1_3gpuE6ELNS1_3repE0EEENS1_30default_config_static_selectorELNS0_4arch9wavefront6targetE1EEEvT1_
    .private_segment_fixed_size: 0
    .sgpr_count:     6
    .sgpr_spill_count: 0
    .symbol:         _ZN7rocprim17ROCPRIM_400000_NS6detail17trampoline_kernelINS0_14default_configENS1_20scan_config_selectorIN3c108BFloat16EEEZZNS1_9scan_implILNS1_25lookback_scan_determinismE0ELb0ELb0ES3_PKS6_PS6_S6_ZZZN2at6native31launch_logcumsumexp_cuda_kernelERKNSD_10TensorBaseESH_lENKUlvE_clEvENKUlvE4_clEvEUlS6_S6_E_S6_EEDaPvRmT3_T4_T5_mT6_P12ihipStream_tbENKUlT_T0_E_clISt17integral_constantIbLb1EESX_IbLb0EEEEDaST_SU_EUlST_E0_NS1_11comp_targetILNS1_3genE2ELNS1_11target_archE906ELNS1_3gpuE6ELNS1_3repE0EEENS1_30default_config_static_selectorELNS0_4arch9wavefront6targetE1EEEvT1_.kd
    .uniform_work_group_size: 1
    .uses_dynamic_stack: false
    .vgpr_count:     0
    .vgpr_spill_count: 0
    .wavefront_size: 64
  - .agpr_count:     0
    .args:
      - .offset:         0
        .size:           32
        .value_kind:     by_value
    .group_segment_fixed_size: 0
    .kernarg_segment_align: 8
    .kernarg_segment_size: 32
    .language:       OpenCL C
    .language_version:
      - 2
      - 0
    .max_flat_workgroup_size: 256
    .name:           _ZN7rocprim17ROCPRIM_400000_NS6detail17trampoline_kernelINS0_14default_configENS1_20scan_config_selectorIN3c108BFloat16EEEZZNS1_9scan_implILNS1_25lookback_scan_determinismE0ELb0ELb0ES3_PKS6_PS6_S6_ZZZN2at6native31launch_logcumsumexp_cuda_kernelERKNSD_10TensorBaseESH_lENKUlvE_clEvENKUlvE4_clEvEUlS6_S6_E_S6_EEDaPvRmT3_T4_T5_mT6_P12ihipStream_tbENKUlT_T0_E_clISt17integral_constantIbLb1EESX_IbLb0EEEEDaST_SU_EUlST_E0_NS1_11comp_targetILNS1_3genE10ELNS1_11target_archE1201ELNS1_3gpuE5ELNS1_3repE0EEENS1_30default_config_static_selectorELNS0_4arch9wavefront6targetE1EEEvT1_
    .private_segment_fixed_size: 0
    .sgpr_count:     6
    .sgpr_spill_count: 0
    .symbol:         _ZN7rocprim17ROCPRIM_400000_NS6detail17trampoline_kernelINS0_14default_configENS1_20scan_config_selectorIN3c108BFloat16EEEZZNS1_9scan_implILNS1_25lookback_scan_determinismE0ELb0ELb0ES3_PKS6_PS6_S6_ZZZN2at6native31launch_logcumsumexp_cuda_kernelERKNSD_10TensorBaseESH_lENKUlvE_clEvENKUlvE4_clEvEUlS6_S6_E_S6_EEDaPvRmT3_T4_T5_mT6_P12ihipStream_tbENKUlT_T0_E_clISt17integral_constantIbLb1EESX_IbLb0EEEEDaST_SU_EUlST_E0_NS1_11comp_targetILNS1_3genE10ELNS1_11target_archE1201ELNS1_3gpuE5ELNS1_3repE0EEENS1_30default_config_static_selectorELNS0_4arch9wavefront6targetE1EEEvT1_.kd
    .uniform_work_group_size: 1
    .uses_dynamic_stack: false
    .vgpr_count:     0
    .vgpr_spill_count: 0
    .wavefront_size: 64
  - .agpr_count:     0
    .args:
      - .offset:         0
        .size:           32
        .value_kind:     by_value
    .group_segment_fixed_size: 0
    .kernarg_segment_align: 8
    .kernarg_segment_size: 32
    .language:       OpenCL C
    .language_version:
      - 2
      - 0
    .max_flat_workgroup_size: 256
    .name:           _ZN7rocprim17ROCPRIM_400000_NS6detail17trampoline_kernelINS0_14default_configENS1_20scan_config_selectorIN3c108BFloat16EEEZZNS1_9scan_implILNS1_25lookback_scan_determinismE0ELb0ELb0ES3_PKS6_PS6_S6_ZZZN2at6native31launch_logcumsumexp_cuda_kernelERKNSD_10TensorBaseESH_lENKUlvE_clEvENKUlvE4_clEvEUlS6_S6_E_S6_EEDaPvRmT3_T4_T5_mT6_P12ihipStream_tbENKUlT_T0_E_clISt17integral_constantIbLb1EESX_IbLb0EEEEDaST_SU_EUlST_E0_NS1_11comp_targetILNS1_3genE10ELNS1_11target_archE1200ELNS1_3gpuE4ELNS1_3repE0EEENS1_30default_config_static_selectorELNS0_4arch9wavefront6targetE1EEEvT1_
    .private_segment_fixed_size: 0
    .sgpr_count:     6
    .sgpr_spill_count: 0
    .symbol:         _ZN7rocprim17ROCPRIM_400000_NS6detail17trampoline_kernelINS0_14default_configENS1_20scan_config_selectorIN3c108BFloat16EEEZZNS1_9scan_implILNS1_25lookback_scan_determinismE0ELb0ELb0ES3_PKS6_PS6_S6_ZZZN2at6native31launch_logcumsumexp_cuda_kernelERKNSD_10TensorBaseESH_lENKUlvE_clEvENKUlvE4_clEvEUlS6_S6_E_S6_EEDaPvRmT3_T4_T5_mT6_P12ihipStream_tbENKUlT_T0_E_clISt17integral_constantIbLb1EESX_IbLb0EEEEDaST_SU_EUlST_E0_NS1_11comp_targetILNS1_3genE10ELNS1_11target_archE1200ELNS1_3gpuE4ELNS1_3repE0EEENS1_30default_config_static_selectorELNS0_4arch9wavefront6targetE1EEEvT1_.kd
    .uniform_work_group_size: 1
    .uses_dynamic_stack: false
    .vgpr_count:     0
    .vgpr_spill_count: 0
    .wavefront_size: 64
  - .agpr_count:     0
    .args:
      - .offset:         0
        .size:           32
        .value_kind:     by_value
    .group_segment_fixed_size: 0
    .kernarg_segment_align: 8
    .kernarg_segment_size: 32
    .language:       OpenCL C
    .language_version:
      - 2
      - 0
    .max_flat_workgroup_size: 64
    .name:           _ZN7rocprim17ROCPRIM_400000_NS6detail17trampoline_kernelINS0_14default_configENS1_20scan_config_selectorIN3c108BFloat16EEEZZNS1_9scan_implILNS1_25lookback_scan_determinismE0ELb0ELb0ES3_PKS6_PS6_S6_ZZZN2at6native31launch_logcumsumexp_cuda_kernelERKNSD_10TensorBaseESH_lENKUlvE_clEvENKUlvE4_clEvEUlS6_S6_E_S6_EEDaPvRmT3_T4_T5_mT6_P12ihipStream_tbENKUlT_T0_E_clISt17integral_constantIbLb1EESX_IbLb0EEEEDaST_SU_EUlST_E0_NS1_11comp_targetILNS1_3genE9ELNS1_11target_archE1100ELNS1_3gpuE3ELNS1_3repE0EEENS1_30default_config_static_selectorELNS0_4arch9wavefront6targetE1EEEvT1_
    .private_segment_fixed_size: 0
    .sgpr_count:     6
    .sgpr_spill_count: 0
    .symbol:         _ZN7rocprim17ROCPRIM_400000_NS6detail17trampoline_kernelINS0_14default_configENS1_20scan_config_selectorIN3c108BFloat16EEEZZNS1_9scan_implILNS1_25lookback_scan_determinismE0ELb0ELb0ES3_PKS6_PS6_S6_ZZZN2at6native31launch_logcumsumexp_cuda_kernelERKNSD_10TensorBaseESH_lENKUlvE_clEvENKUlvE4_clEvEUlS6_S6_E_S6_EEDaPvRmT3_T4_T5_mT6_P12ihipStream_tbENKUlT_T0_E_clISt17integral_constantIbLb1EESX_IbLb0EEEEDaST_SU_EUlST_E0_NS1_11comp_targetILNS1_3genE9ELNS1_11target_archE1100ELNS1_3gpuE3ELNS1_3repE0EEENS1_30default_config_static_selectorELNS0_4arch9wavefront6targetE1EEEvT1_.kd
    .uniform_work_group_size: 1
    .uses_dynamic_stack: false
    .vgpr_count:     0
    .vgpr_spill_count: 0
    .wavefront_size: 64
  - .agpr_count:     0
    .args:
      - .offset:         0
        .size:           32
        .value_kind:     by_value
    .group_segment_fixed_size: 0
    .kernarg_segment_align: 8
    .kernarg_segment_size: 32
    .language:       OpenCL C
    .language_version:
      - 2
      - 0
    .max_flat_workgroup_size: 64
    .name:           _ZN7rocprim17ROCPRIM_400000_NS6detail17trampoline_kernelINS0_14default_configENS1_20scan_config_selectorIN3c108BFloat16EEEZZNS1_9scan_implILNS1_25lookback_scan_determinismE0ELb0ELb0ES3_PKS6_PS6_S6_ZZZN2at6native31launch_logcumsumexp_cuda_kernelERKNSD_10TensorBaseESH_lENKUlvE_clEvENKUlvE4_clEvEUlS6_S6_E_S6_EEDaPvRmT3_T4_T5_mT6_P12ihipStream_tbENKUlT_T0_E_clISt17integral_constantIbLb1EESX_IbLb0EEEEDaST_SU_EUlST_E0_NS1_11comp_targetILNS1_3genE8ELNS1_11target_archE1030ELNS1_3gpuE2ELNS1_3repE0EEENS1_30default_config_static_selectorELNS0_4arch9wavefront6targetE1EEEvT1_
    .private_segment_fixed_size: 0
    .sgpr_count:     6
    .sgpr_spill_count: 0
    .symbol:         _ZN7rocprim17ROCPRIM_400000_NS6detail17trampoline_kernelINS0_14default_configENS1_20scan_config_selectorIN3c108BFloat16EEEZZNS1_9scan_implILNS1_25lookback_scan_determinismE0ELb0ELb0ES3_PKS6_PS6_S6_ZZZN2at6native31launch_logcumsumexp_cuda_kernelERKNSD_10TensorBaseESH_lENKUlvE_clEvENKUlvE4_clEvEUlS6_S6_E_S6_EEDaPvRmT3_T4_T5_mT6_P12ihipStream_tbENKUlT_T0_E_clISt17integral_constantIbLb1EESX_IbLb0EEEEDaST_SU_EUlST_E0_NS1_11comp_targetILNS1_3genE8ELNS1_11target_archE1030ELNS1_3gpuE2ELNS1_3repE0EEENS1_30default_config_static_selectorELNS0_4arch9wavefront6targetE1EEEvT1_.kd
    .uniform_work_group_size: 1
    .uses_dynamic_stack: false
    .vgpr_count:     0
    .vgpr_spill_count: 0
    .wavefront_size: 64
  - .agpr_count:     0
    .args:
      - .address_space:  global
        .offset:         0
        .size:           8
        .value_kind:     global_buffer
      - .offset:         8
        .size:           4
        .value_kind:     by_value
      - .address_space:  global
        .offset:         16
        .size:           8
        .value_kind:     global_buffer
      - .offset:         24
        .size:           4
        .value_kind:     by_value
      - .address_space:  global
        .offset:         32
        .size:           8
        .value_kind:     global_buffer
      - .offset:         40
        .size:           4
        .value_kind:     hidden_block_count_x
      - .offset:         44
        .size:           4
        .value_kind:     hidden_block_count_y
      - .offset:         48
        .size:           4
        .value_kind:     hidden_block_count_z
      - .offset:         52
        .size:           2
        .value_kind:     hidden_group_size_x
      - .offset:         54
        .size:           2
        .value_kind:     hidden_group_size_y
      - .offset:         56
        .size:           2
        .value_kind:     hidden_group_size_z
      - .offset:         58
        .size:           2
        .value_kind:     hidden_remainder_x
      - .offset:         60
        .size:           2
        .value_kind:     hidden_remainder_y
      - .offset:         62
        .size:           2
        .value_kind:     hidden_remainder_z
      - .offset:         80
        .size:           8
        .value_kind:     hidden_global_offset_x
      - .offset:         88
        .size:           8
        .value_kind:     hidden_global_offset_y
      - .offset:         96
        .size:           8
        .value_kind:     hidden_global_offset_z
      - .offset:         104
        .size:           2
        .value_kind:     hidden_grid_dims
    .group_segment_fixed_size: 0
    .kernarg_segment_align: 8
    .kernarg_segment_size: 296
    .language:       OpenCL C
    .language_version:
      - 2
      - 0
    .max_flat_workgroup_size: 256
    .name:           _ZN7rocprim17ROCPRIM_400000_NS6detail31init_lookback_scan_state_kernelINS1_19lookback_scan_stateIN3c108BFloat16ELb0ELb1EEENS1_16block_id_wrapperIjLb1EEEEEvT_jT0_jPNS9_10value_typeE
    .private_segment_fixed_size: 0
    .sgpr_count:     17
    .sgpr_spill_count: 0
    .symbol:         _ZN7rocprim17ROCPRIM_400000_NS6detail31init_lookback_scan_state_kernelINS1_19lookback_scan_stateIN3c108BFloat16ELb0ELb1EEENS1_16block_id_wrapperIjLb1EEEEEvT_jT0_jPNS9_10value_typeE.kd
    .uniform_work_group_size: 1
    .uses_dynamic_stack: false
    .vgpr_count:     6
    .vgpr_spill_count: 0
    .wavefront_size: 64
  - .agpr_count:     0
    .args:
      - .offset:         0
        .size:           96
        .value_kind:     by_value
    .group_segment_fixed_size: 0
    .kernarg_segment_align: 8
    .kernarg_segment_size: 96
    .language:       OpenCL C
    .language_version:
      - 2
      - 0
    .max_flat_workgroup_size: 128
    .name:           _ZN7rocprim17ROCPRIM_400000_NS6detail17trampoline_kernelINS0_14default_configENS1_20scan_config_selectorIN3c108BFloat16EEEZZNS1_9scan_implILNS1_25lookback_scan_determinismE0ELb0ELb0ES3_PKS6_PS6_S6_ZZZN2at6native31launch_logcumsumexp_cuda_kernelERKNSD_10TensorBaseESH_lENKUlvE_clEvENKUlvE4_clEvEUlS6_S6_E_S6_EEDaPvRmT3_T4_T5_mT6_P12ihipStream_tbENKUlT_T0_E_clISt17integral_constantIbLb0EESX_IbLb1EEEEDaST_SU_EUlST_E_NS1_11comp_targetILNS1_3genE0ELNS1_11target_archE4294967295ELNS1_3gpuE0ELNS1_3repE0EEENS1_30default_config_static_selectorELNS0_4arch9wavefront6targetE1EEEvT1_
    .private_segment_fixed_size: 0
    .sgpr_count:     6
    .sgpr_spill_count: 0
    .symbol:         _ZN7rocprim17ROCPRIM_400000_NS6detail17trampoline_kernelINS0_14default_configENS1_20scan_config_selectorIN3c108BFloat16EEEZZNS1_9scan_implILNS1_25lookback_scan_determinismE0ELb0ELb0ES3_PKS6_PS6_S6_ZZZN2at6native31launch_logcumsumexp_cuda_kernelERKNSD_10TensorBaseESH_lENKUlvE_clEvENKUlvE4_clEvEUlS6_S6_E_S6_EEDaPvRmT3_T4_T5_mT6_P12ihipStream_tbENKUlT_T0_E_clISt17integral_constantIbLb0EESX_IbLb1EEEEDaST_SU_EUlST_E_NS1_11comp_targetILNS1_3genE0ELNS1_11target_archE4294967295ELNS1_3gpuE0ELNS1_3repE0EEENS1_30default_config_static_selectorELNS0_4arch9wavefront6targetE1EEEvT1_.kd
    .uniform_work_group_size: 1
    .uses_dynamic_stack: false
    .vgpr_count:     0
    .vgpr_spill_count: 0
    .wavefront_size: 64
  - .agpr_count:     0
    .args:
      - .offset:         0
        .size:           96
        .value_kind:     by_value
      - .offset:         96
        .size:           4
        .value_kind:     hidden_block_count_x
      - .offset:         100
        .size:           4
        .value_kind:     hidden_block_count_y
      - .offset:         104
        .size:           4
        .value_kind:     hidden_block_count_z
      - .offset:         108
        .size:           2
        .value_kind:     hidden_group_size_x
      - .offset:         110
        .size:           2
        .value_kind:     hidden_group_size_y
      - .offset:         112
        .size:           2
        .value_kind:     hidden_group_size_z
      - .offset:         114
        .size:           2
        .value_kind:     hidden_remainder_x
      - .offset:         116
        .size:           2
        .value_kind:     hidden_remainder_y
      - .offset:         118
        .size:           2
        .value_kind:     hidden_remainder_z
      - .offset:         136
        .size:           8
        .value_kind:     hidden_global_offset_x
      - .offset:         144
        .size:           8
        .value_kind:     hidden_global_offset_y
      - .offset:         152
        .size:           8
        .value_kind:     hidden_global_offset_z
      - .offset:         160
        .size:           2
        .value_kind:     hidden_grid_dims
    .group_segment_fixed_size: 12288
    .kernarg_segment_align: 8
    .kernarg_segment_size: 352
    .language:       OpenCL C
    .language_version:
      - 2
      - 0
    .max_flat_workgroup_size: 256
    .name:           _ZN7rocprim17ROCPRIM_400000_NS6detail17trampoline_kernelINS0_14default_configENS1_20scan_config_selectorIN3c108BFloat16EEEZZNS1_9scan_implILNS1_25lookback_scan_determinismE0ELb0ELb0ES3_PKS6_PS6_S6_ZZZN2at6native31launch_logcumsumexp_cuda_kernelERKNSD_10TensorBaseESH_lENKUlvE_clEvENKUlvE4_clEvEUlS6_S6_E_S6_EEDaPvRmT3_T4_T5_mT6_P12ihipStream_tbENKUlT_T0_E_clISt17integral_constantIbLb0EESX_IbLb1EEEEDaST_SU_EUlST_E_NS1_11comp_targetILNS1_3genE5ELNS1_11target_archE942ELNS1_3gpuE9ELNS1_3repE0EEENS1_30default_config_static_selectorELNS0_4arch9wavefront6targetE1EEEvT1_
    .private_segment_fixed_size: 120
    .sgpr_count:     82
    .sgpr_spill_count: 0
    .symbol:         _ZN7rocprim17ROCPRIM_400000_NS6detail17trampoline_kernelINS0_14default_configENS1_20scan_config_selectorIN3c108BFloat16EEEZZNS1_9scan_implILNS1_25lookback_scan_determinismE0ELb0ELb0ES3_PKS6_PS6_S6_ZZZN2at6native31launch_logcumsumexp_cuda_kernelERKNSD_10TensorBaseESH_lENKUlvE_clEvENKUlvE4_clEvEUlS6_S6_E_S6_EEDaPvRmT3_T4_T5_mT6_P12ihipStream_tbENKUlT_T0_E_clISt17integral_constantIbLb0EESX_IbLb1EEEEDaST_SU_EUlST_E_NS1_11comp_targetILNS1_3genE5ELNS1_11target_archE942ELNS1_3gpuE9ELNS1_3repE0EEENS1_30default_config_static_selectorELNS0_4arch9wavefront6targetE1EEEvT1_.kd
    .uniform_work_group_size: 1
    .uses_dynamic_stack: false
    .vgpr_count:     225
    .vgpr_spill_count: 0
    .wavefront_size: 64
  - .agpr_count:     0
    .args:
      - .offset:         0
        .size:           96
        .value_kind:     by_value
    .group_segment_fixed_size: 0
    .kernarg_segment_align: 8
    .kernarg_segment_size: 96
    .language:       OpenCL C
    .language_version:
      - 2
      - 0
    .max_flat_workgroup_size: 64
    .name:           _ZN7rocprim17ROCPRIM_400000_NS6detail17trampoline_kernelINS0_14default_configENS1_20scan_config_selectorIN3c108BFloat16EEEZZNS1_9scan_implILNS1_25lookback_scan_determinismE0ELb0ELb0ES3_PKS6_PS6_S6_ZZZN2at6native31launch_logcumsumexp_cuda_kernelERKNSD_10TensorBaseESH_lENKUlvE_clEvENKUlvE4_clEvEUlS6_S6_E_S6_EEDaPvRmT3_T4_T5_mT6_P12ihipStream_tbENKUlT_T0_E_clISt17integral_constantIbLb0EESX_IbLb1EEEEDaST_SU_EUlST_E_NS1_11comp_targetILNS1_3genE4ELNS1_11target_archE910ELNS1_3gpuE8ELNS1_3repE0EEENS1_30default_config_static_selectorELNS0_4arch9wavefront6targetE1EEEvT1_
    .private_segment_fixed_size: 0
    .sgpr_count:     6
    .sgpr_spill_count: 0
    .symbol:         _ZN7rocprim17ROCPRIM_400000_NS6detail17trampoline_kernelINS0_14default_configENS1_20scan_config_selectorIN3c108BFloat16EEEZZNS1_9scan_implILNS1_25lookback_scan_determinismE0ELb0ELb0ES3_PKS6_PS6_S6_ZZZN2at6native31launch_logcumsumexp_cuda_kernelERKNSD_10TensorBaseESH_lENKUlvE_clEvENKUlvE4_clEvEUlS6_S6_E_S6_EEDaPvRmT3_T4_T5_mT6_P12ihipStream_tbENKUlT_T0_E_clISt17integral_constantIbLb0EESX_IbLb1EEEEDaST_SU_EUlST_E_NS1_11comp_targetILNS1_3genE4ELNS1_11target_archE910ELNS1_3gpuE8ELNS1_3repE0EEENS1_30default_config_static_selectorELNS0_4arch9wavefront6targetE1EEEvT1_.kd
    .uniform_work_group_size: 1
    .uses_dynamic_stack: false
    .vgpr_count:     0
    .vgpr_spill_count: 0
    .wavefront_size: 64
  - .agpr_count:     0
    .args:
      - .offset:         0
        .size:           96
        .value_kind:     by_value
    .group_segment_fixed_size: 0
    .kernarg_segment_align: 8
    .kernarg_segment_size: 96
    .language:       OpenCL C
    .language_version:
      - 2
      - 0
    .max_flat_workgroup_size: 128
    .name:           _ZN7rocprim17ROCPRIM_400000_NS6detail17trampoline_kernelINS0_14default_configENS1_20scan_config_selectorIN3c108BFloat16EEEZZNS1_9scan_implILNS1_25lookback_scan_determinismE0ELb0ELb0ES3_PKS6_PS6_S6_ZZZN2at6native31launch_logcumsumexp_cuda_kernelERKNSD_10TensorBaseESH_lENKUlvE_clEvENKUlvE4_clEvEUlS6_S6_E_S6_EEDaPvRmT3_T4_T5_mT6_P12ihipStream_tbENKUlT_T0_E_clISt17integral_constantIbLb0EESX_IbLb1EEEEDaST_SU_EUlST_E_NS1_11comp_targetILNS1_3genE3ELNS1_11target_archE908ELNS1_3gpuE7ELNS1_3repE0EEENS1_30default_config_static_selectorELNS0_4arch9wavefront6targetE1EEEvT1_
    .private_segment_fixed_size: 0
    .sgpr_count:     6
    .sgpr_spill_count: 0
    .symbol:         _ZN7rocprim17ROCPRIM_400000_NS6detail17trampoline_kernelINS0_14default_configENS1_20scan_config_selectorIN3c108BFloat16EEEZZNS1_9scan_implILNS1_25lookback_scan_determinismE0ELb0ELb0ES3_PKS6_PS6_S6_ZZZN2at6native31launch_logcumsumexp_cuda_kernelERKNSD_10TensorBaseESH_lENKUlvE_clEvENKUlvE4_clEvEUlS6_S6_E_S6_EEDaPvRmT3_T4_T5_mT6_P12ihipStream_tbENKUlT_T0_E_clISt17integral_constantIbLb0EESX_IbLb1EEEEDaST_SU_EUlST_E_NS1_11comp_targetILNS1_3genE3ELNS1_11target_archE908ELNS1_3gpuE7ELNS1_3repE0EEENS1_30default_config_static_selectorELNS0_4arch9wavefront6targetE1EEEvT1_.kd
    .uniform_work_group_size: 1
    .uses_dynamic_stack: false
    .vgpr_count:     0
    .vgpr_spill_count: 0
    .wavefront_size: 64
  - .agpr_count:     0
    .args:
      - .offset:         0
        .size:           96
        .value_kind:     by_value
    .group_segment_fixed_size: 0
    .kernarg_segment_align: 8
    .kernarg_segment_size: 96
    .language:       OpenCL C
    .language_version:
      - 2
      - 0
    .max_flat_workgroup_size: 256
    .name:           _ZN7rocprim17ROCPRIM_400000_NS6detail17trampoline_kernelINS0_14default_configENS1_20scan_config_selectorIN3c108BFloat16EEEZZNS1_9scan_implILNS1_25lookback_scan_determinismE0ELb0ELb0ES3_PKS6_PS6_S6_ZZZN2at6native31launch_logcumsumexp_cuda_kernelERKNSD_10TensorBaseESH_lENKUlvE_clEvENKUlvE4_clEvEUlS6_S6_E_S6_EEDaPvRmT3_T4_T5_mT6_P12ihipStream_tbENKUlT_T0_E_clISt17integral_constantIbLb0EESX_IbLb1EEEEDaST_SU_EUlST_E_NS1_11comp_targetILNS1_3genE2ELNS1_11target_archE906ELNS1_3gpuE6ELNS1_3repE0EEENS1_30default_config_static_selectorELNS0_4arch9wavefront6targetE1EEEvT1_
    .private_segment_fixed_size: 0
    .sgpr_count:     6
    .sgpr_spill_count: 0
    .symbol:         _ZN7rocprim17ROCPRIM_400000_NS6detail17trampoline_kernelINS0_14default_configENS1_20scan_config_selectorIN3c108BFloat16EEEZZNS1_9scan_implILNS1_25lookback_scan_determinismE0ELb0ELb0ES3_PKS6_PS6_S6_ZZZN2at6native31launch_logcumsumexp_cuda_kernelERKNSD_10TensorBaseESH_lENKUlvE_clEvENKUlvE4_clEvEUlS6_S6_E_S6_EEDaPvRmT3_T4_T5_mT6_P12ihipStream_tbENKUlT_T0_E_clISt17integral_constantIbLb0EESX_IbLb1EEEEDaST_SU_EUlST_E_NS1_11comp_targetILNS1_3genE2ELNS1_11target_archE906ELNS1_3gpuE6ELNS1_3repE0EEENS1_30default_config_static_selectorELNS0_4arch9wavefront6targetE1EEEvT1_.kd
    .uniform_work_group_size: 1
    .uses_dynamic_stack: false
    .vgpr_count:     0
    .vgpr_spill_count: 0
    .wavefront_size: 64
  - .agpr_count:     0
    .args:
      - .offset:         0
        .size:           96
        .value_kind:     by_value
    .group_segment_fixed_size: 0
    .kernarg_segment_align: 8
    .kernarg_segment_size: 96
    .language:       OpenCL C
    .language_version:
      - 2
      - 0
    .max_flat_workgroup_size: 256
    .name:           _ZN7rocprim17ROCPRIM_400000_NS6detail17trampoline_kernelINS0_14default_configENS1_20scan_config_selectorIN3c108BFloat16EEEZZNS1_9scan_implILNS1_25lookback_scan_determinismE0ELb0ELb0ES3_PKS6_PS6_S6_ZZZN2at6native31launch_logcumsumexp_cuda_kernelERKNSD_10TensorBaseESH_lENKUlvE_clEvENKUlvE4_clEvEUlS6_S6_E_S6_EEDaPvRmT3_T4_T5_mT6_P12ihipStream_tbENKUlT_T0_E_clISt17integral_constantIbLb0EESX_IbLb1EEEEDaST_SU_EUlST_E_NS1_11comp_targetILNS1_3genE10ELNS1_11target_archE1201ELNS1_3gpuE5ELNS1_3repE0EEENS1_30default_config_static_selectorELNS0_4arch9wavefront6targetE1EEEvT1_
    .private_segment_fixed_size: 0
    .sgpr_count:     6
    .sgpr_spill_count: 0
    .symbol:         _ZN7rocprim17ROCPRIM_400000_NS6detail17trampoline_kernelINS0_14default_configENS1_20scan_config_selectorIN3c108BFloat16EEEZZNS1_9scan_implILNS1_25lookback_scan_determinismE0ELb0ELb0ES3_PKS6_PS6_S6_ZZZN2at6native31launch_logcumsumexp_cuda_kernelERKNSD_10TensorBaseESH_lENKUlvE_clEvENKUlvE4_clEvEUlS6_S6_E_S6_EEDaPvRmT3_T4_T5_mT6_P12ihipStream_tbENKUlT_T0_E_clISt17integral_constantIbLb0EESX_IbLb1EEEEDaST_SU_EUlST_E_NS1_11comp_targetILNS1_3genE10ELNS1_11target_archE1201ELNS1_3gpuE5ELNS1_3repE0EEENS1_30default_config_static_selectorELNS0_4arch9wavefront6targetE1EEEvT1_.kd
    .uniform_work_group_size: 1
    .uses_dynamic_stack: false
    .vgpr_count:     0
    .vgpr_spill_count: 0
    .wavefront_size: 64
  - .agpr_count:     0
    .args:
      - .offset:         0
        .size:           96
        .value_kind:     by_value
    .group_segment_fixed_size: 0
    .kernarg_segment_align: 8
    .kernarg_segment_size: 96
    .language:       OpenCL C
    .language_version:
      - 2
      - 0
    .max_flat_workgroup_size: 256
    .name:           _ZN7rocprim17ROCPRIM_400000_NS6detail17trampoline_kernelINS0_14default_configENS1_20scan_config_selectorIN3c108BFloat16EEEZZNS1_9scan_implILNS1_25lookback_scan_determinismE0ELb0ELb0ES3_PKS6_PS6_S6_ZZZN2at6native31launch_logcumsumexp_cuda_kernelERKNSD_10TensorBaseESH_lENKUlvE_clEvENKUlvE4_clEvEUlS6_S6_E_S6_EEDaPvRmT3_T4_T5_mT6_P12ihipStream_tbENKUlT_T0_E_clISt17integral_constantIbLb0EESX_IbLb1EEEEDaST_SU_EUlST_E_NS1_11comp_targetILNS1_3genE10ELNS1_11target_archE1200ELNS1_3gpuE4ELNS1_3repE0EEENS1_30default_config_static_selectorELNS0_4arch9wavefront6targetE1EEEvT1_
    .private_segment_fixed_size: 0
    .sgpr_count:     6
    .sgpr_spill_count: 0
    .symbol:         _ZN7rocprim17ROCPRIM_400000_NS6detail17trampoline_kernelINS0_14default_configENS1_20scan_config_selectorIN3c108BFloat16EEEZZNS1_9scan_implILNS1_25lookback_scan_determinismE0ELb0ELb0ES3_PKS6_PS6_S6_ZZZN2at6native31launch_logcumsumexp_cuda_kernelERKNSD_10TensorBaseESH_lENKUlvE_clEvENKUlvE4_clEvEUlS6_S6_E_S6_EEDaPvRmT3_T4_T5_mT6_P12ihipStream_tbENKUlT_T0_E_clISt17integral_constantIbLb0EESX_IbLb1EEEEDaST_SU_EUlST_E_NS1_11comp_targetILNS1_3genE10ELNS1_11target_archE1200ELNS1_3gpuE4ELNS1_3repE0EEENS1_30default_config_static_selectorELNS0_4arch9wavefront6targetE1EEEvT1_.kd
    .uniform_work_group_size: 1
    .uses_dynamic_stack: false
    .vgpr_count:     0
    .vgpr_spill_count: 0
    .wavefront_size: 64
  - .agpr_count:     0
    .args:
      - .offset:         0
        .size:           96
        .value_kind:     by_value
    .group_segment_fixed_size: 0
    .kernarg_segment_align: 8
    .kernarg_segment_size: 96
    .language:       OpenCL C
    .language_version:
      - 2
      - 0
    .max_flat_workgroup_size: 64
    .name:           _ZN7rocprim17ROCPRIM_400000_NS6detail17trampoline_kernelINS0_14default_configENS1_20scan_config_selectorIN3c108BFloat16EEEZZNS1_9scan_implILNS1_25lookback_scan_determinismE0ELb0ELb0ES3_PKS6_PS6_S6_ZZZN2at6native31launch_logcumsumexp_cuda_kernelERKNSD_10TensorBaseESH_lENKUlvE_clEvENKUlvE4_clEvEUlS6_S6_E_S6_EEDaPvRmT3_T4_T5_mT6_P12ihipStream_tbENKUlT_T0_E_clISt17integral_constantIbLb0EESX_IbLb1EEEEDaST_SU_EUlST_E_NS1_11comp_targetILNS1_3genE9ELNS1_11target_archE1100ELNS1_3gpuE3ELNS1_3repE0EEENS1_30default_config_static_selectorELNS0_4arch9wavefront6targetE1EEEvT1_
    .private_segment_fixed_size: 0
    .sgpr_count:     6
    .sgpr_spill_count: 0
    .symbol:         _ZN7rocprim17ROCPRIM_400000_NS6detail17trampoline_kernelINS0_14default_configENS1_20scan_config_selectorIN3c108BFloat16EEEZZNS1_9scan_implILNS1_25lookback_scan_determinismE0ELb0ELb0ES3_PKS6_PS6_S6_ZZZN2at6native31launch_logcumsumexp_cuda_kernelERKNSD_10TensorBaseESH_lENKUlvE_clEvENKUlvE4_clEvEUlS6_S6_E_S6_EEDaPvRmT3_T4_T5_mT6_P12ihipStream_tbENKUlT_T0_E_clISt17integral_constantIbLb0EESX_IbLb1EEEEDaST_SU_EUlST_E_NS1_11comp_targetILNS1_3genE9ELNS1_11target_archE1100ELNS1_3gpuE3ELNS1_3repE0EEENS1_30default_config_static_selectorELNS0_4arch9wavefront6targetE1EEEvT1_.kd
    .uniform_work_group_size: 1
    .uses_dynamic_stack: false
    .vgpr_count:     0
    .vgpr_spill_count: 0
    .wavefront_size: 64
  - .agpr_count:     0
    .args:
      - .offset:         0
        .size:           96
        .value_kind:     by_value
    .group_segment_fixed_size: 0
    .kernarg_segment_align: 8
    .kernarg_segment_size: 96
    .language:       OpenCL C
    .language_version:
      - 2
      - 0
    .max_flat_workgroup_size: 64
    .name:           _ZN7rocprim17ROCPRIM_400000_NS6detail17trampoline_kernelINS0_14default_configENS1_20scan_config_selectorIN3c108BFloat16EEEZZNS1_9scan_implILNS1_25lookback_scan_determinismE0ELb0ELb0ES3_PKS6_PS6_S6_ZZZN2at6native31launch_logcumsumexp_cuda_kernelERKNSD_10TensorBaseESH_lENKUlvE_clEvENKUlvE4_clEvEUlS6_S6_E_S6_EEDaPvRmT3_T4_T5_mT6_P12ihipStream_tbENKUlT_T0_E_clISt17integral_constantIbLb0EESX_IbLb1EEEEDaST_SU_EUlST_E_NS1_11comp_targetILNS1_3genE8ELNS1_11target_archE1030ELNS1_3gpuE2ELNS1_3repE0EEENS1_30default_config_static_selectorELNS0_4arch9wavefront6targetE1EEEvT1_
    .private_segment_fixed_size: 0
    .sgpr_count:     6
    .sgpr_spill_count: 0
    .symbol:         _ZN7rocprim17ROCPRIM_400000_NS6detail17trampoline_kernelINS0_14default_configENS1_20scan_config_selectorIN3c108BFloat16EEEZZNS1_9scan_implILNS1_25lookback_scan_determinismE0ELb0ELb0ES3_PKS6_PS6_S6_ZZZN2at6native31launch_logcumsumexp_cuda_kernelERKNSD_10TensorBaseESH_lENKUlvE_clEvENKUlvE4_clEvEUlS6_S6_E_S6_EEDaPvRmT3_T4_T5_mT6_P12ihipStream_tbENKUlT_T0_E_clISt17integral_constantIbLb0EESX_IbLb1EEEEDaST_SU_EUlST_E_NS1_11comp_targetILNS1_3genE8ELNS1_11target_archE1030ELNS1_3gpuE2ELNS1_3repE0EEENS1_30default_config_static_selectorELNS0_4arch9wavefront6targetE1EEEvT1_.kd
    .uniform_work_group_size: 1
    .uses_dynamic_stack: false
    .vgpr_count:     0
    .vgpr_spill_count: 0
    .wavefront_size: 64
  - .agpr_count:     0
    .args:
      - .offset:         0
        .size:           32
        .value_kind:     by_value
    .group_segment_fixed_size: 0
    .kernarg_segment_align: 8
    .kernarg_segment_size: 32
    .language:       OpenCL C
    .language_version:
      - 2
      - 0
    .max_flat_workgroup_size: 128
    .name:           _ZN7rocprim17ROCPRIM_400000_NS6detail17trampoline_kernelINS0_14default_configENS1_20scan_config_selectorIN3c108BFloat16EEEZZNS1_9scan_implILNS1_25lookback_scan_determinismE0ELb0ELb0ES3_PKS6_PS6_S6_ZZZN2at6native31launch_logcumsumexp_cuda_kernelERKNSD_10TensorBaseESH_lENKUlvE_clEvENKUlvE4_clEvEUlS6_S6_E_S6_EEDaPvRmT3_T4_T5_mT6_P12ihipStream_tbENKUlT_T0_E_clISt17integral_constantIbLb0EESX_IbLb1EEEEDaST_SU_EUlST_E0_NS1_11comp_targetILNS1_3genE0ELNS1_11target_archE4294967295ELNS1_3gpuE0ELNS1_3repE0EEENS1_30default_config_static_selectorELNS0_4arch9wavefront6targetE1EEEvT1_
    .private_segment_fixed_size: 0
    .sgpr_count:     6
    .sgpr_spill_count: 0
    .symbol:         _ZN7rocprim17ROCPRIM_400000_NS6detail17trampoline_kernelINS0_14default_configENS1_20scan_config_selectorIN3c108BFloat16EEEZZNS1_9scan_implILNS1_25lookback_scan_determinismE0ELb0ELb0ES3_PKS6_PS6_S6_ZZZN2at6native31launch_logcumsumexp_cuda_kernelERKNSD_10TensorBaseESH_lENKUlvE_clEvENKUlvE4_clEvEUlS6_S6_E_S6_EEDaPvRmT3_T4_T5_mT6_P12ihipStream_tbENKUlT_T0_E_clISt17integral_constantIbLb0EESX_IbLb1EEEEDaST_SU_EUlST_E0_NS1_11comp_targetILNS1_3genE0ELNS1_11target_archE4294967295ELNS1_3gpuE0ELNS1_3repE0EEENS1_30default_config_static_selectorELNS0_4arch9wavefront6targetE1EEEvT1_.kd
    .uniform_work_group_size: 1
    .uses_dynamic_stack: false
    .vgpr_count:     0
    .vgpr_spill_count: 0
    .wavefront_size: 64
  - .agpr_count:     0
    .args:
      - .offset:         0
        .size:           32
        .value_kind:     by_value
    .group_segment_fixed_size: 12288
    .kernarg_segment_align: 8
    .kernarg_segment_size: 32
    .language:       OpenCL C
    .language_version:
      - 2
      - 0
    .max_flat_workgroup_size: 256
    .name:           _ZN7rocprim17ROCPRIM_400000_NS6detail17trampoline_kernelINS0_14default_configENS1_20scan_config_selectorIN3c108BFloat16EEEZZNS1_9scan_implILNS1_25lookback_scan_determinismE0ELb0ELb0ES3_PKS6_PS6_S6_ZZZN2at6native31launch_logcumsumexp_cuda_kernelERKNSD_10TensorBaseESH_lENKUlvE_clEvENKUlvE4_clEvEUlS6_S6_E_S6_EEDaPvRmT3_T4_T5_mT6_P12ihipStream_tbENKUlT_T0_E_clISt17integral_constantIbLb0EESX_IbLb1EEEEDaST_SU_EUlST_E0_NS1_11comp_targetILNS1_3genE5ELNS1_11target_archE942ELNS1_3gpuE9ELNS1_3repE0EEENS1_30default_config_static_selectorELNS0_4arch9wavefront6targetE1EEEvT1_
    .private_segment_fixed_size: 0
    .sgpr_count:     106
    .sgpr_spill_count: 8
    .symbol:         _ZN7rocprim17ROCPRIM_400000_NS6detail17trampoline_kernelINS0_14default_configENS1_20scan_config_selectorIN3c108BFloat16EEEZZNS1_9scan_implILNS1_25lookback_scan_determinismE0ELb0ELb0ES3_PKS6_PS6_S6_ZZZN2at6native31launch_logcumsumexp_cuda_kernelERKNSD_10TensorBaseESH_lENKUlvE_clEvENKUlvE4_clEvEUlS6_S6_E_S6_EEDaPvRmT3_T4_T5_mT6_P12ihipStream_tbENKUlT_T0_E_clISt17integral_constantIbLb0EESX_IbLb1EEEEDaST_SU_EUlST_E0_NS1_11comp_targetILNS1_3genE5ELNS1_11target_archE942ELNS1_3gpuE9ELNS1_3repE0EEENS1_30default_config_static_selectorELNS0_4arch9wavefront6targetE1EEEvT1_.kd
    .uniform_work_group_size: 1
    .uses_dynamic_stack: false
    .vgpr_count:     78
    .vgpr_spill_count: 0
    .wavefront_size: 64
  - .agpr_count:     0
    .args:
      - .offset:         0
        .size:           32
        .value_kind:     by_value
    .group_segment_fixed_size: 0
    .kernarg_segment_align: 8
    .kernarg_segment_size: 32
    .language:       OpenCL C
    .language_version:
      - 2
      - 0
    .max_flat_workgroup_size: 64
    .name:           _ZN7rocprim17ROCPRIM_400000_NS6detail17trampoline_kernelINS0_14default_configENS1_20scan_config_selectorIN3c108BFloat16EEEZZNS1_9scan_implILNS1_25lookback_scan_determinismE0ELb0ELb0ES3_PKS6_PS6_S6_ZZZN2at6native31launch_logcumsumexp_cuda_kernelERKNSD_10TensorBaseESH_lENKUlvE_clEvENKUlvE4_clEvEUlS6_S6_E_S6_EEDaPvRmT3_T4_T5_mT6_P12ihipStream_tbENKUlT_T0_E_clISt17integral_constantIbLb0EESX_IbLb1EEEEDaST_SU_EUlST_E0_NS1_11comp_targetILNS1_3genE4ELNS1_11target_archE910ELNS1_3gpuE8ELNS1_3repE0EEENS1_30default_config_static_selectorELNS0_4arch9wavefront6targetE1EEEvT1_
    .private_segment_fixed_size: 0
    .sgpr_count:     6
    .sgpr_spill_count: 0
    .symbol:         _ZN7rocprim17ROCPRIM_400000_NS6detail17trampoline_kernelINS0_14default_configENS1_20scan_config_selectorIN3c108BFloat16EEEZZNS1_9scan_implILNS1_25lookback_scan_determinismE0ELb0ELb0ES3_PKS6_PS6_S6_ZZZN2at6native31launch_logcumsumexp_cuda_kernelERKNSD_10TensorBaseESH_lENKUlvE_clEvENKUlvE4_clEvEUlS6_S6_E_S6_EEDaPvRmT3_T4_T5_mT6_P12ihipStream_tbENKUlT_T0_E_clISt17integral_constantIbLb0EESX_IbLb1EEEEDaST_SU_EUlST_E0_NS1_11comp_targetILNS1_3genE4ELNS1_11target_archE910ELNS1_3gpuE8ELNS1_3repE0EEENS1_30default_config_static_selectorELNS0_4arch9wavefront6targetE1EEEvT1_.kd
    .uniform_work_group_size: 1
    .uses_dynamic_stack: false
    .vgpr_count:     0
    .vgpr_spill_count: 0
    .wavefront_size: 64
  - .agpr_count:     0
    .args:
      - .offset:         0
        .size:           32
        .value_kind:     by_value
    .group_segment_fixed_size: 0
    .kernarg_segment_align: 8
    .kernarg_segment_size: 32
    .language:       OpenCL C
    .language_version:
      - 2
      - 0
    .max_flat_workgroup_size: 128
    .name:           _ZN7rocprim17ROCPRIM_400000_NS6detail17trampoline_kernelINS0_14default_configENS1_20scan_config_selectorIN3c108BFloat16EEEZZNS1_9scan_implILNS1_25lookback_scan_determinismE0ELb0ELb0ES3_PKS6_PS6_S6_ZZZN2at6native31launch_logcumsumexp_cuda_kernelERKNSD_10TensorBaseESH_lENKUlvE_clEvENKUlvE4_clEvEUlS6_S6_E_S6_EEDaPvRmT3_T4_T5_mT6_P12ihipStream_tbENKUlT_T0_E_clISt17integral_constantIbLb0EESX_IbLb1EEEEDaST_SU_EUlST_E0_NS1_11comp_targetILNS1_3genE3ELNS1_11target_archE908ELNS1_3gpuE7ELNS1_3repE0EEENS1_30default_config_static_selectorELNS0_4arch9wavefront6targetE1EEEvT1_
    .private_segment_fixed_size: 0
    .sgpr_count:     6
    .sgpr_spill_count: 0
    .symbol:         _ZN7rocprim17ROCPRIM_400000_NS6detail17trampoline_kernelINS0_14default_configENS1_20scan_config_selectorIN3c108BFloat16EEEZZNS1_9scan_implILNS1_25lookback_scan_determinismE0ELb0ELb0ES3_PKS6_PS6_S6_ZZZN2at6native31launch_logcumsumexp_cuda_kernelERKNSD_10TensorBaseESH_lENKUlvE_clEvENKUlvE4_clEvEUlS6_S6_E_S6_EEDaPvRmT3_T4_T5_mT6_P12ihipStream_tbENKUlT_T0_E_clISt17integral_constantIbLb0EESX_IbLb1EEEEDaST_SU_EUlST_E0_NS1_11comp_targetILNS1_3genE3ELNS1_11target_archE908ELNS1_3gpuE7ELNS1_3repE0EEENS1_30default_config_static_selectorELNS0_4arch9wavefront6targetE1EEEvT1_.kd
    .uniform_work_group_size: 1
    .uses_dynamic_stack: false
    .vgpr_count:     0
    .vgpr_spill_count: 0
    .wavefront_size: 64
  - .agpr_count:     0
    .args:
      - .offset:         0
        .size:           32
        .value_kind:     by_value
    .group_segment_fixed_size: 0
    .kernarg_segment_align: 8
    .kernarg_segment_size: 32
    .language:       OpenCL C
    .language_version:
      - 2
      - 0
    .max_flat_workgroup_size: 256
    .name:           _ZN7rocprim17ROCPRIM_400000_NS6detail17trampoline_kernelINS0_14default_configENS1_20scan_config_selectorIN3c108BFloat16EEEZZNS1_9scan_implILNS1_25lookback_scan_determinismE0ELb0ELb0ES3_PKS6_PS6_S6_ZZZN2at6native31launch_logcumsumexp_cuda_kernelERKNSD_10TensorBaseESH_lENKUlvE_clEvENKUlvE4_clEvEUlS6_S6_E_S6_EEDaPvRmT3_T4_T5_mT6_P12ihipStream_tbENKUlT_T0_E_clISt17integral_constantIbLb0EESX_IbLb1EEEEDaST_SU_EUlST_E0_NS1_11comp_targetILNS1_3genE2ELNS1_11target_archE906ELNS1_3gpuE6ELNS1_3repE0EEENS1_30default_config_static_selectorELNS0_4arch9wavefront6targetE1EEEvT1_
    .private_segment_fixed_size: 0
    .sgpr_count:     6
    .sgpr_spill_count: 0
    .symbol:         _ZN7rocprim17ROCPRIM_400000_NS6detail17trampoline_kernelINS0_14default_configENS1_20scan_config_selectorIN3c108BFloat16EEEZZNS1_9scan_implILNS1_25lookback_scan_determinismE0ELb0ELb0ES3_PKS6_PS6_S6_ZZZN2at6native31launch_logcumsumexp_cuda_kernelERKNSD_10TensorBaseESH_lENKUlvE_clEvENKUlvE4_clEvEUlS6_S6_E_S6_EEDaPvRmT3_T4_T5_mT6_P12ihipStream_tbENKUlT_T0_E_clISt17integral_constantIbLb0EESX_IbLb1EEEEDaST_SU_EUlST_E0_NS1_11comp_targetILNS1_3genE2ELNS1_11target_archE906ELNS1_3gpuE6ELNS1_3repE0EEENS1_30default_config_static_selectorELNS0_4arch9wavefront6targetE1EEEvT1_.kd
    .uniform_work_group_size: 1
    .uses_dynamic_stack: false
    .vgpr_count:     0
    .vgpr_spill_count: 0
    .wavefront_size: 64
  - .agpr_count:     0
    .args:
      - .offset:         0
        .size:           32
        .value_kind:     by_value
    .group_segment_fixed_size: 0
    .kernarg_segment_align: 8
    .kernarg_segment_size: 32
    .language:       OpenCL C
    .language_version:
      - 2
      - 0
    .max_flat_workgroup_size: 256
    .name:           _ZN7rocprim17ROCPRIM_400000_NS6detail17trampoline_kernelINS0_14default_configENS1_20scan_config_selectorIN3c108BFloat16EEEZZNS1_9scan_implILNS1_25lookback_scan_determinismE0ELb0ELb0ES3_PKS6_PS6_S6_ZZZN2at6native31launch_logcumsumexp_cuda_kernelERKNSD_10TensorBaseESH_lENKUlvE_clEvENKUlvE4_clEvEUlS6_S6_E_S6_EEDaPvRmT3_T4_T5_mT6_P12ihipStream_tbENKUlT_T0_E_clISt17integral_constantIbLb0EESX_IbLb1EEEEDaST_SU_EUlST_E0_NS1_11comp_targetILNS1_3genE10ELNS1_11target_archE1201ELNS1_3gpuE5ELNS1_3repE0EEENS1_30default_config_static_selectorELNS0_4arch9wavefront6targetE1EEEvT1_
    .private_segment_fixed_size: 0
    .sgpr_count:     6
    .sgpr_spill_count: 0
    .symbol:         _ZN7rocprim17ROCPRIM_400000_NS6detail17trampoline_kernelINS0_14default_configENS1_20scan_config_selectorIN3c108BFloat16EEEZZNS1_9scan_implILNS1_25lookback_scan_determinismE0ELb0ELb0ES3_PKS6_PS6_S6_ZZZN2at6native31launch_logcumsumexp_cuda_kernelERKNSD_10TensorBaseESH_lENKUlvE_clEvENKUlvE4_clEvEUlS6_S6_E_S6_EEDaPvRmT3_T4_T5_mT6_P12ihipStream_tbENKUlT_T0_E_clISt17integral_constantIbLb0EESX_IbLb1EEEEDaST_SU_EUlST_E0_NS1_11comp_targetILNS1_3genE10ELNS1_11target_archE1201ELNS1_3gpuE5ELNS1_3repE0EEENS1_30default_config_static_selectorELNS0_4arch9wavefront6targetE1EEEvT1_.kd
    .uniform_work_group_size: 1
    .uses_dynamic_stack: false
    .vgpr_count:     0
    .vgpr_spill_count: 0
    .wavefront_size: 64
  - .agpr_count:     0
    .args:
      - .offset:         0
        .size:           32
        .value_kind:     by_value
    .group_segment_fixed_size: 0
    .kernarg_segment_align: 8
    .kernarg_segment_size: 32
    .language:       OpenCL C
    .language_version:
      - 2
      - 0
    .max_flat_workgroup_size: 256
    .name:           _ZN7rocprim17ROCPRIM_400000_NS6detail17trampoline_kernelINS0_14default_configENS1_20scan_config_selectorIN3c108BFloat16EEEZZNS1_9scan_implILNS1_25lookback_scan_determinismE0ELb0ELb0ES3_PKS6_PS6_S6_ZZZN2at6native31launch_logcumsumexp_cuda_kernelERKNSD_10TensorBaseESH_lENKUlvE_clEvENKUlvE4_clEvEUlS6_S6_E_S6_EEDaPvRmT3_T4_T5_mT6_P12ihipStream_tbENKUlT_T0_E_clISt17integral_constantIbLb0EESX_IbLb1EEEEDaST_SU_EUlST_E0_NS1_11comp_targetILNS1_3genE10ELNS1_11target_archE1200ELNS1_3gpuE4ELNS1_3repE0EEENS1_30default_config_static_selectorELNS0_4arch9wavefront6targetE1EEEvT1_
    .private_segment_fixed_size: 0
    .sgpr_count:     6
    .sgpr_spill_count: 0
    .symbol:         _ZN7rocprim17ROCPRIM_400000_NS6detail17trampoline_kernelINS0_14default_configENS1_20scan_config_selectorIN3c108BFloat16EEEZZNS1_9scan_implILNS1_25lookback_scan_determinismE0ELb0ELb0ES3_PKS6_PS6_S6_ZZZN2at6native31launch_logcumsumexp_cuda_kernelERKNSD_10TensorBaseESH_lENKUlvE_clEvENKUlvE4_clEvEUlS6_S6_E_S6_EEDaPvRmT3_T4_T5_mT6_P12ihipStream_tbENKUlT_T0_E_clISt17integral_constantIbLb0EESX_IbLb1EEEEDaST_SU_EUlST_E0_NS1_11comp_targetILNS1_3genE10ELNS1_11target_archE1200ELNS1_3gpuE4ELNS1_3repE0EEENS1_30default_config_static_selectorELNS0_4arch9wavefront6targetE1EEEvT1_.kd
    .uniform_work_group_size: 1
    .uses_dynamic_stack: false
    .vgpr_count:     0
    .vgpr_spill_count: 0
    .wavefront_size: 64
  - .agpr_count:     0
    .args:
      - .offset:         0
        .size:           32
        .value_kind:     by_value
    .group_segment_fixed_size: 0
    .kernarg_segment_align: 8
    .kernarg_segment_size: 32
    .language:       OpenCL C
    .language_version:
      - 2
      - 0
    .max_flat_workgroup_size: 64
    .name:           _ZN7rocprim17ROCPRIM_400000_NS6detail17trampoline_kernelINS0_14default_configENS1_20scan_config_selectorIN3c108BFloat16EEEZZNS1_9scan_implILNS1_25lookback_scan_determinismE0ELb0ELb0ES3_PKS6_PS6_S6_ZZZN2at6native31launch_logcumsumexp_cuda_kernelERKNSD_10TensorBaseESH_lENKUlvE_clEvENKUlvE4_clEvEUlS6_S6_E_S6_EEDaPvRmT3_T4_T5_mT6_P12ihipStream_tbENKUlT_T0_E_clISt17integral_constantIbLb0EESX_IbLb1EEEEDaST_SU_EUlST_E0_NS1_11comp_targetILNS1_3genE9ELNS1_11target_archE1100ELNS1_3gpuE3ELNS1_3repE0EEENS1_30default_config_static_selectorELNS0_4arch9wavefront6targetE1EEEvT1_
    .private_segment_fixed_size: 0
    .sgpr_count:     6
    .sgpr_spill_count: 0
    .symbol:         _ZN7rocprim17ROCPRIM_400000_NS6detail17trampoline_kernelINS0_14default_configENS1_20scan_config_selectorIN3c108BFloat16EEEZZNS1_9scan_implILNS1_25lookback_scan_determinismE0ELb0ELb0ES3_PKS6_PS6_S6_ZZZN2at6native31launch_logcumsumexp_cuda_kernelERKNSD_10TensorBaseESH_lENKUlvE_clEvENKUlvE4_clEvEUlS6_S6_E_S6_EEDaPvRmT3_T4_T5_mT6_P12ihipStream_tbENKUlT_T0_E_clISt17integral_constantIbLb0EESX_IbLb1EEEEDaST_SU_EUlST_E0_NS1_11comp_targetILNS1_3genE9ELNS1_11target_archE1100ELNS1_3gpuE3ELNS1_3repE0EEENS1_30default_config_static_selectorELNS0_4arch9wavefront6targetE1EEEvT1_.kd
    .uniform_work_group_size: 1
    .uses_dynamic_stack: false
    .vgpr_count:     0
    .vgpr_spill_count: 0
    .wavefront_size: 64
  - .agpr_count:     0
    .args:
      - .offset:         0
        .size:           32
        .value_kind:     by_value
    .group_segment_fixed_size: 0
    .kernarg_segment_align: 8
    .kernarg_segment_size: 32
    .language:       OpenCL C
    .language_version:
      - 2
      - 0
    .max_flat_workgroup_size: 64
    .name:           _ZN7rocprim17ROCPRIM_400000_NS6detail17trampoline_kernelINS0_14default_configENS1_20scan_config_selectorIN3c108BFloat16EEEZZNS1_9scan_implILNS1_25lookback_scan_determinismE0ELb0ELb0ES3_PKS6_PS6_S6_ZZZN2at6native31launch_logcumsumexp_cuda_kernelERKNSD_10TensorBaseESH_lENKUlvE_clEvENKUlvE4_clEvEUlS6_S6_E_S6_EEDaPvRmT3_T4_T5_mT6_P12ihipStream_tbENKUlT_T0_E_clISt17integral_constantIbLb0EESX_IbLb1EEEEDaST_SU_EUlST_E0_NS1_11comp_targetILNS1_3genE8ELNS1_11target_archE1030ELNS1_3gpuE2ELNS1_3repE0EEENS1_30default_config_static_selectorELNS0_4arch9wavefront6targetE1EEEvT1_
    .private_segment_fixed_size: 0
    .sgpr_count:     6
    .sgpr_spill_count: 0
    .symbol:         _ZN7rocprim17ROCPRIM_400000_NS6detail17trampoline_kernelINS0_14default_configENS1_20scan_config_selectorIN3c108BFloat16EEEZZNS1_9scan_implILNS1_25lookback_scan_determinismE0ELb0ELb0ES3_PKS6_PS6_S6_ZZZN2at6native31launch_logcumsumexp_cuda_kernelERKNSD_10TensorBaseESH_lENKUlvE_clEvENKUlvE4_clEvEUlS6_S6_E_S6_EEDaPvRmT3_T4_T5_mT6_P12ihipStream_tbENKUlT_T0_E_clISt17integral_constantIbLb0EESX_IbLb1EEEEDaST_SU_EUlST_E0_NS1_11comp_targetILNS1_3genE8ELNS1_11target_archE1030ELNS1_3gpuE2ELNS1_3repE0EEENS1_30default_config_static_selectorELNS0_4arch9wavefront6targetE1EEEvT1_.kd
    .uniform_work_group_size: 1
    .uses_dynamic_stack: false
    .vgpr_count:     0
    .vgpr_spill_count: 0
    .wavefront_size: 64
  - .agpr_count:     0
    .args:
      - .address_space:  global
        .offset:         0
        .size:           8
        .value_kind:     global_buffer
      - .address_space:  global
        .offset:         8
        .size:           8
        .value_kind:     global_buffer
      - .offset:         16
        .size:           4
        .value_kind:     by_value
      - .offset:         20
        .size:           4
        .value_kind:     by_value
      - .offset:         24
        .size:           4
        .value_kind:     by_value
      - .offset:         28
        .size:           2
        .value_kind:     by_value
      - .offset:         30
        .size:           1
        .value_kind:     by_value
      - .offset:         32
        .size:           4
        .value_kind:     hidden_block_count_x
      - .offset:         36
        .size:           4
        .value_kind:     hidden_block_count_y
      - .offset:         40
        .size:           4
        .value_kind:     hidden_block_count_z
      - .offset:         44
        .size:           2
        .value_kind:     hidden_group_size_x
      - .offset:         46
        .size:           2
        .value_kind:     hidden_group_size_y
      - .offset:         48
        .size:           2
        .value_kind:     hidden_group_size_z
      - .offset:         50
        .size:           2
        .value_kind:     hidden_remainder_x
      - .offset:         52
        .size:           2
        .value_kind:     hidden_remainder_y
      - .offset:         54
        .size:           2
        .value_kind:     hidden_remainder_z
      - .offset:         72
        .size:           8
        .value_kind:     hidden_global_offset_x
      - .offset:         80
        .size:           8
        .value_kind:     hidden_global_offset_y
      - .offset:         88
        .size:           8
        .value_kind:     hidden_global_offset_z
      - .offset:         96
        .size:           2
        .value_kind:     hidden_grid_dims
      - .offset:         152
        .size:           4
        .value_kind:     hidden_dynamic_lds_size
    .group_segment_fixed_size: 0
    .kernarg_segment_align: 8
    .kernarg_segment_size: 288
    .language:       OpenCL C
    .language_version:
      - 2
      - 0
    .max_flat_workgroup_size: 1024
    .name:           _ZN2at6native32tensor_kernel_scan_innermost_dimIN3c108BFloat16EZZZNS0_31launch_logcumsumexp_cuda_kernelERKNS_10TensorBaseES6_lENKUlvE_clEvENKUlvE4_clEvEUlS3_S3_E_EEvPT_PKSA_jjjSA_T0_
    .private_segment_fixed_size: 0
    .sgpr_count:     52
    .sgpr_spill_count: 0
    .symbol:         _ZN2at6native32tensor_kernel_scan_innermost_dimIN3c108BFloat16EZZZNS0_31launch_logcumsumexp_cuda_kernelERKNS_10TensorBaseES6_lENKUlvE_clEvENKUlvE4_clEvEUlS3_S3_E_EEvPT_PKSA_jjjSA_T0_.kd
    .uniform_work_group_size: 1
    .uses_dynamic_stack: false
    .vgpr_count:     41
    .vgpr_spill_count: 0
    .wavefront_size: 64
  - .agpr_count:     0
    .args:
      - .address_space:  global
        .offset:         0
        .size:           8
        .value_kind:     global_buffer
      - .address_space:  global
        .offset:         8
        .size:           8
        .value_kind:     global_buffer
      - .offset:         16
        .size:           4
        .value_kind:     by_value
      - .offset:         20
        .size:           4
        .value_kind:     by_value
      - .offset:         24
        .size:           4
        .value_kind:     by_value
      - .offset:         28
        .size:           2
        .value_kind:     by_value
      - .offset:         30
        .size:           1
        .value_kind:     by_value
      - .offset:         32
        .size:           4
        .value_kind:     hidden_block_count_x
      - .offset:         36
        .size:           4
        .value_kind:     hidden_block_count_y
      - .offset:         40
        .size:           4
        .value_kind:     hidden_block_count_z
      - .offset:         44
        .size:           2
        .value_kind:     hidden_group_size_x
      - .offset:         46
        .size:           2
        .value_kind:     hidden_group_size_y
      - .offset:         48
        .size:           2
        .value_kind:     hidden_group_size_z
      - .offset:         50
        .size:           2
        .value_kind:     hidden_remainder_x
      - .offset:         52
        .size:           2
        .value_kind:     hidden_remainder_y
      - .offset:         54
        .size:           2
        .value_kind:     hidden_remainder_z
      - .offset:         72
        .size:           8
        .value_kind:     hidden_global_offset_x
      - .offset:         80
        .size:           8
        .value_kind:     hidden_global_offset_y
      - .offset:         88
        .size:           8
        .value_kind:     hidden_global_offset_z
      - .offset:         96
        .size:           2
        .value_kind:     hidden_grid_dims
    .group_segment_fixed_size: 0
    .kernarg_segment_align: 8
    .kernarg_segment_size: 288
    .language:       OpenCL C
    .language_version:
      - 2
      - 0
    .max_flat_workgroup_size: 1024
    .name:           _ZN2at6native28tensor_kernel_scan_outer_dimIN3c108BFloat16EjZZZNS0_31launch_logcumsumexp_cuda_kernelERKNS_10TensorBaseES6_lENKUlvE_clEvENKUlvE4_clEvEUlS3_S3_E_EEvPT_PKSA_jjjSA_T1_
    .private_segment_fixed_size: 0
    .sgpr_count:     50
    .sgpr_spill_count: 0
    .symbol:         _ZN2at6native28tensor_kernel_scan_outer_dimIN3c108BFloat16EjZZZNS0_31launch_logcumsumexp_cuda_kernelERKNS_10TensorBaseES6_lENKUlvE_clEvENKUlvE4_clEvEUlS3_S3_E_EEvPT_PKSA_jjjSA_T1_.kd
    .uniform_work_group_size: 1
    .uses_dynamic_stack: false
    .vgpr_count:     28
    .vgpr_spill_count: 0
    .wavefront_size: 64
  - .agpr_count:     0
    .args:
      - .address_space:  global
        .offset:         0
        .size:           8
        .value_kind:     global_buffer
      - .address_space:  global
        .offset:         8
        .size:           8
        .value_kind:     global_buffer
      - .offset:         16
        .size:           4
        .value_kind:     by_value
      - .offset:         20
        .size:           4
        .value_kind:     by_value
      - .offset:         24
        .size:           4
        .value_kind:     by_value
      - .offset:         28
        .size:           2
        .value_kind:     by_value
      - .offset:         30
        .size:           1
        .value_kind:     by_value
      - .offset:         32
        .size:           4
        .value_kind:     hidden_block_count_x
      - .offset:         36
        .size:           4
        .value_kind:     hidden_block_count_y
      - .offset:         40
        .size:           4
        .value_kind:     hidden_block_count_z
      - .offset:         44
        .size:           2
        .value_kind:     hidden_group_size_x
      - .offset:         46
        .size:           2
        .value_kind:     hidden_group_size_y
      - .offset:         48
        .size:           2
        .value_kind:     hidden_group_size_z
      - .offset:         50
        .size:           2
        .value_kind:     hidden_remainder_x
      - .offset:         52
        .size:           2
        .value_kind:     hidden_remainder_y
      - .offset:         54
        .size:           2
        .value_kind:     hidden_remainder_z
      - .offset:         72
        .size:           8
        .value_kind:     hidden_global_offset_x
      - .offset:         80
        .size:           8
        .value_kind:     hidden_global_offset_y
      - .offset:         88
        .size:           8
        .value_kind:     hidden_global_offset_z
      - .offset:         96
        .size:           2
        .value_kind:     hidden_grid_dims
    .group_segment_fixed_size: 0
    .kernarg_segment_align: 8
    .kernarg_segment_size: 288
    .language:       OpenCL C
    .language_version:
      - 2
      - 0
    .max_flat_workgroup_size: 1024
    .name:           _ZN2at6native28tensor_kernel_scan_outer_dimIN3c108BFloat16EmZZZNS0_31launch_logcumsumexp_cuda_kernelERKNS_10TensorBaseES6_lENKUlvE_clEvENKUlvE4_clEvEUlS3_S3_E_EEvPT_PKSA_jjjSA_T1_
    .private_segment_fixed_size: 0
    .sgpr_count:     50
    .sgpr_spill_count: 0
    .symbol:         _ZN2at6native28tensor_kernel_scan_outer_dimIN3c108BFloat16EmZZZNS0_31launch_logcumsumexp_cuda_kernelERKNS_10TensorBaseES6_lENKUlvE_clEvENKUlvE4_clEvEUlS3_S3_E_EEvPT_PKSA_jjjSA_T1_.kd
    .uniform_work_group_size: 1
    .uses_dynamic_stack: false
    .vgpr_count:     28
    .vgpr_spill_count: 0
    .wavefront_size: 64
amdhsa.target:   amdgcn-amd-amdhsa--gfx942
amdhsa.version:
  - 1
  - 2
...

	.end_amdgpu_metadata
